;; amdgpu-corpus repo=pytorch/pytorch kind=compiled arch=gfx90a opt=O3
	.text
	.amdgcn_target "amdgcn-amd-amdhsa--gfx90a"
	.amdhsa_code_object_version 6
	.section	.text._ZN2at6native6mbtopk4fillIjjEEvPT_S3_T0_,"axG",@progbits,_ZN2at6native6mbtopk4fillIjjEEvPT_S3_T0_,comdat
	.protected	_ZN2at6native6mbtopk4fillIjjEEvPT_S3_T0_ ; -- Begin function _ZN2at6native6mbtopk4fillIjjEEvPT_S3_T0_
	.globl	_ZN2at6native6mbtopk4fillIjjEEvPT_S3_T0_
	.p2align	8
	.type	_ZN2at6native6mbtopk4fillIjjEEvPT_S3_T0_,@function
_ZN2at6native6mbtopk4fillIjjEEvPT_S3_T0_: ; @_ZN2at6native6mbtopk4fillIjjEEvPT_S3_T0_
; %bb.0:
	s_load_dword s2, s[4:5], 0x1c
	s_load_dwordx2 s[0:1], s[4:5], 0x8
	s_add_u32 s8, s4, 16
	s_addc_u32 s9, s5, 0
	s_waitcnt lgkmcnt(0)
	s_and_b32 s7, s2, 0xffff
	s_mul_i32 s6, s6, s7
	v_add_u32_e32 v0, s6, v0
	v_cmp_gt_u32_e32 vcc, s1, v0
	s_and_saveexec_b64 s[2:3], vcc
	s_cbranch_execz .LBB0_3
; %bb.1:
	s_load_dword s6, s[8:9], 0x0
	s_load_dwordx2 s[2:3], s[4:5], 0x0
	s_mov_b64 s[4:5], 0
	v_mov_b32_e32 v1, 0
	v_mov_b32_e32 v3, s0
	s_waitcnt lgkmcnt(0)
	s_mul_i32 s6, s6, s7
	v_mov_b32_e32 v2, s3
.LBB0_2:                                ; =>This Inner Loop Header: Depth=1
	v_lshlrev_b64 v[4:5], 2, v[0:1]
	v_add_co_u32_e32 v4, vcc, s2, v4
	v_add_u32_e32 v0, s6, v0
	v_addc_co_u32_e32 v5, vcc, v2, v5, vcc
	v_cmp_le_u32_e32 vcc, s1, v0
	s_or_b64 s[4:5], vcc, s[4:5]
	global_store_dword v[4:5], v3, off
	s_andn2_b64 exec, exec, s[4:5]
	s_cbranch_execnz .LBB0_2
.LBB0_3:
	s_endpgm
	.section	.rodata,"a",@progbits
	.p2align	6, 0x0
	.amdhsa_kernel _ZN2at6native6mbtopk4fillIjjEEvPT_S3_T0_
		.amdhsa_group_segment_fixed_size 0
		.amdhsa_private_segment_fixed_size 0
		.amdhsa_kernarg_size 272
		.amdhsa_user_sgpr_count 6
		.amdhsa_user_sgpr_private_segment_buffer 1
		.amdhsa_user_sgpr_dispatch_ptr 0
		.amdhsa_user_sgpr_queue_ptr 0
		.amdhsa_user_sgpr_kernarg_segment_ptr 1
		.amdhsa_user_sgpr_dispatch_id 0
		.amdhsa_user_sgpr_flat_scratch_init 0
		.amdhsa_user_sgpr_kernarg_preload_length 0
		.amdhsa_user_sgpr_kernarg_preload_offset 0
		.amdhsa_user_sgpr_private_segment_size 0
		.amdhsa_uses_dynamic_stack 0
		.amdhsa_system_sgpr_private_segment_wavefront_offset 0
		.amdhsa_system_sgpr_workgroup_id_x 1
		.amdhsa_system_sgpr_workgroup_id_y 0
		.amdhsa_system_sgpr_workgroup_id_z 0
		.amdhsa_system_sgpr_workgroup_info 0
		.amdhsa_system_vgpr_workitem_id 0
		.amdhsa_next_free_vgpr 6
		.amdhsa_next_free_sgpr 10
		.amdhsa_accum_offset 8
		.amdhsa_reserve_vcc 1
		.amdhsa_reserve_flat_scratch 0
		.amdhsa_float_round_mode_32 0
		.amdhsa_float_round_mode_16_64 0
		.amdhsa_float_denorm_mode_32 3
		.amdhsa_float_denorm_mode_16_64 3
		.amdhsa_dx10_clamp 1
		.amdhsa_ieee_mode 1
		.amdhsa_fp16_overflow 0
		.amdhsa_tg_split 0
		.amdhsa_exception_fp_ieee_invalid_op 0
		.amdhsa_exception_fp_denorm_src 0
		.amdhsa_exception_fp_ieee_div_zero 0
		.amdhsa_exception_fp_ieee_overflow 0
		.amdhsa_exception_fp_ieee_underflow 0
		.amdhsa_exception_fp_ieee_inexact 0
		.amdhsa_exception_int_div_zero 0
	.end_amdhsa_kernel
	.section	.text._ZN2at6native6mbtopk4fillIjjEEvPT_S3_T0_,"axG",@progbits,_ZN2at6native6mbtopk4fillIjjEEvPT_S3_T0_,comdat
.Lfunc_end0:
	.size	_ZN2at6native6mbtopk4fillIjjEEvPT_S3_T0_, .Lfunc_end0-_ZN2at6native6mbtopk4fillIjjEEvPT_S3_T0_
                                        ; -- End function
	.section	.AMDGPU.csdata,"",@progbits
; Kernel info:
; codeLenInByte = 144
; NumSgprs: 14
; NumVgprs: 6
; NumAgprs: 0
; TotalNumVgprs: 6
; ScratchSize: 0
; MemoryBound: 0
; FloatMode: 240
; IeeeMode: 1
; LDSByteSize: 0 bytes/workgroup (compile time only)
; SGPRBlocks: 1
; VGPRBlocks: 0
; NumSGPRsForWavesPerEU: 14
; NumVGPRsForWavesPerEU: 6
; AccumOffset: 8
; Occupancy: 8
; WaveLimiterHint : 0
; COMPUTE_PGM_RSRC2:SCRATCH_EN: 0
; COMPUTE_PGM_RSRC2:USER_SGPR: 6
; COMPUTE_PGM_RSRC2:TRAP_HANDLER: 0
; COMPUTE_PGM_RSRC2:TGID_X_EN: 1
; COMPUTE_PGM_RSRC2:TGID_Y_EN: 0
; COMPUTE_PGM_RSRC2:TGID_Z_EN: 0
; COMPUTE_PGM_RSRC2:TIDIG_COMP_CNT: 0
; COMPUTE_PGM_RSRC3_GFX90A:ACCUM_OFFSET: 1
; COMPUTE_PGM_RSRC3_GFX90A:TG_SPLIT: 0
	.section	.text._ZN2at6native6mbtopk23computeBlockDigitCountsIhjjLi1EEEvNS_4cuda6detail10TensorInfoIKT_T0_EEjPjjS8_iijT1_PSB_Ps,"axG",@progbits,_ZN2at6native6mbtopk23computeBlockDigitCountsIhjjLi1EEEvNS_4cuda6detail10TensorInfoIKT_T0_EEjPjjS8_iijT1_PSB_Ps,comdat
	.protected	_ZN2at6native6mbtopk23computeBlockDigitCountsIhjjLi1EEEvNS_4cuda6detail10TensorInfoIKT_T0_EEjPjjS8_iijT1_PSB_Ps ; -- Begin function _ZN2at6native6mbtopk23computeBlockDigitCountsIhjjLi1EEEvNS_4cuda6detail10TensorInfoIKT_T0_EEjPjjS8_iijT1_PSB_Ps
	.globl	_ZN2at6native6mbtopk23computeBlockDigitCountsIhjjLi1EEEvNS_4cuda6detail10TensorInfoIKT_T0_EEjPjjS8_iijT1_PSB_Ps
	.p2align	8
	.type	_ZN2at6native6mbtopk23computeBlockDigitCountsIhjjLi1EEEvNS_4cuda6detail10TensorInfoIKT_T0_EEjPjjS8_iijT1_PSB_Ps,@function
_ZN2at6native6mbtopk23computeBlockDigitCountsIhjjLi1EEEvNS_4cuda6detail10TensorInfoIKT_T0_EEjPjjS8_iijT1_PSB_Ps: ; @_ZN2at6native6mbtopk23computeBlockDigitCountsIhjjLi1EEEvNS_4cuda6detail10TensorInfoIKT_T0_EEjPjjS8_iijT1_PSB_Ps
; %bb.0:
	s_load_dwordx2 s[10:11], s[4:5], 0xf8
	s_load_dwordx4 s[12:15], s[4:5], 0xe8
	s_load_dwordx2 s[0:1], s[4:5], 0x110
	s_waitcnt lgkmcnt(0)
	v_cvt_f32_u32_e32 v1, s10
	s_sub_i32 s2, 0, s10
	s_mul_i32 s1, s1, s8
	s_add_i32 s1, s1, s7
	v_rcp_iflag_f32_e32 v1, v1
	s_mul_i32 s16, s1, s0
	s_add_i32 s16, s16, s6
	s_mov_b32 s7, 0
	v_mul_f32_e32 v1, 0x4f7ffffe, v1
	v_cvt_u32_f32_e32 v1, v1
	v_readfirstlane_b32 s0, v1
	s_mul_i32 s2, s2, s0
	s_mul_hi_u32 s1, s0, s2
	s_add_i32 s0, s0, s1
	s_mul_hi_u32 s0, s16, s0
	s_mul_i32 s1, s0, s10
	s_sub_i32 s1, s16, s1
	s_add_i32 s2, s0, 1
	s_sub_i32 s3, s1, s10
	s_cmp_ge_u32 s1, s10
	s_cselect_b32 s0, s2, s0
	s_cselect_b32 s1, s3, s1
	s_add_i32 s2, s0, 1
	s_cmp_ge_u32 s1, s10
	s_cselect_b32 s6, s2, s0
	s_cmp_ge_u32 s6, s12
	s_cbranch_scc1 .LBB1_29
; %bb.1:
	s_load_dwordx4 s[0:3], s[4:5], 0x100
	s_lshl_b64 s[8:9], s[6:7], 2
	s_movk_i32 s7, 0x100
	v_cmp_gt_u32_e32 vcc, s7, v0
	v_lshlrev_b32_e32 v1, 2, v0
	s_waitcnt lgkmcnt(0)
	s_add_u32 s0, s0, s8
	s_addc_u32 s1, s1, s9
	s_and_saveexec_b64 s[8:9], vcc
	s_cbranch_execz .LBB1_3
; %bb.2:
	v_mov_b32_e32 v2, 0
	ds_write_b32 v1, v2
.LBB1_3:
	s_or_b64 exec, exec, s[8:9]
	s_load_dword s8, s[4:5], 0xd8
	s_mul_i32 s7, s6, s10
	s_sub_i32 s7, s16, s7
	s_add_i32 s9, s7, 1
	s_mul_i32 s7, s15, s7
	s_lshl_b32 s12, s7, 8
	s_waitcnt lgkmcnt(0)
	s_sub_i32 s7, s8, s12
	s_add_u32 s7, s7, 0xff
	s_addc_u32 s17, 0, 0
	v_mov_b32_e32 v2, s7
	v_alignbit_b32 v2, s17, v2, 8
	s_cmp_lt_u32 s9, s10
	v_readfirstlane_b32 s7, v2
	s_cselect_b32 s17, s15, s7
	s_cmp_lt_i32 s17, 1
	s_mov_b32 s15, 0
	s_barrier
	s_cbranch_scc1 .LBB1_25
; %bb.4:
	s_load_dword s7, s[4:5], 0x6c
	s_load_dwordx2 s[18:19], s[4:5], 0x0
	s_load_dword s9, s[0:1], 0x0
	s_waitcnt lgkmcnt(0)
	s_mul_i32 s7, s7, s6
	s_add_u32 s4, s18, s7
	s_addc_u32 s5, s19, 0
	s_and_b32 s10, s14, 0xff
	s_cmp_lt_u32 s17, 4
	s_cbranch_scc1 .LBB1_19
; %bb.5:
	v_add_u32_e32 v6, s12, v0
	v_add_u32_e32 v2, 0x300, v6
	;; [unrolled: 1-line block ×4, first 2 shown]
	s_and_b32 s15, s17, 0x7ffffffc
	v_mul_lo_u32 v3, s13, v2
	s_lshl_b32 s14, s13, 10
	v_mul_lo_u32 v4, s13, v4
	v_mul_lo_u32 v5, s13, v5
	;; [unrolled: 1-line block ×3, first 2 shown]
	s_mov_b32 s18, 0
	v_mov_b32_e32 v7, 1
	s_mov_b32 s19, 0
	s_branch .LBB1_7
.LBB1_6:                                ;   in Loop: Header=BB1_7 Depth=1
	s_or_b64 exec, exec, s[6:7]
	s_add_i32 s19, s19, 4
	s_add_i32 s18, s18, s14
	s_cmp_eq_u32 s15, s19
	v_add_u32_e32 v2, 0x400, v2
	s_cbranch_scc1 .LBB1_19
.LBB1_7:                                ; =>This Inner Loop Header: Depth=1
	v_add_u32_e32 v8, 0xfffffd00, v2
	v_cmp_gt_u32_e64 s[0:1], s8, v8
	s_and_saveexec_b64 s[6:7], s[0:1]
	s_cbranch_execz .LBB1_10
; %bb.8:                                ;   in Loop: Header=BB1_7 Depth=1
	v_add_u32_e32 v8, s18, v6
	global_load_ubyte v8, v8, s[4:5]
	s_waitcnt vmcnt(0)
	v_xor_b32_e32 v9, s9, v8
	v_and_b32_e32 v9, s11, v9
	v_cmp_eq_u32_e64 s[0:1], 0, v9
	s_and_b64 exec, exec, s[0:1]
	s_cbranch_execz .LBB1_10
; %bb.9:                                ;   in Loop: Header=BB1_7 Depth=1
	v_lshrrev_b32_e32 v8, s10, v8
	v_lshlrev_b32_e32 v8, 2, v8
	ds_add_u32 v8, v7
.LBB1_10:                               ;   in Loop: Header=BB1_7 Depth=1
	s_or_b64 exec, exec, s[6:7]
	v_add_u32_e32 v8, 0xfffffe00, v2
	v_cmp_gt_u32_e64 s[0:1], s8, v8
	s_and_saveexec_b64 s[6:7], s[0:1]
	s_cbranch_execz .LBB1_13
; %bb.11:                               ;   in Loop: Header=BB1_7 Depth=1
	v_add_u32_e32 v8, s18, v5
	global_load_ubyte v8, v8, s[4:5]
	s_waitcnt vmcnt(0)
	v_xor_b32_e32 v9, s9, v8
	v_and_b32_e32 v9, s11, v9
	v_cmp_eq_u32_e64 s[0:1], 0, v9
	s_and_b64 exec, exec, s[0:1]
	s_cbranch_execz .LBB1_13
; %bb.12:                               ;   in Loop: Header=BB1_7 Depth=1
	v_lshrrev_b32_e32 v8, s10, v8
	v_lshlrev_b32_e32 v8, 2, v8
	ds_add_u32 v8, v7
.LBB1_13:                               ;   in Loop: Header=BB1_7 Depth=1
	s_or_b64 exec, exec, s[6:7]
	v_add_u32_e32 v8, 0xffffff00, v2
	v_cmp_gt_u32_e64 s[0:1], s8, v8
	s_and_saveexec_b64 s[6:7], s[0:1]
	s_cbranch_execz .LBB1_16
; %bb.14:                               ;   in Loop: Header=BB1_7 Depth=1
	v_add_u32_e32 v8, s18, v4
	global_load_ubyte v8, v8, s[4:5]
	s_waitcnt vmcnt(0)
	v_xor_b32_e32 v9, s9, v8
	v_and_b32_e32 v9, s11, v9
	v_cmp_eq_u32_e64 s[0:1], 0, v9
	s_and_b64 exec, exec, s[0:1]
	s_cbranch_execz .LBB1_16
; %bb.15:                               ;   in Loop: Header=BB1_7 Depth=1
	v_lshrrev_b32_e32 v8, s10, v8
	v_lshlrev_b32_e32 v8, 2, v8
	ds_add_u32 v8, v7
.LBB1_16:                               ;   in Loop: Header=BB1_7 Depth=1
	s_or_b64 exec, exec, s[6:7]
	v_cmp_gt_u32_e64 s[0:1], s8, v2
	s_and_saveexec_b64 s[6:7], s[0:1]
	s_cbranch_execz .LBB1_6
; %bb.17:                               ;   in Loop: Header=BB1_7 Depth=1
	v_add_u32_e32 v8, s18, v3
	global_load_ubyte v8, v8, s[4:5]
	s_waitcnt vmcnt(0)
	v_xor_b32_e32 v9, s9, v8
	v_and_b32_e32 v9, s11, v9
	v_cmp_eq_u32_e64 s[0:1], 0, v9
	s_and_b64 exec, exec, s[0:1]
	s_cbranch_execz .LBB1_6
; %bb.18:                               ;   in Loop: Header=BB1_7 Depth=1
	v_lshrrev_b32_e32 v8, s10, v8
	v_lshlrev_b32_e32 v8, 2, v8
	ds_add_u32 v8, v7
	s_branch .LBB1_6
.LBB1_19:
	s_and_b32 s14, s17, 3
	s_cmp_eq_u32 s14, 0
	s_cbranch_scc1 .LBB1_25
; %bb.20:
	s_lshl_b32 s0, s15, 8
	s_add_i32 s0, s0, s12
	v_add_u32_e32 v2, s0, v0
	v_mul_lo_u32 v3, s13, v2
	s_lshl_b32 s12, s13, 8
	v_mov_b32_e32 v4, 1
	s_branch .LBB1_22
.LBB1_21:                               ;   in Loop: Header=BB1_22 Depth=1
	s_or_b64 exec, exec, s[6:7]
	s_add_i32 s14, s14, -1
	v_add_u32_e32 v3, s12, v3
	s_cmp_lg_u32 s14, 0
	v_add_u32_e32 v2, 0x100, v2
	s_cbranch_scc0 .LBB1_25
.LBB1_22:                               ; =>This Inner Loop Header: Depth=1
	v_cmp_gt_u32_e64 s[0:1], s8, v2
	s_and_saveexec_b64 s[6:7], s[0:1]
	s_cbranch_execz .LBB1_21
; %bb.23:                               ;   in Loop: Header=BB1_22 Depth=1
	global_load_ubyte v5, v3, s[4:5]
	s_waitcnt vmcnt(0)
	v_xor_b32_e32 v6, s9, v5
	v_and_b32_e32 v6, s11, v6
	v_cmp_eq_u32_e64 s[0:1], 0, v6
	s_and_b64 exec, exec, s[0:1]
	s_cbranch_execz .LBB1_21
; %bb.24:                               ;   in Loop: Header=BB1_22 Depth=1
	v_lshrrev_b32_e32 v5, s10, v5
	v_lshlrev_b32_e32 v5, 2, v5
	ds_add_u32 v5, v4
	s_branch .LBB1_21
.LBB1_25:
	v_mov_b32_e32 v2, 0
	s_waitcnt lgkmcnt(0)
	s_barrier
	s_and_saveexec_b64 s[0:1], vcc
	s_cbranch_execz .LBB1_27
; %bb.26:
	ds_read_b32 v2, v1
.LBB1_27:
	s_or_b64 exec, exec, s[0:1]
	s_and_saveexec_b64 s[0:1], vcc
	s_cbranch_execz .LBB1_29
; %bb.28:
	v_lshl_or_b32 v0, s16, 8, v0
	v_mov_b32_e32 v1, 0
	v_lshlrev_b64 v[0:1], 1, v[0:1]
	v_mov_b32_e32 v3, s3
	v_add_co_u32_e32 v0, vcc, s2, v0
	v_addc_co_u32_e32 v1, vcc, v3, v1, vcc
	s_waitcnt lgkmcnt(0)
	global_store_short v[0:1], v2, off
.LBB1_29:
	s_endpgm
	.section	.rodata,"a",@progbits
	.p2align	6, 0x0
	.amdhsa_kernel _ZN2at6native6mbtopk23computeBlockDigitCountsIhjjLi1EEEvNS_4cuda6detail10TensorInfoIKT_T0_EEjPjjS8_iijT1_PSB_Ps
		.amdhsa_group_segment_fixed_size 1024
		.amdhsa_private_segment_fixed_size 0
		.amdhsa_kernarg_size 528
		.amdhsa_user_sgpr_count 6
		.amdhsa_user_sgpr_private_segment_buffer 1
		.amdhsa_user_sgpr_dispatch_ptr 0
		.amdhsa_user_sgpr_queue_ptr 0
		.amdhsa_user_sgpr_kernarg_segment_ptr 1
		.amdhsa_user_sgpr_dispatch_id 0
		.amdhsa_user_sgpr_flat_scratch_init 0
		.amdhsa_user_sgpr_kernarg_preload_length 0
		.amdhsa_user_sgpr_kernarg_preload_offset 0
		.amdhsa_user_sgpr_private_segment_size 0
		.amdhsa_uses_dynamic_stack 0
		.amdhsa_system_sgpr_private_segment_wavefront_offset 0
		.amdhsa_system_sgpr_workgroup_id_x 1
		.amdhsa_system_sgpr_workgroup_id_y 1
		.amdhsa_system_sgpr_workgroup_id_z 1
		.amdhsa_system_sgpr_workgroup_info 0
		.amdhsa_system_vgpr_workitem_id 0
		.amdhsa_next_free_vgpr 10
		.amdhsa_next_free_sgpr 20
		.amdhsa_accum_offset 12
		.amdhsa_reserve_vcc 1
		.amdhsa_reserve_flat_scratch 0
		.amdhsa_float_round_mode_32 0
		.amdhsa_float_round_mode_16_64 0
		.amdhsa_float_denorm_mode_32 3
		.amdhsa_float_denorm_mode_16_64 3
		.amdhsa_dx10_clamp 1
		.amdhsa_ieee_mode 1
		.amdhsa_fp16_overflow 0
		.amdhsa_tg_split 0
		.amdhsa_exception_fp_ieee_invalid_op 0
		.amdhsa_exception_fp_denorm_src 0
		.amdhsa_exception_fp_ieee_div_zero 0
		.amdhsa_exception_fp_ieee_overflow 0
		.amdhsa_exception_fp_ieee_underflow 0
		.amdhsa_exception_fp_ieee_inexact 0
		.amdhsa_exception_int_div_zero 0
	.end_amdhsa_kernel
	.section	.text._ZN2at6native6mbtopk23computeBlockDigitCountsIhjjLi1EEEvNS_4cuda6detail10TensorInfoIKT_T0_EEjPjjS8_iijT1_PSB_Ps,"axG",@progbits,_ZN2at6native6mbtopk23computeBlockDigitCountsIhjjLi1EEEvNS_4cuda6detail10TensorInfoIKT_T0_EEjPjjS8_iijT1_PSB_Ps,comdat
.Lfunc_end1:
	.size	_ZN2at6native6mbtopk23computeBlockDigitCountsIhjjLi1EEEvNS_4cuda6detail10TensorInfoIKT_T0_EEjPjjS8_iijT1_PSB_Ps, .Lfunc_end1-_ZN2at6native6mbtopk23computeBlockDigitCountsIhjjLi1EEEvNS_4cuda6detail10TensorInfoIKT_T0_EEjPjjS8_iijT1_PSB_Ps
                                        ; -- End function
	.section	.AMDGPU.csdata,"",@progbits
; Kernel info:
; codeLenInByte = 1020
; NumSgprs: 24
; NumVgprs: 10
; NumAgprs: 0
; TotalNumVgprs: 10
; ScratchSize: 0
; MemoryBound: 0
; FloatMode: 240
; IeeeMode: 1
; LDSByteSize: 1024 bytes/workgroup (compile time only)
; SGPRBlocks: 2
; VGPRBlocks: 1
; NumSGPRsForWavesPerEU: 24
; NumVGPRsForWavesPerEU: 10
; AccumOffset: 12
; Occupancy: 8
; WaveLimiterHint : 1
; COMPUTE_PGM_RSRC2:SCRATCH_EN: 0
; COMPUTE_PGM_RSRC2:USER_SGPR: 6
; COMPUTE_PGM_RSRC2:TRAP_HANDLER: 0
; COMPUTE_PGM_RSRC2:TGID_X_EN: 1
; COMPUTE_PGM_RSRC2:TGID_Y_EN: 1
; COMPUTE_PGM_RSRC2:TGID_Z_EN: 1
; COMPUTE_PGM_RSRC2:TIDIG_COMP_CNT: 0
; COMPUTE_PGM_RSRC3_GFX90A:ACCUM_OFFSET: 2
; COMPUTE_PGM_RSRC3_GFX90A:TG_SPLIT: 0
	.section	.text._ZN2at6native6mbtopk29computeBlockwiseWithinKCountsIjhEEvPT_PsPjjibS6_PT0_S6_S4_S6_j,"axG",@progbits,_ZN2at6native6mbtopk29computeBlockwiseWithinKCountsIjhEEvPT_PsPjjibS6_PT0_S6_S4_S6_j,comdat
	.protected	_ZN2at6native6mbtopk29computeBlockwiseWithinKCountsIjhEEvPT_PsPjjibS6_PT0_S6_S4_S6_j ; -- Begin function _ZN2at6native6mbtopk29computeBlockwiseWithinKCountsIjhEEvPT_PsPjjibS6_PT0_S6_S4_S6_j
	.globl	_ZN2at6native6mbtopk29computeBlockwiseWithinKCountsIjhEEvPT_PsPjjibS6_PT0_S6_S4_S6_j
	.p2align	8
	.type	_ZN2at6native6mbtopk29computeBlockwiseWithinKCountsIjhEEvPT_PsPjjibS6_PT0_S6_S4_S6_j,@function
_ZN2at6native6mbtopk29computeBlockwiseWithinKCountsIjhEEvPT_PsPjjibS6_PT0_S6_S4_S6_j: ; @_ZN2at6native6mbtopk29computeBlockwiseWithinKCountsIjhEEvPT_PsPjjibS6_PT0_S6_S4_S6_j
; %bb.0:
	s_load_dwordx4 s[16:19], s[4:5], 0x18
	s_load_dword s2, s[4:5], 0x50
	s_load_dwordx2 s[0:1], s[4:5], 0x58
	s_waitcnt lgkmcnt(0)
	v_cvt_f32_u32_e32 v1, s16
	s_mul_i32 s1, s1, s8
	s_add_i32 s1, s1, s7
	v_rcp_iflag_f32_e32 v1, v1
	s_mul_i32 s0, s1, s0
	s_add_i32 s6, s0, s6
	s_cmp_ge_u32 s6, s2
	v_mul_f32_e32 v1, 0x4f7ffffe, v1
	v_cvt_u32_f32_e32 v1, v1
	v_readfirstlane_b32 s0, v1
	s_cbranch_scc1 .LBB2_49
; %bb.1:
	s_sub_i32 s1, 0, s16
	s_mul_i32 s1, s1, s0
	s_mul_hi_u32 s1, s0, s1
	s_add_i32 s0, s0, s1
	s_mul_hi_u32 s2, s6, s0
	s_mul_i32 s3, s2, s16
	s_sub_i32 s3, s6, s3
	s_add_i32 s8, s2, 1
	s_sub_i32 s9, s3, s16
	s_cmp_ge_u32 s3, s16
	s_load_dwordx4 s[20:23], s[4:5], 0x0
	s_load_dwordx2 s[0:1], s[4:5], 0x10
	s_cselect_b32 s2, s8, s2
	s_cselect_b32 s3, s9, s3
	s_add_i32 s8, s2, 1
	s_mov_b32 s7, 0
	s_cmp_ge_u32 s3, s16
	s_cselect_b32 s26, s8, s2
	s_mov_b32 s27, s7
	s_lshl_b64 s[24:25], s[26:27], 2
	s_waitcnt lgkmcnt(0)
	s_add_u32 s0, s0, s24
	s_addc_u32 s1, s1, s25
	s_load_dword s19, s[0:1], 0x0
	s_movk_i32 s0, 0x100
	v_cmp_gt_u32_e64 s[0:1], s0, v0
	s_and_saveexec_b64 s[2:3], s[0:1]
	s_cbranch_execz .LBB2_17
; %bb.2:
	s_mul_i32 s8, s26, s16
	s_lshl_b32 s8, s8, 8
	s_mov_b32 s9, s7
	s_lshl_b64 s[12:13], s[8:9], 1
	s_add_u32 s8, s22, s12
	s_addc_u32 s9, s23, s13
	v_lshlrev_b32_e32 v4, 1, v0
	v_mov_b32_e32 v3, s9
	v_add_co_u32_e32 v2, vcc, s8, v4
	v_mov_b32_e32 v1, 0
	s_cmp_lt_u32 s16, 4
	v_addc_co_u32_e32 v3, vcc, 0, v3, vcc
	s_cbranch_scc1 .LBB2_7
; %bb.3:
	s_add_i32 s8, s16, -4
	s_mov_b32 s14, 0
	s_cmp_gt_u32 s8, 3
	v_mov_b32_e32 v1, 0
	s_cbranch_scc0 .LBB2_8
; %bb.4:
	s_lshr_b32 s8, s8, 2
	s_add_i32 s8, s8, 1
	s_and_b32 s10, s8, 0x7ffffffe
	s_add_u32 s12, s22, s12
	s_addc_u32 s13, s23, s13
	v_mov_b32_e32 v5, s13
	v_add_co_u32_e32 v4, vcc, s12, v4
	s_mov_b32 s9, 0
	v_addc_co_u32_e32 v5, vcc, 0, v5, vcc
	s_mov_b32 s11, s9
	v_add_co_u32_e32 v4, vcc, 0xe00, v4
	v_mov_b32_e32 v1, 0
	v_addc_co_u32_e32 v5, vcc, 0, v5, vcc
	s_mov_b64 s[12:13], s[10:11]
	v_mov_b32_e32 v6, 0
.LBB2_5:                                ; =>This Inner Loop Header: Depth=1
	global_load_sshort v7, v[4:5], off offset:-3584
	global_load_sshort v8, v[4:5], off offset:-3072
	;; [unrolled: 1-line block ×6, first 2 shown]
	global_load_sshort v13, v[4:5], off
	global_load_sshort v14, v[4:5], off offset:-2048
	s_add_u32 s12, s12, -2
	v_add_co_u32_e32 v4, vcc, 0x1000, v4
	s_addc_u32 s13, s13, -1
	v_addc_co_u32_e32 v5, vcc, 0, v5, vcc
	s_cmp_lg_u64 s[12:13], 0
	s_waitcnt vmcnt(6)
	v_add3_u32 v1, v1, v7, v8
	s_waitcnt vmcnt(3)
	v_add3_u32 v6, v6, v10, v11
	;; [unrolled: 2-line block ×4, first 2 shown]
	s_cbranch_scc1 .LBB2_5
; %bb.6:
	s_lshl_b64 s[12:13], s[10:11], 11
	s_lshl_b32 s14, s10, 2
	v_mov_b32_e32 v4, s13
	v_add_co_u32_e32 v2, vcc, s12, v2
	s_cmp_lg_u64 s[10:11], s[8:9]
	v_addc_co_u32_e32 v3, vcc, v3, v4, vcc
	v_add_u32_e32 v1, v1, v6
	s_cselect_b64 s[8:9], -1, 0
	s_and_b64 vcc, exec, s[8:9]
	s_cbranch_vccnz .LBB2_9
	s_branch .LBB2_10
.LBB2_7:
	s_mov_b32 s14, s7
	s_branch .LBB2_10
.LBB2_8:
	s_cbranch_execz .LBB2_10
.LBB2_9:                                ; =>This Inner Loop Header: Depth=1
	global_load_sshort v4, v[2:3], off
	global_load_sshort v5, v[2:3], off offset:512
	global_load_sshort v6, v[2:3], off offset:1024
	;; [unrolled: 1-line block ×3, first 2 shown]
	s_mov_b32 s8, s14
	v_add_co_u32_e32 v2, vcc, 0x800, v2
	s_add_i32 s14, s14, 4
	s_add_i32 s8, s8, 7
	v_addc_co_u32_e32 v3, vcc, 0, v3, vcc
	s_cmp_ge_u32 s8, s16
	s_waitcnt vmcnt(2)
	v_add3_u32 v1, v1, v4, v5
	s_waitcnt vmcnt(0)
	v_add3_u32 v1, v1, v6, v7
	s_cbranch_scc0 .LBB2_9
.LBB2_10:
	s_cmp_ge_u32 s14, s16
	s_cbranch_scc1 .LBB2_16
; %bb.11:
	s_not_b32 s8, s14
	s_add_i32 s8, s8, s16
	s_cmp_lg_u32 s8, 0
	s_cbranch_scc0 .LBB2_50
; %bb.12:
	s_add_u32 s8, s8, 1
	s_addc_u32 s9, 0, 0
	s_and_b32 s10, s8, -2
	s_mov_b32 s11, s9
	v_add_co_u32_e32 v4, vcc, 0x200, v2
	v_addc_co_u32_e32 v5, vcc, 0, v3, vcc
	v_mov_b32_e32 v6, 0
	s_mov_b64 s[12:13], s[10:11]
.LBB2_13:                               ; =>This Inner Loop Header: Depth=1
	global_load_sshort v7, v[4:5], off
	global_load_sshort v8, v[4:5], off offset:-512
	s_add_u32 s12, s12, -2
	v_add_co_u32_e32 v4, vcc, 0x400, v4
	s_addc_u32 s13, s13, -1
	v_addc_co_u32_e32 v5, vcc, 0, v5, vcc
	s_cmp_lg_u64 s[12:13], 0
	s_waitcnt vmcnt(1)
	v_add_u32_e32 v6, v6, v7
	s_waitcnt vmcnt(0)
	v_add_u32_e32 v1, v1, v8
	s_cbranch_scc1 .LBB2_13
; %bb.14:
	s_lshl_b64 s[12:13], s[10:11], 9
	s_add_i32 s14, s14, s10
	v_mov_b32_e32 v4, s13
	v_add_co_u32_e32 v2, vcc, s12, v2
	s_cmp_lg_u64 s[8:9], s[10:11]
	v_addc_co_u32_e32 v3, vcc, v3, v4, vcc
	v_add_u32_e32 v1, v1, v6
	s_cselect_b64 s[8:9], -1, 0
	s_and_b64 vcc, exec, s[8:9]
	s_cbranch_vccz .LBB2_16
.LBB2_15:                               ; =>This Inner Loop Header: Depth=1
	global_load_sshort v4, v[2:3], off
	v_add_co_u32_e32 v2, vcc, 0x200, v2
	s_add_i32 s14, s14, 1
	v_addc_co_u32_e32 v3, vcc, 0, v3, vcc
	s_cmp_lt_u32 s14, s16
	s_waitcnt vmcnt(0)
	v_add_u32_e32 v1, v1, v4
	s_cbranch_scc1 .LBB2_15
.LBB2_16:
	v_lshlrev_b32_e32 v2, 2, v0
	ds_write_b32 v2, v1 offset:1056
.LBB2_17:
	s_or_b64 exec, exec, s[2:3]
	v_mov_b32_e32 v3, 0
	s_waitcnt lgkmcnt(0)
	s_barrier
	s_and_saveexec_b64 s[2:3], s[0:1]
	s_cbranch_execz .LBB2_19
; %bb.18:
	v_lshlrev_b32_e32 v1, 2, v0
	ds_read_b32 v3, v1 offset:1056
.LBB2_19:
	s_or_b64 exec, exec, s[2:3]
	v_lshrrev_b32_e32 v1, 5, v0
	v_add_lshl_u32 v2, v1, v0, 2
	v_cmp_gt_u32_e64 s[2:3], 64, v0
	v_mbcnt_lo_u32_b32 v1, -1, 0
	s_waitcnt lgkmcnt(0)
	ds_write_b32 v2, v3
	s_waitcnt lgkmcnt(0)
	s_barrier
	s_and_saveexec_b64 s[8:9], s[2:3]
	s_cbranch_execz .LBB2_21
; %bb.20:
	v_lshlrev_b32_e32 v4, 2, v0
	v_lshrrev_b32_e32 v5, 3, v0
	v_add_lshl_u32 v8, v5, v4, 2
	ds_read2_b32 v[4:5], v8 offset1:1
	ds_read2_b32 v[6:7], v8 offset0:2 offset1:3
	v_mbcnt_hi_u32_b32 v9, -1, v1
	v_and_b32_e32 v10, 15, v9
	v_cmp_ne_u32_e32 vcc, 0, v10
	s_waitcnt lgkmcnt(1)
	v_add_u32_e32 v5, v5, v4
	s_waitcnt lgkmcnt(0)
	v_add3_u32 v5, v5, v6, v7
	v_bfe_i32 v7, v9, 4, 1
	s_nop 0
	v_mov_b32_dpp v6, v5 row_shr:1 row_mask:0xf bank_mask:0xf
	v_cndmask_b32_e32 v6, 0, v6, vcc
	v_add_u32_e32 v5, v6, v5
	v_cmp_lt_u32_e32 vcc, 1, v10
	; wave barrier
	s_nop 0
	v_mov_b32_dpp v6, v5 row_shr:2 row_mask:0xf bank_mask:0xf
	v_cndmask_b32_e32 v6, 0, v6, vcc
	v_add_u32_e32 v5, v5, v6
	v_cmp_lt_u32_e32 vcc, 3, v10
	s_nop 0
	v_mov_b32_dpp v6, v5 row_shr:4 row_mask:0xf bank_mask:0xf
	v_cndmask_b32_e32 v6, 0, v6, vcc
	v_add_u32_e32 v5, v5, v6
	v_cmp_lt_u32_e32 vcc, 7, v10
	;; [unrolled: 5-line block ×3, first 2 shown]
	s_nop 0
	v_mov_b32_dpp v6, v5 row_bcast:15 row_mask:0xf bank_mask:0xf
	v_and_b32_e32 v6, v7, v6
	v_add_u32_e32 v5, v5, v6
	v_and_b32_e32 v7, 64, v9
	s_nop 0
	v_mov_b32_dpp v6, v5 row_bcast:31 row_mask:0xf bank_mask:0xf
	v_cndmask_b32_e32 v6, 0, v6, vcc
	v_add_u32_e32 v5, v5, v6
	v_add_u32_e32 v6, -1, v9
	v_cmp_lt_i32_e32 vcc, v6, v7
	v_cndmask_b32_e32 v6, v6, v9, vcc
	v_lshlrev_b32_e32 v6, 2, v6
	ds_bpermute_b32 v5, v6, v5
	v_cmp_eq_u32_e32 vcc, 0, v0
	s_waitcnt lgkmcnt(0)
	v_add_u32_e32 v4, v5, v4
	v_cndmask_b32_e32 v3, v4, v3, vcc
	ds_write_b32 v8, v3
	; wave barrier
	ds_read2_b32 v[4:5], v8 offset0:1 offset1:2
	ds_read_b32 v6, v8 offset:12
	s_waitcnt lgkmcnt(1)
	v_add_u32_e32 v3, v4, v3
	v_add_u32_e32 v4, v5, v3
	ds_write2_b32 v8, v3, v4 offset0:1 offset1:2
	s_waitcnt lgkmcnt(1)
	v_add_u32_e32 v3, v6, v4
	ds_write_b32 v8, v3 offset:12
.LBB2_21:
	s_or_b64 exec, exec, s[8:9]
	s_waitcnt lgkmcnt(0)
	s_barrier
	ds_read_b32 v3, v2
	s_waitcnt lgkmcnt(0)
	s_barrier
	s_and_saveexec_b64 s[8:9], s[0:1]
	s_cbranch_execz .LBB2_23
; %bb.22:
	v_lshlrev_b32_e32 v2, 2, v0
	ds_write_b32 v2, v3 offset:1056
.LBB2_23:
	s_or_b64 exec, exec, s[8:9]
	s_load_dwordx8 s[8:15], s[4:5], 0x28
	s_load_dwordx2 s[28:29], s[4:5], 0x48
	s_waitcnt lgkmcnt(0)
	s_barrier
	s_and_saveexec_b64 s[4:5], s[0:1]
	s_cbranch_execz .LBB2_32
; %bb.24:
	v_cmp_ne_u32_e32 vcc, 0, v0
	v_mov_b32_e32 v2, 0
	s_and_saveexec_b64 s[0:1], vcc
	s_cbranch_execz .LBB2_26
; %bb.25:
	v_lshlrev_b32_e32 v2, 2, v0
	ds_read_b32 v2, v2 offset:1052
.LBB2_26:
	s_or_b64 exec, exec, s[0:1]
	s_waitcnt lgkmcnt(0)
	v_cmp_gt_u32_e32 vcc, s19, v2
	v_cmp_le_u32_e64 s[0:1], s19, v3
	s_and_b64 s[0:1], vcc, s[0:1]
	s_and_b64 exec, exec, s[0:1]
	s_cbranch_execz .LBB2_32
; %bb.27:
	s_add_u32 s0, s20, s24
	s_addc_u32 s1, s21, s25
	v_mov_b32_e32 v4, 0
	global_load_dword v3, v4, s[0:1]
	s_lshl_b32 s1, 0xff, s17
	v_not_b32_e32 v6, s1
	v_lshlrev_b32_e32 v5, s17, v0
	s_mul_i32 s0, s26, s16
	s_cmp_lg_u32 s6, s0
	s_waitcnt vmcnt(0)
	v_and_b32_e32 v3, v3, v6
	v_or_b32_e32 v3, v3, v5
	ds_write_b32 v4, v3 offset:2096
	s_cbranch_scc1 .LBB2_32
; %bb.28:
	s_add_u32 s0, s14, s24
	s_addc_u32 s1, s15, s25
	global_store_dword v4, v3, s[0:1]
	s_cmp_lt_i32 s17, 1
	s_mov_b64 s[0:1], -1
	s_cbranch_scc0 .LBB2_30
; %bb.29:
	s_add_u32 s0, s10, s26
	s_addc_u32 s1, s11, 0
	v_mov_b32_e32 v4, 0
	global_store_byte v4, v3, s[0:1]
	s_mov_b64 s[0:1], 0
.LBB2_30:
	s_andn2_b64 vcc, exec, s[0:1]
	s_cbranch_vccnz .LBB2_32
; %bb.31:
	s_add_u32 s0, s12, s24
	v_sub_u32_e32 v2, s19, v2
	s_addc_u32 s1, s13, s25
	v_mov_b32_e32 v3, 0
	global_store_dword v3, v2, s[0:1]
.LBB2_32:
	s_or_b64 exec, exec, s[4:5]
	v_mov_b32_e32 v2, 0
	s_waitcnt lgkmcnt(0)
	s_barrier
	ds_read_b32 v2, v2 offset:2096
	s_bitcmp0_b32 s18, 0
	s_waitcnt lgkmcnt(0)
	v_lshrrev_b32_e32 v2, s17, v2
	s_cbranch_scc0 .LBB2_34
; %bb.33:
	v_and_b32_e32 v3, 0xc0, v0
	v_cmp_lt_u32_sdwa s[4:5], v3, v2 src0_sel:DWORD src1_sel:BYTE_0
	v_cmp_lt_u32_sdwa s[12:13], v0, v2 src0_sel:DWORD src1_sel:BYTE_0
	s_and_b64 s[10:11], s[4:5], exec
	s_and_b64 s[4:5], s[12:13], exec
	s_cbranch_execz .LBB2_35
	s_branch .LBB2_36
.LBB2_34:
                                        ; implicit-def: $sgpr4_sgpr5
                                        ; implicit-def: $sgpr10_sgpr11
.LBB2_35:
	v_or_b32_e32 v3, 63, v0
	v_cmp_gt_u32_sdwa s[0:1], v3, v2 src0_sel:DWORD src1_sel:BYTE_0
	v_cmp_gt_u32_sdwa s[12:13], v0, v2 src0_sel:DWORD src1_sel:BYTE_0
	s_andn2_b64 s[4:5], s[4:5], exec
	s_and_b64 s[12:13], s[12:13], exec
	s_andn2_b64 s[10:11], s[10:11], exec
	s_and_b64 s[0:1], s[0:1], exec
	s_or_b64 s[4:5], s[4:5], s[12:13]
	s_or_b64 s[10:11], s[10:11], s[0:1]
.LBB2_36:
	v_mov_b32_e32 v2, 0
	s_and_saveexec_b64 s[0:1], s[10:11]
	s_cbranch_execz .LBB2_40
; %bb.37:
	v_mov_b32_e32 v2, 0
	s_and_saveexec_b64 s[10:11], s[4:5]
	s_cbranch_execz .LBB2_39
; %bb.38:
	s_lshl_b32 s4, s6, 8
	s_mov_b32 s5, 0
	s_lshl_b64 s[4:5], s[4:5], 1
	s_add_u32 s4, s22, s4
	s_addc_u32 s5, s23, s5
	v_lshlrev_b32_e32 v2, 1, v0
	global_load_sshort v2, v2, s[4:5]
.LBB2_39:
	s_or_b64 exec, exec, s[10:11]
	v_mbcnt_hi_u32_b32 v3, -1, v1
	v_and_b32_e32 v4, 63, v3
	v_cmp_gt_u32_e32 vcc, 32, v4
	v_cndmask_b32_e64 v5, 0, 1, vcc
	v_lshlrev_b32_e32 v5, 5, v5
	v_add_lshl_u32 v5, v5, v3, 2
	s_waitcnt vmcnt(0)
	ds_bpermute_b32 v5, v5, v2
	v_cmp_gt_u32_e32 vcc, 48, v4
	v_cndmask_b32_e64 v6, 0, 1, vcc
	v_lshlrev_b32_e32 v6, 4, v6
	v_cmp_gt_u32_e32 vcc, 56, v4
	s_waitcnt lgkmcnt(0)
	v_add_u32_e32 v2, v5, v2
	v_add_lshl_u32 v5, v6, v3, 2
	ds_bpermute_b32 v5, v5, v2
	v_cndmask_b32_e64 v6, 0, 1, vcc
	v_lshlrev_b32_e32 v6, 3, v6
	v_cmp_gt_u32_e32 vcc, 60, v4
	s_waitcnt lgkmcnt(0)
	v_add_u32_e32 v2, v5, v2
	v_add_lshl_u32 v5, v6, v3, 2
	ds_bpermute_b32 v5, v5, v2
	;; [unrolled: 7-line block ×3, first 2 shown]
	v_cndmask_b32_e64 v6, 0, 1, vcc
	v_lshlrev_b32_e32 v6, 1, v6
	v_cmp_ne_u32_e32 vcc, 63, v4
	s_waitcnt lgkmcnt(0)
	v_add_u32_e32 v2, v5, v2
	v_add_lshl_u32 v5, v6, v3, 2
	ds_bpermute_b32 v5, v5, v2
	v_addc_co_u32_e32 v3, vcc, 0, v3, vcc
	v_lshlrev_b32_e32 v3, 2, v3
	s_waitcnt lgkmcnt(0)
	v_add_u32_e32 v2, v5, v2
	ds_bpermute_b32 v3, v3, v2
	s_waitcnt lgkmcnt(0)
	v_add_u32_e32 v2, v3, v2
.LBB2_40:
	s_or_b64 exec, exec, s[0:1]
	v_and_b32_e32 v3, 63, v0
	v_cmp_eq_u32_e32 vcc, 0, v3
	s_and_saveexec_b64 s[0:1], vcc
	s_cbranch_execz .LBB2_42
; %bb.41:
	v_lshrrev_b32_e32 v3, 4, v0
	v_and_b32_e32 v3, 12, v3
	ds_write_b32 v3, v2 offset:2080
.LBB2_42:
	s_or_b64 exec, exec, s[0:1]
	s_waitcnt lgkmcnt(0)
	s_barrier
	s_and_saveexec_b64 s[0:1], s[2:3]
	s_cbranch_execz .LBB2_49
; %bb.43:
	v_cmp_gt_u32_e32 vcc, 4, v0
	v_mov_b32_e32 v2, 0
	s_and_saveexec_b64 s[0:1], vcc
	s_cbranch_execz .LBB2_45
; %bb.44:
	v_lshlrev_b32_e32 v2, 2, v0
	ds_read_b32 v2, v2 offset:2080
.LBB2_45:
	s_or_b64 exec, exec, s[0:1]
	v_mbcnt_hi_u32_b32 v1, -1, v1
	v_and_b32_e32 v3, 63, v1
	v_cmp_gt_u32_e32 vcc, 62, v3
	v_cndmask_b32_e64 v4, 0, 1, vcc
	v_lshlrev_b32_e32 v4, 1, v4
	v_add_lshl_u32 v4, v4, v1, 2
	s_waitcnt lgkmcnt(0)
	ds_bpermute_b32 v4, v4, v2
	v_cmp_ne_u32_e32 vcc, 63, v3
	v_addc_co_u32_e32 v3, vcc, 0, v1, vcc
	v_cmp_eq_u32_e32 vcc, 0, v0
	s_waitcnt lgkmcnt(0)
	v_add_u32_e32 v1, v4, v2
	v_lshlrev_b32_e32 v2, 2, v3
	ds_bpermute_b32 v2, v2, v1
	s_and_saveexec_b64 s[0:1], vcc
	s_cbranch_execz .LBB2_47
; %bb.46:
	s_lshl_b64 s[2:3], s[6:7], 2
	s_add_u32 s2, s8, s2
	s_addc_u32 s3, s9, s3
	v_mov_b32_e32 v3, 0
	global_load_dword v4, v3, s[2:3]
	s_waitcnt vmcnt(0) lgkmcnt(0)
	v_add3_u32 v1, v2, v1, v4
	global_store_dword v3, v1, s[2:3]
.LBB2_47:
	s_or_b64 exec, exec, s[0:1]
	v_or_b32_e32 v0, s17, v0
	v_cmp_eq_u32_e32 vcc, 0, v0
	s_and_b64 exec, exec, vcc
	s_cbranch_execz .LBB2_49
; %bb.48:
	v_mov_b32_e32 v0, 0
	ds_read_b32 v1, v0 offset:2096
	s_lshl_b32 s0, s6, 8
	s_mov_b32 s1, 0
	s_lshl_b64 s[0:1], s[0:1], 1
	s_add_u32 s0, s22, s0
	s_waitcnt lgkmcnt(1)
	v_mov_b32_e32 v2, 1
	s_addc_u32 s1, s23, s1
	s_waitcnt lgkmcnt(0)
	v_lshlrev_b32_sdwa v1, v2, v1 dst_sel:DWORD dst_unused:UNUSED_PAD src0_sel:DWORD src1_sel:BYTE_0
	global_load_sshort v1, v1, s[0:1]
	s_lshl_b64 s[0:1], s[6:7], 2
	s_add_u32 s0, s28, s0
	s_addc_u32 s1, s29, s1
	s_waitcnt vmcnt(0)
	global_store_dword v0, v1, s[0:1]
.LBB2_49:
	s_endpgm
.LBB2_50:
	s_cbranch_execnz .LBB2_15
	s_branch .LBB2_16
	.section	.rodata,"a",@progbits
	.p2align	6, 0x0
	.amdhsa_kernel _ZN2at6native6mbtopk29computeBlockwiseWithinKCountsIjhEEvPT_PsPjjibS6_PT0_S6_S4_S6_j
		.amdhsa_group_segment_fixed_size 2100
		.amdhsa_private_segment_fixed_size 0
		.amdhsa_kernarg_size 344
		.amdhsa_user_sgpr_count 6
		.amdhsa_user_sgpr_private_segment_buffer 1
		.amdhsa_user_sgpr_dispatch_ptr 0
		.amdhsa_user_sgpr_queue_ptr 0
		.amdhsa_user_sgpr_kernarg_segment_ptr 1
		.amdhsa_user_sgpr_dispatch_id 0
		.amdhsa_user_sgpr_flat_scratch_init 0
		.amdhsa_user_sgpr_kernarg_preload_length 0
		.amdhsa_user_sgpr_kernarg_preload_offset 0
		.amdhsa_user_sgpr_private_segment_size 0
		.amdhsa_uses_dynamic_stack 0
		.amdhsa_system_sgpr_private_segment_wavefront_offset 0
		.amdhsa_system_sgpr_workgroup_id_x 1
		.amdhsa_system_sgpr_workgroup_id_y 1
		.amdhsa_system_sgpr_workgroup_id_z 1
		.amdhsa_system_sgpr_workgroup_info 0
		.amdhsa_system_vgpr_workitem_id 0
		.amdhsa_next_free_vgpr 15
		.amdhsa_next_free_sgpr 30
		.amdhsa_accum_offset 16
		.amdhsa_reserve_vcc 1
		.amdhsa_reserve_flat_scratch 0
		.amdhsa_float_round_mode_32 0
		.amdhsa_float_round_mode_16_64 0
		.amdhsa_float_denorm_mode_32 3
		.amdhsa_float_denorm_mode_16_64 3
		.amdhsa_dx10_clamp 1
		.amdhsa_ieee_mode 1
		.amdhsa_fp16_overflow 0
		.amdhsa_tg_split 0
		.amdhsa_exception_fp_ieee_invalid_op 0
		.amdhsa_exception_fp_denorm_src 0
		.amdhsa_exception_fp_ieee_div_zero 0
		.amdhsa_exception_fp_ieee_overflow 0
		.amdhsa_exception_fp_ieee_underflow 0
		.amdhsa_exception_fp_ieee_inexact 0
		.amdhsa_exception_int_div_zero 0
	.end_amdhsa_kernel
	.section	.text._ZN2at6native6mbtopk29computeBlockwiseWithinKCountsIjhEEvPT_PsPjjibS6_PT0_S6_S4_S6_j,"axG",@progbits,_ZN2at6native6mbtopk29computeBlockwiseWithinKCountsIjhEEvPT_PsPjjibS6_PT0_S6_S4_S6_j,comdat
.Lfunc_end2:
	.size	_ZN2at6native6mbtopk29computeBlockwiseWithinKCountsIjhEEvPT_PsPjjibS6_PT0_S6_S4_S6_j, .Lfunc_end2-_ZN2at6native6mbtopk29computeBlockwiseWithinKCountsIjhEEvPT_PsPjjibS6_PT0_S6_S4_S6_j
                                        ; -- End function
	.section	.AMDGPU.csdata,"",@progbits
; Kernel info:
; codeLenInByte = 2312
; NumSgprs: 34
; NumVgprs: 15
; NumAgprs: 0
; TotalNumVgprs: 15
; ScratchSize: 0
; MemoryBound: 0
; FloatMode: 240
; IeeeMode: 1
; LDSByteSize: 2100 bytes/workgroup (compile time only)
; SGPRBlocks: 4
; VGPRBlocks: 1
; NumSGPRsForWavesPerEU: 34
; NumVGPRsForWavesPerEU: 15
; AccumOffset: 16
; Occupancy: 8
; WaveLimiterHint : 1
; COMPUTE_PGM_RSRC2:SCRATCH_EN: 0
; COMPUTE_PGM_RSRC2:USER_SGPR: 6
; COMPUTE_PGM_RSRC2:TRAP_HANDLER: 0
; COMPUTE_PGM_RSRC2:TGID_X_EN: 1
; COMPUTE_PGM_RSRC2:TGID_Y_EN: 1
; COMPUTE_PGM_RSRC2:TGID_Z_EN: 1
; COMPUTE_PGM_RSRC2:TIDIG_COMP_CNT: 0
; COMPUTE_PGM_RSRC3_GFX90A:ACCUM_OFFSET: 3
; COMPUTE_PGM_RSRC3_GFX90A:TG_SPLIT: 0
	.section	.text._ZN2at6native6mbtopk10gatherTopKIhjLi1EEEvNS_4cuda6detail10TensorInfoIKT_T0_EES8_S8_bjS8_NS5_IS6_S8_EES8_NS5_IlS8_EES8_jjPS6_PjSD_j,"axG",@progbits,_ZN2at6native6mbtopk10gatherTopKIhjLi1EEEvNS_4cuda6detail10TensorInfoIKT_T0_EES8_S8_bjS8_NS5_IS6_S8_EES8_NS5_IlS8_EES8_jjPS6_PjSD_j,comdat
	.protected	_ZN2at6native6mbtopk10gatherTopKIhjLi1EEEvNS_4cuda6detail10TensorInfoIKT_T0_EES8_S8_bjS8_NS5_IS6_S8_EES8_NS5_IlS8_EES8_jjPS6_PjSD_j ; -- Begin function _ZN2at6native6mbtopk10gatherTopKIhjLi1EEEvNS_4cuda6detail10TensorInfoIKT_T0_EES8_S8_bjS8_NS5_IS6_S8_EES8_NS5_IlS8_EES8_jjPS6_PjSD_j
	.globl	_ZN2at6native6mbtopk10gatherTopKIhjLi1EEEvNS_4cuda6detail10TensorInfoIKT_T0_EES8_S8_bjS8_NS5_IS6_S8_EES8_NS5_IlS8_EES8_jjPS6_PjSD_j
	.p2align	8
	.type	_ZN2at6native6mbtopk10gatherTopKIhjLi1EEEvNS_4cuda6detail10TensorInfoIKT_T0_EES8_S8_bjS8_NS5_IS6_S8_EES8_NS5_IlS8_EES8_jjPS6_PjSD_j,@function
_ZN2at6native6mbtopk10gatherTopKIhjLi1EEEvNS_4cuda6detail10TensorInfoIKT_T0_EES8_S8_bjS8_NS5_IS6_S8_EES8_NS5_IlS8_EES8_jjPS6_PjSD_j: ; @_ZN2at6native6mbtopk10gatherTopKIhjLi1EEEvNS_4cuda6detail10TensorInfoIKT_T0_EES8_S8_bjS8_NS5_IS6_S8_EES8_NS5_IlS8_EES8_jjPS6_PjSD_j
; %bb.0:
	s_load_dwordx2 s[0:1], s[4:5], 0x2d8
	s_load_dword s2, s[4:5], 0x2d0
	s_waitcnt lgkmcnt(0)
	s_mul_i32 s1, s1, s8
	s_add_i32 s1, s1, s7
	s_mul_i32 s0, s1, s0
	s_add_i32 s0, s0, s6
	s_cmp_ge_u32 s0, s2
	s_cbranch_scc1 .LBB3_40
; %bb.1:
	s_load_dwordx8 s[8:15], s[4:5], 0x2a8
	s_mov_b32 s25, 0
	s_waitcnt lgkmcnt(0)
	v_cvt_f32_u32_e32 v1, s10
	s_sub_i32 s1, 0, s10
	v_rcp_iflag_f32_e32 v1, v1
	v_mul_f32_e32 v1, 0x4f7ffffe, v1
	v_cvt_u32_f32_e32 v1, v1
	v_readfirstlane_b32 s2, v1
	s_mul_i32 s1, s1, s2
	s_mul_hi_u32 s1, s2, s1
	s_add_i32 s2, s2, s1
	s_mul_hi_u32 s1, s0, s2
	s_mul_i32 s2, s1, s10
	s_sub_i32 s2, s0, s2
	s_add_i32 s3, s1, 1
	s_sub_i32 s6, s2, s10
	s_cmp_ge_u32 s2, s10
	s_cselect_b32 s1, s3, s1
	s_cselect_b32 s2, s6, s2
	s_add_i32 s3, s1, 1
	s_cmp_ge_u32 s2, s10
	s_cselect_b32 s11, s3, s1
	v_mov_b32_e32 v1, s11
	global_load_ubyte v5, v1, s[12:13]
	s_load_dwordx2 s[6:7], s[4:5], 0x1d0
	s_load_dwordx2 s[20:21], s[4:5], 0xf0
	;; [unrolled: 1-line block ×3, first 2 shown]
	s_mul_i32 s24, s11, s10
	s_sub_i32 s33, s0, s24
	v_cmp_ne_u32_e64 s[0:1], 0, v0
	v_cmp_eq_u32_e64 s[2:3], 0, v0
	s_and_saveexec_b64 s[12:13], s[2:3]
	s_cbranch_execz .LBB3_17
; %bb.2:
	s_load_dwordx2 s[26:27], s[4:5], 0x2c8
	s_lshl_b64 s[28:29], s[24:25], 2
	s_add_u32 s16, s14, s28
	s_addc_u32 s17, s15, s29
	s_mov_b32 s24, 0
	s_waitcnt lgkmcnt(0)
	s_add_u32 s18, s26, s28
	s_addc_u32 s19, s27, s29
	s_mov_b32 s34, 0
	s_cmp_lt_u32 s10, 4
	s_cbranch_scc1 .LBB3_14
; %bb.3:
	s_mov_b32 s35, 0
.LBB3_4:                                ; =>This Inner Loop Header: Depth=1
	s_add_u32 s16, s14, s28
	s_addc_u32 s17, s15, s29
	s_load_dwordx4 s[16:19], s[16:17], 0x0
	s_add_u32 s30, s26, s28
	s_addc_u32 s31, s27, s29
	s_cmp_ge_u32 s35, s33
	s_cbranch_scc0 .LBB3_11
; %bb.5:                                ;   in Loop: Header=BB3_4 Depth=1
	s_add_i32 s36, s35, 1
	s_cmp_ge_u32 s36, s33
	s_cbranch_scc0 .LBB3_12
.LBB3_6:                                ;   in Loop: Header=BB3_4 Depth=1
	s_add_i32 s36, s36, 1
	s_cmp_ge_u32 s36, s33
	s_cbranch_scc0 .LBB3_13
.LBB3_7:                                ;   in Loop: Header=BB3_4 Depth=1
	s_add_i32 s36, s36, 1
	s_cmp_ge_u32 s36, s33
	s_cbranch_scc1 .LBB3_9
.LBB3_8:                                ;   in Loop: Header=BB3_4 Depth=1
	s_load_dword s30, s[30:31], 0xc
	s_waitcnt lgkmcnt(0)
	s_add_i32 s25, s25, s19
	s_add_i32 s24, s30, s24
.LBB3_9:                                ;   in Loop: Header=BB3_4 Depth=1
	s_waitcnt lgkmcnt(0)
	s_add_i32 s16, s16, s34
	s_add_i32 s16, s16, s17
	;; [unrolled: 1-line block ×4, first 2 shown]
	s_add_u32 s14, s14, 16
	s_addc_u32 s15, s15, 0
	s_add_u32 s26, s26, 16
	s_addc_u32 s27, s27, 0
	s_add_i32 s31, s36, 4
	s_add_u32 s18, s26, s28
	s_addc_u32 s19, s27, s29
	s_add_u32 s16, s14, s28
	s_addc_u32 s17, s15, s29
	s_add_i32 s30, s36, 1
	s_cmp_ge_u32 s31, s10
	s_cbranch_scc1 .LBB3_15
; %bb.10:                               ;   in Loop: Header=BB3_4 Depth=1
	s_mov_b32 s35, s30
	s_branch .LBB3_4
.LBB3_11:                               ;   in Loop: Header=BB3_4 Depth=1
	s_load_dword s36, s[30:31], 0x0
	s_waitcnt lgkmcnt(0)
	s_add_i32 s25, s16, s25
	s_add_i32 s24, s36, s24
	;; [unrolled: 1-line block ×3, first 2 shown]
	s_cmp_ge_u32 s36, s33
	s_cbranch_scc1 .LBB3_6
.LBB3_12:                               ;   in Loop: Header=BB3_4 Depth=1
	s_load_dword s37, s[30:31], 0x4
	s_waitcnt lgkmcnt(0)
	s_add_i32 s25, s25, s17
	s_add_i32 s24, s37, s24
	;; [unrolled: 1-line block ×3, first 2 shown]
	s_cmp_ge_u32 s36, s33
	s_cbranch_scc1 .LBB3_7
.LBB3_13:                               ;   in Loop: Header=BB3_4 Depth=1
	s_load_dword s37, s[30:31], 0x8
	s_waitcnt lgkmcnt(0)
	s_add_i32 s25, s25, s18
	s_add_i32 s24, s37, s24
	;; [unrolled: 1-line block ×3, first 2 shown]
	s_cmp_ge_u32 s36, s33
	s_cbranch_scc0 .LBB3_8
	s_branch .LBB3_9
.LBB3_14:
	s_mov_b32 s14, 0
	s_cmp_ge_u32 s14, s10
	s_cbranch_scc0 .LBB3_38
	s_branch .LBB3_16
.LBB3_15:
	s_add_i32 s14, s35, 4
	s_cmp_ge_u32 s14, s10
	s_cbranch_scc0 .LBB3_38
.LBB3_16:
	v_mov_b32_e32 v2, s24
	v_mov_b32_e32 v3, s34
	;; [unrolled: 1-line block ×4, first 2 shown]
	ds_write_b96 v1, v[2:4] offset:1056
.LBB3_17:
	s_or_b64 exec, exec, s[12:13]
	s_load_dword s16, s[4:5], 0x23c
	s_load_dword s17, s[4:5], 0x15c
	;; [unrolled: 1-line block ×3, first 2 shown]
	s_load_dwordx4 s[12:15], s[4:5], 0xd8
	s_waitcnt lgkmcnt(0)
	s_mul_i32 s15, s9, s33
	s_lshl_b32 s15, s15, 8
	s_add_i32 s24, s33, 1
	s_mov_b32 s19, 0
	s_sub_i32 s25, s12, s15
	s_add_u32 s25, s25, 0xff
	s_addc_u32 s26, 0, 0
	v_mov_b32_e32 v1, s25
	v_alignbit_b32 v1, s26, v1, 8
	s_cmp_lt_u32 s24, s10
	v_readfirstlane_b32 s10, v1
	s_cselect_b32 s9, s9, s10
	s_cmp_eq_u32 s9, 0
	s_barrier
	s_cbranch_scc1 .LBB3_40
; %bb.18:
	s_mul_i32 s10, s11, s18
	s_add_u32 s10, s22, s10
	s_mul_i32 s17, s11, s17
	s_mul_i32 s18, s11, s16
	s_addc_u32 s11, s23, 0
	s_add_u32 s16, s20, s17
	v_mov_b32_e32 v1, 0
	s_addc_u32 s17, s21, 0
	s_lshl_b64 s[18:19], s[18:19], 3
	ds_read_b96 v[2:4], v1 offset:1056
	s_add_u32 s18, s6, s18
	s_addc_u32 s19, s7, s19
	s_bitcmp1_b32 s14, 0
	s_load_dword s14, s[4:5], 0xe8
	s_load_dword s20, s[4:5], 0x1c8
	v_lshlrev_b32_e32 v6, 2, v0
	v_lshrrev_b32_e32 v7, 3, v0
	s_waitcnt lgkmcnt(0)
	v_add_u32_e32 v2, v2, v3
	v_lshrrev_b32_e32 v3, 5, v0
	v_add_lshl_u32 v6, v7, v6, 2
	v_add_u32_e32 v7, -1, v0
	v_mbcnt_lo_u32_b32 v9, -1, 0
	v_add_lshl_u32 v3, v3, v0, 2
	v_cmp_gt_u32_e64 s[4:5], 64, v0
	v_lshrrev_b32_e32 v8, 5, v7
	v_add_u32_e32 v0, s15, v0
	v_mbcnt_hi_u32_b32 v9, -1, v9
	s_cselect_b64 s[6:7], -1, 0
	v_add_lshl_u32 v7, v8, v7, 2
	v_mul_lo_u32 v8, s14, v0
	s_lshl_b32 s21, s14, 8
	v_and_b32_e32 v10, 15, v9
	v_bfe_i32 v11, v9, 4, 1
	v_add_u32_e32 v12, -1, v9
	v_and_b32_e32 v13, 64, v9
                                        ; implicit-def: $vgpr14
	s_branch .LBB3_21
.LBB3_19:                               ;   in Loop: Header=BB3_21 Depth=1
	s_or_b64 exec, exec, s[14:15]
	v_add_u32_e32 v2, v17, v2
.LBB3_20:                               ;   in Loop: Header=BB3_21 Depth=1
	s_add_i32 s9, s9, -1
	v_add_u32_e32 v4, v16, v4
	v_add_u32_e32 v8, s21, v8
	s_cmp_lg_u32 s9, 0
	v_add_u32_e32 v0, 0x100, v0
	s_cbranch_scc0 .LBB3_40
.LBB3_21:                               ; =>This Inner Loop Header: Depth=1
	v_cmp_gt_u32_e32 vcc, s12, v0
	v_mov_b32_e32 v17, 0
	v_mov_b32_e32 v15, 0
	s_and_saveexec_b64 s[14:15], vcc
	s_cbranch_execz .LBB3_23
; %bb.22:                               ;   in Loop: Header=BB3_21 Depth=1
	global_load_ubyte v14, v8, s[10:11]
	s_waitcnt vmcnt(0)
	v_cmp_gt_u16_sdwa s[22:23], v14, v5 src0_sel:DWORD src1_sel:BYTE_0
	v_cndmask_b32_e64 v15, 0, 1, s[22:23]
	v_cmp_lt_u16_sdwa s[22:23], v14, v5 src0_sel:DWORD src1_sel:BYTE_0
	v_cndmask_b32_e64 v16, 0, 1, s[22:23]
	v_cndmask_b32_e64 v15, v16, v15, s[6:7]
	v_cmp_eq_u16_sdwa s[22:23], v14, v5 src0_sel:DWORD src1_sel:BYTE_0
	v_and_b32_e32 v17, 1, v15
	v_cndmask_b32_e64 v15, 0, 1, s[22:23]
.LBB3_23:                               ;   in Loop: Header=BB3_21 Depth=1
	s_or_b64 exec, exec, s[14:15]
	ds_write_b32 v3, v17
	s_waitcnt lgkmcnt(0)
	s_barrier
	s_and_saveexec_b64 s[14:15], s[4:5]
	s_cbranch_execz .LBB3_25
; %bb.24:                               ;   in Loop: Header=BB3_21 Depth=1
	ds_read2_b32 v[18:19], v6 offset1:1
	ds_read2_b32 v[20:21], v6 offset0:2 offset1:3
	v_cmp_ne_u32_e32 vcc, 0, v10
	; wave barrier
	s_waitcnt lgkmcnt(1)
	v_add_u32_e32 v16, v19, v18
	s_waitcnt lgkmcnt(0)
	v_add3_u32 v16, v16, v20, v21
	s_nop 1
	v_mov_b32_dpp v19, v16 row_shr:1 row_mask:0xf bank_mask:0xf
	v_cndmask_b32_e32 v19, 0, v19, vcc
	v_add_u32_e32 v16, v19, v16
	v_cmp_lt_u32_e32 vcc, 1, v10
	s_nop 0
	v_mov_b32_dpp v19, v16 row_shr:2 row_mask:0xf bank_mask:0xf
	v_cndmask_b32_e32 v19, 0, v19, vcc
	v_add_u32_e32 v16, v16, v19
	v_cmp_lt_u32_e32 vcc, 3, v10
	;; [unrolled: 5-line block ×4, first 2 shown]
	s_nop 0
	v_mov_b32_dpp v19, v16 row_bcast:15 row_mask:0xf bank_mask:0xf
	v_and_b32_e32 v19, v11, v19
	v_add_u32_e32 v16, v16, v19
	s_nop 1
	v_mov_b32_dpp v19, v16 row_bcast:31 row_mask:0xf bank_mask:0xf
	v_cndmask_b32_e32 v19, 0, v19, vcc
	v_cmp_lt_i32_e32 vcc, v12, v13
	v_add_u32_e32 v16, v16, v19
	v_cndmask_b32_e32 v19, v12, v9, vcc
	v_lshlrev_b32_e32 v19, 2, v19
	ds_bpermute_b32 v16, v19, v16
	s_waitcnt lgkmcnt(0)
	v_add_u32_e32 v16, v16, v18
	v_cndmask_b32_e64 v16, v16, v17, s[2:3]
	ds_write_b32 v6, v16
	; wave barrier
	ds_read2_b32 v[18:19], v6 offset0:1 offset1:2
	ds_read_b32 v20, v6 offset:12
	s_waitcnt lgkmcnt(1)
	v_add_u32_e32 v16, v18, v16
	v_add_u32_e32 v18, v19, v16
	ds_write2_b32 v6, v16, v18 offset0:1 offset1:2
	s_waitcnt lgkmcnt(1)
	v_add_u32_e32 v16, v20, v18
	ds_write_b32 v6, v16 offset:12
.LBB3_25:                               ;   in Loop: Header=BB3_21 Depth=1
	s_or_b64 exec, exec, s[14:15]
	v_mov_b32_e32 v18, 0
	s_waitcnt lgkmcnt(0)
	s_barrier
	s_and_saveexec_b64 s[14:15], s[0:1]
	s_cbranch_execz .LBB3_27
; %bb.26:                               ;   in Loop: Header=BB3_21 Depth=1
	ds_read_b32 v18, v7
.LBB3_27:                               ;   in Loop: Header=BB3_21 Depth=1
	s_or_b64 exec, exec, s[14:15]
	ds_read_b32 v16, v1 offset:1048
	v_cmp_ne_u32_e32 vcc, 0, v17
	s_waitcnt lgkmcnt(0)
	s_barrier
	s_and_saveexec_b64 s[14:15], vcc
	s_cbranch_execz .LBB3_29
; %bb.28:                               ;   in Loop: Header=BB3_21 Depth=1
	v_add_u32_e32 v17, v18, v4
	v_mul_lo_u32 v18, v17, s20
	global_store_byte v18, v14, s[16:17]
	v_mul_lo_u32 v18, v17, s8
	v_mov_b32_e32 v19, v1
	v_lshlrev_b64 v[18:19], 3, v[18:19]
	v_mov_b32_e32 v17, s19
	v_add_co_u32_e32 v18, vcc, s18, v18
	v_addc_co_u32_e32 v19, vcc, v17, v19, vcc
	global_store_dwordx2 v[18:19], v[0:1], off
.LBB3_29:                               ;   in Loop: Header=BB3_21 Depth=1
	s_or_b64 exec, exec, s[14:15]
	v_cmp_le_u32_e32 vcc, s13, v2
	s_cbranch_vccnz .LBB3_20
; %bb.30:                               ;   in Loop: Header=BB3_21 Depth=1
	ds_write_b32 v3, v15
	s_waitcnt lgkmcnt(0)
	s_barrier
	s_and_saveexec_b64 s[14:15], s[4:5]
	s_cbranch_execz .LBB3_32
; %bb.31:                               ;   in Loop: Header=BB3_21 Depth=1
	ds_read2_b32 v[18:19], v6 offset1:1
	ds_read2_b32 v[20:21], v6 offset0:2 offset1:3
	v_cmp_ne_u32_e32 vcc, 0, v10
	; wave barrier
	s_waitcnt lgkmcnt(1)
	v_add_u32_e32 v17, v19, v18
	s_waitcnt lgkmcnt(0)
	v_add3_u32 v17, v17, v20, v21
	s_nop 1
	v_mov_b32_dpp v19, v17 row_shr:1 row_mask:0xf bank_mask:0xf
	v_cndmask_b32_e32 v19, 0, v19, vcc
	v_add_u32_e32 v17, v19, v17
	v_cmp_lt_u32_e32 vcc, 1, v10
	s_nop 0
	v_mov_b32_dpp v19, v17 row_shr:2 row_mask:0xf bank_mask:0xf
	v_cndmask_b32_e32 v19, 0, v19, vcc
	v_add_u32_e32 v17, v17, v19
	v_cmp_lt_u32_e32 vcc, 3, v10
	;; [unrolled: 5-line block ×4, first 2 shown]
	s_nop 0
	v_mov_b32_dpp v19, v17 row_bcast:15 row_mask:0xf bank_mask:0xf
	v_and_b32_e32 v19, v11, v19
	v_add_u32_e32 v17, v17, v19
	s_nop 1
	v_mov_b32_dpp v19, v17 row_bcast:31 row_mask:0xf bank_mask:0xf
	v_cndmask_b32_e32 v19, 0, v19, vcc
	v_cmp_lt_i32_e32 vcc, v12, v13
	v_add_u32_e32 v17, v17, v19
	v_cndmask_b32_e32 v19, v12, v9, vcc
	v_lshlrev_b32_e32 v19, 2, v19
	ds_bpermute_b32 v17, v19, v17
	s_waitcnt lgkmcnt(0)
	v_add_u32_e32 v17, v17, v18
	v_cndmask_b32_e64 v17, v17, v15, s[2:3]
	ds_write_b32 v6, v17
	; wave barrier
	ds_read2_b32 v[18:19], v6 offset0:1 offset1:2
	ds_read_b32 v20, v6 offset:12
	s_waitcnt lgkmcnt(1)
	v_add_u32_e32 v17, v18, v17
	v_add_u32_e32 v18, v19, v17
	ds_write2_b32 v6, v17, v18 offset0:1 offset1:2
	s_waitcnt lgkmcnt(1)
	v_add_u32_e32 v17, v20, v18
	ds_write_b32 v6, v17 offset:12
.LBB3_32:                               ;   in Loop: Header=BB3_21 Depth=1
	s_or_b64 exec, exec, s[14:15]
	v_mov_b32_e32 v18, 0
	s_waitcnt lgkmcnt(0)
	s_barrier
	s_and_saveexec_b64 s[14:15], s[0:1]
	s_cbranch_execz .LBB3_34
; %bb.33:                               ;   in Loop: Header=BB3_21 Depth=1
	ds_read_b32 v18, v7
.LBB3_34:                               ;   in Loop: Header=BB3_21 Depth=1
	s_or_b64 exec, exec, s[14:15]
	ds_read_b32 v17, v1 offset:1048
	v_cmp_ne_u32_e32 vcc, 0, v15
	s_waitcnt lgkmcnt(0)
	s_barrier
	s_and_saveexec_b64 s[14:15], vcc
	s_cbranch_execz .LBB3_19
; %bb.35:                               ;   in Loop: Header=BB3_21 Depth=1
	v_add_u32_e32 v15, v18, v2
	v_cmp_gt_u32_e32 vcc, s13, v15
	s_and_b64 exec, exec, vcc
	s_cbranch_execz .LBB3_19
; %bb.36:                               ;   in Loop: Header=BB3_21 Depth=1
	v_mul_lo_u32 v18, v15, s20
	global_store_byte v18, v14, s[16:17]
	v_mul_lo_u32 v18, v15, s8
	v_mov_b32_e32 v19, v1
	v_lshlrev_b64 v[18:19], 3, v[18:19]
	v_mov_b32_e32 v15, s19
	v_add_co_u32_e32 v18, vcc, s18, v18
	v_addc_co_u32_e32 v19, vcc, v15, v19, vcc
	global_store_dwordx2 v[18:19], v[0:1], off
	s_branch .LBB3_19
.LBB3_37:                               ;   in Loop: Header=BB3_38 Depth=1
	s_add_u32 s16, s16, 4
	s_addc_u32 s17, s17, 0
	s_waitcnt lgkmcnt(0)
	s_add_i32 s34, s15, s34
	s_add_u32 s18, s18, 4
	s_addc_u32 s19, s19, 0
	s_add_i32 s14, s14, 1
	s_cmp_lt_u32 s14, s10
	s_cbranch_scc0 .LBB3_16
.LBB3_38:                               ; =>This Inner Loop Header: Depth=1
	s_load_dword s15, s[16:17], 0x0
	s_cmp_ge_u32 s14, s33
	s_cbranch_scc1 .LBB3_37
; %bb.39:                               ;   in Loop: Header=BB3_38 Depth=1
	s_load_dword s26, s[18:19], 0x0
	s_waitcnt lgkmcnt(0)
	s_add_i32 s25, s15, s25
	s_add_i32 s24, s26, s24
	s_branch .LBB3_37
.LBB3_40:
	s_endpgm
	.section	.rodata,"a",@progbits
	.p2align	6, 0x0
	.amdhsa_kernel _ZN2at6native6mbtopk10gatherTopKIhjLi1EEEvNS_4cuda6detail10TensorInfoIKT_T0_EES8_S8_bjS8_NS5_IS6_S8_EES8_NS5_IlS8_EES8_jjPS6_PjSD_j
		.amdhsa_group_segment_fixed_size 1068
		.amdhsa_private_segment_fixed_size 0
		.amdhsa_kernarg_size 984
		.amdhsa_user_sgpr_count 6
		.amdhsa_user_sgpr_private_segment_buffer 1
		.amdhsa_user_sgpr_dispatch_ptr 0
		.amdhsa_user_sgpr_queue_ptr 0
		.amdhsa_user_sgpr_kernarg_segment_ptr 1
		.amdhsa_user_sgpr_dispatch_id 0
		.amdhsa_user_sgpr_flat_scratch_init 0
		.amdhsa_user_sgpr_kernarg_preload_length 0
		.amdhsa_user_sgpr_kernarg_preload_offset 0
		.amdhsa_user_sgpr_private_segment_size 0
		.amdhsa_uses_dynamic_stack 0
		.amdhsa_system_sgpr_private_segment_wavefront_offset 0
		.amdhsa_system_sgpr_workgroup_id_x 1
		.amdhsa_system_sgpr_workgroup_id_y 1
		.amdhsa_system_sgpr_workgroup_id_z 1
		.amdhsa_system_sgpr_workgroup_info 0
		.amdhsa_system_vgpr_workitem_id 0
		.amdhsa_next_free_vgpr 22
		.amdhsa_next_free_sgpr 38
		.amdhsa_accum_offset 24
		.amdhsa_reserve_vcc 1
		.amdhsa_reserve_flat_scratch 0
		.amdhsa_float_round_mode_32 0
		.amdhsa_float_round_mode_16_64 0
		.amdhsa_float_denorm_mode_32 3
		.amdhsa_float_denorm_mode_16_64 3
		.amdhsa_dx10_clamp 1
		.amdhsa_ieee_mode 1
		.amdhsa_fp16_overflow 0
		.amdhsa_tg_split 0
		.amdhsa_exception_fp_ieee_invalid_op 0
		.amdhsa_exception_fp_denorm_src 0
		.amdhsa_exception_fp_ieee_div_zero 0
		.amdhsa_exception_fp_ieee_overflow 0
		.amdhsa_exception_fp_ieee_underflow 0
		.amdhsa_exception_fp_ieee_inexact 0
		.amdhsa_exception_int_div_zero 0
	.end_amdhsa_kernel
	.section	.text._ZN2at6native6mbtopk10gatherTopKIhjLi1EEEvNS_4cuda6detail10TensorInfoIKT_T0_EES8_S8_bjS8_NS5_IS6_S8_EES8_NS5_IlS8_EES8_jjPS6_PjSD_j,"axG",@progbits,_ZN2at6native6mbtopk10gatherTopKIhjLi1EEEvNS_4cuda6detail10TensorInfoIKT_T0_EES8_S8_bjS8_NS5_IS6_S8_EES8_NS5_IlS8_EES8_jjPS6_PjSD_j,comdat
.Lfunc_end3:
	.size	_ZN2at6native6mbtopk10gatherTopKIhjLi1EEEvNS_4cuda6detail10TensorInfoIKT_T0_EES8_S8_bjS8_NS5_IS6_S8_EES8_NS5_IlS8_EES8_jjPS6_PjSD_j, .Lfunc_end3-_ZN2at6native6mbtopk10gatherTopKIhjLi1EEEvNS_4cuda6detail10TensorInfoIKT_T0_EES8_S8_bjS8_NS5_IS6_S8_EES8_NS5_IlS8_EES8_jjPS6_PjSD_j
                                        ; -- End function
	.section	.AMDGPU.csdata,"",@progbits
; Kernel info:
; codeLenInByte = 1960
; NumSgprs: 42
; NumVgprs: 22
; NumAgprs: 0
; TotalNumVgprs: 22
; ScratchSize: 0
; MemoryBound: 0
; FloatMode: 240
; IeeeMode: 1
; LDSByteSize: 1068 bytes/workgroup (compile time only)
; SGPRBlocks: 5
; VGPRBlocks: 2
; NumSGPRsForWavesPerEU: 42
; NumVGPRsForWavesPerEU: 22
; AccumOffset: 24
; Occupancy: 8
; WaveLimiterHint : 1
; COMPUTE_PGM_RSRC2:SCRATCH_EN: 0
; COMPUTE_PGM_RSRC2:USER_SGPR: 6
; COMPUTE_PGM_RSRC2:TRAP_HANDLER: 0
; COMPUTE_PGM_RSRC2:TGID_X_EN: 1
; COMPUTE_PGM_RSRC2:TGID_Y_EN: 1
; COMPUTE_PGM_RSRC2:TGID_Z_EN: 1
; COMPUTE_PGM_RSRC2:TIDIG_COMP_CNT: 0
; COMPUTE_PGM_RSRC3_GFX90A:ACCUM_OFFSET: 5
; COMPUTE_PGM_RSRC3_GFX90A:TG_SPLIT: 0
	.section	.text._ZN2at6native6sbtopk10gatherTopKIhjLi1ELb0EEEvNS_4cuda6detail10TensorInfoIKT_T0_EES8_S8_bS8_S8_NS5_IS6_S8_EES8_NS5_IlS8_EES8_PS6_,"axG",@progbits,_ZN2at6native6sbtopk10gatherTopKIhjLi1ELb0EEEvNS_4cuda6detail10TensorInfoIKT_T0_EES8_S8_bS8_S8_NS5_IS6_S8_EES8_NS5_IlS8_EES8_PS6_,comdat
	.protected	_ZN2at6native6sbtopk10gatherTopKIhjLi1ELb0EEEvNS_4cuda6detail10TensorInfoIKT_T0_EES8_S8_bS8_S8_NS5_IS6_S8_EES8_NS5_IlS8_EES8_PS6_ ; -- Begin function _ZN2at6native6sbtopk10gatherTopKIhjLi1ELb0EEEvNS_4cuda6detail10TensorInfoIKT_T0_EES8_S8_bS8_S8_NS5_IS6_S8_EES8_NS5_IlS8_EES8_PS6_
	.globl	_ZN2at6native6sbtopk10gatherTopKIhjLi1ELb0EEEvNS_4cuda6detail10TensorInfoIKT_T0_EES8_S8_bS8_S8_NS5_IS6_S8_EES8_NS5_IlS8_EES8_PS6_
	.p2align	8
	.type	_ZN2at6native6sbtopk10gatherTopKIhjLi1ELb0EEEvNS_4cuda6detail10TensorInfoIKT_T0_EES8_S8_bS8_S8_NS5_IS6_S8_EES8_NS5_IlS8_EES8_PS6_,@function
_ZN2at6native6sbtopk10gatherTopKIhjLi1ELb0EEEvNS_4cuda6detail10TensorInfoIKT_T0_EES8_S8_bS8_S8_NS5_IS6_S8_EES8_NS5_IlS8_EES8_PS6_: ; @_ZN2at6native6sbtopk10gatherTopKIhjLi1ELb0EEEvNS_4cuda6detail10TensorInfoIKT_T0_EES8_S8_bS8_S8_NS5_IS6_S8_EES8_NS5_IlS8_EES8_PS6_
; %bb.0:
	s_load_dwordx2 s[10:11], s[4:5], 0x2b8
	s_load_dwordx4 s[60:63], s[4:5], 0xd8
	s_mov_b64 s[14:15], s[4:5]
	s_add_u32 s2, s14, 0x2b8
	s_addc_u32 s3, s15, 0
	s_waitcnt lgkmcnt(0)
	s_mul_i32 s0, s11, s8
	s_add_i32 s0, s0, s7
	s_mul_i32 s0, s0, s10
	s_add_i32 s5, s0, s6
	s_cmp_ge_u32 s5, s63
	s_cbranch_scc1 .LBB4_395
; %bb.1:
	s_load_dwordx2 s[0:1], s[14:15], 0x1d0
                                        ; implicit-def: $vgpr46 : SGPR spill to VGPR lane
	s_mov_b32 s8, 0
	s_waitcnt lgkmcnt(0)
	v_writelane_b32 v46, s0, 0
	v_writelane_b32 v46, s1, 1
	s_load_dwordx2 s[0:1], s[14:15], 0xf0
	s_waitcnt lgkmcnt(0)
	v_writelane_b32 v46, s0, 2
	v_writelane_b32 v46, s1, 3
	s_load_dword s16, s[14:15], 0xe8
	s_load_dword s4, s[14:15], 0x6c
	s_load_dwordx2 s[0:1], s[14:15], 0x0
	v_writelane_b32 v46, s8, 4
	v_writelane_b32 v46, s9, 5
	v_cmp_eq_u32_e64 s[8:9], 0, v0
	s_mov_b64 s[12:13], exec
	v_writelane_b32 v46, s8, 6
	v_writelane_b32 v46, s9, 7
	s_and_b64 s[8:9], s[12:13], s[8:9]
	s_mov_b64 exec, s[8:9]
	s_cbranch_execz .LBB4_3
; %bb.2:
	v_mov_b32_e32 v2, 0
	v_mov_b32_e32 v3, s60
	;; [unrolled: 1-line block ×3, first 2 shown]
	ds_write_b96 v2, v[2:4] offset:4096
.LBB4_3:
	s_or_b64 exec, exec, s[12:13]
	s_load_dword s7, s[14:15], 0x23c
	s_waitcnt lgkmcnt(0)
	s_mul_i32 s4, s4, s5
	s_add_u32 s64, s0, s4
	s_barrier
	v_writelane_b32 v46, s7, 8
	v_writelane_b32 v46, s14, 9
	s_load_dword s7, s[14:15], 0x15c
	s_waitcnt lgkmcnt(0)
	s_load_dword s0, s[2:3], 0xc
	v_writelane_b32 v46, s15, 10
	s_addc_u32 s65, s1, 0
	v_writelane_b32 v46, s7, 11
	s_bitcmp1_b32 s62, 0
	v_writelane_b32 v46, s5, 12
	s_cselect_b64 s[4:5], -1, 0
	v_mbcnt_lo_u32_b32 v2, -1, 0
	v_writelane_b32 v46, s4, 13
	v_mbcnt_hi_u32_b32 v13, -1, v2
	v_writelane_b32 v46, s5, 14
	s_xor_b64 s[62:63], s[4:5], -1
	s_waitcnt lgkmcnt(0)
	s_and_b32 s33, s0, 0xffff
	s_bfe_u32 s5, s0, 0xa0006
	v_cmp_gt_u32_e32 vcc, 64, v0
	v_cmp_gt_i32_e64 s[0:1], 4, v13
	s_lshl_b32 s9, s33, 2
	s_and_b64 s[72:73], vcc, s[0:1]
	s_cmpk_gt_u32 s60, 0xc00
	s_cselect_b64 s[0:1], -1, 0
	v_writelane_b32 v46, s0, 15
	s_cmp_gt_u32 s33, 63
	v_writelane_b32 v46, s1, 16
	s_cselect_b64 s[0:1], -1, 0
	v_writelane_b32 v46, s0, 17
	v_writelane_b32 v46, s1, 18
	s_add_i32 s0, s33, -1
	s_add_i32 s4, s0, s60
	s_cmp_lt_u32 s6, s10
	v_writelane_b32 v46, s0, 19
	s_cselect_b32 s0, 12, 18
	s_add_u32 s0, s2, s0
	s_addc_u32 s1, s3, 0
	v_writelane_b32 v46, s0, 20
	s_add_i32 s2, s5, -2
	v_writelane_b32 v46, s1, 21
	s_lshr_b32 s0, s2, 1
	s_add_i32 s3, s0, 1
	s_cmpk_gt_u32 s33, 0x7f
	v_mul_lo_u32 v15, v0, s16
	s_cselect_b64 s[0:1], -1, 0
	v_mov_b32_e32 v2, s65
	v_add_co_u32_e32 v8, vcc, s64, v15
	v_writelane_b32 v46, s0, 22
	v_addc_co_u32_e32 v9, vcc, 0, v2, vcc
	v_lshrrev_b32_e32 v2, 4, v0
	v_writelane_b32 v46, s1, 23
	v_cmp_gt_u32_e64 s[6:7], s60, v0
	v_and_b32_e32 v16, 60, v2
	v_lshlrev_b64 v[2:3], v13, -1
	v_writelane_b32 v46, s6, 24
	v_not_b32_e32 v6, v2
	v_cvt_f32_u32_e32 v2, s9
	v_writelane_b32 v46, s7, 25
	s_and_b32 s6, s5, 0x3fe
	s_and_b32 s7, s3, 7
	s_cmp_gt_u32 s2, 13
	s_cselect_b64 s[12:13], -1, 0
	v_writelane_b32 v46, s12, 26
	v_rcp_iflag_f32_e32 v2, v2
	v_writelane_b32 v46, s13, 27
	s_and_b32 s2, s3, -8
	v_writelane_b32 v46, s2, 28
	s_cmp_lg_u32 s7, 0
	v_writelane_b32 v46, s7, 29
	s_cselect_b64 s[2:3], -1, 0
	v_writelane_b32 v46, s2, 30
	v_mul_f32_e32 v2, 0x4f7ffffe, v2
	v_writelane_b32 v46, s3, 31
	v_cvt_u32_f32_e32 v2, v2
	v_writelane_b32 v46, s5, 32
	s_cmp_lg_u32 s6, s5
	v_writelane_b32 v46, s6, 33
	s_cselect_b64 s[2:3], -1, 0
	v_writelane_b32 v46, s2, 34
	v_writelane_b32 v46, s3, 35
	s_sub_i32 s2, 0, s9
	v_readfirstlane_b32 s3, v2
	v_cvt_f32_u32_e32 v2, s33
	s_mul_i32 s2, s2, s3
	s_mul_hi_u32 s2, s3, s2
	s_add_i32 s2, s3, s2
	v_writelane_b32 v46, s2, 36
	s_mul_hi_u32 s2, s60, s2
	v_rcp_iflag_f32_e32 v2, v2
	s_mul_i32 s2, s2, s9
	s_sub_i32 s2, s60, s2
	s_sub_i32 s3, s2, s9
	s_cmp_ge_u32 s2, s9
	v_mul_f32_e32 v2, 0x4f7ffffe, v2
	s_cselect_b32 s2, s3, s2
	v_cvt_u32_f32_e32 v2, v2
	s_sub_i32 s3, s2, s9
	s_cmp_ge_u32 s2, s9
	s_cselect_b32 s2, s3, s2
	v_lshlrev_b32_e32 v14, 2, v0
	s_sub_i32 s74, s60, s2
	s_sub_i32 s3, 0, s33
	v_readfirstlane_b32 s5, v2
	v_cmp_gt_u32_e64 s[6:7], s74, v14
	s_mul_i32 s3, s3, s5
	v_writelane_b32 v46, s6, 37
	s_mul_hi_u32 s3, s5, s3
	v_writelane_b32 v46, s7, 38
	s_add_i32 s3, s5, s3
	v_writelane_b32 v46, s3, 39
	s_mul_hi_u32 s3, s4, s3
	s_mul_i32 s3, s3, s33
	s_sub_i32 s3, s4, s3
	s_sub_i32 s5, s3, s33
	s_cmp_ge_u32 s3, s33
	s_cselect_b32 s3, s5, s3
	s_sub_i32 s5, s3, s33
	s_cmp_ge_u32 s3, s33
	v_mul_lo_u32 v2, s16, v14
	s_cselect_b32 s3, s5, s3
	v_add_u32_e32 v18, s16, v2
	v_or_b32_e32 v2, 2, v14
	v_add_u32_e32 v17, s74, v0
	s_sub_i32 s7, s4, s3
	v_mul_lo_u32 v19, s16, v2
	v_or_b32_e32 v2, 3, v14
	s_add_i32 s3, s33, s60
	v_not_b32_e32 v7, v3
	v_mul_lo_u32 v3, v17, s16
	v_cmp_gt_u32_e64 s[4:5], s7, v0
	v_mul_lo_u32 v20, s16, v2
	v_add_u32_e32 v2, s3, v0
	v_lshlrev_b32_e32 v4, 2, v13
	v_mov_b32_e32 v5, s65
	v_add_co_u32_e32 v10, vcc, s64, v3
	v_writelane_b32 v46, s4, 40
	s_mul_i32 s8, s16, s33
	v_subrev_u32_e32 v2, s2, v2
	v_mov_b32_e32 v1, 0
	v_cmp_eq_u32_e64 s[0:1], 0, v13
	v_cmp_gt_u32_e64 s[10:11], 2, v0
	v_and_b32_e32 v12, 0x100, v4
	v_cmp_gt_u32_e64 s[14:15], s60, v17
	v_addc_co_u32_e32 v11, vcc, 0, v5, vcc
	v_writelane_b32 v46, s5, 41
	s_lshl_b32 s75, s8, 2
	v_lshlrev_b32_e32 v21, 2, v15
	v_mul_lo_u32 v22, s16, v2
	v_or_b32_e32 v23, 0xc00, v4
	s_mov_b32 s76, 6
	s_mov_b64 s[88:89], 0
	v_mov_b32_e32 v24, 0
	v_mov_b32_e32 v29, s61
	;; [unrolled: 1-line block ×6, first 2 shown]
	s_mov_b32 s77, 0
	v_writelane_b32 v46, s16, 42
                                        ; implicit-def: $sgpr90_sgpr91
                                        ; implicit-def: $sgpr92_sgpr93
                                        ; implicit-def: $sgpr66_sgpr67
                                        ; implicit-def: $sgpr68_sgpr69
                                        ; implicit-def: $sgpr94_sgpr95
                                        ; implicit-def: $sgpr2_sgpr3
                                        ; implicit-def: $sgpr82_sgpr83
                                        ; implicit-def: $sgpr84_sgpr85
                                        ; implicit-def: $sgpr86_sgpr87
                                        ; implicit-def: $sgpr78_sgpr79
	s_branch .LBB4_6
.LBB4_4:                                ;   in Loop: Header=BB4_6 Depth=1
	s_or_b64 exec, exec, s[22:23]
	s_andn2_b64 s[4:5], s[78:79], exec
	s_and_b64 s[12:13], s[20:21], exec
	s_or_b64 s[78:79], s[4:5], s[12:13]
	s_andn2_b64 s[86:87], s[86:87], exec
	s_andn2_b64 s[84:85], s[84:85], exec
	;; [unrolled: 1-line block ×4, first 2 shown]
	s_orn2_b64 s[18:19], s[18:19], exec
	v_mov_b32_e32 v26, v3
	v_mov_b32_e32 v27, v2
	;; [unrolled: 1-line block ×4, first 2 shown]
.LBB4_5:                                ;   in Loop: Header=BB4_6 Depth=1
	s_or_b64 exec, exec, s[16:17]
	s_and_b64 s[4:5], exec, s[18:19]
	s_or_b64 s[88:89], s[4:5], s[88:89]
	s_andn2_b64 s[4:5], s[94:95], exec
	s_and_b64 s[12:13], s[78:79], exec
	s_or_b64 s[94:95], s[4:5], s[12:13]
	s_andn2_b64 s[4:5], s[68:69], exec
	s_and_b64 s[12:13], s[86:87], exec
	s_or_b64 s[68:69], s[4:5], s[12:13]
	s_andn2_b64 s[4:5], s[66:67], exec
	s_and_b64 s[12:13], s[84:85], exec
	s_or_b64 s[66:67], s[4:5], s[12:13]
	s_andn2_b64 s[4:5], s[92:93], exec
	s_and_b64 s[12:13], s[82:83], exec
	s_or_b64 s[92:93], s[4:5], s[12:13]
	s_andn2_b64 s[4:5], s[90:91], exec
	s_and_b64 s[12:13], s[2:3], exec
	s_or_b64 s[90:91], s[4:5], s[12:13]
	s_andn2_b64 exec, exec, s[88:89]
	s_cbranch_execz .LBB4_391
.LBB4_6:                                ; =>This Loop Header: Depth=1
                                        ;     Child Loop BB4_11 Depth 2
                                        ;     Child Loop BB4_29 Depth 2
	;; [unrolled: 1-line block ×25, first 2 shown]
	ds_read_b64 v[2:3], v24 offset:4096
	s_waitcnt lgkmcnt(0)
	v_readfirstlane_b32 s4, v2
	s_cmp_lg_u32 s4, 0
	s_cbranch_scc1 .LBB4_36
; %bb.7:                                ;   in Loop: Header=BB4_6 Depth=1
	v_readlane_b32 s4, v46, 15
	v_readlane_b32 s5, v46, 16
	s_and_b64 vcc, exec, s[4:5]
	s_cbranch_vccz .LBB4_19
; %bb.8:                                ;   in Loop: Header=BB4_6 Depth=1
	s_movk_i32 s4, 0xc01
	v_cmp_gt_u32_e32 vcc, s4, v3
	s_mov_b64 s[16:17], 0
	s_mov_b64 s[18:19], 0
	s_cbranch_vccz .LBB4_20
; %bb.9:                                ;   in Loop: Header=BB4_6 Depth=1
	v_readlane_b32 s4, v46, 20
	v_readlane_b32 s5, v46, 21
	s_nop 4
	global_load_ushort v2, v24, s[4:5]
	global_load_ubyte v3, v[8:9], off
	v_readlane_b32 s4, v46, 42
	s_mov_b64 s[20:21], 0
	v_mov_b32_e32 v30, v0
	s_waitcnt vmcnt(1)
	v_add_u32_e32 v5, v0, v2
	v_mul_lo_u32 v4, s4, v2
	v_mul_lo_u32 v5, s4, v5
	s_branch .LBB4_11
.LBB4_10:                               ;   in Loop: Header=BB4_11 Depth=2
	s_or_b64 exec, exec, s[18:19]
	v_add_u32_e32 v5, v5, v4
	v_mov_b32_e32 v3, v31
	s_andn2_b64 exec, exec, s[20:21]
	s_cbranch_execz .LBB4_21
.LBB4_11:                               ;   Parent Loop BB4_6 Depth=1
                                        ; =>  This Inner Loop Header: Depth=2
	v_add_u32_e32 v30, v30, v2
	v_cmp_gt_u32_e64 s[18:19], s60, v30
	v_cmp_le_u32_e32 vcc, s60, v30
	s_waitcnt lgkmcnt(0)
	v_mov_b32_e32 v32, 0
	v_mov_b32_e32 v31, 0
	s_and_saveexec_b64 s[22:23], s[18:19]
	s_cbranch_execz .LBB4_13
; %bb.12:                               ;   in Loop: Header=BB4_11 Depth=2
	global_load_ubyte v31, v5, s[64:65]
.LBB4_13:                               ;   in Loop: Header=BB4_11 Depth=2
	s_or_b64 exec, exec, s[22:23]
	s_waitcnt vmcnt(0)
	v_and_b32_e32 v33, v3, v26
	v_cmp_eq_u32_sdwa s[22:23], v33, v27 src0_sel:BYTE_0 src1_sel:DWORD
	s_cmp_lg_u64 s[22:23], 0
	s_cselect_b64 s[4:5], -1, 0
	s_and_b64 s[4:5], s[0:1], s[4:5]
	s_and_saveexec_b64 s[24:25], s[4:5]
	s_cbranch_execz .LBB4_17
; %bb.14:                               ;   in Loop: Header=BB4_11 Depth=2
	s_mov_b64 s[28:29], exec
	v_mbcnt_lo_u32_b32 v32, s28, 0
	v_mbcnt_hi_u32_b32 v32, s29, v32
	s_bcnt1_i32_b64 s4, s[22:23]
	v_cmp_eq_u32_e64 s[18:19], 0, v32
                                        ; implicit-def: $vgpr33
	s_and_saveexec_b64 s[26:27], s[18:19]
	s_cbranch_execz .LBB4_16
; %bb.15:                               ;   in Loop: Header=BB4_11 Depth=2
	s_bcnt1_i32_b64 s5, s[28:29]
	s_mul_i32 s5, s4, s5
	v_mov_b32_e32 v33, s5
	ds_add_rtn_u32 v33, v24, v33 offset:4104
.LBB4_16:                               ;   in Loop: Header=BB4_11 Depth=2
	s_or_b64 exec, exec, s[26:27]
	s_waitcnt lgkmcnt(0)
	v_readfirstlane_b32 s5, v33
	v_mov_b32_e32 v33, s5
	v_mad_u32_u24 v32, s4, v32, v33
.LBB4_17:                               ;   in Loop: Header=BB4_11 Depth=2
	s_or_b64 exec, exec, s[24:25]
	ds_bpermute_b32 v32, v12, v32
	s_and_b64 s[4:5], exec, vcc
	s_or_b64 s[20:21], s[4:5], s[20:21]
	s_and_saveexec_b64 s[18:19], s[22:23]
	s_cbranch_execz .LBB4_10
; %bb.18:                               ;   in Loop: Header=BB4_11 Depth=2
	v_and_b32_e32 v34, s22, v6
	v_and_b32_e32 v33, s23, v7
	v_bcnt_u32_b32 v34, v34, 0
	v_bcnt_u32_b32 v33, v33, v34
	s_waitcnt lgkmcnt(0)
	v_add_u32_e32 v32, v32, v33
	ds_write_b8 v32, v3
	s_branch .LBB4_10
.LBB4_19:                               ;   in Loop: Header=BB4_6 Depth=1
	s_mov_b64 s[18:19], 0
                                        ; implicit-def: $sgpr4
	s_cbranch_execnz .LBB4_24
	s_branch .LBB4_34
.LBB4_20:                               ;   in Loop: Header=BB4_6 Depth=1
	s_mov_b32 s4, 0
	s_and_b64 vcc, exec, s[16:17]
	s_cbranch_vccnz .LBB4_24
	s_branch .LBB4_34
.LBB4_21:                               ;   in Loop: Header=BB4_6 Depth=1
	s_or_b64 exec, exec, s[20:21]
	s_waitcnt lgkmcnt(0)
	s_barrier
	s_mov_b64 s[18:19], exec
	v_readlane_b32 s4, v46, 6
	v_readlane_b32 s5, v46, 7
	s_and_b64 s[4:5], s[18:19], s[4:5]
	s_mov_b64 exec, s[4:5]
	s_cbranch_execz .LBB4_23
; %bb.22:                               ;   in Loop: Header=BB4_6 Depth=1
	ds_read_b32 v2, v24 offset:4104
	s_waitcnt lgkmcnt(0)
	ds_write_b32 v24, v2 offset:4096
.LBB4_23:                               ;   in Loop: Header=BB4_6 Depth=1
	s_or_b64 exec, exec, s[18:19]
	s_waitcnt lgkmcnt(0)
	s_barrier
	s_mov_b64 s[18:19], -1
	s_mov_b32 s4, 0
	s_and_b64 vcc, exec, s[16:17]
	s_cbranch_vccz .LBB4_34
.LBB4_24:                               ;   in Loop: Header=BB4_6 Depth=1
	v_mov_b32_e32 v2, 0
	s_mov_b64 s[16:17], exec
	v_readlane_b32 s4, v46, 24
	v_readlane_b32 s5, v46, 25
	s_and_b64 s[4:5], s[16:17], s[4:5]
	s_mov_b64 exec, s[4:5]
	s_cbranch_execz .LBB4_26
; %bb.25:                               ;   in Loop: Header=BB4_6 Depth=1
	global_load_ubyte v2, v[8:9], off
.LBB4_26:                               ;   in Loop: Header=BB4_6 Depth=1
	s_or_b64 exec, exec, s[16:17]
	s_mov_b64 s[16:17], exec
	v_readlane_b32 s4, v46, 24
	v_readlane_b32 s5, v46, 25
	s_and_b64 s[4:5], s[16:17], s[4:5]
	s_mov_b64 exec, s[4:5]
	s_cbranch_execz .LBB4_31
; %bb.27:                               ;   in Loop: Header=BB4_6 Depth=1
	v_readlane_b32 s4, v46, 20
	v_readlane_b32 s5, v46, 21
	s_mov_b64 s[20:21], 0
	v_mov_b32_e32 v30, v0
	s_nop 2
	global_load_ushort v3, v24, s[4:5]
	v_readlane_b32 s4, v46, 42
	s_waitcnt vmcnt(0)
	v_add_u32_e32 v5, v0, v3
	v_mul_lo_u32 v4, s4, v3
	v_mul_lo_u32 v5, s4, v5
	s_branch .LBB4_29
.LBB4_28:                               ;   in Loop: Header=BB4_29 Depth=2
	s_or_b64 exec, exec, s[22:23]
	s_and_b64 s[4:5], exec, vcc
	s_or_b64 s[20:21], s[4:5], s[20:21]
	ds_write_b8 v30, v2
	v_add_u32_e32 v5, v5, v4
	s_waitcnt vmcnt(0)
	v_mov_b32_e32 v2, v32
	v_mov_b32_e32 v30, v31
	s_andn2_b64 exec, exec, s[20:21]
	s_cbranch_execz .LBB4_31
.LBB4_29:                               ;   Parent Loop BB4_6 Depth=1
                                        ; =>  This Inner Loop Header: Depth=2
	v_add_u32_e32 v31, v30, v3
	v_cmp_gt_u32_e64 s[18:19], s60, v31
	v_cmp_le_u32_e32 vcc, s60, v31
	v_mov_b32_e32 v32, 0
	s_and_saveexec_b64 s[22:23], s[18:19]
	s_cbranch_execz .LBB4_28
; %bb.30:                               ;   in Loop: Header=BB4_29 Depth=2
	global_load_ubyte v32, v5, s[64:65]
	s_branch .LBB4_28
.LBB4_31:                               ;   in Loop: Header=BB4_6 Depth=1
	s_or_b64 exec, exec, s[16:17]
	s_waitcnt lgkmcnt(0)
	s_barrier
	s_mov_b64 s[16:17], exec
	v_readlane_b32 s4, v46, 6
	v_readlane_b32 s5, v46, 7
	s_and_b64 s[4:5], s[16:17], s[4:5]
	s_mov_b64 exec, s[4:5]
	s_cbranch_execz .LBB4_33
; %bb.32:                               ;   in Loop: Header=BB4_6 Depth=1
	s_waitcnt vmcnt(0)
	v_mov_b32_e32 v2, s60
	ds_write_b32 v24, v2 offset:4096
.LBB4_33:                               ;   in Loop: Header=BB4_6 Depth=1
	s_or_b64 exec, exec, s[16:17]
	s_mov_b64 s[18:19], -1
	s_waitcnt lgkmcnt(0)
	s_barrier
                                        ; implicit-def: $sgpr4
.LBB4_34:                               ;   in Loop: Header=BB4_6 Depth=1
	s_and_b64 vcc, exec, s[18:19]
	s_cbranch_vccz .LBB4_36
; %bb.35:                               ;   in Loop: Header=BB4_6 Depth=1
	s_waitcnt vmcnt(0)
	ds_read_b32 v2, v24 offset:4096
	s_waitcnt lgkmcnt(0)
	v_readfirstlane_b32 s4, v2
.LBB4_36:                               ;   in Loop: Header=BB4_6 Depth=1
	s_cmp_lt_i32 s4, 1
	s_cbranch_scc0 .LBB4_40
; %bb.37:                               ;   in Loop: Header=BB4_6 Depth=1
	s_waitcnt vmcnt(0)
	v_mov_b32_e32 v2, 0
	s_mov_b32 s5, 0
	v_mov_b32_e32 v3, 0
	v_mov_b32_e32 v4, v2
	;; [unrolled: 1-line block ×3, first 2 shown]
	s_mov_b64 s[80:81], exec
	v_readlane_b32 s12, v46, 37
	v_readlane_b32 s13, v46, 38
	s_and_b64 s[12:13], s[80:81], s[12:13]
	s_mov_b64 exec, s[12:13]
	s_cbranch_execnz .LBB4_41
; %bb.38:                               ;   in Loop: Header=BB4_6 Depth=1
	s_or_b64 exec, exec, s[80:81]
	v_mov_b32_e32 v32, 0
	s_and_saveexec_b64 s[16:17], s[14:15]
	s_cbranch_execnz .LBB4_44
.LBB4_39:                               ;   in Loop: Header=BB4_6 Depth=1
	s_or_b64 exec, exec, s[16:17]
	s_and_saveexec_b64 s[16:17], s[14:15]
	s_cbranch_execnz .LBB4_45
	s_branch .LBB4_50
.LBB4_40:                               ;   in Loop: Header=BB4_6 Depth=1
                                        ; implicit-def: $vgpr5
	s_cbranch_execnz .LBB4_51
	s_branch .LBB4_60
.LBB4_41:                               ;   in Loop: Header=BB4_6 Depth=1
	s_and_b32 s6, s76, 0xfe
	s_mov_b64 s[16:17], 0
	s_mov_b32 s12, 0
	s_mov_b32 s13, 0
	;; [unrolled: 1-line block ×4, first 2 shown]
	v_mov_b32_e32 v30, v14
.LBB4_42:                               ;   Parent Loop BB4_6 Depth=1
                                        ; =>  This Inner Loop Header: Depth=2
	v_add_u32_e32 v2, s5, v21
	v_add_u32_e32 v3, s5, v18
	v_add_u32_e32 v4, s5, v19
	v_add_u32_e32 v5, s5, v20
	global_load_ubyte v2, v2, s[64:65]
	s_nop 0
	global_load_ubyte v3, v3, s[64:65]
	s_nop 0
	;; [unrolled: 2-line block ×3, first 2 shown]
	global_load_ubyte v5, v5, s[64:65]
	v_add_u32_e32 v30, s9, v30
	s_add_i32 s5, s5, s75
	v_cmp_le_u32_e32 vcc, s74, v30
	s_waitcnt vmcnt(3)
	v_and_b32_e32 v31, v26, v2
	v_bfe_u32 v2, v2, s6, 2
	s_waitcnt vmcnt(2)
	v_and_b32_e32 v32, v26, v3
	v_bfe_u32 v3, v3, s6, 2
	v_cmp_eq_u32_e64 s[18:19], v31, v27
	v_cmp_eq_u32_e64 s[26:27], 0, v2
	s_waitcnt vmcnt(1)
	v_and_b32_e32 v33, v26, v4
	v_bfe_u32 v4, v4, s6, 2
	v_cmp_eq_u32_e64 s[20:21], v32, v27
	v_cmp_eq_u32_e64 s[28:29], 0, v3
	s_and_b64 s[26:27], s[18:19], s[26:27]
	s_waitcnt vmcnt(0)
	v_and_b32_e32 v34, v26, v5
	v_bfe_u32 v5, v5, s6, 2
	v_cmp_eq_u32_e64 s[22:23], v33, v27
	v_cmp_eq_u32_e64 s[30:31], 0, v4
	v_cmp_eq_u32_e64 s[36:37], 1, v2
	v_cmp_eq_u32_e64 s[44:45], 2, v2
	v_cmp_eq_u32_e64 s[52:53], 3, v2
	v_cndmask_b32_e64 v2, 0, 1, s[26:27]
	s_and_b64 s[26:27], s[20:21], s[28:29]
	v_cmp_eq_u32_e64 s[24:25], v34, v27
	v_cmp_eq_u32_e64 s[34:35], 0, v5
	;; [unrolled: 1-line block ×5, first 2 shown]
	v_cndmask_b32_e64 v3, 0, 1, s[26:27]
	s_and_b64 s[26:27], s[22:23], s[30:31]
	v_cmp_eq_u32_e64 s[40:41], 1, v4
	v_cmp_eq_u32_e64 s[48:49], 2, v4
	;; [unrolled: 1-line block ×3, first 2 shown]
	v_cndmask_b32_e64 v4, 0, 1, s[26:27]
	s_and_b64 s[26:27], s[24:25], s[34:35]
	v_cmp_eq_u32_e64 s[42:43], 1, v5
	v_cmp_eq_u32_e64 s[50:51], 2, v5
	;; [unrolled: 1-line block ×3, first 2 shown]
	v_cndmask_b32_e64 v5, 0, 1, s[26:27]
	s_and_b64 s[26:27], s[18:19], s[36:37]
	v_cndmask_b32_e64 v31, 0, 1, s[26:27]
	s_and_b64 s[26:27], s[20:21], s[38:39]
	v_cndmask_b32_e64 v32, 0, 1, s[26:27]
	s_and_b64 s[26:27], s[22:23], s[40:41]
	v_cndmask_b32_e64 v33, 0, 1, s[26:27]
	s_and_b64 s[26:27], s[24:25], s[42:43]
	v_cndmask_b32_e64 v34, 0, 1, s[26:27]
	s_and_b64 s[26:27], s[18:19], s[44:45]
	s_and_b64 s[18:19], s[18:19], s[52:53]
	v_cndmask_b32_e64 v35, 0, 1, s[26:27]
	s_and_b64 s[26:27], s[20:21], s[46:47]
	v_cndmask_b32_e64 v39, 0, 1, s[18:19]
	;; [unrolled: 2-line block ×7, first 2 shown]
	v_cndmask_b32_e64 v42, 0, 1, s[18:19]
	v_cmp_ne_u32_e64 s[18:19], 0, v2
	v_cmp_ne_u32_e64 s[20:21], 0, v3
	;; [unrolled: 1-line block ×11, first 2 shown]
	s_bcnt1_i32_b64 s18, s[18:19]
	s_bcnt1_i32_b64 s19, s[20:21]
	;; [unrolled: 1-line block ×8, first 2 shown]
	v_cmp_ne_u32_e64 s[34:35], 0, v34
	v_cmp_ne_u32_e64 s[40:41], 0, v37
	;; [unrolled: 1-line block ×3, first 2 shown]
	s_bcnt1_i32_b64 s23, s[28:29]
	s_bcnt1_i32_b64 s27, s[38:39]
	;; [unrolled: 1-line block ×3, first 2 shown]
	s_add_i32 s18, s71, s18
	s_add_i32 s22, s70, s22
	;; [unrolled: 1-line block ×4, first 2 shown]
	v_cmp_ne_u32_e64 s[42:43], 0, v38
	v_cmp_ne_u32_e64 s[50:51], 0, v42
	s_bcnt1_i32_b64 s25, s[34:35]
	s_bcnt1_i32_b64 s28, s[40:41]
	;; [unrolled: 1-line block ×3, first 2 shown]
	s_add_i32 s18, s18, s19
	s_add_i32 s19, s22, s23
	;; [unrolled: 1-line block ×4, first 2 shown]
	s_bcnt1_i32_b64 s29, s[42:43]
	s_bcnt1_i32_b64 s35, s[50:51]
	s_add_i32 s18, s18, s20
	s_add_i32 s19, s19, s24
	;; [unrolled: 1-line block ×8, first 2 shown]
	s_or_b64 s[16:17], vcc, s[16:17]
	v_mov_b32_e32 v2, s71
	v_mov_b32_e32 v3, s70
	;; [unrolled: 1-line block ×4, first 2 shown]
	s_andn2_b64 exec, exec, s[16:17]
	s_cbranch_execnz .LBB4_42
; %bb.43:                               ;   in Loop: Header=BB4_6 Depth=1
	s_or_b64 exec, exec, s[16:17]
	s_or_b64 exec, exec, s[80:81]
	v_mov_b32_e32 v32, 0
	s_and_saveexec_b64 s[16:17], s[14:15]
	s_cbranch_execz .LBB4_39
.LBB4_44:                               ;   in Loop: Header=BB4_6 Depth=1
	global_load_ubyte v32, v[10:11], off
	s_or_b64 exec, exec, s[16:17]
	s_and_saveexec_b64 s[16:17], s[14:15]
	s_cbranch_execz .LBB4_50
.LBB4_45:                               ;   in Loop: Header=BB4_6 Depth=1
	s_and_b32 s5, s76, 0xfe
	s_mov_b64 s[20:21], 0
	v_mov_b32_e32 v30, v22
	v_mov_b32_e32 v31, v17
	s_branch .LBB4_47
.LBB4_46:                               ;   in Loop: Header=BB4_47 Depth=2
	s_or_b64 exec, exec, s[22:23]
	s_waitcnt vmcnt(0)
	v_and_b32_e32 v32, 0xff, v32
	s_and_b64 s[12:13], exec, vcc
	v_and_b32_e32 v34, v26, v32
	v_bfe_u32 v32, v32, s5, 2
	s_or_b64 s[20:21], s[12:13], s[20:21]
	v_cmp_eq_u32_e32 vcc, v34, v27
	v_cmp_eq_u32_e64 s[18:19], 0, v32
	s_and_b64 s[12:13], vcc, s[18:19]
	v_cndmask_b32_e64 v34, 0, 1, s[12:13]
	v_cmp_ne_u32_e64 s[18:19], 0, v34
	s_bcnt1_i32_b64 s6, s[18:19]
	v_cmp_eq_u32_e64 s[18:19], 1, v32
	s_and_b64 s[12:13], vcc, s[18:19]
	v_cndmask_b32_e64 v34, 0, 1, s[12:13]
	v_cmp_ne_u32_e64 s[18:19], 0, v34
	v_add_u32_e32 v2, s6, v2
	s_bcnt1_i32_b64 s6, s[18:19]
	v_cmp_eq_u32_e64 s[18:19], 2, v32
	s_and_b64 s[12:13], vcc, s[18:19]
	v_cndmask_b32_e64 v34, 0, 1, s[12:13]
	v_cmp_ne_u32_e64 s[18:19], 0, v34
	v_add_u32_e32 v3, s6, v3
	s_bcnt1_i32_b64 s6, s[18:19]
	v_cmp_eq_u32_e64 s[18:19], 3, v32
	s_and_b64 s[12:13], vcc, s[18:19]
	v_cndmask_b32_e64 v32, 0, 1, s[12:13]
	v_cmp_ne_u32_e32 vcc, 0, v32
	v_add_u32_e32 v4, s6, v4
	s_bcnt1_i32_b64 s6, vcc
	v_add_u32_e32 v5, s6, v5
	v_add_u32_e32 v30, s8, v30
	v_mov_b32_e32 v32, v33
	s_andn2_b64 exec, exec, s[20:21]
	s_cbranch_execz .LBB4_49
.LBB4_47:                               ;   Parent Loop BB4_6 Depth=1
                                        ; =>  This Inner Loop Header: Depth=2
	v_add_u32_e32 v31, s33, v31
	v_cmp_gt_u32_e64 s[18:19], s60, v31
	v_cmp_le_u32_e32 vcc, s60, v31
	v_mov_b32_e32 v33, 0
	s_and_saveexec_b64 s[22:23], s[18:19]
	s_cbranch_execz .LBB4_46
; %bb.48:                               ;   in Loop: Header=BB4_47 Depth=2
	global_load_ubyte v33, v30, s[64:65]
	s_branch .LBB4_46
.LBB4_49:                               ;   in Loop: Header=BB4_6 Depth=1
	s_or_b64 exec, exec, s[20:21]
.LBB4_50:                               ;   in Loop: Header=BB4_6 Depth=1
	s_or_b64 exec, exec, s[16:17]
	s_branch .LBB4_60
.LBB4_51:                               ;   in Loop: Header=BB4_6 Depth=1
	v_readlane_b32 s5, v46, 36
	s_mul_hi_u32 s5, s4, s5
	s_mul_i32 s5, s5, s9
	s_sub_i32 s5, s4, s5
	s_sub_i32 s6, s5, s9
	s_cmp_ge_u32 s5, s9
	s_cselect_b32 s5, s6, s5
	s_sub_i32 s6, s5, s9
	s_cmp_ge_u32 s5, s9
	s_cselect_b32 s5, s6, s5
	s_sub_i32 s5, s4, s5
	v_cmp_gt_u32_e32 vcc, s5, v14
	s_mov_b32 s12, 0
	s_waitcnt vmcnt(0)
	v_mov_b32_e32 v2, 0
	v_mov_b32_e32 v3, 0
	;; [unrolled: 1-line block ×4, first 2 shown]
	s_and_saveexec_b64 s[80:81], vcc
	s_cbranch_execz .LBB4_55
; %bb.52:                               ;   in Loop: Header=BB4_6 Depth=1
	s_and_b32 s6, s76, 0xfe
	s_mov_b64 s[16:17], 0
	s_mov_b32 s13, 0
	s_mov_b32 s70, 0
	;; [unrolled: 1-line block ×3, first 2 shown]
	v_mov_b32_e32 v30, v14
.LBB4_53:                               ;   Parent Loop BB4_6 Depth=1
                                        ; =>  This Inner Loop Header: Depth=2
	ds_read_b32 v2, v30
	v_add_u32_e32 v30, s9, v30
	v_cmp_le_u32_e32 vcc, s5, v30
	s_waitcnt lgkmcnt(0)
	v_and_b32_e32 v4, 0xff, v2
	v_bfe_u32 v5, v2, 8, 8
	v_and_b32_e32 v31, v26, v4
	v_bfe_u32 v4, v4, s6, 2
	v_lshrrev_b32_e32 v3, 24, v2
	v_bfe_u32 v2, v2, 16, 8
	v_and_b32_e32 v32, v26, v5
	v_bfe_u32 v5, v5, s6, 2
	v_cmp_eq_u32_e64 s[18:19], v31, v27
	v_cmp_eq_u32_e64 s[26:27], 0, v4
	v_and_b32_e32 v33, v26, v2
	v_bfe_u32 v2, v2, s6, 2
	v_cmp_eq_u32_e64 s[20:21], v32, v27
	v_cmp_eq_u32_e64 s[28:29], 0, v5
	s_and_b64 s[26:27], s[18:19], s[26:27]
	v_and_b32_e32 v34, v26, v3
	v_bfe_u32 v3, v3, s6, 2
	v_cmp_eq_u32_e64 s[22:23], v33, v27
	v_cmp_eq_u32_e64 s[30:31], 0, v2
	;; [unrolled: 1-line block ×5, first 2 shown]
	v_cndmask_b32_e64 v2, 0, 1, s[26:27]
	s_and_b64 s[26:27], s[20:21], s[28:29]
	v_cmp_eq_u32_e64 s[24:25], v34, v27
	v_cmp_eq_u32_e64 s[34:35], 0, v3
	;; [unrolled: 1-line block ×5, first 2 shown]
	v_cndmask_b32_e64 v3, 0, 1, s[26:27]
	s_and_b64 s[26:27], s[22:23], s[30:31]
	v_cmp_eq_u32_e64 s[36:37], 1, v4
	v_cmp_eq_u32_e64 s[44:45], 2, v4
	;; [unrolled: 1-line block ×3, first 2 shown]
	v_cndmask_b32_e64 v4, 0, 1, s[26:27]
	s_and_b64 s[26:27], s[24:25], s[34:35]
	v_cmp_eq_u32_e64 s[38:39], 1, v5
	v_cmp_eq_u32_e64 s[46:47], 2, v5
	;; [unrolled: 1-line block ×3, first 2 shown]
	v_cndmask_b32_e64 v5, 0, 1, s[26:27]
	s_and_b64 s[26:27], s[18:19], s[36:37]
	v_cndmask_b32_e64 v31, 0, 1, s[26:27]
	s_and_b64 s[26:27], s[20:21], s[38:39]
	;; [unrolled: 2-line block ×5, first 2 shown]
	s_and_b64 s[18:19], s[18:19], s[52:53]
	v_cndmask_b32_e64 v35, 0, 1, s[26:27]
	s_and_b64 s[26:27], s[20:21], s[46:47]
	v_cndmask_b32_e64 v39, 0, 1, s[18:19]
	;; [unrolled: 2-line block ×7, first 2 shown]
	v_cndmask_b32_e64 v42, 0, 1, s[18:19]
	v_cmp_ne_u32_e64 s[18:19], 0, v2
	v_cmp_ne_u32_e64 s[20:21], 0, v3
	;; [unrolled: 1-line block ×11, first 2 shown]
	s_bcnt1_i32_b64 s18, s[18:19]
	s_bcnt1_i32_b64 s19, s[20:21]
	;; [unrolled: 1-line block ×8, first 2 shown]
	v_cmp_ne_u32_e64 s[34:35], 0, v34
	v_cmp_ne_u32_e64 s[40:41], 0, v37
	;; [unrolled: 1-line block ×3, first 2 shown]
	s_bcnt1_i32_b64 s23, s[28:29]
	s_bcnt1_i32_b64 s27, s[38:39]
	s_bcnt1_i32_b64 s31, s[46:47]
	s_add_i32 s18, s71, s18
	s_add_i32 s22, s70, s22
	;; [unrolled: 1-line block ×4, first 2 shown]
	v_cmp_ne_u32_e64 s[42:43], 0, v38
	v_cmp_ne_u32_e64 s[50:51], 0, v42
	s_bcnt1_i32_b64 s25, s[34:35]
	s_bcnt1_i32_b64 s28, s[40:41]
	s_bcnt1_i32_b64 s34, s[48:49]
	s_add_i32 s18, s18, s19
	s_add_i32 s19, s22, s23
	;; [unrolled: 1-line block ×4, first 2 shown]
	s_bcnt1_i32_b64 s29, s[42:43]
	s_bcnt1_i32_b64 s35, s[50:51]
	s_add_i32 s18, s18, s20
	s_add_i32 s19, s19, s24
	;; [unrolled: 1-line block ×8, first 2 shown]
	s_or_b64 s[16:17], vcc, s[16:17]
	v_mov_b32_e32 v2, s71
	v_mov_b32_e32 v3, s70
	;; [unrolled: 1-line block ×4, first 2 shown]
	s_andn2_b64 exec, exec, s[16:17]
	s_cbranch_execnz .LBB4_53
; %bb.54:                               ;   in Loop: Header=BB4_6 Depth=1
	s_or_b64 exec, exec, s[16:17]
.LBB4_55:                               ;   in Loop: Header=BB4_6 Depth=1
	s_or_b64 exec, exec, s[80:81]
	v_add_u32_e32 v30, s5, v0
	v_cmp_gt_u32_e32 vcc, s4, v30
	s_and_saveexec_b64 s[16:17], vcc
	s_cbranch_execz .LBB4_59
; %bb.56:                               ;   in Loop: Header=BB4_6 Depth=1
	s_and_b32 s5, s76, 0xfe
	s_mov_b64 s[28:29], 0
.LBB4_57:                               ;   Parent Loop BB4_6 Depth=1
                                        ; =>  This Inner Loop Header: Depth=2
	ds_read_u8 v31, v30
	v_add_u32_e32 v30, s33, v30
	v_cmp_le_u32_e32 vcc, s4, v30
	s_waitcnt lgkmcnt(0)
	v_and_b32_e32 v32, v26, v31
	v_bfe_u32 v31, v31, s5, 2
	v_cmp_eq_u32_e64 s[18:19], v32, v27
	v_cmp_eq_u32_e64 s[20:21], 0, v31
	;; [unrolled: 1-line block ×3, first 2 shown]
	s_and_b64 s[12:13], s[18:19], s[20:21]
	v_cmp_eq_u32_e64 s[24:25], 2, v31
	v_cmp_eq_u32_e64 s[26:27], 3, v31
	v_cndmask_b32_e64 v31, 0, 1, s[12:13]
	s_and_b64 s[12:13], s[18:19], s[22:23]
	v_cndmask_b32_e64 v32, 0, 1, s[12:13]
	s_and_b64 s[12:13], s[18:19], s[24:25]
	;; [unrolled: 2-line block ×3, first 2 shown]
	v_cndmask_b32_e64 v34, 0, 1, s[12:13]
	v_cmp_ne_u32_e64 s[18:19], 0, v31
	v_cmp_ne_u32_e64 s[20:21], 0, v32
	;; [unrolled: 1-line block ×4, first 2 shown]
	s_bcnt1_i32_b64 s6, s[18:19]
	s_bcnt1_i32_b64 s12, s[20:21]
	;; [unrolled: 1-line block ×4, first 2 shown]
	v_add_u32_e32 v2, s6, v2
	v_add_u32_e32 v3, s12, v3
	;; [unrolled: 1-line block ×3, first 2 shown]
	s_or_b64 s[28:29], vcc, s[28:29]
	v_add_u32_e32 v5, s18, v5
	s_andn2_b64 exec, exec, s[28:29]
	s_cbranch_execnz .LBB4_57
; %bb.58:                               ;   in Loop: Header=BB4_6 Depth=1
	s_or_b64 exec, exec, s[28:29]
.LBB4_59:                               ;   in Loop: Header=BB4_6 Depth=1
	s_or_b64 exec, exec, s[16:17]
.LBB4_60:                               ;   in Loop: Header=BB4_6 Depth=1
	s_lshl_b32 s4, s77, 6
	s_and_saveexec_b64 s[16:17], s[0:1]
	s_cbranch_execz .LBB4_62
; %bb.61:                               ;   in Loop: Header=BB4_6 Depth=1
	v_or_b32_e32 v30, s4, v16
	v_lshlrev_b32_e32 v30, 2, v30
	s_waitcnt vmcnt(0)
	ds_write_b128 v30, v[2:5] offset:3072
.LBB4_62:                               ;   in Loop: Header=BB4_6 Depth=1
	s_or_b64 exec, exec, s[16:17]
	s_waitcnt lgkmcnt(0)
	s_barrier
	s_and_saveexec_b64 s[16:17], s[72:73]
	s_cbranch_execz .LBB4_76
; %bb.63:                               ;   in Loop: Header=BB4_6 Depth=1
	v_readlane_b32 s12, v46, 17
	v_readlane_b32 s13, v46, 18
	v_add_u32_e32 v4, s4, v13
	s_andn2_b64 vcc, exec, s[12:13]
	s_waitcnt vmcnt(0)
	v_mov_b32_e32 v2, 0
	s_cbranch_vccnz .LBB4_75
; %bb.64:                               ;   in Loop: Header=BB4_6 Depth=1
	v_readlane_b32 s12, v46, 22
	v_readlane_b32 s13, v46, 23
	s_mov_b32 s5, 0
	s_and_b64 vcc, exec, s[12:13]
	v_mov_b32_e32 v2, 0
	s_cbranch_vccz .LBB4_68
; %bb.65:                               ;   in Loop: Header=BB4_6 Depth=1
	v_readlane_b32 s12, v46, 26
	v_readlane_b32 s18, v46, 4
	;; [unrolled: 1-line block ×3, first 2 shown]
	v_lshl_add_u32 v5, v4, 2, v25
	v_readlane_b32 s19, v46, 5
	s_andn2_b64 vcc, exec, s[12:13]
	s_cbranch_vccnz .LBB4_69
; %bb.66:                               ;   in Loop: Header=BB4_6 Depth=1
	v_writelane_b32 v46, s18, 4
	v_writelane_b32 v46, s19, 5
	s_mov_b32 s19, 1
	s_mov_b32 s18, 0
	v_mov_b32_e32 v2, 0
	v_readlane_b32 s5, v46, 28
	v_mov_b32_e32 v3, 0
.LBB4_67:                               ;   Parent Loop BB4_6 Depth=1
                                        ; =>  This Inner Loop Header: Depth=2
	v_lshl_add_u32 v42, s18, 4, v5
	v_lshl_add_u32 v44, s19, 4, v5
	ds_read2_b32 v[30:31], v42 offset1:8
	ds_read2_b32 v[32:33], v44 offset1:8
	ds_read2_b32 v[34:35], v42 offset0:16 offset1:24
	ds_read2_b32 v[36:37], v44 offset0:16 offset1:24
	;; [unrolled: 1-line block ×6, first 2 shown]
	s_waitcnt lgkmcnt(7)
	v_add3_u32 v2, v30, v2, v31
	s_waitcnt lgkmcnt(6)
	v_add3_u32 v3, v32, v3, v33
	;; [unrolled: 2-line block ×3, first 2 shown]
	v_add3_u32 v2, v34, v2, v35
	s_add_i32 s19, s19, 16
	s_add_i32 s18, s18, 16
	s_add_i32 s5, s5, -8
	s_waitcnt lgkmcnt(3)
	v_add3_u32 v2, v38, v2, v39
	s_waitcnt lgkmcnt(2)
	v_add3_u32 v3, v40, v3, v41
	s_cmp_lg_u32 s5, 0
	s_waitcnt lgkmcnt(0)
	v_add3_u32 v3, v44, v3, v45
	v_add3_u32 v2, v42, v2, v43
	s_cbranch_scc1 .LBB4_67
	s_branch .LBB4_70
.LBB4_68:                               ;   in Loop: Header=BB4_6 Depth=1
	s_cbranch_execnz .LBB4_73
	s_branch .LBB4_75
.LBB4_69:                               ;   in Loop: Header=BB4_6 Depth=1
	s_mov_b32 s6, s18
	s_mov_b32 s19, s18
	v_writelane_b32 v46, s6, 4
	v_pk_mov_b32 v[2:3], s[18:19], s[18:19] op_sel:[0,1]
	s_mov_b32 s19, 1
	v_writelane_b32 v46, s7, 5
.LBB4_70:                               ;   in Loop: Header=BB4_6 Depth=1
	v_readlane_b32 s12, v46, 30
	v_readlane_b32 s13, v46, 31
	s_andn2_b64 vcc, exec, s[12:13]
	v_readlane_b32 s5, v46, 29
	s_cbranch_vccnz .LBB4_72
.LBB4_71:                               ;   Parent Loop BB4_6 Depth=1
                                        ; =>  This Inner Loop Header: Depth=2
	v_lshl_add_u32 v30, s18, 4, v5
	v_lshl_add_u32 v31, s19, 4, v5
	ds_read_b32 v31, v31
	ds_read_b32 v30, v30
	s_add_i32 s19, s19, 2
	s_add_i32 s18, s18, 2
	s_add_i32 s5, s5, -1
	s_cmp_lg_u32 s5, 0
	s_waitcnt lgkmcnt(1)
	v_add_u32_e32 v3, v31, v3
	s_waitcnt lgkmcnt(0)
	v_add_u32_e32 v2, v30, v2
	s_cbranch_scc1 .LBB4_71
.LBB4_72:                               ;   in Loop: Header=BB4_6 Depth=1
	v_readlane_b32 s18, v46, 34
	v_add_u32_e32 v2, v2, v3
	v_readlane_b32 s5, v46, 33
	v_readlane_b32 s19, v46, 35
	s_and_b64 vcc, exec, s[18:19]
	s_cbranch_vccz .LBB4_75
.LBB4_73:                               ;   in Loop: Header=BB4_6 Depth=1
	s_lshl_b32 s6, s77, 8
	s_lshl_b32 s12, s5, 4
	s_add_i32 s6, s6, s12
	v_add_u32_e32 v3, s6, v23
	v_readlane_b32 s6, v46, 32
	s_sub_i32 s5, s6, s5
.LBB4_74:                               ;   Parent Loop BB4_6 Depth=1
                                        ; =>  This Inner Loop Header: Depth=2
	ds_read_b32 v5, v3
	s_add_i32 s5, s5, -1
	v_add_u32_e32 v3, 16, v3
	s_cmp_eq_u32 s5, 0
	s_waitcnt lgkmcnt(0)
	v_add_u32_e32 v2, v5, v2
	s_cbranch_scc0 .LBB4_74
.LBB4_75:                               ;   in Loop: Header=BB4_6 Depth=1
	v_lshlrev_b32_e32 v3, 2, v4
	ds_write_b32 v3, v2 offset:3072
.LBB4_76:                               ;   in Loop: Header=BB4_6 Depth=1
	s_or_b64 exec, exec, s[16:17]
	s_lshl_b32 s4, s4, 2
	s_waitcnt vmcnt(0)
	v_mov_b32_e32 v2, s4
	s_waitcnt lgkmcnt(0)
	s_barrier
	ds_read_b128 v[2:5], v2 offset:3072
	s_and_b32 s13, s76, 0xfe
	s_lshl_b32 s4, 3, s13
	s_not_b32 s5, s4
	s_andn2_b64 vcc, exec, s[62:63]
	s_waitcnt lgkmcnt(0)
	v_readfirstlane_b32 s71, v2
	v_readfirstlane_b32 s12, v3
	;; [unrolled: 1-line block ×4, first 2 shown]
	v_cmp_eq_u32_e64 s[18:19], 1, v29
	s_cbranch_vccnz .LBB4_88
; %bb.77:                               ;   in Loop: Header=BB4_6 Depth=1
	s_cmp_eq_u32 s71, 1
	s_cselect_b64 s[16:17], -1, 0
	s_and_b64 s[36:37], s[16:17], s[18:19]
	s_mov_b64 s[38:39], -1
	v_mov_b32_e32 v2, v27
	v_mov_b32_e32 v3, v26
	;; [unrolled: 1-line block ×3, first 2 shown]
                                        ; implicit-def: $sgpr22_sgpr23
                                        ; implicit-def: $sgpr28_sgpr29
                                        ; implicit-def: $sgpr26_sgpr27
	s_and_saveexec_b64 s[16:17], s[36:37]
	s_cbranch_execz .LBB4_103
; %bb.78:                               ;   in Loop: Header=BB4_6 Depth=1
	ds_read_b32 v2, v24 offset:4096
	s_waitcnt lgkmcnt(0)
	s_barrier
	v_readfirstlane_b32 s28, v2
	s_and_saveexec_b64 s[20:21], s[10:11]
	s_cbranch_execz .LBB4_80
; %bb.79:                               ;   in Loop: Header=BB4_6 Depth=1
	ds_write_b8 v0, v1 offset:3072
.LBB4_80:                               ;   in Loop: Header=BB4_6 Depth=1
	s_or_b64 exec, exec, s[20:21]
	v_and_b32_e32 v2, s5, v27
	v_or_b32_e32 v3, s4, v26
	s_cmp_eq_u32 s28, 0
	s_waitcnt lgkmcnt(0)
	s_barrier
	s_cbranch_scc1 .LBB4_90
; %bb.81:                               ;   in Loop: Header=BB4_6 Depth=1
	v_readlane_b32 s20, v46, 19
	s_add_i32 s20, s28, s20
	v_readlane_b32 s21, v46, 39
	s_mul_hi_u32 s21, s20, s21
	s_mul_i32 s21, s21, s33
	s_sub_i32 s21, s20, s21
	s_sub_i32 s22, s21, s33
	s_cmp_ge_u32 s21, s33
	s_cselect_b32 s21, s22, s21
	s_sub_i32 s22, s21, s33
	s_cmp_ge_u32 s21, s33
	s_cselect_b32 s21, s22, s21
	s_sub_i32 s29, s20, s21
	v_cmp_gt_u32_e32 vcc, s29, v0
	s_mov_b64 s[20:21], 0
                                        ; implicit-def: $vgpr4
	s_and_saveexec_b64 s[22:23], vcc
	s_cbranch_execz .LBB4_92
; %bb.82:                               ;   in Loop: Header=BB4_6 Depth=1
	v_mov_b32_e32 v4, v0
                                        ; implicit-def: $sgpr24_sgpr25
	s_branch .LBB4_84
.LBB4_83:                               ;   in Loop: Header=BB4_84 Depth=2
	s_or_b64 exec, exec, s[26:27]
	s_waitcnt lgkmcnt(0)
	s_barrier
	ds_read_u16 v5, v24 offset:3072
	v_add_u32_e32 v4, s33, v4
	v_cmp_le_u32_e32 vcc, s29, v4
	s_waitcnt lgkmcnt(0)
	s_barrier
	v_cmp_ne_u16_sdwa s[26:27], v5, v1 src0_sel:BYTE_0 src1_sel:DWORD
	s_or_b64 s[30:31], vcc, s[26:27]
	s_and_b64 s[30:31], exec, s[30:31]
	s_or_b64 s[20:21], s[30:31], s[20:21]
	s_andn2_b64 s[24:25], s[24:25], exec
	s_and_b64 s[26:27], s[26:27], exec
	s_or_b64 s[24:25], s[24:25], s[26:27]
	s_andn2_b64 exec, exec, s[20:21]
	s_cbranch_execz .LBB4_91
.LBB4_84:                               ;   Parent Loop BB4_6 Depth=1
                                        ; =>  This Inner Loop Header: Depth=2
	v_cmp_gt_u32_e32 vcc, s28, v4
	v_mov_b32_e32 v5, 0
	s_and_saveexec_b64 s[26:27], vcc
	s_cbranch_execz .LBB4_86
; %bb.85:                               ;   in Loop: Header=BB4_84 Depth=2
	ds_read_u8 v5, v4
.LBB4_86:                               ;   in Loop: Header=BB4_84 Depth=2
	s_or_b64 exec, exec, s[26:27]
	s_waitcnt lgkmcnt(0)
	v_and_b32_e32 v30, v5, v3
	v_cmp_eq_u32_sdwa s[26:27], v30, v2 src0_sel:BYTE_0 src1_sel:DWORD
	s_and_b64 s[30:31], vcc, s[26:27]
	s_and_saveexec_b64 s[26:27], s[30:31]
	s_cbranch_execz .LBB4_83
; %bb.87:                               ;   in Loop: Header=BB4_84 Depth=2
	v_lshlrev_b16_e32 v5, 8, v5
	v_or_b32_e32 v5, 1, v5
	ds_write_b16 v24, v5 offset:3072
	s_branch .LBB4_83
.LBB4_88:                               ;   in Loop: Header=BB4_6 Depth=1
	s_mov_b64 s[24:25], 0
	s_mov_b64 s[20:21], 0
                                        ; implicit-def: $sgpr26_sgpr27
                                        ; implicit-def: $sgpr28_sgpr29
                                        ; implicit-def: $sgpr22_sgpr23
                                        ; implicit-def: $vgpr30
                                        ; implicit-def: $vgpr5
                                        ; implicit-def: $vgpr2
                                        ; implicit-def: $vgpr3
                                        ; implicit-def: $vgpr4
	s_cbranch_execnz .LBB4_233
.LBB4_89:                               ;   in Loop: Header=BB4_6 Depth=1
	s_mov_b64 s[30:31], s[22:23]
	s_mov_b64 s[34:35], s[22:23]
	s_and_saveexec_b64 s[16:17], s[24:25]
	s_cbranch_execnz .LBB4_387
	s_branch .LBB4_388
.LBB4_90:                               ;   in Loop: Header=BB4_6 Depth=1
	s_mov_b64 s[22:23], -1
	s_mov_b64 s[20:21], 0
                                        ; implicit-def: $sgpr26_sgpr27
                                        ; implicit-def: $vgpr4
	s_mov_b64 s[28:29], s[22:23]
	s_cbranch_execnz .LBB4_93
	s_branch .LBB4_102
.LBB4_91:                               ;   in Loop: Header=BB4_6 Depth=1
	s_or_b64 exec, exec, s[20:21]
	v_lshrrev_b16_e32 v4, 8, v5
	s_and_b64 s[20:21], s[24:25], exec
.LBB4_92:                               ;   in Loop: Header=BB4_6 Depth=1
	s_or_b64 exec, exec, s[22:23]
	s_mov_b64 s[26:27], -1
	s_mov_b64 s[22:23], 0
	s_mov_b64 s[28:29], s[22:23]
	s_branch .LBB4_102
.LBB4_93:                               ;   in Loop: Header=BB4_6 Depth=1
	s_mov_b64 s[20:21], 0
                                        ; implicit-def: $vgpr4
	s_mov_b64 s[22:23], exec
	v_readlane_b32 s24, v46, 40
	v_readlane_b32 s25, v46, 41
	s_and_b64 s[24:25], s[22:23], s[24:25]
	s_mov_b64 exec, s[24:25]
	s_cbranch_execz .LBB4_101
; %bb.94:                               ;   in Loop: Header=BB4_6 Depth=1
	v_mov_b32_e32 v4, v15
	v_mov_b32_e32 v5, v0
                                        ; implicit-def: $sgpr24_sgpr25
	s_branch .LBB4_96
.LBB4_95:                               ;   in Loop: Header=BB4_96 Depth=2
	s_or_b64 exec, exec, s[26:27]
	s_waitcnt lgkmcnt(0)
	s_barrier
	ds_read_u16 v30, v24 offset:3072
	v_add_u32_e32 v5, s33, v5
	v_cmp_le_u32_e32 vcc, s7, v5
	v_add_u32_e32 v4, s8, v4
	s_waitcnt lgkmcnt(0)
	v_cmp_ne_u16_sdwa s[26:27], v30, v1 src0_sel:BYTE_0 src1_sel:DWORD
	s_or_b64 s[28:29], vcc, s[26:27]
	s_and_b64 s[28:29], exec, s[28:29]
	s_or_b64 s[20:21], s[28:29], s[20:21]
	s_andn2_b64 s[24:25], s[24:25], exec
	s_and_b64 s[26:27], s[26:27], exec
	s_or_b64 s[24:25], s[24:25], s[26:27]
	s_barrier
	s_andn2_b64 exec, exec, s[20:21]
	s_cbranch_execz .LBB4_100
.LBB4_96:                               ;   Parent Loop BB4_6 Depth=1
                                        ; =>  This Inner Loop Header: Depth=2
	v_cmp_gt_u32_e32 vcc, s60, v5
	v_mov_b32_e32 v30, 0
	s_and_saveexec_b64 s[26:27], vcc
	s_cbranch_execz .LBB4_98
; %bb.97:                               ;   in Loop: Header=BB4_96 Depth=2
	global_load_ubyte v30, v4, s[64:65]
.LBB4_98:                               ;   in Loop: Header=BB4_96 Depth=2
	s_or_b64 exec, exec, s[26:27]
	s_waitcnt vmcnt(0)
	v_and_b32_e32 v31, v30, v3
	v_cmp_eq_u32_sdwa s[26:27], v31, v2 src0_sel:BYTE_0 src1_sel:DWORD
	s_and_b64 s[28:29], vcc, s[26:27]
	s_and_saveexec_b64 s[26:27], s[28:29]
	s_cbranch_execz .LBB4_95
; %bb.99:                               ;   in Loop: Header=BB4_96 Depth=2
	v_lshlrev_b16_e32 v30, 8, v30
	v_or_b32_e32 v30, 1, v30
	ds_write_b16 v24, v30 offset:3072
	s_branch .LBB4_95
.LBB4_100:                              ;   in Loop: Header=BB4_6 Depth=1
	s_or_b64 exec, exec, s[20:21]
	v_lshrrev_b16_e32 v4, 8, v30
	s_and_b64 s[20:21], s[24:25], exec
.LBB4_101:                              ;   in Loop: Header=BB4_6 Depth=1
	s_or_b64 exec, exec, s[22:23]
	s_mov_b64 s[28:29], -1
	s_mov_b64 s[22:23], 0
	s_mov_b64 s[26:27], 0
.LBB4_102:                              ;   in Loop: Header=BB4_6 Depth=1
	s_orn2_b64 s[38:39], s[20:21], exec
.LBB4_103:                              ;   in Loop: Header=BB4_6 Depth=1
	s_or_b64 exec, exec, s[16:17]
	s_mov_b64 s[30:31], 0
	s_mov_b64 s[24:25], 0
	s_mov_b64 s[20:21], 0
                                        ; implicit-def: $vgpr30
                                        ; implicit-def: $vgpr5
	s_and_saveexec_b64 s[34:35], s[38:39]
	s_cbranch_execz .LBB4_232
; %bb.104:                              ;   in Loop: Header=BB4_6 Depth=1
	s_xor_b64 s[24:25], s[36:37], -1
	v_mov_b32_e32 v5, 1
	v_mov_b32_e32 v30, 1
	s_and_saveexec_b64 s[16:17], s[24:25]
	s_cbranch_execz .LBB4_114
; %bb.105:                              ;   in Loop: Header=BB4_6 Depth=1
	v_cmp_ge_u32_e32 vcc, s71, v29
                                        ; implicit-def: $sgpr36
                                        ; implicit-def: $sgpr20_sgpr21
	s_and_saveexec_b64 s[24:25], vcc
	s_xor_b64 s[24:25], exec, s[24:25]
	s_cbranch_execz .LBB4_111
; %bb.106:                              ;   in Loop: Header=BB4_6 Depth=1
	ds_read_b32 v5, v24 offset:4096
	s_waitcnt lgkmcnt(0)
	v_cmp_ne_u32_e32 vcc, 0, v5
	s_cbranch_vccnz .LBB4_110
; %bb.107:                              ;   in Loop: Header=BB4_6 Depth=1
	s_mov_b64 s[20:21], exec
	v_readlane_b32 s36, v46, 6
	v_readlane_b32 s37, v46, 7
	s_and_b64 s[36:37], s[20:21], s[36:37]
	s_mov_b64 exec, s[36:37]
	s_cbranch_execz .LBB4_109
; %bb.108:                              ;   in Loop: Header=BB4_6 Depth=1
	v_mov_b32_e32 v5, s71
	ds_write_b32 v24, v5 offset:4100
.LBB4_109:                              ;   in Loop: Header=BB4_6 Depth=1
	s_or_b64 exec, exec, s[20:21]
	s_waitcnt lgkmcnt(0)
	s_barrier
.LBB4_110:                              ;   in Loop: Header=BB4_6 Depth=1
	v_and_b32_e32 v2, s5, v2
	v_or_b32_e32 v3, s4, v3
	s_mov_b64 s[20:21], 0
	s_mov_b32 s36, 8
.LBB4_111:                              ;   in Loop: Header=BB4_6 Depth=1
	s_or_saveexec_b64 s[24:25], s[24:25]
	v_mov_b32_e32 v30, s36
	v_mov_b32_e32 v5, v29
	s_xor_b64 exec, exec, s[24:25]
; %bb.112:                              ;   in Loop: Header=BB4_6 Depth=1
	v_subrev_u32_e32 v5, s71, v29
	v_mov_b32_e32 v30, 0
	s_or_b64 s[20:21], s[20:21], exec
; %bb.113:                              ;   in Loop: Header=BB4_6 Depth=1
	s_or_b64 exec, exec, s[24:25]
	s_and_b64 s[20:21], s[20:21], exec
.LBB4_114:                              ;   in Loop: Header=BB4_6 Depth=1
	s_or_b64 exec, exec, s[16:17]
	s_mov_b64 s[38:39], -1
                                        ; implicit-def: $sgpr16_sgpr17
                                        ; implicit-def: $sgpr24_sgpr25
                                        ; implicit-def: $sgpr40_sgpr41
	s_and_saveexec_b64 s[36:37], s[20:21]
	s_xor_b64 s[20:21], exec, s[36:37]
	s_cbranch_execz .LBB4_229
; %bb.115:                              ;   in Loop: Header=BB4_6 Depth=1
	s_cmp_eq_u32 s12, 1
	s_cselect_b64 s[16:17], -1, 0
	v_cmp_eq_u32_e32 vcc, 1, v5
	s_and_b64 s[42:43], s[16:17], vcc
	s_mov_b64 s[46:47], -1
                                        ; implicit-def: $sgpr24_sgpr25
                                        ; implicit-def: $sgpr38_sgpr39
                                        ; implicit-def: $sgpr36_sgpr37
	s_and_saveexec_b64 s[16:17], s[42:43]
	s_cbranch_execz .LBB4_139
; %bb.116:                              ;   in Loop: Header=BB4_6 Depth=1
	ds_read_b32 v4, v24 offset:4096
	s_waitcnt lgkmcnt(0)
	s_barrier
	v_readfirstlane_b32 s44, v4
	s_and_saveexec_b64 s[24:25], s[10:11]
	s_cbranch_execz .LBB4_118
; %bb.117:                              ;   in Loop: Header=BB4_6 Depth=1
	ds_write_b8 v0, v1 offset:3072
.LBB4_118:                              ;   in Loop: Header=BB4_6 Depth=1
	s_or_b64 exec, exec, s[24:25]
	v_and_b32_e32 v2, s5, v2
	v_lshl_or_b32 v2, 1, s13, v2
	v_or_b32_e32 v3, s4, v3
	s_cmp_eq_u32 s44, 0
	s_waitcnt lgkmcnt(0)
	s_barrier
	s_cbranch_scc1 .LBB4_126
; %bb.119:                              ;   in Loop: Header=BB4_6 Depth=1
	v_readlane_b32 s24, v46, 19
	s_add_i32 s24, s44, s24
	v_readlane_b32 s25, v46, 39
	s_mul_hi_u32 s25, s24, s25
	s_mul_i32 s25, s25, s33
	s_sub_i32 s25, s24, s25
	s_sub_i32 s36, s25, s33
	s_cmp_ge_u32 s25, s33
	s_cselect_b32 s25, s36, s25
	s_sub_i32 s36, s25, s33
	s_cmp_ge_u32 s25, s33
	s_cselect_b32 s25, s36, s25
	s_sub_i32 s45, s24, s25
	v_cmp_gt_u32_e32 vcc, s45, v0
	s_mov_b64 s[40:41], 0
                                        ; implicit-def: $vgpr4
	s_and_saveexec_b64 s[24:25], vcc
	s_cbranch_execz .LBB4_128
; %bb.120:                              ;   in Loop: Header=BB4_6 Depth=1
	s_mov_b64 s[36:37], 0
	v_mov_b32_e32 v4, v0
                                        ; implicit-def: $sgpr38_sgpr39
	s_branch .LBB4_122
.LBB4_121:                              ;   in Loop: Header=BB4_122 Depth=2
	s_or_b64 exec, exec, s[40:41]
	s_waitcnt lgkmcnt(0)
	s_barrier
	ds_read_u16 v30, v24 offset:3072
	v_add_u32_e32 v4, s33, v4
	v_cmp_le_u32_e32 vcc, s45, v4
	s_waitcnt lgkmcnt(0)
	s_barrier
	v_cmp_ne_u16_sdwa s[40:41], v30, v1 src0_sel:BYTE_0 src1_sel:DWORD
	s_or_b64 s[46:47], vcc, s[40:41]
	s_and_b64 s[46:47], exec, s[46:47]
	s_or_b64 s[36:37], s[46:47], s[36:37]
	s_andn2_b64 s[38:39], s[38:39], exec
	s_and_b64 s[40:41], s[40:41], exec
	s_or_b64 s[38:39], s[38:39], s[40:41]
	s_andn2_b64 exec, exec, s[36:37]
	s_cbranch_execz .LBB4_127
.LBB4_122:                              ;   Parent Loop BB4_6 Depth=1
                                        ; =>  This Inner Loop Header: Depth=2
	v_cmp_gt_u32_e32 vcc, s44, v4
	v_mov_b32_e32 v30, 0
	s_and_saveexec_b64 s[40:41], vcc
	s_cbranch_execz .LBB4_124
; %bb.123:                              ;   in Loop: Header=BB4_122 Depth=2
	ds_read_u8 v30, v4
.LBB4_124:                              ;   in Loop: Header=BB4_122 Depth=2
	s_or_b64 exec, exec, s[40:41]
	s_waitcnt lgkmcnt(0)
	v_and_b32_e32 v31, v30, v3
	v_cmp_eq_u32_sdwa s[40:41], v31, v2 src0_sel:BYTE_0 src1_sel:DWORD
	s_and_b64 s[46:47], vcc, s[40:41]
	s_and_saveexec_b64 s[40:41], s[46:47]
	s_cbranch_execz .LBB4_121
; %bb.125:                              ;   in Loop: Header=BB4_122 Depth=2
	v_lshlrev_b16_e32 v30, 8, v30
	v_or_b32_e32 v30, 1, v30
	ds_write_b16 v24, v30 offset:3072
	s_branch .LBB4_121
.LBB4_126:                              ;   in Loop: Header=BB4_6 Depth=1
	s_mov_b64 s[24:25], -1
	s_mov_b64 s[40:41], 0
                                        ; implicit-def: $sgpr36_sgpr37
                                        ; implicit-def: $vgpr4
	s_mov_b64 s[38:39], s[24:25]
	s_cbranch_execnz .LBB4_129
	s_branch .LBB4_138
.LBB4_127:                              ;   in Loop: Header=BB4_6 Depth=1
	s_or_b64 exec, exec, s[36:37]
	v_lshrrev_b16_e32 v4, 8, v30
	s_and_b64 s[40:41], s[38:39], exec
.LBB4_128:                              ;   in Loop: Header=BB4_6 Depth=1
	s_or_b64 exec, exec, s[24:25]
	s_mov_b64 s[36:37], -1
	s_mov_b64 s[24:25], 0
	s_mov_b64 s[38:39], s[24:25]
	s_branch .LBB4_138
.LBB4_129:                              ;   in Loop: Header=BB4_6 Depth=1
	s_mov_b64 s[40:41], 0
                                        ; implicit-def: $vgpr4
	s_mov_b64 s[24:25], exec
	v_readlane_b32 s36, v46, 40
	v_readlane_b32 s37, v46, 41
	s_and_b64 s[36:37], s[24:25], s[36:37]
	s_mov_b64 exec, s[36:37]
	s_cbranch_execz .LBB4_137
; %bb.130:                              ;   in Loop: Header=BB4_6 Depth=1
	s_mov_b64 s[36:37], 0
	v_mov_b32_e32 v4, v15
	v_mov_b32_e32 v30, v0
                                        ; implicit-def: $sgpr38_sgpr39
	s_branch .LBB4_132
.LBB4_131:                              ;   in Loop: Header=BB4_132 Depth=2
	s_or_b64 exec, exec, s[40:41]
	s_waitcnt lgkmcnt(0)
	s_barrier
	ds_read_u16 v31, v24 offset:3072
	v_add_u32_e32 v30, s33, v30
	v_cmp_le_u32_e32 vcc, s7, v30
	v_add_u32_e32 v4, s8, v4
	s_waitcnt lgkmcnt(0)
	v_cmp_ne_u16_sdwa s[40:41], v31, v1 src0_sel:BYTE_0 src1_sel:DWORD
	s_or_b64 s[44:45], vcc, s[40:41]
	s_and_b64 s[44:45], exec, s[44:45]
	s_or_b64 s[36:37], s[44:45], s[36:37]
	s_andn2_b64 s[38:39], s[38:39], exec
	s_and_b64 s[40:41], s[40:41], exec
	s_or_b64 s[38:39], s[38:39], s[40:41]
	s_barrier
	s_andn2_b64 exec, exec, s[36:37]
	s_cbranch_execz .LBB4_136
.LBB4_132:                              ;   Parent Loop BB4_6 Depth=1
                                        ; =>  This Inner Loop Header: Depth=2
	v_cmp_gt_u32_e32 vcc, s60, v30
	v_mov_b32_e32 v31, 0
	s_and_saveexec_b64 s[40:41], vcc
	s_cbranch_execz .LBB4_134
; %bb.133:                              ;   in Loop: Header=BB4_132 Depth=2
	global_load_ubyte v31, v4, s[64:65]
.LBB4_134:                              ;   in Loop: Header=BB4_132 Depth=2
	s_or_b64 exec, exec, s[40:41]
	s_waitcnt vmcnt(0)
	v_and_b32_e32 v32, v31, v3
	v_cmp_eq_u32_sdwa s[40:41], v32, v2 src0_sel:BYTE_0 src1_sel:DWORD
	s_and_b64 s[44:45], vcc, s[40:41]
	s_and_saveexec_b64 s[40:41], s[44:45]
	s_cbranch_execz .LBB4_131
; %bb.135:                              ;   in Loop: Header=BB4_132 Depth=2
	v_lshlrev_b16_e32 v31, 8, v31
	v_or_b32_e32 v31, 1, v31
	ds_write_b16 v24, v31 offset:3072
	s_branch .LBB4_131
.LBB4_136:                              ;   in Loop: Header=BB4_6 Depth=1
	s_or_b64 exec, exec, s[36:37]
	v_lshrrev_b16_e32 v4, 8, v31
	s_and_b64 s[40:41], s[38:39], exec
.LBB4_137:                              ;   in Loop: Header=BB4_6 Depth=1
	s_or_b64 exec, exec, s[24:25]
	s_mov_b64 s[38:39], -1
	s_mov_b64 s[24:25], 0
	s_mov_b64 s[36:37], 0
.LBB4_138:                              ;   in Loop: Header=BB4_6 Depth=1
	s_orn2_b64 s[46:47], s[40:41], exec
.LBB4_139:                              ;   in Loop: Header=BB4_6 Depth=1
	s_or_b64 exec, exec, s[16:17]
	s_mov_b64 s[44:45], 0
                                        ; implicit-def: $vgpr30
	s_and_saveexec_b64 s[40:41], s[46:47]
	s_cbranch_execz .LBB4_228
; %bb.140:                              ;   in Loop: Header=BB4_6 Depth=1
	s_xor_b64 s[42:43], s[42:43], -1
	s_mov_b64 s[46:47], 0
	v_mov_b32_e32 v31, 1
	v_mov_b32_e32 v30, 1
	s_and_saveexec_b64 s[16:17], s[42:43]
	s_cbranch_execz .LBB4_150
; %bb.141:                              ;   in Loop: Header=BB4_6 Depth=1
	v_cmp_ge_u32_e32 vcc, s12, v5
                                        ; implicit-def: $sgpr46
                                        ; implicit-def: $sgpr42_sgpr43
	s_and_saveexec_b64 s[44:45], vcc
	s_xor_b64 s[44:45], exec, s[44:45]
	s_cbranch_execz .LBB4_147
; %bb.142:                              ;   in Loop: Header=BB4_6 Depth=1
	ds_read_b32 v30, v24 offset:4096
	s_waitcnt lgkmcnt(0)
	v_cmp_ne_u32_e32 vcc, 0, v30
	s_cbranch_vccnz .LBB4_146
; %bb.143:                              ;   in Loop: Header=BB4_6 Depth=1
	s_mov_b64 s[42:43], exec
	v_readlane_b32 s46, v46, 6
	v_readlane_b32 s47, v46, 7
	s_and_b64 s[46:47], s[42:43], s[46:47]
	s_mov_b64 exec, s[46:47]
	s_cbranch_execz .LBB4_145
; %bb.144:                              ;   in Loop: Header=BB4_6 Depth=1
	v_mov_b32_e32 v30, s12
	ds_write_b32 v24, v30 offset:4100
.LBB4_145:                              ;   in Loop: Header=BB4_6 Depth=1
	s_or_b64 exec, exec, s[42:43]
	s_waitcnt lgkmcnt(0)
	s_barrier
.LBB4_146:                              ;   in Loop: Header=BB4_6 Depth=1
	v_and_b32_e32 v2, s5, v2
	v_lshl_or_b32 v2, 1, s13, v2
	v_or_b32_e32 v3, s4, v3
	s_mov_b64 s[42:43], 0
	s_mov_b32 s46, 8
.LBB4_147:                              ;   in Loop: Header=BB4_6 Depth=1
	s_or_saveexec_b64 s[44:45], s[44:45]
	v_mov_b32_e32 v30, s46
	s_xor_b64 exec, exec, s[44:45]
; %bb.148:                              ;   in Loop: Header=BB4_6 Depth=1
	v_subrev_u32_e32 v5, s12, v5
	v_mov_b32_e32 v30, 0
	s_or_b64 s[42:43], s[42:43], exec
; %bb.149:                              ;   in Loop: Header=BB4_6 Depth=1
	s_or_b64 exec, exec, s[44:45]
	s_and_b64 s[46:47], s[42:43], exec
	v_mov_b32_e32 v31, v5
.LBB4_150:                              ;   in Loop: Header=BB4_6 Depth=1
	s_or_b64 exec, exec, s[16:17]
	s_mov_b64 s[16:17], -1
                                        ; implicit-def: $sgpr44_sgpr45
                                        ; implicit-def: $sgpr48_sgpr49
                                        ; implicit-def: $sgpr50_sgpr51
	s_and_saveexec_b64 s[42:43], s[46:47]
	s_cbranch_execz .LBB4_227
; %bb.151:                              ;   in Loop: Header=BB4_6 Depth=1
	s_cmp_eq_u32 s6, 1
	s_cselect_b64 s[16:17], -1, 0
	v_cmp_eq_u32_e32 vcc, 1, v31
	s_and_b64 s[52:53], s[16:17], vcc
	s_mov_b64 s[54:55], -1
                                        ; implicit-def: $sgpr44_sgpr45
                                        ; implicit-def: $sgpr48_sgpr49
                                        ; implicit-def: $sgpr46_sgpr47
	s_and_saveexec_b64 s[16:17], s[52:53]
	s_cbranch_execz .LBB4_175
; %bb.152:                              ;   in Loop: Header=BB4_6 Depth=1
	ds_read_b32 v4, v24 offset:4096
	s_waitcnt lgkmcnt(0)
	s_barrier
	v_readfirstlane_b32 s54, v4
	s_and_saveexec_b64 s[44:45], s[10:11]
	s_cbranch_execz .LBB4_154
; %bb.153:                              ;   in Loop: Header=BB4_6 Depth=1
	ds_write_b8 v0, v1 offset:3072
.LBB4_154:                              ;   in Loop: Header=BB4_6 Depth=1
	s_or_b64 exec, exec, s[44:45]
	v_and_b32_e32 v2, s5, v2
	v_lshl_or_b32 v2, 2, s13, v2
	v_or_b32_e32 v3, s4, v3
	s_cmp_eq_u32 s54, 0
	s_waitcnt lgkmcnt(0)
	s_barrier
	s_cbranch_scc1 .LBB4_162
; %bb.155:                              ;   in Loop: Header=BB4_6 Depth=1
	v_readlane_b32 s44, v46, 19
	s_add_i32 s44, s54, s44
	v_readlane_b32 s45, v46, 39
	s_mul_hi_u32 s45, s44, s45
	s_mul_i32 s45, s45, s33
	s_sub_i32 s45, s44, s45
	s_sub_i32 s46, s45, s33
	s_cmp_ge_u32 s45, s33
	s_cselect_b32 s45, s46, s45
	s_sub_i32 s46, s45, s33
	s_cmp_ge_u32 s45, s33
	s_cselect_b32 s45, s46, s45
	s_sub_i32 s55, s44, s45
	v_cmp_gt_u32_e32 vcc, s55, v0
	s_mov_b64 s[50:51], 0
                                        ; implicit-def: $vgpr4
	s_and_saveexec_b64 s[44:45], vcc
	s_cbranch_execz .LBB4_164
; %bb.156:                              ;   in Loop: Header=BB4_6 Depth=1
	s_mov_b64 s[46:47], 0
	v_mov_b32_e32 v4, v0
                                        ; implicit-def: $sgpr48_sgpr49
	s_branch .LBB4_158
.LBB4_157:                              ;   in Loop: Header=BB4_158 Depth=2
	s_or_b64 exec, exec, s[50:51]
	s_waitcnt lgkmcnt(0)
	s_barrier
	ds_read_u16 v5, v24 offset:3072
	v_add_u32_e32 v4, s33, v4
	v_cmp_le_u32_e32 vcc, s55, v4
	s_waitcnt lgkmcnt(0)
	s_barrier
	v_cmp_ne_u16_sdwa s[50:51], v5, v1 src0_sel:BYTE_0 src1_sel:DWORD
	s_or_b64 s[56:57], vcc, s[50:51]
	s_and_b64 s[56:57], exec, s[56:57]
	s_or_b64 s[46:47], s[56:57], s[46:47]
	s_andn2_b64 s[48:49], s[48:49], exec
	s_and_b64 s[50:51], s[50:51], exec
	s_or_b64 s[48:49], s[48:49], s[50:51]
	s_andn2_b64 exec, exec, s[46:47]
	s_cbranch_execz .LBB4_163
.LBB4_158:                              ;   Parent Loop BB4_6 Depth=1
                                        ; =>  This Inner Loop Header: Depth=2
	v_cmp_gt_u32_e32 vcc, s54, v4
	v_mov_b32_e32 v5, 0
	s_and_saveexec_b64 s[50:51], vcc
	s_cbranch_execz .LBB4_160
; %bb.159:                              ;   in Loop: Header=BB4_158 Depth=2
	ds_read_u8 v5, v4
.LBB4_160:                              ;   in Loop: Header=BB4_158 Depth=2
	s_or_b64 exec, exec, s[50:51]
	s_waitcnt lgkmcnt(0)
	v_and_b32_e32 v30, v5, v3
	v_cmp_eq_u32_sdwa s[50:51], v30, v2 src0_sel:BYTE_0 src1_sel:DWORD
	s_and_b64 s[56:57], vcc, s[50:51]
	s_and_saveexec_b64 s[50:51], s[56:57]
	s_cbranch_execz .LBB4_157
; %bb.161:                              ;   in Loop: Header=BB4_158 Depth=2
	v_lshlrev_b16_e32 v5, 8, v5
	v_or_b32_e32 v5, 1, v5
	ds_write_b16 v24, v5 offset:3072
	s_branch .LBB4_157
.LBB4_162:                              ;   in Loop: Header=BB4_6 Depth=1
	s_mov_b64 s[44:45], -1
	s_mov_b64 s[50:51], 0
                                        ; implicit-def: $sgpr46_sgpr47
                                        ; implicit-def: $vgpr4
	s_mov_b64 s[48:49], s[44:45]
	s_cbranch_execnz .LBB4_165
	s_branch .LBB4_174
.LBB4_163:                              ;   in Loop: Header=BB4_6 Depth=1
	s_or_b64 exec, exec, s[46:47]
	v_lshrrev_b16_e32 v4, 8, v5
	s_and_b64 s[50:51], s[48:49], exec
.LBB4_164:                              ;   in Loop: Header=BB4_6 Depth=1
	s_or_b64 exec, exec, s[44:45]
	s_mov_b64 s[46:47], -1
	s_mov_b64 s[44:45], 0
	s_mov_b64 s[48:49], s[44:45]
	s_branch .LBB4_174
.LBB4_165:                              ;   in Loop: Header=BB4_6 Depth=1
	s_mov_b64 s[50:51], 0
                                        ; implicit-def: $vgpr4
	s_mov_b64 s[44:45], exec
	v_readlane_b32 s46, v46, 40
	v_readlane_b32 s47, v46, 41
	s_and_b64 s[46:47], s[44:45], s[46:47]
	s_mov_b64 exec, s[46:47]
	s_cbranch_execz .LBB4_173
; %bb.166:                              ;   in Loop: Header=BB4_6 Depth=1
	s_mov_b64 s[46:47], 0
	v_mov_b32_e32 v4, v15
	v_mov_b32_e32 v5, v0
                                        ; implicit-def: $sgpr48_sgpr49
	s_branch .LBB4_168
.LBB4_167:                              ;   in Loop: Header=BB4_168 Depth=2
	s_or_b64 exec, exec, s[50:51]
	s_waitcnt lgkmcnt(0)
	s_barrier
	ds_read_u16 v30, v24 offset:3072
	v_add_u32_e32 v5, s33, v5
	v_cmp_le_u32_e32 vcc, s7, v5
	v_add_u32_e32 v4, s8, v4
	s_waitcnt lgkmcnt(0)
	v_cmp_ne_u16_sdwa s[50:51], v30, v1 src0_sel:BYTE_0 src1_sel:DWORD
	s_or_b64 s[54:55], vcc, s[50:51]
	s_and_b64 s[54:55], exec, s[54:55]
	s_or_b64 s[46:47], s[54:55], s[46:47]
	s_andn2_b64 s[48:49], s[48:49], exec
	s_and_b64 s[50:51], s[50:51], exec
	s_or_b64 s[48:49], s[48:49], s[50:51]
	s_barrier
	s_andn2_b64 exec, exec, s[46:47]
	s_cbranch_execz .LBB4_172
.LBB4_168:                              ;   Parent Loop BB4_6 Depth=1
                                        ; =>  This Inner Loop Header: Depth=2
	v_cmp_gt_u32_e32 vcc, s60, v5
	v_mov_b32_e32 v30, 0
	s_and_saveexec_b64 s[50:51], vcc
	s_cbranch_execz .LBB4_170
; %bb.169:                              ;   in Loop: Header=BB4_168 Depth=2
	global_load_ubyte v30, v4, s[64:65]
.LBB4_170:                              ;   in Loop: Header=BB4_168 Depth=2
	s_or_b64 exec, exec, s[50:51]
	s_waitcnt vmcnt(0)
	v_and_b32_e32 v32, v30, v3
	v_cmp_eq_u32_sdwa s[50:51], v32, v2 src0_sel:BYTE_0 src1_sel:DWORD
	s_and_b64 s[54:55], vcc, s[50:51]
	s_and_saveexec_b64 s[50:51], s[54:55]
	s_cbranch_execz .LBB4_167
; %bb.171:                              ;   in Loop: Header=BB4_168 Depth=2
	v_lshlrev_b16_e32 v30, 8, v30
	v_or_b32_e32 v30, 1, v30
	ds_write_b16 v24, v30 offset:3072
	s_branch .LBB4_167
.LBB4_172:                              ;   in Loop: Header=BB4_6 Depth=1
	s_or_b64 exec, exec, s[46:47]
	v_lshrrev_b16_e32 v4, 8, v30
	s_and_b64 s[50:51], s[48:49], exec
.LBB4_173:                              ;   in Loop: Header=BB4_6 Depth=1
	s_or_b64 exec, exec, s[44:45]
	s_mov_b64 s[48:49], -1
	s_mov_b64 s[44:45], 0
	s_mov_b64 s[46:47], 0
.LBB4_174:                              ;   in Loop: Header=BB4_6 Depth=1
	s_orn2_b64 s[54:55], s[50:51], exec
.LBB4_175:                              ;   in Loop: Header=BB4_6 Depth=1
	s_or_b64 exec, exec, s[16:17]
	s_mov_b64 s[16:17], 0
                                        ; implicit-def: $vgpr30
	s_and_saveexec_b64 s[50:51], s[54:55]
	s_cbranch_execz .LBB4_226
; %bb.176:                              ;   in Loop: Header=BB4_6 Depth=1
	s_xor_b64 s[52:53], s[52:53], -1
	s_mov_b64 s[54:55], 0
	v_mov_b32_e32 v5, 1
	v_mov_b32_e32 v30, 1
	s_and_saveexec_b64 s[16:17], s[52:53]
	s_cbranch_execz .LBB4_186
; %bb.177:                              ;   in Loop: Header=BB4_6 Depth=1
	v_cmp_ge_u32_e32 vcc, s6, v31
                                        ; implicit-def: $sgpr56
                                        ; implicit-def: $sgpr52_sgpr53
	s_and_saveexec_b64 s[54:55], vcc
	s_xor_b64 s[54:55], exec, s[54:55]
	s_cbranch_execz .LBB4_183
; %bb.178:                              ;   in Loop: Header=BB4_6 Depth=1
	ds_read_b32 v5, v24 offset:4096
	s_waitcnt lgkmcnt(0)
	v_cmp_ne_u32_e32 vcc, 0, v5
	s_cbranch_vccnz .LBB4_182
; %bb.179:                              ;   in Loop: Header=BB4_6 Depth=1
	s_mov_b64 s[52:53], exec
	v_readlane_b32 s56, v46, 6
	v_readlane_b32 s57, v46, 7
	s_and_b64 s[56:57], s[52:53], s[56:57]
	s_mov_b64 exec, s[56:57]
	s_cbranch_execz .LBB4_181
; %bb.180:                              ;   in Loop: Header=BB4_6 Depth=1
	v_mov_b32_e32 v5, s6
	ds_write_b32 v24, v5 offset:4100
.LBB4_181:                              ;   in Loop: Header=BB4_6 Depth=1
	s_or_b64 exec, exec, s[52:53]
	s_waitcnt lgkmcnt(0)
	s_barrier
.LBB4_182:                              ;   in Loop: Header=BB4_6 Depth=1
	v_and_b32_e32 v2, s5, v2
	v_lshl_or_b32 v2, 2, s13, v2
	v_or_b32_e32 v3, s4, v3
	s_mov_b64 s[52:53], 0
	s_mov_b32 s56, 8
.LBB4_183:                              ;   in Loop: Header=BB4_6 Depth=1
	s_or_saveexec_b64 s[54:55], s[54:55]
	v_mov_b32_e32 v30, s56
	s_xor_b64 exec, exec, s[54:55]
; %bb.184:                              ;   in Loop: Header=BB4_6 Depth=1
	v_subrev_u32_e32 v31, s6, v31
	v_mov_b32_e32 v30, 0
	s_or_b64 s[52:53], s[52:53], exec
; %bb.185:                              ;   in Loop: Header=BB4_6 Depth=1
	s_or_b64 exec, exec, s[54:55]
	s_and_b64 s[54:55], s[52:53], exec
	v_mov_b32_e32 v5, v31
.LBB4_186:                              ;   in Loop: Header=BB4_6 Depth=1
	s_or_b64 exec, exec, s[16:17]
	s_mov_b64 s[16:17], -1
                                        ; implicit-def: $sgpr56_sgpr57
                                        ; implicit-def: $sgpr80_sgpr81
                                        ; implicit-def: $sgpr58_sgpr59
	s_and_saveexec_b64 s[52:53], s[54:55]
	s_cbranch_execz .LBB4_225
; %bb.187:                              ;   in Loop: Header=BB4_6 Depth=1
	s_cmp_eq_u32 s70, 1
	s_cselect_b64 s[16:17], -1, 0
	v_cmp_eq_u32_e32 vcc, 1, v5
	s_mov_b64 s[54:55], -1
	s_and_b64 s[16:17], s[16:17], vcc
                                        ; implicit-def: $sgpr56_sgpr57
                                        ; implicit-def: $sgpr80_sgpr81
	s_mov_b64 s[58:59], exec
	v_writelane_b32 v46, s16, 49
	v_writelane_b32 v46, s17, 50
	;; [unrolled: 1-line block ×3, first 2 shown]
	s_and_b64 vcc, s[58:59], s[16:17]
	v_writelane_b32 v46, s59, 52
                                        ; implicit-def: $sgpr58_sgpr59
	s_mov_b64 exec, vcc
	s_cbranch_execz .LBB4_212
; %bb.188:                              ;   in Loop: Header=BB4_6 Depth=1
	ds_read_b32 v4, v24 offset:4096
	s_waitcnt lgkmcnt(0)
	s_barrier
	v_readfirstlane_b32 s56, v4
	s_and_saveexec_b64 s[54:55], s[10:11]
	s_cbranch_execz .LBB4_190
; %bb.189:                              ;   in Loop: Header=BB4_6 Depth=1
	ds_write_b8 v0, v1 offset:3072
.LBB4_190:                              ;   in Loop: Header=BB4_6 Depth=1
	s_or_b64 exec, exec, s[54:55]
	v_or_b32_e32 v2, s4, v2
	v_or_b32_e32 v3, s4, v3
	s_cmp_eq_u32 s56, 0
	s_waitcnt lgkmcnt(0)
	s_barrier
	s_cbranch_scc1 .LBB4_198
; %bb.191:                              ;   in Loop: Header=BB4_6 Depth=1
	v_readlane_b32 s16, v46, 19
	s_add_i32 s16, s56, s16
	v_readlane_b32 s17, v46, 39
	s_mul_hi_u32 s17, s16, s17
	s_mul_i32 s17, s17, s33
	s_sub_i32 s17, s16, s17
	s_sub_i32 s54, s17, s33
	s_cmp_ge_u32 s17, s33
	s_cselect_b32 s17, s54, s17
	s_sub_i32 s54, s17, s33
	s_cmp_ge_u32 s17, s33
	s_cselect_b32 s17, s54, s17
	s_sub_i32 s57, s16, s17
	s_mov_b64 s[54:55], 0
	v_cmp_gt_u32_e32 vcc, s57, v0
                                        ; implicit-def: $vgpr4
	s_mov_b64 s[16:17], exec
	v_writelane_b32 v46, s16, 53
	s_and_b64 s[58:59], s[16:17], vcc
	v_writelane_b32 v46, s17, 54
	s_mov_b64 exec, s[58:59]
	s_cbranch_execz .LBB4_200
; %bb.192:                              ;   in Loop: Header=BB4_6 Depth=1
	v_mov_b32_e32 v4, v0
                                        ; implicit-def: $sgpr58_sgpr59
	s_branch .LBB4_194
.LBB4_193:                              ;   in Loop: Header=BB4_194 Depth=2
	s_or_b64 exec, exec, s[80:81]
	s_waitcnt lgkmcnt(0)
	s_barrier
	ds_read_u16 v30, v24 offset:3072
	v_add_u32_e32 v4, s33, v4
	v_cmp_le_u32_e32 vcc, s57, v4
	s_waitcnt lgkmcnt(0)
	s_barrier
	v_cmp_ne_u16_sdwa s[16:17], v30, v1 src0_sel:BYTE_0 src1_sel:DWORD
	s_or_b64 s[80:81], vcc, s[16:17]
	s_and_b64 s[80:81], exec, s[80:81]
	s_or_b64 s[54:55], s[80:81], s[54:55]
	s_andn2_b64 s[58:59], s[58:59], exec
	s_and_b64 s[16:17], s[16:17], exec
	s_or_b64 s[58:59], s[58:59], s[16:17]
	s_andn2_b64 exec, exec, s[54:55]
	s_cbranch_execz .LBB4_199
.LBB4_194:                              ;   Parent Loop BB4_6 Depth=1
                                        ; =>  This Inner Loop Header: Depth=2
	v_cmp_gt_u32_e32 vcc, s56, v4
	v_mov_b32_e32 v30, 0
	s_and_saveexec_b64 s[80:81], vcc
	s_cbranch_execz .LBB4_196
; %bb.195:                              ;   in Loop: Header=BB4_194 Depth=2
	ds_read_u8 v30, v4
.LBB4_196:                              ;   in Loop: Header=BB4_194 Depth=2
	s_or_b64 exec, exec, s[80:81]
	s_waitcnt lgkmcnt(0)
	v_and_b32_e32 v31, v30, v3
	v_cmp_eq_u32_sdwa s[16:17], v31, v2 src0_sel:BYTE_0 src1_sel:DWORD
	s_and_b64 s[16:17], vcc, s[16:17]
	s_and_saveexec_b64 s[80:81], s[16:17]
	s_cbranch_execz .LBB4_193
; %bb.197:                              ;   in Loop: Header=BB4_194 Depth=2
	v_lshlrev_b16_e32 v30, 8, v30
	v_or_b32_e32 v30, 1, v30
	ds_write_b16 v24, v30 offset:3072
	s_branch .LBB4_193
.LBB4_198:                              ;   in Loop: Header=BB4_6 Depth=1
	s_mov_b64 s[56:57], -1
	s_mov_b64 s[54:55], 0
                                        ; implicit-def: $sgpr58_sgpr59
                                        ; implicit-def: $vgpr4
	s_branch .LBB4_201
.LBB4_199:                              ;   in Loop: Header=BB4_6 Depth=1
	s_or_b64 exec, exec, s[54:55]
	v_lshrrev_b16_e32 v4, 8, v30
	s_and_b64 s[54:55], s[58:59], exec
.LBB4_200:                              ;   in Loop: Header=BB4_6 Depth=1
	v_readlane_b32 s16, v46, 53
	v_readlane_b32 s17, v46, 54
	s_or_b64 exec, exec, s[16:17]
	s_mov_b64 s[58:59], -1
	s_mov_b64 s[56:57], 0
.LBB4_201:                              ;   in Loop: Header=BB4_6 Depth=1
	s_and_b64 vcc, exec, s[56:57]
	s_mov_b64 s[80:81], s[56:57]
	s_cbranch_vccz .LBB4_211
; %bb.202:                              ;   in Loop: Header=BB4_6 Depth=1
	s_mov_b64 s[54:55], 0
                                        ; implicit-def: $vgpr4
	s_mov_b64 s[56:57], exec
	v_readlane_b32 s16, v46, 40
	v_readlane_b32 s17, v46, 41
	s_and_b64 s[16:17], s[56:57], s[16:17]
	s_mov_b64 exec, s[16:17]
	s_cbranch_execz .LBB4_210
; %bb.203:                              ;   in Loop: Header=BB4_6 Depth=1
	v_mov_b32_e32 v4, v15
	v_mov_b32_e32 v30, v0
                                        ; implicit-def: $sgpr58_sgpr59
	s_branch .LBB4_205
.LBB4_204:                              ;   in Loop: Header=BB4_205 Depth=2
	s_or_b64 exec, exec, s[80:81]
	s_waitcnt lgkmcnt(0)
	s_barrier
	ds_read_u16 v31, v24 offset:3072
	v_add_u32_e32 v30, s33, v30
	v_cmp_le_u32_e32 vcc, s7, v30
	v_add_u32_e32 v4, s8, v4
	s_waitcnt lgkmcnt(0)
	v_cmp_ne_u16_sdwa s[16:17], v31, v1 src0_sel:BYTE_0 src1_sel:DWORD
	s_or_b64 s[80:81], vcc, s[16:17]
	s_and_b64 s[80:81], exec, s[80:81]
	s_or_b64 s[54:55], s[80:81], s[54:55]
	s_andn2_b64 s[58:59], s[58:59], exec
	s_and_b64 s[16:17], s[16:17], exec
	s_or_b64 s[58:59], s[58:59], s[16:17]
	s_barrier
	s_andn2_b64 exec, exec, s[54:55]
	s_cbranch_execz .LBB4_209
.LBB4_205:                              ;   Parent Loop BB4_6 Depth=1
                                        ; =>  This Inner Loop Header: Depth=2
	v_cmp_gt_u32_e32 vcc, s60, v30
	v_mov_b32_e32 v31, 0
	s_and_saveexec_b64 s[80:81], vcc
	s_cbranch_execz .LBB4_207
; %bb.206:                              ;   in Loop: Header=BB4_205 Depth=2
	global_load_ubyte v31, v4, s[64:65]
.LBB4_207:                              ;   in Loop: Header=BB4_205 Depth=2
	s_or_b64 exec, exec, s[80:81]
	s_waitcnt vmcnt(0)
	v_and_b32_e32 v32, v31, v3
	v_cmp_eq_u32_sdwa s[16:17], v32, v2 src0_sel:BYTE_0 src1_sel:DWORD
	s_and_b64 s[16:17], vcc, s[16:17]
	s_and_saveexec_b64 s[80:81], s[16:17]
	s_cbranch_execz .LBB4_204
; %bb.208:                              ;   in Loop: Header=BB4_205 Depth=2
	v_lshlrev_b16_e32 v31, 8, v31
	v_or_b32_e32 v31, 1, v31
	ds_write_b16 v24, v31 offset:3072
	s_branch .LBB4_204
.LBB4_209:                              ;   in Loop: Header=BB4_6 Depth=1
	s_or_b64 exec, exec, s[54:55]
	v_lshrrev_b16_e32 v4, 8, v31
	s_and_b64 s[54:55], s[58:59], exec
.LBB4_210:                              ;   in Loop: Header=BB4_6 Depth=1
	s_or_b64 exec, exec, s[56:57]
	s_mov_b64 s[80:81], -1
	s_mov_b64 s[56:57], 0
	s_mov_b64 s[58:59], 0
.LBB4_211:                              ;   in Loop: Header=BB4_6 Depth=1
	s_orn2_b64 s[54:55], s[54:55], exec
.LBB4_212:                              ;   in Loop: Header=BB4_6 Depth=1
	v_readlane_b32 s16, v46, 51
	v_readlane_b32 s17, v46, 52
	s_or_b64 exec, exec, s[16:17]
	s_mov_b64 vcc, 0
                                        ; implicit-def: $vgpr30
                                        ; implicit-def: $vgpr31
	s_and_saveexec_b64 s[16:17], s[54:55]
	s_cbranch_execz .LBB4_224
; %bb.213:                              ;   in Loop: Header=BB4_6 Depth=1
	v_readlane_b32 s54, v46, 49
	v_readlane_b32 s55, v46, 50
	s_xor_b64 vcc, s[54:55], -1
	v_mov_b32_e32 v30, 1
	v_mov_b32_e32 v31, 1
	s_and_saveexec_b64 s[54:55], vcc
	s_cbranch_execz .LBB4_223
; %bb.214:                              ;   in Loop: Header=BB4_6 Depth=1
	v_writelane_b32 v46, s58, 55
	v_cmp_ge_u32_e32 vcc, s70, v5
	v_writelane_b32 v46, s59, 56
                                        ; implicit-def: $sgpr58
                                        ; kill: killed $sgpr58
	s_and_saveexec_b64 s[58:59], vcc
	s_xor_b64 s[58:59], exec, s[58:59]
	s_cbranch_execz .LBB4_220
; %bb.215:                              ;   in Loop: Header=BB4_6 Depth=1
	ds_read_b32 v30, v24 offset:4096
	s_waitcnt lgkmcnt(0)
	v_cmp_ne_u32_e32 vcc, 0, v30
	s_cbranch_vccnz .LBB4_219
; %bb.216:                              ;   in Loop: Header=BB4_6 Depth=1
	v_writelane_b32 v46, s58, 57
	v_writelane_b32 v46, s59, 58
	s_mov_b64 vcc, exec
	v_readlane_b32 s58, v46, 6
	v_readlane_b32 s59, v46, 7
	s_and_b64 s[58:59], vcc, s[58:59]
	s_mov_b64 exec, s[58:59]
	s_cbranch_execz .LBB4_218
; %bb.217:                              ;   in Loop: Header=BB4_6 Depth=1
	v_mov_b32_e32 v30, s70
	ds_write_b32 v24, v30 offset:4100
.LBB4_218:                              ;   in Loop: Header=BB4_6 Depth=1
	s_or_b64 exec, exec, vcc
	v_readlane_b32 s58, v46, 57
	v_readlane_b32 s59, v46, 58
	s_waitcnt lgkmcnt(0)
	s_barrier
.LBB4_219:                              ;   in Loop: Header=BB4_6 Depth=1
	v_or_b32_e32 v2, s4, v2
	v_or_b32_e32 v3, s4, v3
	s_mov_b32 vcc_lo, 8
	v_writelane_b32 v46, vcc_lo, 59
.LBB4_220:                              ;   in Loop: Header=BB4_6 Depth=1
	s_or_saveexec_b64 vcc, s[58:59]
	v_readlane_b32 s58, v46, 59
	v_mov_b32_e32 v30, s58
	s_xor_b64 exec, exec, vcc
; %bb.221:                              ;   in Loop: Header=BB4_6 Depth=1
	v_subrev_u32_e32 v5, s70, v5
	v_mov_b32_e32 v30, 8
; %bb.222:                              ;   in Loop: Header=BB4_6 Depth=1
	s_or_b64 exec, exec, vcc
	v_readlane_b32 s58, v46, 55
	v_mov_b32_e32 v31, v5
	v_readlane_b32 s59, v46, 56
.LBB4_223:                              ;   in Loop: Header=BB4_6 Depth=1
	s_or_b64 exec, exec, s[54:55]
	s_mov_b64 vcc, exec
.LBB4_224:                              ;   in Loop: Header=BB4_6 Depth=1
	s_or_b64 exec, exec, s[16:17]
	s_orn2_b64 s[16:17], vcc, exec
	v_mov_b32_e32 v5, v31
.LBB4_225:                              ;   in Loop: Header=BB4_6 Depth=1
	s_or_b64 exec, exec, s[52:53]
	s_andn2_b64 s[44:45], s[44:45], exec
	s_and_b64 s[52:53], s[56:57], exec
	s_or_b64 s[44:45], s[44:45], s[52:53]
	s_andn2_b64 s[48:49], s[48:49], exec
	s_and_b64 s[52:53], s[80:81], exec
	s_or_b64 s[48:49], s[48:49], s[52:53]
	;; [unrolled: 3-line block ×3, first 2 shown]
	s_and_b64 s[16:17], s[16:17], exec
	v_mov_b32_e32 v31, v5
.LBB4_226:                              ;   in Loop: Header=BB4_6 Depth=1
	s_or_b64 exec, exec, s[50:51]
	s_and_b64 s[50:51], s[44:45], exec
	s_and_b64 s[48:49], s[48:49], exec
	;; [unrolled: 1-line block ×3, first 2 shown]
	s_orn2_b64 s[16:17], s[16:17], exec
.LBB4_227:                              ;   in Loop: Header=BB4_6 Depth=1
	s_or_b64 exec, exec, s[42:43]
	s_andn2_b64 s[24:25], s[24:25], exec
	s_and_b64 s[42:43], s[50:51], exec
	s_or_b64 s[24:25], s[24:25], s[42:43]
	s_andn2_b64 s[38:39], s[38:39], exec
	s_and_b64 s[42:43], s[48:49], exec
	s_or_b64 s[38:39], s[38:39], s[42:43]
	;; [unrolled: 3-line block ×3, first 2 shown]
	s_and_b64 s[44:45], s[16:17], exec
	v_mov_b32_e32 v5, v31
.LBB4_228:                              ;   in Loop: Header=BB4_6 Depth=1
	s_or_b64 exec, exec, s[40:41]
	s_and_b64 s[40:41], s[24:25], exec
	s_and_b64 s[24:25], s[38:39], exec
	;; [unrolled: 1-line block ×3, first 2 shown]
	s_orn2_b64 s[38:39], s[44:45], exec
.LBB4_229:                              ;   in Loop: Header=BB4_6 Depth=1
	s_or_b64 exec, exec, s[20:21]
	s_mov_b64 s[36:37], 0
	s_mov_b64 s[20:21], 0
	s_and_saveexec_b64 s[42:43], s[38:39]
	s_xor_b64 s[38:39], exec, s[42:43]
; %bb.230:                              ;   in Loop: Header=BB4_6 Depth=1
	v_cmp_eq_u32_e32 vcc, 8, v30
	v_cmp_ne_u32_e64 s[20:21], 8, v30
	s_andn2_b64 s[40:41], s[40:41], exec
	s_andn2_b64 s[24:25], s[24:25], exec
	;; [unrolled: 1-line block ×3, first 2 shown]
	s_and_b64 s[20:21], s[20:21], exec
	s_and_b64 s[36:37], vcc, exec
; %bb.231:                              ;   in Loop: Header=BB4_6 Depth=1
	s_or_b64 exec, exec, s[38:39]
	s_andn2_b64 s[28:29], s[28:29], exec
	s_and_b64 s[24:25], s[24:25], exec
	s_andn2_b64 s[22:23], s[22:23], exec
	s_and_b64 s[38:39], s[40:41], exec
	s_or_b64 s[28:29], s[28:29], s[24:25]
	s_andn2_b64 s[24:25], s[26:27], exec
	s_and_b64 s[16:17], s[16:17], exec
	s_or_b64 s[22:23], s[22:23], s[38:39]
	s_or_b64 s[26:27], s[24:25], s[16:17]
	s_and_b64 s[20:21], s[20:21], exec
	s_and_b64 s[24:25], s[36:37], exec
.LBB4_232:                              ;   in Loop: Header=BB4_6 Depth=1
	s_or_b64 exec, exec, s[34:35]
	s_and_b64 vcc, exec, s[30:31]
	s_cbranch_vccz .LBB4_89
.LBB4_233:                              ;   in Loop: Header=BB4_6 Depth=1
	s_cmp_eq_u32 s70, 1
	s_cselect_b64 s[16:17], -1, 0
	s_and_b64 s[18:19], s[16:17], s[18:19]
	s_mov_b64 s[28:29], -1
                                        ; implicit-def: $sgpr30_sgpr31
                                        ; implicit-def: $sgpr34_sgpr35
                                        ; implicit-def: $sgpr22_sgpr23
	s_and_saveexec_b64 s[16:17], s[18:19]
	s_cbranch_execz .LBB4_257
; %bb.234:                              ;   in Loop: Header=BB4_6 Depth=1
	ds_read_b32 v2, v24 offset:4096
	s_waitcnt lgkmcnt(0)
	s_barrier
	v_readfirstlane_b32 s34, v2
	s_and_saveexec_b64 s[22:23], s[10:11]
	s_cbranch_execz .LBB4_236
; %bb.235:                              ;   in Loop: Header=BB4_6 Depth=1
	ds_write_b8 v0, v1 offset:3072
.LBB4_236:                              ;   in Loop: Header=BB4_6 Depth=1
	s_or_b64 exec, exec, s[22:23]
	v_or_b32_e32 v27, s4, v27
	v_or_b32_e32 v26, s4, v26
	s_cmp_eq_u32 s34, 0
	s_waitcnt lgkmcnt(0)
	s_barrier
	s_cbranch_scc1 .LBB4_244
; %bb.237:                              ;   in Loop: Header=BB4_6 Depth=1
	v_readlane_b32 s22, v46, 19
	s_add_i32 s22, s34, s22
	v_readlane_b32 s23, v46, 39
	s_mul_hi_u32 s23, s22, s23
	s_mul_i32 s23, s23, s33
	s_sub_i32 s23, s22, s23
	s_sub_i32 s26, s23, s33
	s_cmp_ge_u32 s23, s33
	s_cselect_b32 s23, s26, s23
	s_sub_i32 s26, s23, s33
	s_cmp_ge_u32 s23, s33
	s_cselect_b32 s23, s26, s23
	s_sub_i32 s35, s22, s23
	v_cmp_gt_u32_e32 vcc, s35, v0
	s_mov_b64 s[26:27], 0
                                        ; implicit-def: $vgpr28
	s_and_saveexec_b64 s[22:23], vcc
	s_cbranch_execz .LBB4_246
; %bb.238:                              ;   in Loop: Header=BB4_6 Depth=1
	v_mov_b32_e32 v2, v0
                                        ; implicit-def: $sgpr28_sgpr29
	s_branch .LBB4_240
.LBB4_239:                              ;   in Loop: Header=BB4_240 Depth=2
	s_or_b64 exec, exec, s[30:31]
	s_waitcnt lgkmcnt(0)
	s_barrier
	ds_read_u16 v3, v24 offset:3072
	v_add_u32_e32 v2, s33, v2
	v_cmp_le_u32_e32 vcc, s35, v2
	s_waitcnt lgkmcnt(0)
	s_barrier
	v_cmp_ne_u16_sdwa s[30:31], v3, v1 src0_sel:BYTE_0 src1_sel:DWORD
	s_or_b64 s[36:37], vcc, s[30:31]
	s_and_b64 s[36:37], exec, s[36:37]
	s_or_b64 s[26:27], s[36:37], s[26:27]
	s_andn2_b64 s[28:29], s[28:29], exec
	s_and_b64 s[30:31], s[30:31], exec
	s_or_b64 s[28:29], s[28:29], s[30:31]
	s_andn2_b64 exec, exec, s[26:27]
	s_cbranch_execz .LBB4_245
.LBB4_240:                              ;   Parent Loop BB4_6 Depth=1
                                        ; =>  This Inner Loop Header: Depth=2
	v_cmp_gt_u32_e32 vcc, s34, v2
	v_mov_b32_e32 v3, 0
	s_and_saveexec_b64 s[30:31], vcc
	s_cbranch_execz .LBB4_242
; %bb.241:                              ;   in Loop: Header=BB4_240 Depth=2
	ds_read_u8 v3, v2
.LBB4_242:                              ;   in Loop: Header=BB4_240 Depth=2
	s_or_b64 exec, exec, s[30:31]
	s_waitcnt lgkmcnt(0)
	v_and_b32_e32 v4, v3, v26
	v_cmp_eq_u32_sdwa s[30:31], v4, v27 src0_sel:BYTE_0 src1_sel:DWORD
	s_and_b64 s[36:37], vcc, s[30:31]
	s_and_saveexec_b64 s[30:31], s[36:37]
	s_cbranch_execz .LBB4_239
; %bb.243:                              ;   in Loop: Header=BB4_240 Depth=2
	v_lshlrev_b16_e32 v3, 8, v3
	v_or_b32_e32 v3, 1, v3
	ds_write_b16 v24, v3 offset:3072
	s_branch .LBB4_239
.LBB4_244:                              ;   in Loop: Header=BB4_6 Depth=1
	s_mov_b64 s[30:31], -1
	s_mov_b64 s[26:27], 0
                                        ; implicit-def: $sgpr34_sgpr35
                                        ; implicit-def: $vgpr28
	s_mov_b64 s[22:23], s[30:31]
	s_cbranch_execnz .LBB4_247
	s_branch .LBB4_256
.LBB4_245:                              ;   in Loop: Header=BB4_6 Depth=1
	s_or_b64 exec, exec, s[26:27]
	v_lshrrev_b16_e32 v28, 8, v3
	s_and_b64 s[26:27], s[28:29], exec
.LBB4_246:                              ;   in Loop: Header=BB4_6 Depth=1
	s_or_b64 exec, exec, s[22:23]
	s_mov_b64 s[30:31], 0
	s_mov_b64 s[34:35], -1
	s_mov_b64 s[22:23], s[30:31]
	s_branch .LBB4_256
.LBB4_247:                              ;   in Loop: Header=BB4_6 Depth=1
	s_mov_b64 s[26:27], 0
                                        ; implicit-def: $vgpr28
	s_mov_b64 s[22:23], exec
	v_readlane_b32 s28, v46, 40
	v_readlane_b32 s29, v46, 41
	s_and_b64 s[28:29], s[22:23], s[28:29]
	s_mov_b64 exec, s[28:29]
	s_cbranch_execz .LBB4_255
; %bb.248:                              ;   in Loop: Header=BB4_6 Depth=1
	v_mov_b32_e32 v2, v15
	v_mov_b32_e32 v3, v0
                                        ; implicit-def: $sgpr28_sgpr29
	s_branch .LBB4_250
.LBB4_249:                              ;   in Loop: Header=BB4_250 Depth=2
	s_or_b64 exec, exec, s[30:31]
	s_waitcnt lgkmcnt(0)
	s_barrier
	ds_read_u16 v4, v24 offset:3072
	v_add_u32_e32 v3, s33, v3
	v_cmp_le_u32_e32 vcc, s7, v3
	v_add_u32_e32 v2, s8, v2
	s_waitcnt lgkmcnt(0)
	v_cmp_ne_u16_sdwa s[30:31], v4, v1 src0_sel:BYTE_0 src1_sel:DWORD
	s_or_b64 s[34:35], vcc, s[30:31]
	s_and_b64 s[34:35], exec, s[34:35]
	s_or_b64 s[26:27], s[34:35], s[26:27]
	s_andn2_b64 s[28:29], s[28:29], exec
	s_and_b64 s[30:31], s[30:31], exec
	s_or_b64 s[28:29], s[28:29], s[30:31]
	s_barrier
	s_andn2_b64 exec, exec, s[26:27]
	s_cbranch_execz .LBB4_254
.LBB4_250:                              ;   Parent Loop BB4_6 Depth=1
                                        ; =>  This Inner Loop Header: Depth=2
	v_cmp_gt_u32_e32 vcc, s60, v3
	v_mov_b32_e32 v4, 0
	s_and_saveexec_b64 s[30:31], vcc
	s_cbranch_execz .LBB4_252
; %bb.251:                              ;   in Loop: Header=BB4_250 Depth=2
	global_load_ubyte v4, v2, s[64:65]
.LBB4_252:                              ;   in Loop: Header=BB4_250 Depth=2
	s_or_b64 exec, exec, s[30:31]
	s_waitcnt vmcnt(0)
	v_and_b32_e32 v5, v4, v26
	v_cmp_eq_u32_sdwa s[30:31], v5, v27 src0_sel:BYTE_0 src1_sel:DWORD
	s_and_b64 s[34:35], vcc, s[30:31]
	s_and_saveexec_b64 s[30:31], s[34:35]
	s_cbranch_execz .LBB4_249
; %bb.253:                              ;   in Loop: Header=BB4_250 Depth=2
	v_lshlrev_b16_e32 v4, 8, v4
	v_or_b32_e32 v4, 1, v4
	ds_write_b16 v24, v4 offset:3072
	s_branch .LBB4_249
.LBB4_254:                              ;   in Loop: Header=BB4_6 Depth=1
	s_or_b64 exec, exec, s[26:27]
	v_lshrrev_b16_e32 v28, 8, v4
	s_and_b64 s[26:27], s[28:29], exec
.LBB4_255:                              ;   in Loop: Header=BB4_6 Depth=1
	s_or_b64 exec, exec, s[22:23]
	s_mov_b64 s[34:35], 0
	s_mov_b64 s[30:31], -1
	s_mov_b64 s[22:23], 0
.LBB4_256:                              ;   in Loop: Header=BB4_6 Depth=1
	s_orn2_b64 s[28:29], s[26:27], exec
.LBB4_257:                              ;   in Loop: Header=BB4_6 Depth=1
	s_or_b64 exec, exec, s[16:17]
                                        ; implicit-def: $vgpr30
                                        ; implicit-def: $vgpr5
                                        ; implicit-def: $vgpr2
                                        ; implicit-def: $vgpr3
                                        ; implicit-def: $vgpr4
	s_and_saveexec_b64 s[26:27], s[28:29]
	s_cbranch_execz .LBB4_386
; %bb.258:                              ;   in Loop: Header=BB4_6 Depth=1
	s_xor_b64 s[28:29], s[18:19], -1
	s_mov_b64 s[18:19], 0
	v_mov_b32_e32 v5, 1
	v_mov_b32_e32 v30, 1
	s_and_saveexec_b64 s[16:17], s[28:29]
	s_cbranch_execz .LBB4_268
; %bb.259:                              ;   in Loop: Header=BB4_6 Depth=1
	v_cmp_ge_u32_e32 vcc, s70, v29
                                        ; implicit-def: $sgpr36
                                        ; implicit-def: $sgpr18_sgpr19
	s_and_saveexec_b64 s[28:29], vcc
	s_xor_b64 s[28:29], exec, s[28:29]
	s_cbranch_execz .LBB4_265
; %bb.260:                              ;   in Loop: Header=BB4_6 Depth=1
	ds_read_b32 v2, v24 offset:4096
	s_waitcnt lgkmcnt(0)
	v_cmp_ne_u32_e32 vcc, 0, v2
	s_cbranch_vccnz .LBB4_264
; %bb.261:                              ;   in Loop: Header=BB4_6 Depth=1
	s_mov_b64 s[18:19], exec
	v_readlane_b32 s36, v46, 6
	v_readlane_b32 s37, v46, 7
	s_and_b64 s[36:37], s[18:19], s[36:37]
	s_mov_b64 exec, s[36:37]
	s_cbranch_execz .LBB4_263
; %bb.262:                              ;   in Loop: Header=BB4_6 Depth=1
	v_mov_b32_e32 v2, s70
	ds_write_b32 v24, v2 offset:4100
.LBB4_263:                              ;   in Loop: Header=BB4_6 Depth=1
	s_or_b64 exec, exec, s[18:19]
	s_waitcnt lgkmcnt(0)
	s_barrier
.LBB4_264:                              ;   in Loop: Header=BB4_6 Depth=1
	v_or_b32_e32 v27, s4, v27
	v_or_b32_e32 v26, s4, v26
	s_mov_b64 s[18:19], 0
	s_mov_b32 s36, 5
.LBB4_265:                              ;   in Loop: Header=BB4_6 Depth=1
	s_or_saveexec_b64 s[28:29], s[28:29]
	v_mov_b32_e32 v30, s36
	s_xor_b64 exec, exec, s[28:29]
; %bb.266:                              ;   in Loop: Header=BB4_6 Depth=1
	v_subrev_u32_e32 v29, s70, v29
	v_mov_b32_e32 v30, 0
	s_or_b64 s[18:19], s[18:19], exec
; %bb.267:                              ;   in Loop: Header=BB4_6 Depth=1
	s_or_b64 exec, exec, s[28:29]
	s_and_b64 s[18:19], s[18:19], exec
	v_mov_b32_e32 v5, v29
.LBB4_268:                              ;   in Loop: Header=BB4_6 Depth=1
	s_or_b64 exec, exec, s[16:17]
	s_mov_b64 s[38:39], -1
                                        ; implicit-def: $sgpr16_sgpr17
                                        ; implicit-def: $sgpr28_sgpr29
                                        ; implicit-def: $sgpr40_sgpr41
	s_and_saveexec_b64 s[36:37], s[18:19]
	s_xor_b64 s[18:19], exec, s[36:37]
	s_cbranch_execz .LBB4_383
; %bb.269:                              ;   in Loop: Header=BB4_6 Depth=1
	s_cmp_eq_u32 s6, 1
	s_cselect_b64 s[16:17], -1, 0
	v_cmp_eq_u32_e32 vcc, 1, v5
	s_and_b64 s[42:43], s[16:17], vcc
	s_mov_b64 s[46:47], -1
                                        ; implicit-def: $sgpr28_sgpr29
                                        ; implicit-def: $sgpr36_sgpr37
                                        ; implicit-def: $sgpr38_sgpr39
	s_and_saveexec_b64 s[16:17], s[42:43]
	s_cbranch_execz .LBB4_293
; %bb.270:                              ;   in Loop: Header=BB4_6 Depth=1
	ds_read_b32 v2, v24 offset:4096
	s_waitcnt lgkmcnt(0)
	s_barrier
	v_readfirstlane_b32 s44, v2
	s_and_saveexec_b64 s[28:29], s[10:11]
	s_cbranch_execz .LBB4_272
; %bb.271:                              ;   in Loop: Header=BB4_6 Depth=1
	ds_write_b8 v0, v1 offset:3072
.LBB4_272:                              ;   in Loop: Header=BB4_6 Depth=1
	s_or_b64 exec, exec, s[28:29]
	v_and_b32_e32 v2, s5, v27
	v_lshl_or_b32 v27, 2, s13, v2
	v_or_b32_e32 v26, s4, v26
	s_cmp_eq_u32 s44, 0
	s_waitcnt lgkmcnt(0)
	s_barrier
	s_cbranch_scc1 .LBB4_280
; %bb.273:                              ;   in Loop: Header=BB4_6 Depth=1
	v_readlane_b32 s28, v46, 19
	s_add_i32 s28, s44, s28
	v_readlane_b32 s29, v46, 39
	s_mul_hi_u32 s29, s28, s29
	s_mul_i32 s29, s29, s33
	s_sub_i32 s29, s28, s29
	s_sub_i32 s36, s29, s33
	s_cmp_ge_u32 s29, s33
	s_cselect_b32 s29, s36, s29
	s_sub_i32 s36, s29, s33
	s_cmp_ge_u32 s29, s33
	s_cselect_b32 s29, s36, s29
	s_sub_i32 s45, s28, s29
	v_cmp_gt_u32_e32 vcc, s45, v0
	s_mov_b64 s[40:41], 0
                                        ; implicit-def: $vgpr28
	s_and_saveexec_b64 s[28:29], vcc
	s_cbranch_execz .LBB4_282
; %bb.274:                              ;   in Loop: Header=BB4_6 Depth=1
	s_mov_b64 s[36:37], 0
	v_mov_b32_e32 v2, v0
                                        ; implicit-def: $sgpr38_sgpr39
	s_branch .LBB4_276
.LBB4_275:                              ;   in Loop: Header=BB4_276 Depth=2
	s_or_b64 exec, exec, s[40:41]
	s_waitcnt lgkmcnt(0)
	s_barrier
	ds_read_u16 v3, v24 offset:3072
	v_add_u32_e32 v2, s33, v2
	v_cmp_le_u32_e32 vcc, s45, v2
	s_waitcnt lgkmcnt(0)
	s_barrier
	v_cmp_ne_u16_sdwa s[40:41], v3, v1 src0_sel:BYTE_0 src1_sel:DWORD
	s_or_b64 s[46:47], vcc, s[40:41]
	s_and_b64 s[46:47], exec, s[46:47]
	s_or_b64 s[36:37], s[46:47], s[36:37]
	s_andn2_b64 s[38:39], s[38:39], exec
	s_and_b64 s[40:41], s[40:41], exec
	s_or_b64 s[38:39], s[38:39], s[40:41]
	s_andn2_b64 exec, exec, s[36:37]
	s_cbranch_execz .LBB4_281
.LBB4_276:                              ;   Parent Loop BB4_6 Depth=1
                                        ; =>  This Inner Loop Header: Depth=2
	v_cmp_gt_u32_e32 vcc, s44, v2
	v_mov_b32_e32 v3, 0
	s_and_saveexec_b64 s[40:41], vcc
	s_cbranch_execz .LBB4_278
; %bb.277:                              ;   in Loop: Header=BB4_276 Depth=2
	ds_read_u8 v3, v2
.LBB4_278:                              ;   in Loop: Header=BB4_276 Depth=2
	s_or_b64 exec, exec, s[40:41]
	s_waitcnt lgkmcnt(0)
	v_and_b32_e32 v4, v3, v26
	v_cmp_eq_u32_sdwa s[40:41], v4, v27 src0_sel:BYTE_0 src1_sel:DWORD
	s_and_b64 s[46:47], vcc, s[40:41]
	s_and_saveexec_b64 s[40:41], s[46:47]
	s_cbranch_execz .LBB4_275
; %bb.279:                              ;   in Loop: Header=BB4_276 Depth=2
	v_lshlrev_b16_e32 v3, 8, v3
	v_or_b32_e32 v3, 1, v3
	ds_write_b16 v24, v3 offset:3072
	s_branch .LBB4_275
.LBB4_280:                              ;   in Loop: Header=BB4_6 Depth=1
	s_mov_b64 s[28:29], -1
	s_mov_b64 s[40:41], 0
                                        ; implicit-def: $sgpr36_sgpr37
                                        ; implicit-def: $vgpr28
	s_mov_b64 s[38:39], s[28:29]
	s_cbranch_execnz .LBB4_283
	s_branch .LBB4_292
.LBB4_281:                              ;   in Loop: Header=BB4_6 Depth=1
	s_or_b64 exec, exec, s[36:37]
	v_lshrrev_b16_e32 v28, 8, v3
	s_and_b64 s[40:41], s[38:39], exec
.LBB4_282:                              ;   in Loop: Header=BB4_6 Depth=1
	s_or_b64 exec, exec, s[28:29]
	s_mov_b64 s[28:29], 0
	s_mov_b64 s[36:37], -1
	s_mov_b64 s[38:39], s[28:29]
	s_branch .LBB4_292
.LBB4_283:                              ;   in Loop: Header=BB4_6 Depth=1
	s_mov_b64 s[40:41], 0
                                        ; implicit-def: $vgpr28
	s_mov_b64 s[28:29], exec
	v_readlane_b32 s36, v46, 40
	v_readlane_b32 s37, v46, 41
	s_and_b64 s[36:37], s[28:29], s[36:37]
	s_mov_b64 exec, s[36:37]
	s_cbranch_execz .LBB4_291
; %bb.284:                              ;   in Loop: Header=BB4_6 Depth=1
	s_mov_b64 s[36:37], 0
	v_mov_b32_e32 v2, v15
	v_mov_b32_e32 v3, v0
                                        ; implicit-def: $sgpr38_sgpr39
	s_branch .LBB4_286
.LBB4_285:                              ;   in Loop: Header=BB4_286 Depth=2
	s_or_b64 exec, exec, s[40:41]
	s_waitcnt lgkmcnt(0)
	s_barrier
	ds_read_u16 v4, v24 offset:3072
	v_add_u32_e32 v3, s33, v3
	v_cmp_le_u32_e32 vcc, s7, v3
	v_add_u32_e32 v2, s8, v2
	s_waitcnt lgkmcnt(0)
	v_cmp_ne_u16_sdwa s[40:41], v4, v1 src0_sel:BYTE_0 src1_sel:DWORD
	s_or_b64 s[44:45], vcc, s[40:41]
	s_and_b64 s[44:45], exec, s[44:45]
	s_or_b64 s[36:37], s[44:45], s[36:37]
	s_andn2_b64 s[38:39], s[38:39], exec
	s_and_b64 s[40:41], s[40:41], exec
	s_or_b64 s[38:39], s[38:39], s[40:41]
	s_barrier
	s_andn2_b64 exec, exec, s[36:37]
	s_cbranch_execz .LBB4_290
.LBB4_286:                              ;   Parent Loop BB4_6 Depth=1
                                        ; =>  This Inner Loop Header: Depth=2
	v_cmp_gt_u32_e32 vcc, s60, v3
	v_mov_b32_e32 v4, 0
	s_and_saveexec_b64 s[40:41], vcc
	s_cbranch_execz .LBB4_288
; %bb.287:                              ;   in Loop: Header=BB4_286 Depth=2
	global_load_ubyte v4, v2, s[64:65]
.LBB4_288:                              ;   in Loop: Header=BB4_286 Depth=2
	s_or_b64 exec, exec, s[40:41]
	s_waitcnt vmcnt(0)
	v_and_b32_e32 v28, v4, v26
	v_cmp_eq_u32_sdwa s[40:41], v28, v27 src0_sel:BYTE_0 src1_sel:DWORD
	s_and_b64 s[44:45], vcc, s[40:41]
	s_and_saveexec_b64 s[40:41], s[44:45]
	s_cbranch_execz .LBB4_285
; %bb.289:                              ;   in Loop: Header=BB4_286 Depth=2
	v_lshlrev_b16_e32 v4, 8, v4
	v_or_b32_e32 v4, 1, v4
	ds_write_b16 v24, v4 offset:3072
	s_branch .LBB4_285
.LBB4_290:                              ;   in Loop: Header=BB4_6 Depth=1
	s_or_b64 exec, exec, s[36:37]
	v_lshrrev_b16_e32 v28, 8, v4
	s_and_b64 s[40:41], s[38:39], exec
.LBB4_291:                              ;   in Loop: Header=BB4_6 Depth=1
	s_or_b64 exec, exec, s[28:29]
	s_mov_b64 s[36:37], 0
	s_mov_b64 s[28:29], -1
	s_mov_b64 s[38:39], 0
.LBB4_292:                              ;   in Loop: Header=BB4_6 Depth=1
	s_orn2_b64 s[46:47], s[40:41], exec
.LBB4_293:                              ;   in Loop: Header=BB4_6 Depth=1
	s_or_b64 exec, exec, s[16:17]
	s_mov_b64 s[44:45], 0
                                        ; implicit-def: $vgpr30
	s_and_saveexec_b64 s[40:41], s[46:47]
	s_cbranch_execz .LBB4_382
; %bb.294:                              ;   in Loop: Header=BB4_6 Depth=1
	s_xor_b64 s[42:43], s[42:43], -1
	s_mov_b64 s[48:49], 0
	v_mov_b32_e32 v2, 1
	v_mov_b32_e32 v30, 1
	s_and_saveexec_b64 s[16:17], s[42:43]
	s_cbranch_execz .LBB4_304
; %bb.295:                              ;   in Loop: Header=BB4_6 Depth=1
	v_cmp_ge_u32_e32 vcc, s6, v5
                                        ; implicit-def: $sgpr46
                                        ; implicit-def: $sgpr42_sgpr43
	s_and_saveexec_b64 s[44:45], vcc
	s_xor_b64 s[44:45], exec, s[44:45]
	s_cbranch_execz .LBB4_301
; %bb.296:                              ;   in Loop: Header=BB4_6 Depth=1
	ds_read_b32 v2, v24 offset:4096
	s_waitcnt lgkmcnt(0)
	v_cmp_ne_u32_e32 vcc, 0, v2
	s_cbranch_vccnz .LBB4_300
; %bb.297:                              ;   in Loop: Header=BB4_6 Depth=1
	s_mov_b64 s[42:43], exec
	v_readlane_b32 s46, v46, 6
	v_readlane_b32 s47, v46, 7
	s_and_b64 s[46:47], s[42:43], s[46:47]
	s_mov_b64 exec, s[46:47]
	s_cbranch_execz .LBB4_299
; %bb.298:                              ;   in Loop: Header=BB4_6 Depth=1
	v_mov_b32_e32 v2, s6
	ds_write_b32 v24, v2 offset:4100
.LBB4_299:                              ;   in Loop: Header=BB4_6 Depth=1
	s_or_b64 exec, exec, s[42:43]
	s_waitcnt lgkmcnt(0)
	s_barrier
.LBB4_300:                              ;   in Loop: Header=BB4_6 Depth=1
	v_and_b32_e32 v2, s5, v27
	v_lshl_or_b32 v27, 2, s13, v2
	v_or_b32_e32 v26, s4, v26
	s_mov_b64 s[42:43], 0
	s_mov_b32 s46, 5
.LBB4_301:                              ;   in Loop: Header=BB4_6 Depth=1
	s_or_saveexec_b64 s[44:45], s[44:45]
	v_mov_b32_e32 v30, s46
	s_xor_b64 exec, exec, s[44:45]
; %bb.302:                              ;   in Loop: Header=BB4_6 Depth=1
	v_subrev_u32_e32 v5, s6, v5
	v_mov_b32_e32 v30, 0
	s_or_b64 s[42:43], s[42:43], exec
; %bb.303:                              ;   in Loop: Header=BB4_6 Depth=1
	s_or_b64 exec, exec, s[44:45]
	s_and_b64 s[48:49], s[42:43], exec
	v_mov_b32_e32 v2, v5
.LBB4_304:                              ;   in Loop: Header=BB4_6 Depth=1
	s_or_b64 exec, exec, s[16:17]
	s_mov_b64 s[16:17], -1
                                        ; implicit-def: $sgpr44_sgpr45
                                        ; implicit-def: $sgpr46_sgpr47
                                        ; implicit-def: $sgpr50_sgpr51
	s_and_saveexec_b64 s[42:43], s[48:49]
	s_cbranch_execz .LBB4_381
; %bb.305:                              ;   in Loop: Header=BB4_6 Depth=1
	s_cmp_eq_u32 s12, 1
	s_cselect_b64 s[16:17], -1, 0
	v_cmp_eq_u32_e32 vcc, 1, v2
	s_and_b64 s[52:53], s[16:17], vcc
	s_mov_b64 s[54:55], -1
                                        ; implicit-def: $sgpr44_sgpr45
                                        ; implicit-def: $sgpr46_sgpr47
                                        ; implicit-def: $sgpr48_sgpr49
	s_and_saveexec_b64 s[16:17], s[52:53]
	s_cbranch_execz .LBB4_329
; %bb.306:                              ;   in Loop: Header=BB4_6 Depth=1
	ds_read_b32 v3, v24 offset:4096
	s_waitcnt lgkmcnt(0)
	s_barrier
	v_readfirstlane_b32 s6, v3
	s_and_saveexec_b64 s[44:45], s[10:11]
	s_cbranch_execz .LBB4_308
; %bb.307:                              ;   in Loop: Header=BB4_6 Depth=1
	ds_write_b8 v0, v1 offset:3072
.LBB4_308:                              ;   in Loop: Header=BB4_6 Depth=1
	s_or_b64 exec, exec, s[44:45]
	v_and_b32_e32 v3, s5, v27
	v_lshl_or_b32 v27, 1, s13, v3
	v_or_b32_e32 v26, s4, v26
	s_cmp_eq_u32 s6, 0
	s_waitcnt lgkmcnt(0)
	s_barrier
	s_cbranch_scc1 .LBB4_316
; %bb.309:                              ;   in Loop: Header=BB4_6 Depth=1
	v_readlane_b32 s44, v46, 19
	s_add_i32 s44, s6, s44
	v_readlane_b32 s45, v46, 39
	s_mul_hi_u32 s45, s44, s45
	s_mul_i32 s45, s45, s33
	s_sub_i32 s45, s44, s45
	s_sub_i32 s46, s45, s33
	s_cmp_ge_u32 s45, s33
	s_cselect_b32 s45, s46, s45
	s_sub_i32 s46, s45, s33
	s_cmp_ge_u32 s45, s33
	s_cselect_b32 s45, s46, s45
	s_sub_i32 s54, s44, s45
	v_cmp_gt_u32_e32 vcc, s54, v0
	s_mov_b64 s[50:51], 0
                                        ; implicit-def: $vgpr28
	s_and_saveexec_b64 s[44:45], vcc
	s_cbranch_execz .LBB4_318
; %bb.310:                              ;   in Loop: Header=BB4_6 Depth=1
	s_mov_b64 s[46:47], 0
	v_mov_b32_e32 v3, v0
                                        ; implicit-def: $sgpr48_sgpr49
	s_branch .LBB4_312
.LBB4_311:                              ;   in Loop: Header=BB4_312 Depth=2
	s_or_b64 exec, exec, s[50:51]
	s_waitcnt lgkmcnt(0)
	s_barrier
	ds_read_u16 v4, v24 offset:3072
	v_add_u32_e32 v3, s33, v3
	v_cmp_le_u32_e32 vcc, s54, v3
	s_waitcnt lgkmcnt(0)
	s_barrier
	v_cmp_ne_u16_sdwa s[50:51], v4, v1 src0_sel:BYTE_0 src1_sel:DWORD
	s_or_b64 s[56:57], vcc, s[50:51]
	s_and_b64 s[56:57], exec, s[56:57]
	s_or_b64 s[46:47], s[56:57], s[46:47]
	s_andn2_b64 s[48:49], s[48:49], exec
	s_and_b64 s[50:51], s[50:51], exec
	s_or_b64 s[48:49], s[48:49], s[50:51]
	s_andn2_b64 exec, exec, s[46:47]
	s_cbranch_execz .LBB4_317
.LBB4_312:                              ;   Parent Loop BB4_6 Depth=1
                                        ; =>  This Inner Loop Header: Depth=2
	v_cmp_gt_u32_e32 vcc, s6, v3
	v_mov_b32_e32 v4, 0
	s_and_saveexec_b64 s[50:51], vcc
	s_cbranch_execz .LBB4_314
; %bb.313:                              ;   in Loop: Header=BB4_312 Depth=2
	ds_read_u8 v4, v3
.LBB4_314:                              ;   in Loop: Header=BB4_312 Depth=2
	s_or_b64 exec, exec, s[50:51]
	s_waitcnt lgkmcnt(0)
	v_and_b32_e32 v5, v4, v26
	v_cmp_eq_u32_sdwa s[50:51], v5, v27 src0_sel:BYTE_0 src1_sel:DWORD
	s_and_b64 s[56:57], vcc, s[50:51]
	s_and_saveexec_b64 s[50:51], s[56:57]
	s_cbranch_execz .LBB4_311
; %bb.315:                              ;   in Loop: Header=BB4_312 Depth=2
	v_lshlrev_b16_e32 v4, 8, v4
	v_or_b32_e32 v4, 1, v4
	ds_write_b16 v24, v4 offset:3072
	s_branch .LBB4_311
.LBB4_316:                              ;   in Loop: Header=BB4_6 Depth=1
	s_mov_b64 s[44:45], -1
	s_mov_b64 s[50:51], 0
                                        ; implicit-def: $sgpr46_sgpr47
                                        ; implicit-def: $vgpr28
	s_mov_b64 s[48:49], s[44:45]
	s_cbranch_execnz .LBB4_319
	s_branch .LBB4_328
.LBB4_317:                              ;   in Loop: Header=BB4_6 Depth=1
	s_or_b64 exec, exec, s[46:47]
	v_lshrrev_b16_e32 v28, 8, v4
	s_and_b64 s[50:51], s[48:49], exec
.LBB4_318:                              ;   in Loop: Header=BB4_6 Depth=1
	s_or_b64 exec, exec, s[44:45]
	s_mov_b64 s[44:45], 0
	s_mov_b64 s[46:47], -1
	s_mov_b64 s[48:49], s[44:45]
	s_branch .LBB4_328
.LBB4_319:                              ;   in Loop: Header=BB4_6 Depth=1
	s_mov_b64 s[50:51], 0
                                        ; implicit-def: $vgpr28
	s_mov_b64 s[44:45], exec
	v_readlane_b32 s46, v46, 40
	v_readlane_b32 s47, v46, 41
	s_and_b64 s[46:47], s[44:45], s[46:47]
	s_mov_b64 exec, s[46:47]
	s_cbranch_execz .LBB4_327
; %bb.320:                              ;   in Loop: Header=BB4_6 Depth=1
	s_mov_b64 s[46:47], 0
	v_mov_b32_e32 v3, v15
	v_mov_b32_e32 v4, v0
                                        ; implicit-def: $sgpr48_sgpr49
	s_branch .LBB4_322
.LBB4_321:                              ;   in Loop: Header=BB4_322 Depth=2
	s_or_b64 exec, exec, s[50:51]
	s_waitcnt lgkmcnt(0)
	s_barrier
	ds_read_u16 v5, v24 offset:3072
	v_add_u32_e32 v4, s33, v4
	v_cmp_le_u32_e32 vcc, s7, v4
	v_add_u32_e32 v3, s8, v3
	s_waitcnt lgkmcnt(0)
	v_cmp_ne_u16_sdwa s[50:51], v5, v1 src0_sel:BYTE_0 src1_sel:DWORD
	s_or_b64 s[54:55], vcc, s[50:51]
	s_and_b64 s[54:55], exec, s[54:55]
	s_or_b64 s[46:47], s[54:55], s[46:47]
	s_andn2_b64 s[48:49], s[48:49], exec
	s_and_b64 s[50:51], s[50:51], exec
	s_or_b64 s[48:49], s[48:49], s[50:51]
	s_barrier
	s_andn2_b64 exec, exec, s[46:47]
	s_cbranch_execz .LBB4_326
.LBB4_322:                              ;   Parent Loop BB4_6 Depth=1
                                        ; =>  This Inner Loop Header: Depth=2
	v_cmp_gt_u32_e32 vcc, s60, v4
	v_mov_b32_e32 v5, 0
	s_and_saveexec_b64 s[50:51], vcc
	s_cbranch_execz .LBB4_324
; %bb.323:                              ;   in Loop: Header=BB4_322 Depth=2
	global_load_ubyte v5, v3, s[64:65]
.LBB4_324:                              ;   in Loop: Header=BB4_322 Depth=2
	s_or_b64 exec, exec, s[50:51]
	s_waitcnt vmcnt(0)
	v_and_b32_e32 v28, v5, v26
	v_cmp_eq_u32_sdwa s[50:51], v28, v27 src0_sel:BYTE_0 src1_sel:DWORD
	s_and_b64 s[54:55], vcc, s[50:51]
	s_and_saveexec_b64 s[50:51], s[54:55]
	s_cbranch_execz .LBB4_321
; %bb.325:                              ;   in Loop: Header=BB4_322 Depth=2
	v_lshlrev_b16_e32 v5, 8, v5
	v_or_b32_e32 v5, 1, v5
	ds_write_b16 v24, v5 offset:3072
	s_branch .LBB4_321
.LBB4_326:                              ;   in Loop: Header=BB4_6 Depth=1
	s_or_b64 exec, exec, s[46:47]
	v_lshrrev_b16_e32 v28, 8, v5
	s_and_b64 s[50:51], s[48:49], exec
.LBB4_327:                              ;   in Loop: Header=BB4_6 Depth=1
	s_or_b64 exec, exec, s[44:45]
	s_mov_b64 s[46:47], 0
	s_mov_b64 s[44:45], -1
	s_mov_b64 s[48:49], 0
.LBB4_328:                              ;   in Loop: Header=BB4_6 Depth=1
	s_orn2_b64 s[54:55], s[50:51], exec
.LBB4_329:                              ;   in Loop: Header=BB4_6 Depth=1
	s_or_b64 exec, exec, s[16:17]
	s_mov_b64 s[16:17], 0
                                        ; implicit-def: $vgpr30
	s_and_saveexec_b64 s[50:51], s[54:55]
	s_cbranch_execz .LBB4_380
; %bb.330:                              ;   in Loop: Header=BB4_6 Depth=1
	s_xor_b64 s[52:53], s[52:53], -1
	s_mov_b64 s[54:55], 0
	v_mov_b32_e32 v3, 1
	v_mov_b32_e32 v30, 1
	s_and_saveexec_b64 s[16:17], s[52:53]
	s_cbranch_execz .LBB4_340
; %bb.331:                              ;   in Loop: Header=BB4_6 Depth=1
	v_cmp_ge_u32_e32 vcc, s12, v2
                                        ; implicit-def: $sgpr6
                                        ; implicit-def: $sgpr52_sgpr53
	s_and_saveexec_b64 s[54:55], vcc
	s_xor_b64 s[54:55], exec, s[54:55]
	s_cbranch_execz .LBB4_337
; %bb.332:                              ;   in Loop: Header=BB4_6 Depth=1
	ds_read_b32 v3, v24 offset:4096
	s_waitcnt lgkmcnt(0)
	v_cmp_ne_u32_e32 vcc, 0, v3
	s_cbranch_vccnz .LBB4_336
; %bb.333:                              ;   in Loop: Header=BB4_6 Depth=1
	s_mov_b64 s[52:53], exec
	v_readlane_b32 s56, v46, 6
	v_readlane_b32 s57, v46, 7
	s_and_b64 s[56:57], s[52:53], s[56:57]
	s_mov_b64 exec, s[56:57]
	s_cbranch_execz .LBB4_335
; %bb.334:                              ;   in Loop: Header=BB4_6 Depth=1
	v_mov_b32_e32 v3, s12
	ds_write_b32 v24, v3 offset:4100
.LBB4_335:                              ;   in Loop: Header=BB4_6 Depth=1
	s_or_b64 exec, exec, s[52:53]
	s_waitcnt lgkmcnt(0)
	s_barrier
.LBB4_336:                              ;   in Loop: Header=BB4_6 Depth=1
	v_and_b32_e32 v3, s5, v27
	v_lshl_or_b32 v27, 1, s13, v3
	v_or_b32_e32 v26, s4, v26
	s_mov_b64 s[52:53], 0
	s_mov_b32 s6, 5
.LBB4_337:                              ;   in Loop: Header=BB4_6 Depth=1
	s_or_saveexec_b64 s[54:55], s[54:55]
	v_mov_b32_e32 v30, s6
	s_xor_b64 exec, exec, s[54:55]
; %bb.338:                              ;   in Loop: Header=BB4_6 Depth=1
	v_subrev_u32_e32 v2, s12, v2
	v_mov_b32_e32 v30, 0
	s_or_b64 s[52:53], s[52:53], exec
; %bb.339:                              ;   in Loop: Header=BB4_6 Depth=1
	s_or_b64 exec, exec, s[54:55]
	s_and_b64 s[54:55], s[52:53], exec
	v_mov_b32_e32 v3, v2
.LBB4_340:                              ;   in Loop: Header=BB4_6 Depth=1
	s_or_b64 exec, exec, s[16:17]
	s_mov_b64 s[16:17], -1
                                        ; implicit-def: $sgpr56_sgpr57
                                        ; implicit-def: $sgpr58_sgpr59
                                        ; implicit-def: $sgpr80_sgpr81
	s_and_saveexec_b64 s[52:53], s[54:55]
	s_cbranch_execz .LBB4_379
; %bb.341:                              ;   in Loop: Header=BB4_6 Depth=1
	s_cmp_eq_u32 s71, 1
	s_cselect_b64 s[12:13], -1, 0
	v_cmp_eq_u32_e32 vcc, 1, v3
	s_mov_b64 s[54:55], -1
	s_and_b64 s[12:13], s[12:13], vcc
                                        ; implicit-def: $sgpr56_sgpr57
                                        ; implicit-def: $sgpr58_sgpr59
                                        ; implicit-def: $sgpr80_sgpr81
	s_mov_b64 s[16:17], exec
	v_writelane_b32 v46, s12, 43
	v_writelane_b32 v46, s13, 44
	s_and_b64 s[12:13], s[16:17], s[12:13]
	s_mov_b64 exec, s[12:13]
	s_cbranch_execz .LBB4_366
; %bb.342:                              ;   in Loop: Header=BB4_6 Depth=1
	ds_read_b32 v2, v24 offset:4096
	s_waitcnt lgkmcnt(0)
	s_barrier
	v_readfirstlane_b32 s6, v2
	s_and_saveexec_b64 s[54:55], s[10:11]
	s_cbranch_execz .LBB4_344
; %bb.343:                              ;   in Loop: Header=BB4_6 Depth=1
	ds_write_b8 v0, v1 offset:3072
.LBB4_344:                              ;   in Loop: Header=BB4_6 Depth=1
	s_or_b64 exec, exec, s[54:55]
	v_and_b32_e32 v27, s5, v27
	v_or_b32_e32 v26, s4, v26
	s_cmp_eq_u32 s6, 0
	s_waitcnt lgkmcnt(0)
	s_barrier
	s_cbranch_scc1 .LBB4_352
; %bb.345:                              ;   in Loop: Header=BB4_6 Depth=1
	v_readlane_b32 s12, v46, 19
	s_add_i32 s12, s6, s12
	v_readlane_b32 s13, v46, 39
	s_mul_hi_u32 s13, s12, s13
	s_mul_i32 s13, s13, s33
	s_sub_i32 s13, s12, s13
	s_sub_i32 s54, s13, s33
	s_cmp_ge_u32 s13, s33
	s_cselect_b32 s13, s54, s13
	s_sub_i32 s54, s13, s33
	s_cmp_ge_u32 s13, s33
	s_cselect_b32 s13, s54, s13
	s_sub_i32 s12, s12, s13
	s_mov_b64 s[54:55], 0
	v_cmp_gt_u32_e32 vcc, s12, v0
                                        ; implicit-def: $vgpr28
	s_mov_b64 s[56:57], exec
	v_writelane_b32 v46, s56, 45
	s_and_b64 s[58:59], s[56:57], vcc
	v_writelane_b32 v46, s57, 46
	s_mov_b64 exec, s[58:59]
	s_cbranch_execz .LBB4_354
; %bb.346:                              ;   in Loop: Header=BB4_6 Depth=1
	v_mov_b32_e32 v2, v0
                                        ; implicit-def: $sgpr58_sgpr59
	s_branch .LBB4_348
.LBB4_347:                              ;   in Loop: Header=BB4_348 Depth=2
	s_or_b64 exec, exec, s[80:81]
	s_waitcnt lgkmcnt(0)
	s_barrier
	ds_read_u16 v4, v24 offset:3072
	v_add_u32_e32 v2, s33, v2
	v_cmp_le_u32_e32 vcc, s12, v2
	s_waitcnt lgkmcnt(0)
	s_barrier
	v_cmp_ne_u16_sdwa s[56:57], v4, v1 src0_sel:BYTE_0 src1_sel:DWORD
	s_or_b64 s[80:81], vcc, s[56:57]
	s_and_b64 s[80:81], exec, s[80:81]
	s_or_b64 s[54:55], s[80:81], s[54:55]
	s_andn2_b64 s[58:59], s[58:59], exec
	s_and_b64 s[56:57], s[56:57], exec
	s_or_b64 s[58:59], s[58:59], s[56:57]
	s_andn2_b64 exec, exec, s[54:55]
	s_cbranch_execz .LBB4_353
.LBB4_348:                              ;   Parent Loop BB4_6 Depth=1
                                        ; =>  This Inner Loop Header: Depth=2
	v_cmp_gt_u32_e32 vcc, s6, v2
	v_mov_b32_e32 v4, 0
	s_and_saveexec_b64 s[80:81], vcc
	s_cbranch_execz .LBB4_350
; %bb.349:                              ;   in Loop: Header=BB4_348 Depth=2
	ds_read_u8 v4, v2
.LBB4_350:                              ;   in Loop: Header=BB4_348 Depth=2
	s_or_b64 exec, exec, s[80:81]
	s_waitcnt lgkmcnt(0)
	v_and_b32_e32 v5, v4, v26
	v_cmp_eq_u32_sdwa s[56:57], v5, v27 src0_sel:BYTE_0 src1_sel:DWORD
	s_and_b64 s[56:57], vcc, s[56:57]
	s_and_saveexec_b64 s[80:81], s[56:57]
	s_cbranch_execz .LBB4_347
; %bb.351:                              ;   in Loop: Header=BB4_348 Depth=2
	v_lshlrev_b16_e32 v4, 8, v4
	v_or_b32_e32 v4, 1, v4
	ds_write_b16 v24, v4 offset:3072
	s_branch .LBB4_347
.LBB4_352:                              ;   in Loop: Header=BB4_6 Depth=1
	s_mov_b64 s[56:57], -1
	s_mov_b64 s[54:55], 0
                                        ; implicit-def: $sgpr58_sgpr59
                                        ; implicit-def: $vgpr28
	s_branch .LBB4_355
.LBB4_353:                              ;   in Loop: Header=BB4_6 Depth=1
	s_or_b64 exec, exec, s[54:55]
	v_lshrrev_b16_e32 v28, 8, v4
	s_and_b64 s[54:55], s[58:59], exec
.LBB4_354:                              ;   in Loop: Header=BB4_6 Depth=1
	v_readlane_b32 s12, v46, 45
	v_readlane_b32 s13, v46, 46
	s_or_b64 exec, exec, s[12:13]
	s_mov_b64 s[56:57], 0
	s_mov_b64 s[58:59], -1
.LBB4_355:                              ;   in Loop: Header=BB4_6 Depth=1
	s_and_b64 vcc, exec, s[56:57]
	s_mov_b64 s[80:81], s[56:57]
	s_cbranch_vccz .LBB4_365
; %bb.356:                              ;   in Loop: Header=BB4_6 Depth=1
	s_mov_b64 s[54:55], 0
                                        ; implicit-def: $vgpr28
	s_mov_b64 s[56:57], exec
	v_readlane_b32 s12, v46, 40
	v_readlane_b32 s13, v46, 41
	s_and_b64 s[12:13], s[56:57], s[12:13]
	s_mov_b64 exec, s[12:13]
	s_cbranch_execz .LBB4_364
; %bb.357:                              ;   in Loop: Header=BB4_6 Depth=1
	v_mov_b32_e32 v2, v15
	v_mov_b32_e32 v4, v0
                                        ; implicit-def: $sgpr58_sgpr59
	s_branch .LBB4_359
.LBB4_358:                              ;   in Loop: Header=BB4_359 Depth=2
	s_or_b64 exec, exec, s[80:81]
	s_waitcnt lgkmcnt(0)
	s_barrier
	ds_read_u16 v5, v24 offset:3072
	v_add_u32_e32 v4, s33, v4
	v_cmp_le_u32_e32 vcc, s7, v4
	v_add_u32_e32 v2, s8, v2
	s_waitcnt lgkmcnt(0)
	v_cmp_ne_u16_sdwa s[12:13], v5, v1 src0_sel:BYTE_0 src1_sel:DWORD
	s_or_b64 s[80:81], vcc, s[12:13]
	s_and_b64 s[80:81], exec, s[80:81]
	s_or_b64 s[54:55], s[80:81], s[54:55]
	s_andn2_b64 s[58:59], s[58:59], exec
	s_and_b64 s[12:13], s[12:13], exec
	s_or_b64 s[58:59], s[58:59], s[12:13]
	s_barrier
	s_andn2_b64 exec, exec, s[54:55]
	s_cbranch_execz .LBB4_363
.LBB4_359:                              ;   Parent Loop BB4_6 Depth=1
                                        ; =>  This Inner Loop Header: Depth=2
	v_cmp_gt_u32_e32 vcc, s60, v4
	v_mov_b32_e32 v5, 0
	s_and_saveexec_b64 s[80:81], vcc
	s_cbranch_execz .LBB4_361
; %bb.360:                              ;   in Loop: Header=BB4_359 Depth=2
	global_load_ubyte v5, v2, s[64:65]
.LBB4_361:                              ;   in Loop: Header=BB4_359 Depth=2
	s_or_b64 exec, exec, s[80:81]
	s_waitcnt vmcnt(0)
	v_and_b32_e32 v28, v5, v26
	v_cmp_eq_u32_sdwa s[12:13], v28, v27 src0_sel:BYTE_0 src1_sel:DWORD
	s_and_b64 s[12:13], vcc, s[12:13]
	s_and_saveexec_b64 s[80:81], s[12:13]
	s_cbranch_execz .LBB4_358
; %bb.362:                              ;   in Loop: Header=BB4_359 Depth=2
	v_lshlrev_b16_e32 v5, 8, v5
	v_or_b32_e32 v5, 1, v5
	ds_write_b16 v24, v5 offset:3072
	s_branch .LBB4_358
.LBB4_363:                              ;   in Loop: Header=BB4_6 Depth=1
	s_or_b64 exec, exec, s[54:55]
	v_lshrrev_b16_e32 v28, 8, v5
	s_and_b64 s[54:55], s[58:59], exec
.LBB4_364:                              ;   in Loop: Header=BB4_6 Depth=1
	s_or_b64 exec, exec, s[56:57]
	s_mov_b64 s[58:59], 0
	s_mov_b64 s[56:57], -1
	s_mov_b64 s[80:81], 0
.LBB4_365:                              ;   in Loop: Header=BB4_6 Depth=1
	s_orn2_b64 s[54:55], s[54:55], exec
.LBB4_366:                              ;   in Loop: Header=BB4_6 Depth=1
	s_or_b64 exec, exec, s[16:17]
	s_mov_b64 vcc, 0
                                        ; implicit-def: $vgpr30
                                        ; implicit-def: $vgpr2
	s_and_saveexec_b64 s[16:17], s[54:55]
	s_cbranch_execz .LBB4_378
; %bb.367:                              ;   in Loop: Header=BB4_6 Depth=1
	v_readlane_b32 s12, v46, 43
	v_readlane_b32 s13, v46, 44
	s_xor_b64 s[12:13], s[12:13], -1
	v_mov_b32_e32 v30, 1
	v_mov_b32_e32 v2, 1
	s_and_saveexec_b64 s[54:55], s[12:13]
	s_cbranch_execz .LBB4_377
; %bb.368:                              ;   in Loop: Header=BB4_6 Depth=1
	v_cmp_ge_u32_e32 vcc, s71, v3
                                        ; implicit-def: $sgpr6
	s_and_saveexec_b64 s[12:13], vcc
	s_xor_b64 s[12:13], exec, s[12:13]
	s_cbranch_execz .LBB4_374
; %bb.369:                              ;   in Loop: Header=BB4_6 Depth=1
	ds_read_b32 v2, v24 offset:4096
	s_waitcnt lgkmcnt(0)
	v_cmp_ne_u32_e32 vcc, 0, v2
	s_cbranch_vccnz .LBB4_373
; %bb.370:                              ;   in Loop: Header=BB4_6 Depth=1
	v_writelane_b32 v46, s12, 47
	v_writelane_b32 v46, s13, 48
	s_mov_b64 vcc, exec
	v_readlane_b32 s12, v46, 6
	v_readlane_b32 s13, v46, 7
	s_and_b64 s[12:13], vcc, s[12:13]
	s_mov_b64 exec, s[12:13]
	s_cbranch_execz .LBB4_372
; %bb.371:                              ;   in Loop: Header=BB4_6 Depth=1
	v_mov_b32_e32 v2, s71
	ds_write_b32 v24, v2 offset:4100
.LBB4_372:                              ;   in Loop: Header=BB4_6 Depth=1
	s_or_b64 exec, exec, vcc
	v_readlane_b32 s12, v46, 47
	v_readlane_b32 s13, v46, 48
	s_waitcnt lgkmcnt(0)
	s_barrier
.LBB4_373:                              ;   in Loop: Header=BB4_6 Depth=1
	v_and_b32_e32 v27, s5, v27
	v_or_b32_e32 v26, s4, v26
	s_mov_b32 s6, 5
.LBB4_374:                              ;   in Loop: Header=BB4_6 Depth=1
	s_or_saveexec_b64 vcc, s[12:13]
	v_mov_b32_e32 v30, s6
	s_xor_b64 exec, exec, vcc
; %bb.375:                              ;   in Loop: Header=BB4_6 Depth=1
	v_subrev_u32_e32 v3, s71, v3
	v_mov_b32_e32 v30, 5
; %bb.376:                              ;   in Loop: Header=BB4_6 Depth=1
	s_or_b64 exec, exec, vcc
	v_mov_b32_e32 v2, v3
.LBB4_377:                              ;   in Loop: Header=BB4_6 Depth=1
	s_or_b64 exec, exec, s[54:55]
	s_mov_b64 vcc, exec
.LBB4_378:                              ;   in Loop: Header=BB4_6 Depth=1
	s_or_b64 exec, exec, s[16:17]
	s_orn2_b64 s[16:17], vcc, exec
	v_mov_b32_e32 v3, v2
.LBB4_379:                              ;   in Loop: Header=BB4_6 Depth=1
	s_or_b64 exec, exec, s[52:53]
	s_andn2_b64 s[4:5], s[44:45], exec
	s_and_b64 s[12:13], s[56:57], exec
	s_or_b64 s[44:45], s[4:5], s[12:13]
	s_andn2_b64 s[4:5], s[46:47], exec
	s_and_b64 s[12:13], s[58:59], exec
	s_or_b64 s[46:47], s[4:5], s[12:13]
	;; [unrolled: 3-line block ×3, first 2 shown]
	s_and_b64 s[16:17], s[16:17], exec
	v_mov_b32_e32 v2, v3
.LBB4_380:                              ;   in Loop: Header=BB4_6 Depth=1
	s_or_b64 exec, exec, s[50:51]
	s_and_b64 s[50:51], s[44:45], exec
	s_and_b64 s[46:47], s[46:47], exec
	;; [unrolled: 1-line block ×3, first 2 shown]
	s_orn2_b64 s[16:17], s[16:17], exec
.LBB4_381:                              ;   in Loop: Header=BB4_6 Depth=1
	s_or_b64 exec, exec, s[42:43]
	s_andn2_b64 s[4:5], s[28:29], exec
	s_and_b64 s[12:13], s[50:51], exec
	s_or_b64 s[28:29], s[4:5], s[12:13]
	s_andn2_b64 s[4:5], s[36:37], exec
	s_and_b64 s[12:13], s[46:47], exec
	s_or_b64 s[36:37], s[4:5], s[12:13]
	;; [unrolled: 3-line block ×3, first 2 shown]
	s_and_b64 s[44:45], s[16:17], exec
	v_mov_b32_e32 v5, v2
.LBB4_382:                              ;   in Loop: Header=BB4_6 Depth=1
	s_or_b64 exec, exec, s[40:41]
	s_and_b64 s[40:41], s[28:29], exec
	s_and_b64 s[28:29], s[36:37], exec
	;; [unrolled: 1-line block ×3, first 2 shown]
	s_orn2_b64 s[38:39], s[44:45], exec
.LBB4_383:                              ;   in Loop: Header=BB4_6 Depth=1
	s_or_b64 exec, exec, s[18:19]
	s_mov_b64 s[18:19], s[24:25]
	s_mov_b64 s[36:37], s[20:21]
	s_and_saveexec_b64 s[42:43], s[38:39]
; %bb.384:                              ;   in Loop: Header=BB4_6 Depth=1
	v_cmp_ne_u32_e64 s[18:19], 5, v30
	v_cmp_eq_u32_e32 vcc, 5, v30
	s_andn2_b64 s[4:5], s[20:21], exec
	s_and_b64 s[12:13], s[18:19], exec
	s_or_b64 s[36:37], s[4:5], s[12:13]
	s_andn2_b64 s[4:5], s[24:25], exec
	s_and_b64 s[12:13], vcc, exec
	s_andn2_b64 s[40:41], s[40:41], exec
	s_andn2_b64 s[28:29], s[28:29], exec
	s_andn2_b64 s[16:17], s[16:17], exec
	s_or_b64 s[18:19], s[4:5], s[12:13]
; %bb.385:                              ;   in Loop: Header=BB4_6 Depth=1
	s_or_b64 exec, exec, s[42:43]
	s_andn2_b64 s[4:5], s[30:31], exec
	s_and_b64 s[12:13], s[40:41], exec
	s_or_b64 s[30:31], s[4:5], s[12:13]
	s_andn2_b64 s[4:5], s[34:35], exec
	s_and_b64 s[12:13], s[28:29], exec
	s_or_b64 s[34:35], s[4:5], s[12:13]
	;; [unrolled: 3-line block ×5, first 2 shown]
	v_mov_b32_e32 v2, v27
	v_mov_b32_e32 v3, v26
	;; [unrolled: 1-line block ×3, first 2 shown]
.LBB4_386:                              ;   in Loop: Header=BB4_6 Depth=1
	s_or_b64 exec, exec, s[26:27]
	s_mov_b64 s[28:29], s[22:23]
	s_mov_b64 s[26:27], s[22:23]
	s_and_saveexec_b64 s[16:17], s[24:25]
.LBB4_387:                              ;   in Loop: Header=BB4_6 Depth=1
	v_mov_b32_e32 v30, 0
	s_andn2_b64 s[22:23], s[22:23], exec
	s_andn2_b64 s[30:31], s[30:31], exec
	;; [unrolled: 1-line block ×5, first 2 shown]
	s_or_b64 s[20:21], s[20:21], exec
.LBB4_388:                              ;   in Loop: Header=BB4_6 Depth=1
	s_or_b64 exec, exec, s[16:17]
	s_andn2_b64 s[4:5], s[78:79], exec
	s_and_b64 s[12:13], s[22:23], exec
	s_or_b64 s[78:79], s[4:5], s[12:13]
	s_andn2_b64 s[4:5], s[86:87], exec
	s_and_b64 s[12:13], s[30:31], exec
	s_or_b64 s[86:87], s[4:5], s[12:13]
	;; [unrolled: 3-line block ×4, first 2 shown]
	s_andn2_b64 s[2:3], s[2:3], exec
	s_and_b64 s[4:5], s[26:27], exec
	s_mov_b64 s[18:19], -1
	s_or_b64 s[2:3], s[2:3], s[4:5]
                                        ; implicit-def: $vgpr26
                                        ; implicit-def: $vgpr27
                                        ; implicit-def: $vgpr29
                                        ; implicit-def: $vgpr28
	s_and_saveexec_b64 s[4:5], s[20:21]
	s_xor_b64 s[16:17], exec, s[4:5]
	s_cbranch_execz .LBB4_5
; %bb.389:                              ;   in Loop: Header=BB4_6 Depth=1
	v_cmp_eq_u32_e32 vcc, 0, v30
	s_mov_b64 s[20:21], -1
	s_and_saveexec_b64 s[22:23], vcc
	s_cbranch_execz .LBB4_4
; %bb.390:                              ;   in Loop: Header=BB4_6 Depth=1
	s_xor_b32 s77, s77, 1
	s_add_i32 s6, s76, -2
	s_cmp_eq_u32 s76, 0
	s_cselect_b64 s[4:5], -1, 0
	s_xor_b64 s[20:21], exec, -1
	s_orn2_b64 s[18:19], s[4:5], exec
	s_mov_b32 s76, s6
	s_branch .LBB4_4
.LBB4_391:
	s_or_b64 exec, exec, s[88:89]
	s_xor_b64 s[16:17], s[68:69], -1
	s_xor_b64 s[20:21], s[66:67], -1
	;; [unrolled: 1-line block ×5, first 2 shown]
	s_mov_b64 s[12:13], 0
	s_and_saveexec_b64 s[6:7], s[4:5]
	s_xor_b64 s[10:11], exec, s[6:7]
	s_cbranch_execnz .LBB4_396
; %bb.392:
	s_andn2_saveexec_b64 s[0:1], s[10:11]
	s_cbranch_execnz .LBB4_415
.LBB4_393:
	s_or_b64 exec, exec, s[0:1]
	s_and_saveexec_b64 s[0:1], s[12:13]
.LBB4_394:
	; divergent unreachable
.LBB4_395:
	s_endpgm
.LBB4_396:
	s_mov_b64 s[14:15], 0
	s_and_saveexec_b64 s[4:5], s[18:19]
	s_xor_b64 s[12:13], exec, s[4:5]
	s_cbranch_execz .LBB4_413
; %bb.397:
	s_mov_b64 s[18:19], 0
	s_and_saveexec_b64 s[4:5], s[20:21]
	s_xor_b64 s[14:15], exec, s[4:5]
	s_cbranch_execz .LBB4_411
; %bb.398:
	s_and_saveexec_b64 s[4:5], s[16:17]
	s_xor_b64 s[16:17], exec, s[4:5]
	s_cbranch_execz .LBB4_409
; %bb.399:
	s_and_saveexec_b64 s[4:5], s[2:3]
	s_xor_b64 s[2:3], exec, s[4:5]
; %bb.400:
	v_mov_b32_e32 v4, v2
; %bb.401:
	s_or_b64 exec, exec, s[2:3]
	s_mov_b64 s[2:3], exec
	v_readlane_b32 s4, v46, 6
	v_readlane_b32 s5, v46, 7
	;; [unrolled: 1-line block ×3, first 2 shown]
	s_and_b64 s[4:5], s[2:3], s[4:5]
	v_readlane_b32 s35, v46, 14
	v_readlane_b32 s22, v46, 42
	s_mov_b64 exec, s[4:5]
	s_cbranch_execz .LBB4_403
; %bb.402:
	v_mov_b32_e32 v1, 0
	ds_write_b32 v1, v1 offset:4108
.LBB4_403:
	s_or_b64 exec, exec, s[2:3]
	v_mov_b32_e32 v10, 0
	s_waitcnt lgkmcnt(0)
	s_barrier
	s_mov_b64 s[2:3], exec
	v_readlane_b32 s4, v46, 24
	v_readlane_b32 s5, v46, 25
	s_and_b64 s[4:5], s[2:3], s[4:5]
	v_readlane_b32 s6, v46, 12
	s_mov_b64 exec, s[4:5]
	s_cbranch_execz .LBB4_405
; %bb.404:
	global_load_ubyte v10, v[8:9], off
.LBB4_405:
	s_or_b64 exec, exec, s[2:3]
	v_readlane_b32 s2, v46, 11
	s_add_i32 s9, s60, 63
	s_mul_i32 s4, s2, s6
	v_readlane_b32 s2, v46, 8
	s_andn2_b32 s9, s9, 63
	s_mul_i32 s2, s2, s6
	v_readlane_b32 s6, v46, 2
	s_mov_b32 s3, 0
	v_readlane_b32 s7, v46, 3
	s_add_u32 s42, s6, s4
	s_addc_u32 s43, s7, 0
	s_lshl_b64 s[2:3], s[2:3], 3
	v_readlane_b32 s4, v46, 0
	v_readlane_b32 s5, v46, 1
	s_add_u32 s44, s4, s2
	s_addc_u32 s45, s5, s3
	v_readlane_b32 s2, v46, 9
	v_readlane_b32 s3, v46, 10
	s_load_dword s46, s[2:3], 0x1c8
	s_load_dword s47, s[2:3], 0x2a8
	v_add_u32_e32 v1, s33, v0
	v_cmp_gt_u32_e32 vcc, s9, v0
	s_mov_b64 s[20:21], -1
	s_mov_b64 s[2:3], 0
	v_mul_lo_u32 v5, s22, v1
	s_mov_b64 s[4:5], 0
	s_and_saveexec_b64 s[18:19], vcc
	s_cbranch_execnz .LBB4_416
; %bb.406:
	s_or_b64 exec, exec, s[18:19]
	s_and_saveexec_b64 s[18:19], s[20:21]
	s_cbranch_execnz .LBB4_431
.LBB4_407:
	s_or_b64 exec, exec, s[18:19]
	s_and_saveexec_b64 s[0:1], s[4:5]
	s_xor_b64 s[0:1], exec, s[0:1]
	s_cbranch_execnz .LBB4_453
.LBB4_408:
	s_or_b64 exec, exec, s[0:1]
	s_and_b64 s[18:19], s[2:3], exec
.LBB4_409:
	s_andn2_saveexec_b64 s[0:1], s[16:17]
	s_cbranch_execnz .LBB4_456
.LBB4_410:
	s_or_b64 exec, exec, s[0:1]
	s_and_b64 s[18:19], s[18:19], exec
.LBB4_411:
	s_andn2_saveexec_b64 s[0:1], s[14:15]
	s_cbranch_execnz .LBB4_455
.LBB4_412:
	s_or_b64 exec, exec, s[0:1]
	s_and_b64 s[14:15], s[18:19], exec
.LBB4_413:
	s_andn2_saveexec_b64 s[0:1], s[12:13]
	s_cbranch_execnz .LBB4_454
.LBB4_414:
	s_or_b64 exec, exec, s[0:1]
	s_and_b64 s[12:13], s[14:15], exec
	s_andn2_saveexec_b64 s[0:1], s[10:11]
	s_cbranch_execz .LBB4_393
.LBB4_415:
	s_or_b64 s[12:13], s[12:13], exec
	s_trap 2
	s_or_b64 exec, exec, s[0:1]
	s_and_saveexec_b64 s[0:1], s[12:13]
	s_cbranch_execnz .LBB4_394
	s_branch .LBB4_395
.LBB4_416:
	v_mul_lo_u32 v1, s22, v1
	s_mov_b64 s[20:21], 0
	v_mov_b32_e32 v3, 0
	v_mov_b32_e32 v2, v0
                                        ; implicit-def: $sgpr22_sgpr23
                                        ; implicit-def: $vgpr14
	s_branch .LBB4_418
.LBB4_417:                              ;   in Loop: Header=BB4_418 Depth=1
	s_or_b64 exec, exec, s[24:25]
	s_xor_b64 s[6:7], s[28:29], -1
	s_and_b64 s[4:5], exec, s[4:5]
	s_or_b64 s[20:21], s[4:5], s[20:21]
	s_andn2_b64 s[4:5], s[22:23], exec
	s_and_b64 s[6:7], s[6:7], exec
	s_or_b64 s[22:23], s[4:5], s[6:7]
	v_mov_b32_e32 v10, v13
	v_mov_b32_e32 v2, v11
	s_andn2_b64 exec, exec, s[20:21]
	s_cbranch_execz .LBB4_430
.LBB4_418:                              ; =>This Inner Loop Header: Depth=1
	v_add_u32_e32 v11, s33, v2
	v_cmp_gt_u32_e32 vcc, s60, v11
	v_mov_b32_e32 v13, 0
	s_and_saveexec_b64 s[4:5], vcc
	s_cbranch_execz .LBB4_420
; %bb.419:                              ;   in Loop: Header=BB4_418 Depth=1
	global_load_ubyte v13, v1, s[64:65]
.LBB4_420:                              ;   in Loop: Header=BB4_418 Depth=1
	s_or_b64 exec, exec, s[4:5]
	s_waitcnt vmcnt(0)
	v_and_b32_e32 v15, 0xff, v10
	v_cmp_gt_u16_sdwa s[4:5], v15, v4 src0_sel:DWORD src1_sel:BYTE_0
	v_cndmask_b32_e64 v16, 0, 1, s[4:5]
	v_cmp_lt_u16_sdwa s[4:5], v15, v4 src0_sel:DWORD src1_sel:BYTE_0
	v_cndmask_b32_e64 v15, 0, 1, s[4:5]
	v_cndmask_b32_e64 v15, v15, v16, s[34:35]
	v_and_b32_e32 v15, 1, v15
	v_cmp_gt_u32_e32 vcc, s60, v2
	v_cmp_eq_u32_e64 s[4:5], 1, v15
	s_and_b64 s[24:25], vcc, s[4:5]
	v_cndmask_b32_e64 v15, 0, 1, s[24:25]
	v_cmp_ne_u32_e32 vcc, 0, v15
	s_cmp_lg_u64 vcc, 0
	s_cselect_b64 s[4:5], -1, 0
	s_and_b64 s[4:5], s[0:1], s[4:5]
	s_and_saveexec_b64 s[26:27], s[4:5]
	s_cbranch_execz .LBB4_424
; %bb.421:                              ;   in Loop: Header=BB4_418 Depth=1
	s_mov_b64 s[30:31], exec
	s_waitcnt lgkmcnt(0)
	v_mbcnt_lo_u32_b32 v14, s30, 0
	v_mbcnt_hi_u32_b32 v14, s31, v14
	s_bcnt1_i32_b64 s6, vcc
	v_cmp_eq_u32_e64 s[4:5], 0, v14
                                        ; implicit-def: $vgpr15
	s_and_saveexec_b64 s[28:29], s[4:5]
	s_cbranch_execz .LBB4_423
; %bb.422:                              ;   in Loop: Header=BB4_418 Depth=1
	s_bcnt1_i32_b64 s4, s[30:31]
	s_mul_i32 s4, s6, s4
	v_mov_b32_e32 v15, s4
	ds_add_rtn_u32 v15, v3, v15 offset:4108
.LBB4_423:                              ;   in Loop: Header=BB4_418 Depth=1
	s_or_b64 exec, exec, s[28:29]
	s_waitcnt lgkmcnt(0)
	v_readfirstlane_b32 s4, v15
	v_mov_b32_e32 v15, s4
	v_mad_u32_u24 v14, s6, v14, v15
.LBB4_424:                              ;   in Loop: Header=BB4_418 Depth=1
	s_or_b64 exec, exec, s[26:27]
	s_waitcnt lgkmcnt(0)
	ds_bpermute_b32 v14, v12, v14
	s_mov_b64 s[4:5], -1
	s_mov_b64 s[30:31], -1
                                        ; implicit-def: $sgpr28_sgpr29
	s_and_saveexec_b64 s[26:27], s[24:25]
	s_cbranch_execz .LBB4_428
; %bb.425:                              ;   in Loop: Header=BB4_418 Depth=1
	v_and_b32_e32 v16, vcc_lo, v6
	v_and_b32_e32 v15, vcc_hi, v7
	v_bcnt_u32_b32 v16, v16, 0
	v_bcnt_u32_b32 v15, v15, v16
	s_waitcnt lgkmcnt(0)
	v_add_u32_e32 v15, v14, v15
	v_cmp_gt_u32_e32 vcc, s61, v15
	s_mov_b64 s[24:25], 0
	s_and_saveexec_b64 s[28:29], vcc
	s_cbranch_execz .LBB4_427
; %bb.426:                              ;   in Loop: Header=BB4_418 Depth=1
	v_mul_lo_u32 v17, v15, s46
	v_mul_lo_u32 v16, v15, s47
	global_store_byte v17, v10, s[42:43]
	v_mov_b32_e32 v17, v3
	v_lshlrev_b64 v[16:17], 3, v[16:17]
	v_mov_b32_e32 v10, s45
	v_add_co_u32_e32 v16, vcc, s44, v16
	s_mov_b64 s[24:25], exec
	v_addc_co_u32_e32 v17, vcc, v10, v17, vcc
	global_store_dwordx2 v[16:17], v[2:3], off
.LBB4_427:                              ;   in Loop: Header=BB4_418 Depth=1
	s_or_b64 exec, exec, s[28:29]
	s_mov_b64 s[28:29], -1
	s_orn2_b64 s[30:31], s[24:25], exec
.LBB4_428:                              ;   in Loop: Header=BB4_418 Depth=1
	s_or_b64 exec, exec, s[26:27]
	s_and_saveexec_b64 s[24:25], s[30:31]
	s_cbranch_execz .LBB4_417
; %bb.429:                              ;   in Loop: Header=BB4_418 Depth=1
	v_cmp_le_u32_e32 vcc, s9, v11
	v_add_u32_e32 v1, s8, v1
	s_andn2_b64 s[28:29], s[28:29], exec
	s_orn2_b64 s[4:5], vcc, exec
	s_branch .LBB4_417
.LBB4_430:
	s_or_b64 exec, exec, s[20:21]
	s_mov_b64 s[4:5], exec
	s_orn2_b64 s[20:21], s[22:23], exec
	s_or_b64 exec, exec, s[18:19]
	s_and_saveexec_b64 s[18:19], s[20:21]
	s_cbranch_execz .LBB4_407
.LBB4_431:
	v_mov_b32_e32 v1, 0
	v_mov_b32_e32 v3, 0
	s_waitcnt lgkmcnt(0)
	s_barrier
	s_mov_b64 s[2:3], exec
	v_readlane_b32 s6, v46, 24
	v_readlane_b32 s7, v46, 25
	s_and_b64 s[6:7], s[2:3], s[6:7]
	s_mov_b64 exec, s[6:7]
	s_cbranch_execz .LBB4_433
; %bb.432:
	global_load_ubyte v3, v[8:9], off
.LBB4_433:
	s_or_b64 exec, exec, s[2:3]
	s_mov_b64 s[20:21], 0
                                        ; implicit-def: $sgpr6_sgpr7
                                        ; implicit-def: $sgpr22_sgpr23
                                        ; implicit-def: $sgpr24_sgpr25
                                        ; implicit-def: $vgpr2
	s_branch .LBB4_436
.LBB4_434:                              ;   in Loop: Header=BB4_436 Depth=1
	s_or_b64 exec, exec, s[30:31]
	s_andn2_b64 s[2:3], s[24:25], exec
	s_and_b64 s[24:25], s[36:37], exec
	s_or_b64 s[24:25], s[2:3], s[24:25]
	s_andn2_b64 s[2:3], s[22:23], exec
	s_and_b64 s[22:23], s[28:29], exec
	s_or_b64 s[22:23], s[2:3], s[22:23]
	v_mov_b32_e32 v0, v8
.LBB4_435:                              ;   in Loop: Header=BB4_436 Depth=1
	s_or_b64 exec, exec, s[26:27]
	s_xor_b64 s[2:3], s[24:25], -1
	s_and_b64 s[26:27], exec, s[22:23]
	s_or_b64 s[20:21], s[26:27], s[20:21]
	s_andn2_b64 s[6:7], s[6:7], exec
	s_and_b64 s[2:3], s[2:3], exec
	s_or_b64 s[6:7], s[6:7], s[2:3]
	s_andn2_b64 exec, exec, s[20:21]
	s_cbranch_execz .LBB4_451
.LBB4_436:                              ; =>This Inner Loop Header: Depth=1
	v_cmp_gt_u32_e32 vcc, s9, v0
	s_or_b64 s[24:25], s[24:25], exec
	s_or_b64 s[22:23], s[22:23], exec
	s_and_saveexec_b64 s[26:27], vcc
	s_cbranch_execz .LBB4_435
; %bb.437:                              ;   in Loop: Header=BB4_436 Depth=1
	v_add_u32_e32 v8, s33, v0
	v_cmp_gt_u32_e32 vcc, s60, v8
	v_mov_b32_e32 v9, 0
	s_and_saveexec_b64 s[2:3], vcc
	s_cbranch_execz .LBB4_439
; %bb.438:                              ;   in Loop: Header=BB4_436 Depth=1
	global_load_ubyte v9, v5, s[64:65]
.LBB4_439:                              ;   in Loop: Header=BB4_436 Depth=1
	s_or_b64 exec, exec, s[2:3]
	s_waitcnt vmcnt(0)
	v_and_b32_e32 v10, 0xff, v3
	v_cmp_gt_u32_e32 vcc, s60, v0
	v_cmp_eq_u16_sdwa s[2:3], v10, v4 src0_sel:DWORD src1_sel:BYTE_0
	s_and_b64 s[30:31], vcc, s[2:3]
	v_cndmask_b32_e64 v10, 0, 1, s[30:31]
	v_cmp_ne_u32_e32 vcc, 0, v10
	s_cmp_lg_u64 vcc, 0
	s_cselect_b64 s[2:3], -1, 0
	s_and_b64 s[2:3], s[0:1], s[2:3]
	s_and_saveexec_b64 s[28:29], s[2:3]
	s_cbranch_execz .LBB4_443
; %bb.440:                              ;   in Loop: Header=BB4_436 Depth=1
	s_mov_b64 s[36:37], exec
	v_mbcnt_lo_u32_b32 v2, s36, 0
	v_mbcnt_hi_u32_b32 v2, s37, v2
	s_bcnt1_i32_b64 s38, vcc
	v_cmp_eq_u32_e64 s[2:3], 0, v2
                                        ; implicit-def: $vgpr10
	s_and_saveexec_b64 s[34:35], s[2:3]
	s_cbranch_execz .LBB4_442
; %bb.441:                              ;   in Loop: Header=BB4_436 Depth=1
	s_bcnt1_i32_b64 s2, s[36:37]
	s_mul_i32 s2, s38, s2
	v_mov_b32_e32 v10, s2
	ds_add_rtn_u32 v10, v1, v10 offset:4108
.LBB4_442:                              ;   in Loop: Header=BB4_436 Depth=1
	s_or_b64 exec, exec, s[34:35]
	s_waitcnt lgkmcnt(0)
	v_readfirstlane_b32 s2, v10
	v_mov_b32_e32 v10, s2
	v_mad_u32_u24 v2, s38, v2, v10
.LBB4_443:                              ;   in Loop: Header=BB4_436 Depth=1
	s_or_b64 exec, exec, s[28:29]
	ds_bpermute_b32 v2, v12, v2
	s_cmp_eq_u64 vcc, 0
	s_cselect_b64 s[34:35], -1, 0
	s_mov_b64 s[28:29], -1
	s_mov_b64 s[36:37], -1
	s_waitcnt lgkmcnt(0)
	v_cmp_gt_u32_e64 s[2:3], s61, v2
	s_or_b64 s[2:3], s[34:35], s[2:3]
	v_cndmask_b32_e64 v3, v3, v9, s[2:3]
	s_and_b64 s[38:39], s[30:31], s[2:3]
	s_mov_b64 s[34:35], -1
	s_and_saveexec_b64 s[30:31], s[38:39]
	s_cbranch_execz .LBB4_449
; %bb.444:                              ;   in Loop: Header=BB4_436 Depth=1
	v_and_b32_e32 v10, vcc_lo, v6
	v_and_b32_e32 v3, vcc_hi, v7
	v_bcnt_u32_b32 v10, v10, 0
	v_bcnt_u32_b32 v3, v3, v10
	v_sub_u32_e32 v10, s61, v2
	v_cmp_le_u32_e64 s[34:35], v10, v3
	v_cmp_gt_u32_e32 vcc, v10, v3
	s_mov_b64 s[38:39], -1
	s_and_saveexec_b64 s[36:37], vcc
	s_cbranch_execz .LBB4_448
; %bb.445:                              ;   in Loop: Header=BB4_436 Depth=1
	v_add_u32_e32 v3, v2, v3
	v_cmp_gt_u32_e32 vcc, s61, v3
	s_mov_b64 s[40:41], s[34:35]
	s_and_saveexec_b64 s[38:39], vcc
	s_cbranch_execz .LBB4_447
; %bb.446:                              ;   in Loop: Header=BB4_436 Depth=1
	v_mul_lo_u32 v11, v3, s46
	v_mul_lo_u32 v10, v3, s47
	global_store_byte v11, v4, s[42:43]
	v_mov_b32_e32 v11, v1
	v_lshlrev_b64 v[10:11], 3, v[10:11]
	v_mov_b32_e32 v3, s45
	v_add_co_u32_e32 v10, vcc, s44, v10
	v_addc_co_u32_e32 v11, vcc, v3, v11, vcc
	s_or_b64 s[40:41], s[34:35], exec
	global_store_dwordx2 v[10:11], v[0:1], off
.LBB4_447:                              ;   in Loop: Header=BB4_436 Depth=1
	s_or_b64 exec, exec, s[38:39]
	s_andn2_b64 s[34:35], s[34:35], exec
	s_and_b64 s[40:41], s[40:41], exec
	s_xor_b64 s[38:39], exec, -1
	s_or_b64 s[34:35], s[34:35], s[40:41]
.LBB4_448:                              ;   in Loop: Header=BB4_436 Depth=1
	s_or_b64 exec, exec, s[36:37]
	s_orn2_b64 s[36:37], s[38:39], exec
	s_or_b64 s[2:3], s[2:3], exec
	s_orn2_b64 s[34:35], s[34:35], exec
	v_mov_b32_e32 v3, v9
.LBB4_449:                              ;   in Loop: Header=BB4_436 Depth=1
	s_or_b64 exec, exec, s[30:31]
	s_and_saveexec_b64 s[30:31], s[34:35]
	s_cbranch_execz .LBB4_434
; %bb.450:                              ;   in Loop: Header=BB4_436 Depth=1
	s_xor_b64 s[2:3], s[2:3], -1
	v_add_u32_e32 v5, s8, v5
	s_or_b64 s[36:37], s[36:37], exec
	s_orn2_b64 s[28:29], s[2:3], exec
	s_branch .LBB4_434
.LBB4_451:
	s_or_b64 exec, exec, s[20:21]
	s_mov_b64 s[0:1], 0
	s_and_saveexec_b64 s[2:3], s[6:7]
	s_xor_b64 s[2:3], exec, s[2:3]
	s_cbranch_execnz .LBB4_457
.LBB4_452:
	s_or_b64 exec, exec, s[2:3]
	s_and_b64 s[2:3], s[0:1], exec
	s_andn2_b64 s[4:5], s[4:5], exec
	s_or_b64 exec, exec, s[18:19]
	s_and_saveexec_b64 s[0:1], s[4:5]
	s_xor_b64 s[0:1], exec, s[0:1]
	s_cbranch_execz .LBB4_408
.LBB4_453:
	s_or_b64 s[2:3], s[2:3], exec
	s_trap 2
	s_branch .LBB4_408
.LBB4_454:
	s_or_b64 s[14:15], s[14:15], exec
	s_trap 2
	s_branch .LBB4_414
.LBB4_455:
	s_or_b64 s[18:19], s[18:19], exec
	s_trap 2
	s_branch .LBB4_412
.LBB4_456:
	s_trap 2
	s_or_b64 s[18:19], s[18:19], exec
	s_branch .LBB4_410
.LBB4_457:
	s_mov_b64 s[0:1], exec
	s_trap 2
	s_branch .LBB4_452
	.section	.rodata,"a",@progbits
	.p2align	6, 0x0
	.amdhsa_kernel _ZN2at6native6sbtopk10gatherTopKIhjLi1ELb0EEEvNS_4cuda6detail10TensorInfoIKT_T0_EES8_S8_bS8_S8_NS5_IS6_S8_EES8_NS5_IlS8_EES8_PS6_
		.amdhsa_group_segment_fixed_size 4112
		.amdhsa_private_segment_fixed_size 0
		.amdhsa_kernarg_size 952
		.amdhsa_user_sgpr_count 6
		.amdhsa_user_sgpr_private_segment_buffer 1
		.amdhsa_user_sgpr_dispatch_ptr 0
		.amdhsa_user_sgpr_queue_ptr 0
		.amdhsa_user_sgpr_kernarg_segment_ptr 1
		.amdhsa_user_sgpr_dispatch_id 0
		.amdhsa_user_sgpr_flat_scratch_init 0
		.amdhsa_user_sgpr_kernarg_preload_length 0
		.amdhsa_user_sgpr_kernarg_preload_offset 0
		.amdhsa_user_sgpr_private_segment_size 0
		.amdhsa_uses_dynamic_stack 0
		.amdhsa_system_sgpr_private_segment_wavefront_offset 0
		.amdhsa_system_sgpr_workgroup_id_x 1
		.amdhsa_system_sgpr_workgroup_id_y 1
		.amdhsa_system_sgpr_workgroup_id_z 1
		.amdhsa_system_sgpr_workgroup_info 0
		.amdhsa_system_vgpr_workitem_id 0
		.amdhsa_next_free_vgpr 47
		.amdhsa_next_free_sgpr 96
		.amdhsa_accum_offset 48
		.amdhsa_reserve_vcc 1
		.amdhsa_reserve_flat_scratch 0
		.amdhsa_float_round_mode_32 0
		.amdhsa_float_round_mode_16_64 0
		.amdhsa_float_denorm_mode_32 3
		.amdhsa_float_denorm_mode_16_64 3
		.amdhsa_dx10_clamp 1
		.amdhsa_ieee_mode 1
		.amdhsa_fp16_overflow 0
		.amdhsa_tg_split 0
		.amdhsa_exception_fp_ieee_invalid_op 0
		.amdhsa_exception_fp_denorm_src 0
		.amdhsa_exception_fp_ieee_div_zero 0
		.amdhsa_exception_fp_ieee_overflow 0
		.amdhsa_exception_fp_ieee_underflow 0
		.amdhsa_exception_fp_ieee_inexact 0
		.amdhsa_exception_int_div_zero 0
	.end_amdhsa_kernel
	.section	.text._ZN2at6native6sbtopk10gatherTopKIhjLi1ELb0EEEvNS_4cuda6detail10TensorInfoIKT_T0_EES8_S8_bS8_S8_NS5_IS6_S8_EES8_NS5_IlS8_EES8_PS6_,"axG",@progbits,_ZN2at6native6sbtopk10gatherTopKIhjLi1ELb0EEEvNS_4cuda6detail10TensorInfoIKT_T0_EES8_S8_bS8_S8_NS5_IS6_S8_EES8_NS5_IlS8_EES8_PS6_,comdat
.Lfunc_end4:
	.size	_ZN2at6native6sbtopk10gatherTopKIhjLi1ELb0EEEvNS_4cuda6detail10TensorInfoIKT_T0_EES8_S8_bS8_S8_NS5_IS6_S8_EES8_NS5_IlS8_EES8_PS6_, .Lfunc_end4-_ZN2at6native6sbtopk10gatherTopKIhjLi1ELb0EEEvNS_4cuda6detail10TensorInfoIKT_T0_EES8_S8_bS8_S8_NS5_IS6_S8_EES8_NS5_IlS8_EES8_PS6_
                                        ; -- End function
	.section	.AMDGPU.csdata,"",@progbits
; Kernel info:
; codeLenInByte = 14552
; NumSgprs: 100
; NumVgprs: 47
; NumAgprs: 0
; TotalNumVgprs: 47
; ScratchSize: 0
; MemoryBound: 0
; FloatMode: 240
; IeeeMode: 1
; LDSByteSize: 4112 bytes/workgroup (compile time only)
; SGPRBlocks: 12
; VGPRBlocks: 5
; NumSGPRsForWavesPerEU: 100
; NumVGPRsForWavesPerEU: 47
; AccumOffset: 48
; Occupancy: 8
; WaveLimiterHint : 1
; COMPUTE_PGM_RSRC2:SCRATCH_EN: 0
; COMPUTE_PGM_RSRC2:USER_SGPR: 6
; COMPUTE_PGM_RSRC2:TRAP_HANDLER: 0
; COMPUTE_PGM_RSRC2:TGID_X_EN: 1
; COMPUTE_PGM_RSRC2:TGID_Y_EN: 1
; COMPUTE_PGM_RSRC2:TGID_Z_EN: 1
; COMPUTE_PGM_RSRC2:TIDIG_COMP_CNT: 0
; COMPUTE_PGM_RSRC3_GFX90A:ACCUM_OFFSET: 11
; COMPUTE_PGM_RSRC3_GFX90A:TG_SPLIT: 0
	.section	.text._ZN2at6native6mbtopk23computeBlockDigitCountsIhjjLi2EEEvNS_4cuda6detail10TensorInfoIKT_T0_EEjPjjS8_iijT1_PSB_Ps,"axG",@progbits,_ZN2at6native6mbtopk23computeBlockDigitCountsIhjjLi2EEEvNS_4cuda6detail10TensorInfoIKT_T0_EEjPjjS8_iijT1_PSB_Ps,comdat
	.protected	_ZN2at6native6mbtopk23computeBlockDigitCountsIhjjLi2EEEvNS_4cuda6detail10TensorInfoIKT_T0_EEjPjjS8_iijT1_PSB_Ps ; -- Begin function _ZN2at6native6mbtopk23computeBlockDigitCountsIhjjLi2EEEvNS_4cuda6detail10TensorInfoIKT_T0_EEjPjjS8_iijT1_PSB_Ps
	.globl	_ZN2at6native6mbtopk23computeBlockDigitCountsIhjjLi2EEEvNS_4cuda6detail10TensorInfoIKT_T0_EEjPjjS8_iijT1_PSB_Ps
	.p2align	8
	.type	_ZN2at6native6mbtopk23computeBlockDigitCountsIhjjLi2EEEvNS_4cuda6detail10TensorInfoIKT_T0_EEjPjjS8_iijT1_PSB_Ps,@function
_ZN2at6native6mbtopk23computeBlockDigitCountsIhjjLi2EEEvNS_4cuda6detail10TensorInfoIKT_T0_EEjPjjS8_iijT1_PSB_Ps: ; @_ZN2at6native6mbtopk23computeBlockDigitCountsIhjjLi2EEEvNS_4cuda6detail10TensorInfoIKT_T0_EEjPjjS8_iijT1_PSB_Ps
; %bb.0:
	s_load_dwordx2 s[10:11], s[4:5], 0xf8
	s_load_dwordx4 s[12:15], s[4:5], 0xe8
	s_load_dwordx2 s[0:1], s[4:5], 0x110
	s_waitcnt lgkmcnt(0)
	v_cvt_f32_u32_e32 v1, s10
	s_sub_i32 s2, 0, s10
	s_mul_i32 s1, s1, s8
	s_add_i32 s1, s1, s7
	v_rcp_iflag_f32_e32 v1, v1
	s_mul_i32 s16, s1, s0
	s_add_i32 s16, s16, s6
	s_mov_b32 s7, 0
	v_mul_f32_e32 v1, 0x4f7ffffe, v1
	v_cvt_u32_f32_e32 v1, v1
	v_readfirstlane_b32 s0, v1
	s_mul_i32 s2, s2, s0
	s_mul_hi_u32 s1, s0, s2
	s_add_i32 s0, s0, s1
	s_mul_hi_u32 s0, s16, s0
	s_mul_i32 s1, s0, s10
	s_sub_i32 s1, s16, s1
	s_add_i32 s2, s0, 1
	s_sub_i32 s3, s1, s10
	s_cmp_ge_u32 s1, s10
	s_cselect_b32 s0, s2, s0
	s_cselect_b32 s1, s3, s1
	s_add_i32 s2, s0, 1
	s_cmp_ge_u32 s1, s10
	s_cselect_b32 s6, s2, s0
	s_cmp_ge_u32 s6, s12
	s_cbranch_scc1 .LBB5_29
; %bb.1:
	s_load_dword s18, s[4:5], 0xc
	s_load_dwordx4 s[0:3], s[4:5], 0x100
	s_lshl_b64 s[8:9], s[6:7], 2
	s_movk_i32 s7, 0x100
	v_cmp_gt_u32_e32 vcc, s7, v0
	s_waitcnt lgkmcnt(0)
	v_cvt_f32_u32_e32 v1, s18
	s_add_u32 s0, s0, s8
	s_addc_u32 s1, s1, s9
	v_rcp_iflag_f32_e32 v1, v1
	v_mul_f32_e32 v1, 0x4f7ffffe, v1
	v_cvt_u32_f32_e32 v1, v1
	v_readfirstlane_b32 s7, v1
	v_lshlrev_b32_e32 v1, 2, v0
	s_and_saveexec_b64 s[8:9], vcc
	s_cbranch_execz .LBB5_3
; %bb.2:
	v_mov_b32_e32 v2, 0
	ds_write_b32 v1, v2
.LBB5_3:
	s_or_b64 exec, exec, s[8:9]
	s_load_dword s8, s[4:5], 0xd8
	s_mul_i32 s9, s6, s10
	s_sub_i32 s9, s16, s9
	s_add_i32 s17, s9, 1
	s_mul_i32 s9, s15, s9
	s_lshl_b32 s12, s9, 8
	s_waitcnt lgkmcnt(0)
	s_sub_i32 s9, s8, s12
	s_add_u32 s9, s9, 0xff
	s_addc_u32 s19, 0, 0
	v_mov_b32_e32 v2, s9
	v_alignbit_b32 v2, s19, v2, 8
	s_cmp_lt_u32 s17, s10
	v_readfirstlane_b32 s9, v2
	s_cselect_b32 s17, s15, s9
	s_cmp_lt_i32 s17, 1
	s_mov_b32 s15, 0
	s_barrier
	s_cbranch_scc1 .LBB5_25
; %bb.4:
	s_sub_i32 s9, 0, s18
	s_mul_i32 s9, s9, s7
	s_mul_hi_u32 s9, s7, s9
	s_add_i32 s7, s7, s9
	s_load_dwordx2 s[20:21], s[4:5], 0x6c
	s_load_dwordx2 s[22:23], s[4:5], 0x0
	s_mul_hi_u32 s4, s6, s7
	s_load_dword s9, s[0:1], 0x0
	s_mul_i32 s0, s4, s18
	s_sub_i32 s0, s6, s0
	s_add_i32 s1, s4, 1
	s_sub_i32 s5, s0, s18
	s_cmp_ge_u32 s0, s18
	s_cselect_b32 s1, s1, s4
	s_cselect_b32 s0, s5, s0
	s_add_i32 s4, s1, 1
	s_cmp_ge_u32 s0, s18
	s_cselect_b32 s0, s4, s1
	s_mul_i32 s1, s0, s18
	s_sub_i32 s1, s6, s1
	s_waitcnt lgkmcnt(0)
	s_mul_i32 s1, s1, s21
	s_mul_i32 s0, s0, s20
	s_add_i32 s0, s0, s1
	s_add_u32 s4, s22, s0
	s_addc_u32 s5, s23, 0
	s_and_b32 s10, s14, 0xff
	s_cmp_lt_u32 s17, 4
	s_cbranch_scc1 .LBB5_19
; %bb.5:
	v_add_u32_e32 v6, s12, v0
	v_add_u32_e32 v2, 0x300, v6
	;; [unrolled: 1-line block ×4, first 2 shown]
	s_and_b32 s15, s17, 0x7ffffffc
	v_mul_lo_u32 v3, s13, v2
	s_lshl_b32 s14, s13, 10
	v_mul_lo_u32 v4, s13, v4
	v_mul_lo_u32 v5, s13, v5
	;; [unrolled: 1-line block ×3, first 2 shown]
	s_mov_b32 s18, 0
	v_mov_b32_e32 v7, 1
	s_mov_b32 s19, 0
	s_branch .LBB5_7
.LBB5_6:                                ;   in Loop: Header=BB5_7 Depth=1
	s_or_b64 exec, exec, s[6:7]
	s_add_i32 s19, s19, 4
	s_add_i32 s18, s18, s14
	s_cmp_eq_u32 s15, s19
	v_add_u32_e32 v2, 0x400, v2
	s_cbranch_scc1 .LBB5_19
.LBB5_7:                                ; =>This Inner Loop Header: Depth=1
	v_add_u32_e32 v8, 0xfffffd00, v2
	v_cmp_gt_u32_e64 s[0:1], s8, v8
	s_and_saveexec_b64 s[6:7], s[0:1]
	s_cbranch_execz .LBB5_10
; %bb.8:                                ;   in Loop: Header=BB5_7 Depth=1
	v_add_u32_e32 v8, s18, v6
	global_load_ubyte v8, v8, s[4:5]
	s_waitcnt vmcnt(0)
	v_xor_b32_e32 v9, s9, v8
	v_and_b32_e32 v9, s11, v9
	v_cmp_eq_u32_e64 s[0:1], 0, v9
	s_and_b64 exec, exec, s[0:1]
	s_cbranch_execz .LBB5_10
; %bb.9:                                ;   in Loop: Header=BB5_7 Depth=1
	v_lshrrev_b32_e32 v8, s10, v8
	v_lshlrev_b32_e32 v8, 2, v8
	ds_add_u32 v8, v7
.LBB5_10:                               ;   in Loop: Header=BB5_7 Depth=1
	s_or_b64 exec, exec, s[6:7]
	v_add_u32_e32 v8, 0xfffffe00, v2
	v_cmp_gt_u32_e64 s[0:1], s8, v8
	s_and_saveexec_b64 s[6:7], s[0:1]
	s_cbranch_execz .LBB5_13
; %bb.11:                               ;   in Loop: Header=BB5_7 Depth=1
	v_add_u32_e32 v8, s18, v5
	global_load_ubyte v8, v8, s[4:5]
	s_waitcnt vmcnt(0)
	v_xor_b32_e32 v9, s9, v8
	v_and_b32_e32 v9, s11, v9
	v_cmp_eq_u32_e64 s[0:1], 0, v9
	s_and_b64 exec, exec, s[0:1]
	s_cbranch_execz .LBB5_13
; %bb.12:                               ;   in Loop: Header=BB5_7 Depth=1
	v_lshrrev_b32_e32 v8, s10, v8
	v_lshlrev_b32_e32 v8, 2, v8
	ds_add_u32 v8, v7
.LBB5_13:                               ;   in Loop: Header=BB5_7 Depth=1
	s_or_b64 exec, exec, s[6:7]
	v_add_u32_e32 v8, 0xffffff00, v2
	v_cmp_gt_u32_e64 s[0:1], s8, v8
	s_and_saveexec_b64 s[6:7], s[0:1]
	s_cbranch_execz .LBB5_16
; %bb.14:                               ;   in Loop: Header=BB5_7 Depth=1
	v_add_u32_e32 v8, s18, v4
	global_load_ubyte v8, v8, s[4:5]
	s_waitcnt vmcnt(0)
	v_xor_b32_e32 v9, s9, v8
	v_and_b32_e32 v9, s11, v9
	v_cmp_eq_u32_e64 s[0:1], 0, v9
	s_and_b64 exec, exec, s[0:1]
	s_cbranch_execz .LBB5_16
; %bb.15:                               ;   in Loop: Header=BB5_7 Depth=1
	v_lshrrev_b32_e32 v8, s10, v8
	v_lshlrev_b32_e32 v8, 2, v8
	ds_add_u32 v8, v7
.LBB5_16:                               ;   in Loop: Header=BB5_7 Depth=1
	s_or_b64 exec, exec, s[6:7]
	v_cmp_gt_u32_e64 s[0:1], s8, v2
	s_and_saveexec_b64 s[6:7], s[0:1]
	s_cbranch_execz .LBB5_6
; %bb.17:                               ;   in Loop: Header=BB5_7 Depth=1
	v_add_u32_e32 v8, s18, v3
	global_load_ubyte v8, v8, s[4:5]
	s_waitcnt vmcnt(0)
	v_xor_b32_e32 v9, s9, v8
	v_and_b32_e32 v9, s11, v9
	v_cmp_eq_u32_e64 s[0:1], 0, v9
	s_and_b64 exec, exec, s[0:1]
	s_cbranch_execz .LBB5_6
; %bb.18:                               ;   in Loop: Header=BB5_7 Depth=1
	v_lshrrev_b32_e32 v8, s10, v8
	v_lshlrev_b32_e32 v8, 2, v8
	ds_add_u32 v8, v7
	s_branch .LBB5_6
.LBB5_19:
	s_and_b32 s14, s17, 3
	s_cmp_eq_u32 s14, 0
	s_cbranch_scc1 .LBB5_25
; %bb.20:
	s_lshl_b32 s0, s15, 8
	s_add_i32 s0, s0, s12
	v_add_u32_e32 v2, s0, v0
	v_mul_lo_u32 v3, s13, v2
	s_lshl_b32 s12, s13, 8
	v_mov_b32_e32 v4, 1
	s_branch .LBB5_22
.LBB5_21:                               ;   in Loop: Header=BB5_22 Depth=1
	s_or_b64 exec, exec, s[6:7]
	s_add_i32 s14, s14, -1
	v_add_u32_e32 v3, s12, v3
	s_cmp_lg_u32 s14, 0
	v_add_u32_e32 v2, 0x100, v2
	s_cbranch_scc0 .LBB5_25
.LBB5_22:                               ; =>This Inner Loop Header: Depth=1
	v_cmp_gt_u32_e64 s[0:1], s8, v2
	s_and_saveexec_b64 s[6:7], s[0:1]
	s_cbranch_execz .LBB5_21
; %bb.23:                               ;   in Loop: Header=BB5_22 Depth=1
	global_load_ubyte v5, v3, s[4:5]
	s_waitcnt vmcnt(0)
	v_xor_b32_e32 v6, s9, v5
	v_and_b32_e32 v6, s11, v6
	v_cmp_eq_u32_e64 s[0:1], 0, v6
	s_and_b64 exec, exec, s[0:1]
	s_cbranch_execz .LBB5_21
; %bb.24:                               ;   in Loop: Header=BB5_22 Depth=1
	v_lshrrev_b32_e32 v5, s10, v5
	v_lshlrev_b32_e32 v5, 2, v5
	ds_add_u32 v5, v4
	s_branch .LBB5_21
.LBB5_25:
	v_mov_b32_e32 v2, 0
	s_waitcnt lgkmcnt(0)
	s_barrier
	s_and_saveexec_b64 s[0:1], vcc
	s_cbranch_execz .LBB5_27
; %bb.26:
	ds_read_b32 v2, v1
.LBB5_27:
	s_or_b64 exec, exec, s[0:1]
	s_and_saveexec_b64 s[0:1], vcc
	s_cbranch_execz .LBB5_29
; %bb.28:
	v_lshl_or_b32 v0, s16, 8, v0
	v_mov_b32_e32 v1, 0
	v_lshlrev_b64 v[0:1], 1, v[0:1]
	v_mov_b32_e32 v3, s3
	v_add_co_u32_e32 v0, vcc, s2, v0
	v_addc_co_u32_e32 v1, vcc, v3, v1, vcc
	s_waitcnt lgkmcnt(0)
	global_store_short v[0:1], v2, off
.LBB5_29:
	s_endpgm
	.section	.rodata,"a",@progbits
	.p2align	6, 0x0
	.amdhsa_kernel _ZN2at6native6mbtopk23computeBlockDigitCountsIhjjLi2EEEvNS_4cuda6detail10TensorInfoIKT_T0_EEjPjjS8_iijT1_PSB_Ps
		.amdhsa_group_segment_fixed_size 1024
		.amdhsa_private_segment_fixed_size 0
		.amdhsa_kernarg_size 528
		.amdhsa_user_sgpr_count 6
		.amdhsa_user_sgpr_private_segment_buffer 1
		.amdhsa_user_sgpr_dispatch_ptr 0
		.amdhsa_user_sgpr_queue_ptr 0
		.amdhsa_user_sgpr_kernarg_segment_ptr 1
		.amdhsa_user_sgpr_dispatch_id 0
		.amdhsa_user_sgpr_flat_scratch_init 0
		.amdhsa_user_sgpr_kernarg_preload_length 0
		.amdhsa_user_sgpr_kernarg_preload_offset 0
		.amdhsa_user_sgpr_private_segment_size 0
		.amdhsa_uses_dynamic_stack 0
		.amdhsa_system_sgpr_private_segment_wavefront_offset 0
		.amdhsa_system_sgpr_workgroup_id_x 1
		.amdhsa_system_sgpr_workgroup_id_y 1
		.amdhsa_system_sgpr_workgroup_id_z 1
		.amdhsa_system_sgpr_workgroup_info 0
		.amdhsa_system_vgpr_workitem_id 0
		.amdhsa_next_free_vgpr 10
		.amdhsa_next_free_sgpr 24
		.amdhsa_accum_offset 12
		.amdhsa_reserve_vcc 1
		.amdhsa_reserve_flat_scratch 0
		.amdhsa_float_round_mode_32 0
		.amdhsa_float_round_mode_16_64 0
		.amdhsa_float_denorm_mode_32 3
		.amdhsa_float_denorm_mode_16_64 3
		.amdhsa_dx10_clamp 1
		.amdhsa_ieee_mode 1
		.amdhsa_fp16_overflow 0
		.amdhsa_tg_split 0
		.amdhsa_exception_fp_ieee_invalid_op 0
		.amdhsa_exception_fp_denorm_src 0
		.amdhsa_exception_fp_ieee_div_zero 0
		.amdhsa_exception_fp_ieee_overflow 0
		.amdhsa_exception_fp_ieee_underflow 0
		.amdhsa_exception_fp_ieee_inexact 0
		.amdhsa_exception_int_div_zero 0
	.end_amdhsa_kernel
	.section	.text._ZN2at6native6mbtopk23computeBlockDigitCountsIhjjLi2EEEvNS_4cuda6detail10TensorInfoIKT_T0_EEjPjjS8_iijT1_PSB_Ps,"axG",@progbits,_ZN2at6native6mbtopk23computeBlockDigitCountsIhjjLi2EEEvNS_4cuda6detail10TensorInfoIKT_T0_EEjPjjS8_iijT1_PSB_Ps,comdat
.Lfunc_end5:
	.size	_ZN2at6native6mbtopk23computeBlockDigitCountsIhjjLi2EEEvNS_4cuda6detail10TensorInfoIKT_T0_EEjPjjS8_iijT1_PSB_Ps, .Lfunc_end5-_ZN2at6native6mbtopk23computeBlockDigitCountsIhjjLi2EEEvNS_4cuda6detail10TensorInfoIKT_T0_EEjPjjS8_iijT1_PSB_Ps
                                        ; -- End function
	.section	.AMDGPU.csdata,"",@progbits
; Kernel info:
; codeLenInByte = 1128
; NumSgprs: 28
; NumVgprs: 10
; NumAgprs: 0
; TotalNumVgprs: 10
; ScratchSize: 0
; MemoryBound: 0
; FloatMode: 240
; IeeeMode: 1
; LDSByteSize: 1024 bytes/workgroup (compile time only)
; SGPRBlocks: 3
; VGPRBlocks: 1
; NumSGPRsForWavesPerEU: 28
; NumVGPRsForWavesPerEU: 10
; AccumOffset: 12
; Occupancy: 8
; WaveLimiterHint : 1
; COMPUTE_PGM_RSRC2:SCRATCH_EN: 0
; COMPUTE_PGM_RSRC2:USER_SGPR: 6
; COMPUTE_PGM_RSRC2:TRAP_HANDLER: 0
; COMPUTE_PGM_RSRC2:TGID_X_EN: 1
; COMPUTE_PGM_RSRC2:TGID_Y_EN: 1
; COMPUTE_PGM_RSRC2:TGID_Z_EN: 1
; COMPUTE_PGM_RSRC2:TIDIG_COMP_CNT: 0
; COMPUTE_PGM_RSRC3_GFX90A:ACCUM_OFFSET: 2
; COMPUTE_PGM_RSRC3_GFX90A:TG_SPLIT: 0
	.section	.text._ZN2at6native6mbtopk10gatherTopKIhjLi2EEEvNS_4cuda6detail10TensorInfoIKT_T0_EES8_S8_bjS8_NS5_IS6_S8_EES8_NS5_IlS8_EES8_jjPS6_PjSD_j,"axG",@progbits,_ZN2at6native6mbtopk10gatherTopKIhjLi2EEEvNS_4cuda6detail10TensorInfoIKT_T0_EES8_S8_bjS8_NS5_IS6_S8_EES8_NS5_IlS8_EES8_jjPS6_PjSD_j,comdat
	.protected	_ZN2at6native6mbtopk10gatherTopKIhjLi2EEEvNS_4cuda6detail10TensorInfoIKT_T0_EES8_S8_bjS8_NS5_IS6_S8_EES8_NS5_IlS8_EES8_jjPS6_PjSD_j ; -- Begin function _ZN2at6native6mbtopk10gatherTopKIhjLi2EEEvNS_4cuda6detail10TensorInfoIKT_T0_EES8_S8_bjS8_NS5_IS6_S8_EES8_NS5_IlS8_EES8_jjPS6_PjSD_j
	.globl	_ZN2at6native6mbtopk10gatherTopKIhjLi2EEEvNS_4cuda6detail10TensorInfoIKT_T0_EES8_S8_bjS8_NS5_IS6_S8_EES8_NS5_IlS8_EES8_jjPS6_PjSD_j
	.p2align	8
	.type	_ZN2at6native6mbtopk10gatherTopKIhjLi2EEEvNS_4cuda6detail10TensorInfoIKT_T0_EES8_S8_bjS8_NS5_IS6_S8_EES8_NS5_IlS8_EES8_jjPS6_PjSD_j,@function
_ZN2at6native6mbtopk10gatherTopKIhjLi2EEEvNS_4cuda6detail10TensorInfoIKT_T0_EES8_S8_bjS8_NS5_IS6_S8_EES8_NS5_IlS8_EES8_jjPS6_PjSD_j: ; @_ZN2at6native6mbtopk10gatherTopKIhjLi2EEEvNS_4cuda6detail10TensorInfoIKT_T0_EES8_S8_bjS8_NS5_IS6_S8_EES8_NS5_IlS8_EES8_jjPS6_PjSD_j
; %bb.0:
	s_load_dwordx2 s[0:1], s[4:5], 0x2d8
	s_load_dword s2, s[4:5], 0x2d0
	s_waitcnt lgkmcnt(0)
	s_mul_i32 s1, s1, s8
	s_add_i32 s1, s1, s7
	s_mul_i32 s0, s1, s0
	s_add_i32 s0, s0, s6
	s_cmp_ge_u32 s0, s2
	s_cbranch_scc1 .LBB6_40
; %bb.1:
	s_load_dwordx8 s[8:15], s[4:5], 0x2a8
	s_load_dword s41, s[4:5], 0xc
	s_waitcnt lgkmcnt(0)
	v_cvt_f32_u32_e32 v1, s10
	s_sub_i32 s1, 0, s10
	v_rcp_iflag_f32_e32 v1, v1
	v_mul_f32_e32 v1, 0x4f7ffffe, v1
	v_cvt_u32_f32_e32 v1, v1
	v_readfirstlane_b32 s2, v1
	s_mul_i32 s1, s1, s2
	s_mul_hi_u32 s1, s2, s1
	s_add_i32 s2, s2, s1
	s_mul_hi_u32 s1, s0, s2
	s_mul_i32 s2, s1, s10
	s_sub_i32 s2, s0, s2
	s_add_i32 s3, s1, 1
	s_sub_i32 s6, s2, s10
	s_cmp_ge_u32 s2, s10
	s_cselect_b32 s1, s3, s1
	s_cselect_b32 s2, s6, s2
	s_add_i32 s3, s1, 1
	s_cmp_ge_u32 s2, s10
	s_cselect_b32 s11, s3, s1
	v_mov_b32_e32 v1, s11
	global_load_ubyte v5, v1, s[12:13]
	v_cvt_f32_u32_e32 v1, s41
	s_load_dwordx2 s[20:21], s[4:5], 0xf0
	s_load_dwordx2 s[28:29], s[4:5], 0x6c
	;; [unrolled: 1-line block ×4, first 2 shown]
	s_load_dword s33, s[4:5], 0x1dc
	s_load_dwordx2 s[6:7], s[4:5], 0x1d0
	s_load_dwordx2 s[26:27], s[4:5], 0x15c
	s_load_dword s40, s[4:5], 0xfc
	s_mul_i32 s12, s11, s10
	v_rcp_iflag_f32_e32 v1, v1
	s_sub_i32 s45, s0, s12
	s_sub_i32 s0, 0, s41
	s_waitcnt lgkmcnt(0)
	v_cvt_f32_u32_e32 v2, s40
	v_mul_f32_e32 v1, 0x4f7ffffe, v1
	v_cvt_u32_f32_e32 v1, v1
	s_mov_b32 s13, 0
	v_cmp_eq_u32_e64 s[2:3], 0, v0
	v_readfirstlane_b32 s1, v1
	v_rcp_iflag_f32_e32 v1, v2
	v_cvt_f32_u32_e32 v2, s33
	s_mul_i32 s0, s0, s1
	s_mul_hi_u32 s0, s1, s0
	v_mul_f32_e32 v1, 0x4f7ffffe, v1
	v_cvt_u32_f32_e32 v1, v1
	v_rcp_iflag_f32_e32 v2, v2
	s_add_i32 s1, s1, s0
	s_mul_hi_u32 s44, s11, s1
	v_readfirstlane_b32 s1, v1
	v_mul_f32_e32 v1, 0x4f7ffffe, v2
	s_sub_i32 s0, 0, s40
	v_cvt_u32_f32_e32 v1, v1
	s_mul_i32 s0, s0, s1
	s_mul_hi_u32 s0, s1, s0
	s_add_i32 s1, s1, s0
	s_mul_hi_u32 s43, s11, s1
	s_sub_i32 s0, 0, s33
	v_readfirstlane_b32 s1, v1
	s_mul_i32 s0, s0, s1
	s_mul_hi_u32 s0, s1, s0
	s_add_i32 s1, s1, s0
	s_mul_hi_u32 s42, s11, s1
	v_cmp_ne_u32_e64 s[0:1], 0, v0
	s_and_saveexec_b64 s[30:31], s[2:3]
	s_cbranch_execz .LBB6_17
; %bb.2:
	s_load_dwordx2 s[34:35], s[4:5], 0x2c8
	s_lshl_b64 s[36:37], s[12:13], 2
	s_add_u32 s16, s14, s36
	s_addc_u32 s17, s15, s37
	s_mov_b32 s12, 0
	s_waitcnt lgkmcnt(0)
	s_add_u32 s18, s34, s36
	s_addc_u32 s19, s35, s37
	s_mov_b32 s46, 0
	s_cmp_lt_u32 s10, 4
	s_cbranch_scc1 .LBB6_14
; %bb.3:
	s_mov_b32 s47, 0
.LBB6_4:                                ; =>This Inner Loop Header: Depth=1
	s_add_u32 s16, s14, s36
	s_addc_u32 s17, s15, s37
	s_load_dwordx4 s[16:19], s[16:17], 0x0
	s_add_u32 s38, s34, s36
	s_addc_u32 s39, s35, s37
	s_cmp_ge_u32 s47, s45
	s_cbranch_scc0 .LBB6_11
; %bb.5:                                ;   in Loop: Header=BB6_4 Depth=1
	s_add_i32 s48, s47, 1
	s_cmp_ge_u32 s48, s45
	s_cbranch_scc0 .LBB6_12
.LBB6_6:                                ;   in Loop: Header=BB6_4 Depth=1
	s_add_i32 s48, s48, 1
	s_cmp_ge_u32 s48, s45
	s_cbranch_scc0 .LBB6_13
.LBB6_7:                                ;   in Loop: Header=BB6_4 Depth=1
	s_add_i32 s48, s48, 1
	s_cmp_ge_u32 s48, s45
	s_cbranch_scc1 .LBB6_9
.LBB6_8:                                ;   in Loop: Header=BB6_4 Depth=1
	s_load_dword s38, s[38:39], 0xc
	s_waitcnt lgkmcnt(0)
	s_add_i32 s13, s13, s19
	s_add_i32 s12, s38, s12
.LBB6_9:                                ;   in Loop: Header=BB6_4 Depth=1
	s_waitcnt lgkmcnt(0)
	s_add_i32 s16, s16, s46
	s_add_i32 s16, s16, s17
	;; [unrolled: 1-line block ×4, first 2 shown]
	s_add_u32 s14, s14, 16
	s_addc_u32 s15, s15, 0
	s_add_u32 s34, s34, 16
	s_addc_u32 s35, s35, 0
	s_add_i32 s39, s48, 4
	s_add_u32 s18, s34, s36
	s_addc_u32 s19, s35, s37
	s_add_u32 s16, s14, s36
	s_addc_u32 s17, s15, s37
	s_add_i32 s38, s48, 1
	s_cmp_ge_u32 s39, s10
	s_cbranch_scc1 .LBB6_15
; %bb.10:                               ;   in Loop: Header=BB6_4 Depth=1
	s_mov_b32 s47, s38
	s_branch .LBB6_4
.LBB6_11:                               ;   in Loop: Header=BB6_4 Depth=1
	s_load_dword s48, s[38:39], 0x0
	s_waitcnt lgkmcnt(0)
	s_add_i32 s13, s16, s13
	s_add_i32 s12, s48, s12
	;; [unrolled: 1-line block ×3, first 2 shown]
	s_cmp_ge_u32 s48, s45
	s_cbranch_scc1 .LBB6_6
.LBB6_12:                               ;   in Loop: Header=BB6_4 Depth=1
	s_load_dword s49, s[38:39], 0x4
	s_waitcnt lgkmcnt(0)
	s_add_i32 s13, s13, s17
	s_add_i32 s12, s49, s12
	;; [unrolled: 1-line block ×3, first 2 shown]
	s_cmp_ge_u32 s48, s45
	s_cbranch_scc1 .LBB6_7
.LBB6_13:                               ;   in Loop: Header=BB6_4 Depth=1
	s_load_dword s49, s[38:39], 0x8
	s_waitcnt lgkmcnt(0)
	s_add_i32 s13, s13, s18
	s_add_i32 s12, s49, s12
	;; [unrolled: 1-line block ×3, first 2 shown]
	s_cmp_ge_u32 s48, s45
	s_cbranch_scc0 .LBB6_8
	s_branch .LBB6_9
.LBB6_14:
	s_mov_b32 s14, 0
	s_cmp_ge_u32 s14, s10
	s_cbranch_scc0 .LBB6_38
	s_branch .LBB6_16
.LBB6_15:
	s_add_i32 s14, s47, 4
	s_cmp_ge_u32 s14, s10
	s_cbranch_scc0 .LBB6_38
.LBB6_16:
	v_mov_b32_e32 v2, s12
	v_mov_b32_e32 v3, s46
	;; [unrolled: 1-line block ×4, first 2 shown]
	ds_write_b96 v1, v[2:4] offset:1056
.LBB6_17:
	s_or_b64 exec, exec, s[30:31]
	s_load_dwordx4 s[12:15], s[4:5], 0xd8
	s_waitcnt lgkmcnt(0)
	s_mul_i32 s15, s9, s45
	s_lshl_b32 s15, s15, 8
	s_add_i32 s16, s45, 1
	s_mov_b32 s19, 0
	s_sub_i32 s17, s12, s15
	s_add_u32 s17, s17, 0xff
	s_addc_u32 s18, 0, 0
	v_mov_b32_e32 v1, s17
	v_alignbit_b32 v1, s18, v1, 8
	s_cmp_lt_u32 s16, s10
	v_readfirstlane_b32 s10, v1
	s_cselect_b32 s9, s9, s10
	s_cmp_eq_u32 s9, 0
	s_barrier
	s_cbranch_scc1 .LBB6_40
; %bb.18:
	s_mul_i32 s10, s44, s41
	s_sub_i32 s10, s11, s10
	s_add_i32 s16, s44, 1
	s_sub_i32 s17, s10, s41
	s_cmp_ge_u32 s10, s41
	s_cselect_b32 s16, s16, s44
	s_cselect_b32 s10, s17, s10
	s_add_i32 s17, s16, 1
	s_cmp_ge_u32 s10, s41
	s_cselect_b32 s10, s17, s16
	s_mul_i32 s16, s10, s41
	s_sub_i32 s16, s11, s16
	s_mul_i32 s16, s16, s29
	s_mul_i32 s10, s10, s28
	s_add_i32 s10, s10, s16
	s_mul_i32 s16, s43, s40
	s_sub_i32 s16, s11, s16
	s_add_i32 s17, s43, 1
	s_sub_i32 s18, s16, s40
	s_cmp_ge_u32 s16, s40
	s_cselect_b32 s17, s17, s43
	s_cselect_b32 s16, s18, s16
	s_add_i32 s18, s17, 1
	s_cmp_ge_u32 s16, s40
	s_cselect_b32 s16, s18, s17
	s_mul_i32 s17, s16, s40
	s_sub_i32 s17, s11, s17
	s_mul_i32 s17, s17, s27
	s_mul_i32 s16, s16, s26
	s_add_i32 s16, s16, s17
	s_mul_i32 s17, s42, s33
	s_sub_i32 s17, s11, s17
	s_add_i32 s18, s42, 1
	s_sub_i32 s26, s17, s33
	s_cmp_ge_u32 s17, s33
	s_cselect_b32 s18, s18, s42
	s_cselect_b32 s17, s26, s17
	s_add_i32 s26, s18, 1
	s_cmp_ge_u32 s17, s33
	s_cselect_b32 s17, s26, s18
	s_mul_i32 s18, s17, s33
	s_sub_i32 s11, s11, s18
	s_mul_i32 s11, s11, s25
	s_mul_i32 s17, s17, s24
	s_add_i32 s18, s17, s11
	s_add_u32 s10, s22, s10
	s_addc_u32 s11, s23, 0
	s_add_u32 s16, s20, s16
	v_mov_b32_e32 v1, 0
	s_addc_u32 s17, s21, 0
	s_lshl_b64 s[18:19], s[18:19], 3
	ds_read_b96 v[2:4], v1 offset:1056
	s_add_u32 s18, s6, s18
	s_addc_u32 s19, s7, s19
	s_bitcmp1_b32 s14, 0
	s_load_dword s14, s[4:5], 0xe8
	s_load_dword s20, s[4:5], 0x1c8
	v_lshlrev_b32_e32 v6, 2, v0
	v_lshrrev_b32_e32 v7, 3, v0
	s_waitcnt lgkmcnt(0)
	v_add_u32_e32 v2, v2, v3
	v_lshrrev_b32_e32 v3, 5, v0
	v_add_lshl_u32 v6, v7, v6, 2
	v_add_u32_e32 v7, -1, v0
	v_mbcnt_lo_u32_b32 v9, -1, 0
	v_add_lshl_u32 v3, v3, v0, 2
	v_cmp_gt_u32_e64 s[4:5], 64, v0
	v_lshrrev_b32_e32 v8, 5, v7
	v_add_u32_e32 v0, s15, v0
	v_mbcnt_hi_u32_b32 v9, -1, v9
	s_cselect_b64 s[6:7], -1, 0
	v_add_lshl_u32 v7, v8, v7, 2
	v_mul_lo_u32 v8, s14, v0
	s_lshl_b32 s21, s14, 8
	v_and_b32_e32 v10, 15, v9
	v_bfe_i32 v11, v9, 4, 1
	v_add_u32_e32 v12, -1, v9
	v_and_b32_e32 v13, 64, v9
                                        ; implicit-def: $vgpr14
	s_branch .LBB6_21
.LBB6_19:                               ;   in Loop: Header=BB6_21 Depth=1
	s_or_b64 exec, exec, s[14:15]
	v_add_u32_e32 v2, v17, v2
.LBB6_20:                               ;   in Loop: Header=BB6_21 Depth=1
	s_add_i32 s9, s9, -1
	v_add_u32_e32 v4, v16, v4
	v_add_u32_e32 v8, s21, v8
	s_cmp_lg_u32 s9, 0
	v_add_u32_e32 v0, 0x100, v0
	s_cbranch_scc0 .LBB6_40
.LBB6_21:                               ; =>This Inner Loop Header: Depth=1
	v_cmp_gt_u32_e32 vcc, s12, v0
	v_mov_b32_e32 v17, 0
	v_mov_b32_e32 v15, 0
	s_and_saveexec_b64 s[14:15], vcc
	s_cbranch_execz .LBB6_23
; %bb.22:                               ;   in Loop: Header=BB6_21 Depth=1
	global_load_ubyte v14, v8, s[10:11]
	s_waitcnt vmcnt(0)
	v_cmp_gt_u16_sdwa s[22:23], v14, v5 src0_sel:DWORD src1_sel:BYTE_0
	v_cndmask_b32_e64 v15, 0, 1, s[22:23]
	v_cmp_lt_u16_sdwa s[22:23], v14, v5 src0_sel:DWORD src1_sel:BYTE_0
	v_cndmask_b32_e64 v16, 0, 1, s[22:23]
	v_cndmask_b32_e64 v15, v16, v15, s[6:7]
	v_cmp_eq_u16_sdwa s[22:23], v14, v5 src0_sel:DWORD src1_sel:BYTE_0
	v_and_b32_e32 v17, 1, v15
	v_cndmask_b32_e64 v15, 0, 1, s[22:23]
.LBB6_23:                               ;   in Loop: Header=BB6_21 Depth=1
	s_or_b64 exec, exec, s[14:15]
	ds_write_b32 v3, v17
	s_waitcnt lgkmcnt(0)
	s_barrier
	s_and_saveexec_b64 s[14:15], s[4:5]
	s_cbranch_execz .LBB6_25
; %bb.24:                               ;   in Loop: Header=BB6_21 Depth=1
	ds_read2_b32 v[18:19], v6 offset1:1
	ds_read2_b32 v[20:21], v6 offset0:2 offset1:3
	v_cmp_ne_u32_e32 vcc, 0, v10
	; wave barrier
	s_waitcnt lgkmcnt(1)
	v_add_u32_e32 v16, v19, v18
	s_waitcnt lgkmcnt(0)
	v_add3_u32 v16, v16, v20, v21
	s_nop 1
	v_mov_b32_dpp v19, v16 row_shr:1 row_mask:0xf bank_mask:0xf
	v_cndmask_b32_e32 v19, 0, v19, vcc
	v_add_u32_e32 v16, v19, v16
	v_cmp_lt_u32_e32 vcc, 1, v10
	s_nop 0
	v_mov_b32_dpp v19, v16 row_shr:2 row_mask:0xf bank_mask:0xf
	v_cndmask_b32_e32 v19, 0, v19, vcc
	v_add_u32_e32 v16, v16, v19
	v_cmp_lt_u32_e32 vcc, 3, v10
	;; [unrolled: 5-line block ×4, first 2 shown]
	s_nop 0
	v_mov_b32_dpp v19, v16 row_bcast:15 row_mask:0xf bank_mask:0xf
	v_and_b32_e32 v19, v11, v19
	v_add_u32_e32 v16, v16, v19
	s_nop 1
	v_mov_b32_dpp v19, v16 row_bcast:31 row_mask:0xf bank_mask:0xf
	v_cndmask_b32_e32 v19, 0, v19, vcc
	v_cmp_lt_i32_e32 vcc, v12, v13
	v_add_u32_e32 v16, v16, v19
	v_cndmask_b32_e32 v19, v12, v9, vcc
	v_lshlrev_b32_e32 v19, 2, v19
	ds_bpermute_b32 v16, v19, v16
	s_waitcnt lgkmcnt(0)
	v_add_u32_e32 v16, v16, v18
	v_cndmask_b32_e64 v16, v16, v17, s[2:3]
	ds_write_b32 v6, v16
	; wave barrier
	ds_read2_b32 v[18:19], v6 offset0:1 offset1:2
	ds_read_b32 v20, v6 offset:12
	s_waitcnt lgkmcnt(1)
	v_add_u32_e32 v16, v18, v16
	v_add_u32_e32 v18, v19, v16
	ds_write2_b32 v6, v16, v18 offset0:1 offset1:2
	s_waitcnt lgkmcnt(1)
	v_add_u32_e32 v16, v20, v18
	ds_write_b32 v6, v16 offset:12
.LBB6_25:                               ;   in Loop: Header=BB6_21 Depth=1
	s_or_b64 exec, exec, s[14:15]
	v_mov_b32_e32 v18, 0
	s_waitcnt lgkmcnt(0)
	s_barrier
	s_and_saveexec_b64 s[14:15], s[0:1]
	s_cbranch_execz .LBB6_27
; %bb.26:                               ;   in Loop: Header=BB6_21 Depth=1
	ds_read_b32 v18, v7
.LBB6_27:                               ;   in Loop: Header=BB6_21 Depth=1
	s_or_b64 exec, exec, s[14:15]
	ds_read_b32 v16, v1 offset:1048
	v_cmp_ne_u32_e32 vcc, 0, v17
	s_waitcnt lgkmcnt(0)
	s_barrier
	s_and_saveexec_b64 s[14:15], vcc
	s_cbranch_execz .LBB6_29
; %bb.28:                               ;   in Loop: Header=BB6_21 Depth=1
	v_add_u32_e32 v17, v18, v4
	v_mul_lo_u32 v18, v17, s20
	global_store_byte v18, v14, s[16:17]
	v_mul_lo_u32 v18, v17, s8
	v_mov_b32_e32 v19, v1
	v_lshlrev_b64 v[18:19], 3, v[18:19]
	v_mov_b32_e32 v17, s19
	v_add_co_u32_e32 v18, vcc, s18, v18
	v_addc_co_u32_e32 v19, vcc, v17, v19, vcc
	global_store_dwordx2 v[18:19], v[0:1], off
.LBB6_29:                               ;   in Loop: Header=BB6_21 Depth=1
	s_or_b64 exec, exec, s[14:15]
	v_cmp_le_u32_e32 vcc, s13, v2
	s_cbranch_vccnz .LBB6_20
; %bb.30:                               ;   in Loop: Header=BB6_21 Depth=1
	ds_write_b32 v3, v15
	s_waitcnt lgkmcnt(0)
	s_barrier
	s_and_saveexec_b64 s[14:15], s[4:5]
	s_cbranch_execz .LBB6_32
; %bb.31:                               ;   in Loop: Header=BB6_21 Depth=1
	ds_read2_b32 v[18:19], v6 offset1:1
	ds_read2_b32 v[20:21], v6 offset0:2 offset1:3
	v_cmp_ne_u32_e32 vcc, 0, v10
	; wave barrier
	s_waitcnt lgkmcnt(1)
	v_add_u32_e32 v17, v19, v18
	s_waitcnt lgkmcnt(0)
	v_add3_u32 v17, v17, v20, v21
	s_nop 1
	v_mov_b32_dpp v19, v17 row_shr:1 row_mask:0xf bank_mask:0xf
	v_cndmask_b32_e32 v19, 0, v19, vcc
	v_add_u32_e32 v17, v19, v17
	v_cmp_lt_u32_e32 vcc, 1, v10
	s_nop 0
	v_mov_b32_dpp v19, v17 row_shr:2 row_mask:0xf bank_mask:0xf
	v_cndmask_b32_e32 v19, 0, v19, vcc
	v_add_u32_e32 v17, v17, v19
	v_cmp_lt_u32_e32 vcc, 3, v10
	;; [unrolled: 5-line block ×4, first 2 shown]
	s_nop 0
	v_mov_b32_dpp v19, v17 row_bcast:15 row_mask:0xf bank_mask:0xf
	v_and_b32_e32 v19, v11, v19
	v_add_u32_e32 v17, v17, v19
	s_nop 1
	v_mov_b32_dpp v19, v17 row_bcast:31 row_mask:0xf bank_mask:0xf
	v_cndmask_b32_e32 v19, 0, v19, vcc
	v_cmp_lt_i32_e32 vcc, v12, v13
	v_add_u32_e32 v17, v17, v19
	v_cndmask_b32_e32 v19, v12, v9, vcc
	v_lshlrev_b32_e32 v19, 2, v19
	ds_bpermute_b32 v17, v19, v17
	s_waitcnt lgkmcnt(0)
	v_add_u32_e32 v17, v17, v18
	v_cndmask_b32_e64 v17, v17, v15, s[2:3]
	ds_write_b32 v6, v17
	; wave barrier
	ds_read2_b32 v[18:19], v6 offset0:1 offset1:2
	ds_read_b32 v20, v6 offset:12
	s_waitcnt lgkmcnt(1)
	v_add_u32_e32 v17, v18, v17
	v_add_u32_e32 v18, v19, v17
	ds_write2_b32 v6, v17, v18 offset0:1 offset1:2
	s_waitcnt lgkmcnt(1)
	v_add_u32_e32 v17, v20, v18
	ds_write_b32 v6, v17 offset:12
.LBB6_32:                               ;   in Loop: Header=BB6_21 Depth=1
	s_or_b64 exec, exec, s[14:15]
	v_mov_b32_e32 v18, 0
	s_waitcnt lgkmcnt(0)
	s_barrier
	s_and_saveexec_b64 s[14:15], s[0:1]
	s_cbranch_execz .LBB6_34
; %bb.33:                               ;   in Loop: Header=BB6_21 Depth=1
	ds_read_b32 v18, v7
.LBB6_34:                               ;   in Loop: Header=BB6_21 Depth=1
	s_or_b64 exec, exec, s[14:15]
	ds_read_b32 v17, v1 offset:1048
	v_cmp_ne_u32_e32 vcc, 0, v15
	s_waitcnt lgkmcnt(0)
	s_barrier
	s_and_saveexec_b64 s[14:15], vcc
	s_cbranch_execz .LBB6_19
; %bb.35:                               ;   in Loop: Header=BB6_21 Depth=1
	v_add_u32_e32 v15, v18, v2
	v_cmp_gt_u32_e32 vcc, s13, v15
	s_and_b64 exec, exec, vcc
	s_cbranch_execz .LBB6_19
; %bb.36:                               ;   in Loop: Header=BB6_21 Depth=1
	v_mul_lo_u32 v18, v15, s20
	global_store_byte v18, v14, s[16:17]
	v_mul_lo_u32 v18, v15, s8
	v_mov_b32_e32 v19, v1
	v_lshlrev_b64 v[18:19], 3, v[18:19]
	v_mov_b32_e32 v15, s19
	v_add_co_u32_e32 v18, vcc, s18, v18
	v_addc_co_u32_e32 v19, vcc, v15, v19, vcc
	global_store_dwordx2 v[18:19], v[0:1], off
	s_branch .LBB6_19
.LBB6_37:                               ;   in Loop: Header=BB6_38 Depth=1
	s_add_u32 s16, s16, 4
	s_addc_u32 s17, s17, 0
	s_waitcnt lgkmcnt(0)
	s_add_i32 s46, s15, s46
	s_add_u32 s18, s18, 4
	s_addc_u32 s19, s19, 0
	s_add_i32 s14, s14, 1
	s_cmp_lt_u32 s14, s10
	s_cbranch_scc0 .LBB6_16
.LBB6_38:                               ; =>This Inner Loop Header: Depth=1
	s_load_dword s15, s[16:17], 0x0
	s_cmp_ge_u32 s14, s45
	s_cbranch_scc1 .LBB6_37
; %bb.39:                               ;   in Loop: Header=BB6_38 Depth=1
	s_load_dword s34, s[18:19], 0x0
	s_waitcnt lgkmcnt(0)
	s_add_i32 s13, s15, s13
	s_add_i32 s12, s34, s12
	s_branch .LBB6_37
.LBB6_40:
	s_endpgm
	.section	.rodata,"a",@progbits
	.p2align	6, 0x0
	.amdhsa_kernel _ZN2at6native6mbtopk10gatherTopKIhjLi2EEEvNS_4cuda6detail10TensorInfoIKT_T0_EES8_S8_bjS8_NS5_IS6_S8_EES8_NS5_IlS8_EES8_jjPS6_PjSD_j
		.amdhsa_group_segment_fixed_size 1068
		.amdhsa_private_segment_fixed_size 0
		.amdhsa_kernarg_size 984
		.amdhsa_user_sgpr_count 6
		.amdhsa_user_sgpr_private_segment_buffer 1
		.amdhsa_user_sgpr_dispatch_ptr 0
		.amdhsa_user_sgpr_queue_ptr 0
		.amdhsa_user_sgpr_kernarg_segment_ptr 1
		.amdhsa_user_sgpr_dispatch_id 0
		.amdhsa_user_sgpr_flat_scratch_init 0
		.amdhsa_user_sgpr_kernarg_preload_length 0
		.amdhsa_user_sgpr_kernarg_preload_offset 0
		.amdhsa_user_sgpr_private_segment_size 0
		.amdhsa_uses_dynamic_stack 0
		.amdhsa_system_sgpr_private_segment_wavefront_offset 0
		.amdhsa_system_sgpr_workgroup_id_x 1
		.amdhsa_system_sgpr_workgroup_id_y 1
		.amdhsa_system_sgpr_workgroup_id_z 1
		.amdhsa_system_sgpr_workgroup_info 0
		.amdhsa_system_vgpr_workitem_id 0
		.amdhsa_next_free_vgpr 22
		.amdhsa_next_free_sgpr 50
		.amdhsa_accum_offset 24
		.amdhsa_reserve_vcc 1
		.amdhsa_reserve_flat_scratch 0
		.amdhsa_float_round_mode_32 0
		.amdhsa_float_round_mode_16_64 0
		.amdhsa_float_denorm_mode_32 3
		.amdhsa_float_denorm_mode_16_64 3
		.amdhsa_dx10_clamp 1
		.amdhsa_ieee_mode 1
		.amdhsa_fp16_overflow 0
		.amdhsa_tg_split 0
		.amdhsa_exception_fp_ieee_invalid_op 0
		.amdhsa_exception_fp_denorm_src 0
		.amdhsa_exception_fp_ieee_div_zero 0
		.amdhsa_exception_fp_ieee_overflow 0
		.amdhsa_exception_fp_ieee_underflow 0
		.amdhsa_exception_fp_ieee_inexact 0
		.amdhsa_exception_int_div_zero 0
	.end_amdhsa_kernel
	.section	.text._ZN2at6native6mbtopk10gatherTopKIhjLi2EEEvNS_4cuda6detail10TensorInfoIKT_T0_EES8_S8_bjS8_NS5_IS6_S8_EES8_NS5_IlS8_EES8_jjPS6_PjSD_j,"axG",@progbits,_ZN2at6native6mbtopk10gatherTopKIhjLi2EEEvNS_4cuda6detail10TensorInfoIKT_T0_EES8_S8_bjS8_NS5_IS6_S8_EES8_NS5_IlS8_EES8_jjPS6_PjSD_j,comdat
.Lfunc_end6:
	.size	_ZN2at6native6mbtopk10gatherTopKIhjLi2EEEvNS_4cuda6detail10TensorInfoIKT_T0_EES8_S8_bjS8_NS5_IS6_S8_EES8_NS5_IlS8_EES8_jjPS6_PjSD_j, .Lfunc_end6-_ZN2at6native6mbtopk10gatherTopKIhjLi2EEEvNS_4cuda6detail10TensorInfoIKT_T0_EES8_S8_bjS8_NS5_IS6_S8_EES8_NS5_IlS8_EES8_jjPS6_PjSD_j
                                        ; -- End function
	.section	.AMDGPU.csdata,"",@progbits
; Kernel info:
; codeLenInByte = 2288
; NumSgprs: 54
; NumVgprs: 22
; NumAgprs: 0
; TotalNumVgprs: 22
; ScratchSize: 0
; MemoryBound: 0
; FloatMode: 240
; IeeeMode: 1
; LDSByteSize: 1068 bytes/workgroup (compile time only)
; SGPRBlocks: 6
; VGPRBlocks: 2
; NumSGPRsForWavesPerEU: 54
; NumVGPRsForWavesPerEU: 22
; AccumOffset: 24
; Occupancy: 8
; WaveLimiterHint : 1
; COMPUTE_PGM_RSRC2:SCRATCH_EN: 0
; COMPUTE_PGM_RSRC2:USER_SGPR: 6
; COMPUTE_PGM_RSRC2:TRAP_HANDLER: 0
; COMPUTE_PGM_RSRC2:TGID_X_EN: 1
; COMPUTE_PGM_RSRC2:TGID_Y_EN: 1
; COMPUTE_PGM_RSRC2:TGID_Z_EN: 1
; COMPUTE_PGM_RSRC2:TIDIG_COMP_CNT: 0
; COMPUTE_PGM_RSRC3_GFX90A:ACCUM_OFFSET: 5
; COMPUTE_PGM_RSRC3_GFX90A:TG_SPLIT: 0
	.section	.text._ZN2at6native6sbtopk10gatherTopKIhjLi2ELb0EEEvNS_4cuda6detail10TensorInfoIKT_T0_EES8_S8_bS8_S8_NS5_IS6_S8_EES8_NS5_IlS8_EES8_PS6_,"axG",@progbits,_ZN2at6native6sbtopk10gatherTopKIhjLi2ELb0EEEvNS_4cuda6detail10TensorInfoIKT_T0_EES8_S8_bS8_S8_NS5_IS6_S8_EES8_NS5_IlS8_EES8_PS6_,comdat
	.protected	_ZN2at6native6sbtopk10gatherTopKIhjLi2ELb0EEEvNS_4cuda6detail10TensorInfoIKT_T0_EES8_S8_bS8_S8_NS5_IS6_S8_EES8_NS5_IlS8_EES8_PS6_ ; -- Begin function _ZN2at6native6sbtopk10gatherTopKIhjLi2ELb0EEEvNS_4cuda6detail10TensorInfoIKT_T0_EES8_S8_bS8_S8_NS5_IS6_S8_EES8_NS5_IlS8_EES8_PS6_
	.globl	_ZN2at6native6sbtopk10gatherTopKIhjLi2ELb0EEEvNS_4cuda6detail10TensorInfoIKT_T0_EES8_S8_bS8_S8_NS5_IS6_S8_EES8_NS5_IlS8_EES8_PS6_
	.p2align	8
	.type	_ZN2at6native6sbtopk10gatherTopKIhjLi2ELb0EEEvNS_4cuda6detail10TensorInfoIKT_T0_EES8_S8_bS8_S8_NS5_IS6_S8_EES8_NS5_IlS8_EES8_PS6_,@function
_ZN2at6native6sbtopk10gatherTopKIhjLi2ELb0EEEvNS_4cuda6detail10TensorInfoIKT_T0_EES8_S8_bS8_S8_NS5_IS6_S8_EES8_NS5_IlS8_EES8_PS6_: ; @_ZN2at6native6sbtopk10gatherTopKIhjLi2ELb0EEEvNS_4cuda6detail10TensorInfoIKT_T0_EES8_S8_bS8_S8_NS5_IS6_S8_EES8_NS5_IlS8_EES8_PS6_
; %bb.0:
	s_load_dwordx2 s[10:11], s[4:5], 0x2b8
	s_load_dwordx4 s[60:63], s[4:5], 0xd8
	s_add_u32 s2, s4, 0x2b8
	s_addc_u32 s3, s5, 0
	s_waitcnt lgkmcnt(0)
	s_mul_i32 s0, s11, s8
	s_add_i32 s0, s0, s7
	s_mul_i32 s0, s0, s10
	s_add_i32 s17, s0, s6
	s_cmp_ge_u32 s17, s63
	s_cbranch_scc1 .LBB7_395
; %bb.1:
	s_load_dwordx2 s[8:9], s[4:5], 0x1d0
                                        ; implicit-def: $vgpr47 : SGPR spill to VGPR lane
	s_load_dword s11, s[4:5], 0xc
	s_load_dword s16, s[4:5], 0xe8
	s_load_dwordx2 s[12:13], s[4:5], 0x6c
	s_load_dwordx2 s[0:1], s[4:5], 0x0
	s_load_dword s14, s[4:5], 0xfc
	s_waitcnt lgkmcnt(0)
	v_cvt_f32_u32_e32 v1, s11
	v_writelane_b32 v47, s8, 0
	v_writelane_b32 v47, s9, 1
	s_load_dwordx2 s[8:9], s[4:5], 0x15c
	v_rcp_iflag_f32_e32 v1, v1
	v_cvt_f32_u32_e32 v2, s14
	s_waitcnt lgkmcnt(0)
	v_writelane_b32 v47, s8, 2
	v_writelane_b32 v47, s9, 3
	s_load_dwordx2 s[8:9], s[4:5], 0x23c
	v_mul_f32_e32 v1, 0x4f7ffffe, v1
	v_cvt_u32_f32_e32 v1, v1
	v_rcp_iflag_f32_e32 v2, v2
	s_waitcnt lgkmcnt(0)
	v_writelane_b32 v47, s8, 4
	v_writelane_b32 v47, s9, 5
	s_load_dword s9, s[4:5], 0x1dc
	v_writelane_b32 v47, s4, 6
	v_writelane_b32 v47, s5, 7
	s_load_dwordx2 s[4:5], s[4:5], 0xf0
	v_readfirstlane_b32 s7, v1
	v_mul_f32_e32 v1, 0x4f7ffffe, v2
	s_waitcnt lgkmcnt(0)
	v_cvt_f32_u32_e32 v2, s9
	v_cvt_u32_f32_e32 v1, v1
	v_writelane_b32 v47, s4, 8
	v_writelane_b32 v47, s5, 9
	s_mov_b32 s4, 0
	v_writelane_b32 v47, s4, 10
	v_rcp_iflag_f32_e32 v2, v2
	v_writelane_b32 v47, s5, 11
	s_sub_i32 s5, 0, s11
	s_mul_i32 s5, s5, s7
	s_mul_hi_u32 s5, s7, s5
	s_add_i32 s7, s7, s5
	v_readfirstlane_b32 s8, v1
	v_mul_f32_e32 v1, 0x4f7ffffe, v2
	s_mul_hi_u32 s5, s17, s7
	s_sub_i32 s7, 0, s14
	v_cvt_u32_f32_e32 v1, v1
	s_mul_i32 s7, s7, s8
	s_mul_hi_u32 s7, s8, s7
	s_add_i32 s8, s8, s7
	s_mul_hi_u32 s4, s17, s8
	s_sub_i32 s7, 0, s9
	v_readfirstlane_b32 s8, v1
	s_mul_i32 s7, s7, s8
	v_writelane_b32 v47, s14, 12
	s_mul_hi_u32 s7, s8, s7
	v_writelane_b32 v47, s4, 13
	s_add_i32 s8, s8, s7
	v_writelane_b32 v47, s9, 14
	s_mul_hi_u32 s4, s17, s8
	v_writelane_b32 v47, s4, 15
	v_cmp_eq_u32_e64 s[8:9], 0, v0
	s_mov_b64 s[14:15], exec
	v_writelane_b32 v47, s8, 16
	v_writelane_b32 v47, s9, 17
	s_and_b64 s[8:9], s[14:15], s[8:9]
	s_mov_b64 exec, s[8:9]
	s_cbranch_execz .LBB7_3
; %bb.2:
	v_mov_b32_e32 v2, 0
	v_mov_b32_e32 v3, s60
	;; [unrolled: 1-line block ×3, first 2 shown]
	ds_write_b96 v2, v[2:4] offset:4096
.LBB7_3:
	s_or_b64 exec, exec, s[14:15]
	s_mul_i32 s7, s5, s11
	s_sub_i32 s7, s17, s7
	s_add_i32 s8, s5, 1
	s_sub_i32 s9, s7, s11
	s_cmp_ge_u32 s7, s11
	s_cselect_b32 s5, s8, s5
	s_cselect_b32 s7, s9, s7
	s_add_i32 s8, s5, 1
	s_cmp_ge_u32 s7, s11
	s_cselect_b32 s5, s8, s5
	s_mul_i32 s4, s5, s11
	s_sub_i32 s4, s17, s4
	s_mul_i32 s4, s4, s13
	s_mul_i32 s5, s5, s12
	s_add_i32 s5, s5, s4
	s_add_u32 s64, s0, s5
	s_waitcnt lgkmcnt(0)
	s_barrier
	s_load_dword s0, s[2:3], 0xc
	s_addc_u32 s65, s1, 0
	v_mbcnt_lo_u32_b32 v2, -1, 0
	s_bitcmp1_b32 s62, 0
	v_mbcnt_hi_u32_b32 v13, -1, v2
	v_writelane_b32 v47, s17, 18
	s_cselect_b64 s[4:5], -1, 0
	s_waitcnt lgkmcnt(0)
	s_and_b32 s33, s0, 0xffff
	s_bfe_u32 s8, s0, 0xa0006
	v_cmp_gt_u32_e32 vcc, 64, v0
	v_cmp_gt_i32_e64 s[0:1], 4, v13
	v_writelane_b32 v47, s4, 19
	s_xor_b64 s[62:63], s[4:5], -1
	s_lshl_b32 s9, s33, 2
	s_and_b64 s[76:77], vcc, s[0:1]
	s_cmpk_gt_u32 s60, 0xc00
	v_writelane_b32 v47, s5, 20
	s_cselect_b64 s[0:1], -1, 0
	v_writelane_b32 v47, s0, 21
	s_cmp_gt_u32 s33, 63
	v_writelane_b32 v47, s1, 22
	s_cselect_b64 s[0:1], -1, 0
	v_writelane_b32 v47, s0, 23
	v_writelane_b32 v47, s1, 24
	s_add_i32 s0, s33, -1
	s_add_i32 s7, s0, s60
	s_cmp_lt_u32 s6, s10
	v_writelane_b32 v47, s0, 25
	s_cselect_b32 s0, 12, 18
	s_add_u32 s0, s2, s0
	s_addc_u32 s1, s3, 0
	v_writelane_b32 v47, s0, 26
	s_add_i32 s2, s8, -2
	v_writelane_b32 v47, s1, 27
	s_lshr_b32 s0, s2, 1
	v_mul_lo_u32 v15, v0, s16
	s_add_i32 s3, s0, 1
	v_mov_b32_e32 v2, s65
	v_add_co_u32_e32 v8, vcc, s64, v15
	s_cmpk_gt_u32 s33, 0x7f
	v_addc_co_u32_e32 v9, vcc, 0, v2, vcc
	v_lshrrev_b32_e32 v2, 4, v0
	s_cselect_b64 s[0:1], -1, 0
	v_and_b32_e32 v16, 60, v2
	v_lshlrev_b64 v[2:3], v13, -1
	v_writelane_b32 v47, s0, 28
	v_not_b32_e32 v6, v2
	v_cvt_f32_u32_e32 v2, s9
	v_writelane_b32 v47, s1, 29
	v_cmp_gt_u32_e64 s[4:5], s60, v0
	s_and_b32 s6, s8, 0x3fe
	s_and_b32 s10, s3, 7
	v_writelane_b32 v47, s4, 30
	s_cmp_gt_u32 s2, 13
	v_writelane_b32 v47, s5, 31
	s_cselect_b64 s[12:13], -1, 0
	v_writelane_b32 v47, s12, 32
	v_rcp_iflag_f32_e32 v2, v2
	v_writelane_b32 v47, s13, 33
	s_and_b32 s2, s3, -8
	v_writelane_b32 v47, s2, 34
	s_cmp_lg_u32 s10, 0
	v_writelane_b32 v47, s10, 35
	s_cselect_b64 s[2:3], -1, 0
	v_writelane_b32 v47, s2, 36
	v_mul_f32_e32 v2, 0x4f7ffffe, v2
	v_writelane_b32 v47, s3, 37
	v_cvt_u32_f32_e32 v2, v2
	v_writelane_b32 v47, s8, 38
	s_cmp_lg_u32 s6, s8
	v_writelane_b32 v47, s6, 39
	s_cselect_b64 s[2:3], -1, 0
	v_writelane_b32 v47, s2, 40
	v_writelane_b32 v47, s3, 41
	s_sub_i32 s2, 0, s9
	v_readfirstlane_b32 s3, v2
	v_cvt_f32_u32_e32 v2, s33
	s_mul_i32 s2, s2, s3
	s_mul_hi_u32 s2, s3, s2
	s_add_i32 s2, s3, s2
	v_writelane_b32 v47, s2, 42
	s_mul_hi_u32 s2, s60, s2
	v_rcp_iflag_f32_e32 v2, v2
	s_mul_i32 s2, s2, s9
	s_sub_i32 s2, s60, s2
	s_sub_i32 s3, s2, s9
	s_cmp_ge_u32 s2, s9
	v_mul_f32_e32 v2, 0x4f7ffffe, v2
	s_cselect_b32 s2, s3, s2
	v_cvt_u32_f32_e32 v2, v2
	s_sub_i32 s3, s2, s9
	s_cmp_ge_u32 s2, s9
	s_cselect_b32 s2, s3, s2
	v_lshlrev_b32_e32 v14, 2, v0
	s_sub_i32 s78, s60, s2
	s_sub_i32 s3, 0, s33
	v_readfirstlane_b32 s6, v2
	v_cmp_gt_u32_e64 s[10:11], s78, v14
	s_mul_i32 s3, s3, s6
	v_writelane_b32 v47, s10, 43
	s_mul_hi_u32 s3, s6, s3
	v_writelane_b32 v47, s11, 44
	s_add_i32 s3, s6, s3
	v_writelane_b32 v47, s3, 45
	s_mul_hi_u32 s3, s7, s3
	s_mul_i32 s3, s3, s33
	s_sub_i32 s3, s7, s3
	s_sub_i32 s6, s3, s33
	s_cmp_ge_u32 s3, s33
	s_cselect_b32 s3, s6, s3
	s_sub_i32 s6, s3, s33
	s_cmp_ge_u32 s3, s33
	v_mul_lo_u32 v2, s16, v14
	s_cselect_b32 s3, s6, s3
	v_add_u32_e32 v18, s16, v2
	v_or_b32_e32 v2, 2, v14
	v_add_u32_e32 v17, s78, v0
	s_sub_i32 s7, s7, s3
	v_mul_lo_u32 v19, s16, v2
	v_or_b32_e32 v2, 3, v14
	s_add_i32 s3, s33, s60
	v_not_b32_e32 v7, v3
	v_mul_lo_u32 v3, v17, s16
	v_cmp_gt_u32_e64 s[10:11], s7, v0
	v_mul_lo_u32 v20, s16, v2
	v_add_u32_e32 v2, s3, v0
	v_lshlrev_b32_e32 v4, 2, v13
	v_mov_b32_e32 v5, s65
	v_add_co_u32_e32 v10, vcc, s64, v3
	v_writelane_b32 v47, s10, 46
	s_mul_i32 s8, s16, s33
	v_subrev_u32_e32 v2, s2, v2
	v_mov_b32_e32 v1, 0
	v_cmp_eq_u32_e64 s[0:1], 0, v13
	v_cmp_gt_u32_e64 s[4:5], 2, v0
	v_and_b32_e32 v12, 0x100, v4
	v_cmp_gt_u32_e64 s[14:15], s60, v17
	v_addc_co_u32_e32 v11, vcc, 0, v5, vcc
	v_writelane_b32 v47, s11, 47
	s_lshl_b32 s79, s8, 2
	v_lshlrev_b32_e32 v21, 2, v15
	v_mul_lo_u32 v22, s16, v2
	v_or_b32_e32 v23, 0xc00, v4
	s_mov_b32 s80, 6
	s_mov_b64 s[92:93], 0
	v_mov_b32_e32 v24, 0
	v_mov_b32_e32 v29, s61
	;; [unrolled: 1-line block ×6, first 2 shown]
	s_mov_b32 s81, 0
	v_writelane_b32 v47, s16, 48
                                        ; implicit-def: $sgpr94_sgpr95
                                        ; implicit-def: $sgpr66_sgpr67
                                        ; implicit-def: $sgpr70_sgpr71
                                        ; implicit-def: $sgpr72_sgpr73
                                        ; implicit-def: $sgpr68_sgpr69
                                        ; implicit-def: $sgpr2_sgpr3
                                        ; implicit-def: $sgpr86_sgpr87
                                        ; implicit-def: $sgpr88_sgpr89
                                        ; implicit-def: $sgpr90_sgpr91
                                        ; implicit-def: $sgpr82_sgpr83
	s_branch .LBB7_6
.LBB7_4:                                ;   in Loop: Header=BB7_6 Depth=1
	s_or_b64 exec, exec, s[22:23]
	s_andn2_b64 s[10:11], s[82:83], exec
	s_and_b64 s[12:13], s[20:21], exec
	s_or_b64 s[82:83], s[10:11], s[12:13]
	s_andn2_b64 s[90:91], s[90:91], exec
	s_andn2_b64 s[88:89], s[88:89], exec
	;; [unrolled: 1-line block ×4, first 2 shown]
	s_orn2_b64 s[18:19], s[18:19], exec
	v_mov_b32_e32 v26, v3
	v_mov_b32_e32 v27, v2
	;; [unrolled: 1-line block ×4, first 2 shown]
.LBB7_5:                                ;   in Loop: Header=BB7_6 Depth=1
	s_or_b64 exec, exec, s[16:17]
	s_and_b64 s[10:11], exec, s[18:19]
	s_or_b64 s[92:93], s[10:11], s[92:93]
	s_andn2_b64 s[10:11], s[68:69], exec
	s_and_b64 s[12:13], s[82:83], exec
	s_or_b64 s[68:69], s[10:11], s[12:13]
	s_andn2_b64 s[10:11], s[72:73], exec
	s_and_b64 s[12:13], s[90:91], exec
	;; [unrolled: 3-line block ×5, first 2 shown]
	s_or_b64 s[94:95], s[10:11], s[12:13]
	s_andn2_b64 exec, exec, s[92:93]
	s_cbranch_execz .LBB7_391
.LBB7_6:                                ; =>This Loop Header: Depth=1
                                        ;     Child Loop BB7_11 Depth 2
                                        ;     Child Loop BB7_29 Depth 2
	;; [unrolled: 1-line block ×25, first 2 shown]
	ds_read_b64 v[2:3], v24 offset:4096
	s_waitcnt lgkmcnt(0)
	v_readfirstlane_b32 s6, v2
	s_cmp_lg_u32 s6, 0
	s_cbranch_scc1 .LBB7_36
; %bb.7:                                ;   in Loop: Header=BB7_6 Depth=1
	v_readlane_b32 s10, v47, 21
	v_readlane_b32 s11, v47, 22
	s_and_b64 vcc, exec, s[10:11]
	s_cbranch_vccz .LBB7_19
; %bb.8:                                ;   in Loop: Header=BB7_6 Depth=1
	s_movk_i32 s6, 0xc01
	v_cmp_gt_u32_e32 vcc, s6, v3
	s_mov_b64 s[16:17], 0
	s_mov_b64 s[18:19], 0
	s_cbranch_vccz .LBB7_20
; %bb.9:                                ;   in Loop: Header=BB7_6 Depth=1
	v_readlane_b32 s10, v47, 26
	v_readlane_b32 s11, v47, 27
	s_nop 4
	global_load_ushort v2, v24, s[10:11]
	global_load_ubyte v3, v[8:9], off
	v_readlane_b32 s6, v47, 48
	s_mov_b64 s[20:21], 0
	v_mov_b32_e32 v30, v0
	s_waitcnt vmcnt(1)
	v_add_u32_e32 v5, v0, v2
	v_mul_lo_u32 v4, s6, v2
	v_mul_lo_u32 v5, s6, v5
	s_branch .LBB7_11
.LBB7_10:                               ;   in Loop: Header=BB7_11 Depth=2
	s_or_b64 exec, exec, s[18:19]
	v_add_u32_e32 v5, v5, v4
	v_mov_b32_e32 v3, v31
	s_andn2_b64 exec, exec, s[20:21]
	s_cbranch_execz .LBB7_21
.LBB7_11:                               ;   Parent Loop BB7_6 Depth=1
                                        ; =>  This Inner Loop Header: Depth=2
	v_add_u32_e32 v30, v30, v2
	v_cmp_gt_u32_e64 s[18:19], s60, v30
	v_cmp_le_u32_e32 vcc, s60, v30
	s_waitcnt lgkmcnt(0)
	v_mov_b32_e32 v32, 0
	v_mov_b32_e32 v31, 0
	s_and_saveexec_b64 s[22:23], s[18:19]
	s_cbranch_execz .LBB7_13
; %bb.12:                               ;   in Loop: Header=BB7_11 Depth=2
	global_load_ubyte v31, v5, s[64:65]
.LBB7_13:                               ;   in Loop: Header=BB7_11 Depth=2
	s_or_b64 exec, exec, s[22:23]
	s_waitcnt vmcnt(0)
	v_and_b32_e32 v33, v3, v26
	v_cmp_eq_u32_sdwa s[22:23], v33, v27 src0_sel:BYTE_0 src1_sel:DWORD
	s_cmp_lg_u64 s[22:23], 0
	s_cselect_b64 s[10:11], -1, 0
	s_and_b64 s[10:11], s[0:1], s[10:11]
	s_and_saveexec_b64 s[24:25], s[10:11]
	s_cbranch_execz .LBB7_17
; %bb.14:                               ;   in Loop: Header=BB7_11 Depth=2
	s_mov_b64 s[28:29], exec
	v_mbcnt_lo_u32_b32 v32, s28, 0
	v_mbcnt_hi_u32_b32 v32, s29, v32
	s_bcnt1_i32_b64 s6, s[22:23]
	v_cmp_eq_u32_e64 s[18:19], 0, v32
                                        ; implicit-def: $vgpr33
	s_and_saveexec_b64 s[26:27], s[18:19]
	s_cbranch_execz .LBB7_16
; %bb.15:                               ;   in Loop: Header=BB7_11 Depth=2
	s_bcnt1_i32_b64 s10, s[28:29]
	s_mul_i32 s10, s6, s10
	v_mov_b32_e32 v33, s10
	ds_add_rtn_u32 v33, v24, v33 offset:4104
.LBB7_16:                               ;   in Loop: Header=BB7_11 Depth=2
	s_or_b64 exec, exec, s[26:27]
	s_waitcnt lgkmcnt(0)
	v_readfirstlane_b32 s10, v33
	v_mov_b32_e32 v33, s10
	v_mad_u32_u24 v32, s6, v32, v33
.LBB7_17:                               ;   in Loop: Header=BB7_11 Depth=2
	s_or_b64 exec, exec, s[24:25]
	ds_bpermute_b32 v32, v12, v32
	s_and_b64 s[10:11], exec, vcc
	s_or_b64 s[20:21], s[10:11], s[20:21]
	s_and_saveexec_b64 s[18:19], s[22:23]
	s_cbranch_execz .LBB7_10
; %bb.18:                               ;   in Loop: Header=BB7_11 Depth=2
	v_and_b32_e32 v34, s22, v6
	v_and_b32_e32 v33, s23, v7
	v_bcnt_u32_b32 v34, v34, 0
	v_bcnt_u32_b32 v33, v33, v34
	s_waitcnt lgkmcnt(0)
	v_add_u32_e32 v32, v32, v33
	ds_write_b8 v32, v3
	s_branch .LBB7_10
.LBB7_19:                               ;   in Loop: Header=BB7_6 Depth=1
	s_mov_b64 s[18:19], 0
                                        ; implicit-def: $sgpr6
	s_cbranch_execnz .LBB7_24
	s_branch .LBB7_34
.LBB7_20:                               ;   in Loop: Header=BB7_6 Depth=1
	s_mov_b32 s6, 0
	s_and_b64 vcc, exec, s[16:17]
	s_cbranch_vccnz .LBB7_24
	s_branch .LBB7_34
.LBB7_21:                               ;   in Loop: Header=BB7_6 Depth=1
	s_or_b64 exec, exec, s[20:21]
	s_waitcnt lgkmcnt(0)
	s_barrier
	s_mov_b64 s[18:19], exec
	v_readlane_b32 s10, v47, 16
	v_readlane_b32 s11, v47, 17
	s_and_b64 s[10:11], s[18:19], s[10:11]
	s_mov_b64 exec, s[10:11]
	s_cbranch_execz .LBB7_23
; %bb.22:                               ;   in Loop: Header=BB7_6 Depth=1
	ds_read_b32 v2, v24 offset:4104
	s_waitcnt lgkmcnt(0)
	ds_write_b32 v24, v2 offset:4096
.LBB7_23:                               ;   in Loop: Header=BB7_6 Depth=1
	s_or_b64 exec, exec, s[18:19]
	s_waitcnt lgkmcnt(0)
	s_barrier
	s_mov_b64 s[18:19], -1
	s_mov_b32 s6, 0
	s_and_b64 vcc, exec, s[16:17]
	s_cbranch_vccz .LBB7_34
.LBB7_24:                               ;   in Loop: Header=BB7_6 Depth=1
	v_mov_b32_e32 v2, 0
	s_mov_b64 s[16:17], exec
	v_readlane_b32 s10, v47, 30
	v_readlane_b32 s11, v47, 31
	s_and_b64 s[10:11], s[16:17], s[10:11]
	s_mov_b64 exec, s[10:11]
	s_cbranch_execz .LBB7_26
; %bb.25:                               ;   in Loop: Header=BB7_6 Depth=1
	global_load_ubyte v2, v[8:9], off
.LBB7_26:                               ;   in Loop: Header=BB7_6 Depth=1
	s_or_b64 exec, exec, s[16:17]
	s_mov_b64 s[16:17], exec
	v_readlane_b32 s10, v47, 30
	v_readlane_b32 s11, v47, 31
	s_and_b64 s[10:11], s[16:17], s[10:11]
	s_mov_b64 exec, s[10:11]
	s_cbranch_execz .LBB7_31
; %bb.27:                               ;   in Loop: Header=BB7_6 Depth=1
	v_readlane_b32 s10, v47, 26
	v_readlane_b32 s11, v47, 27
	;; [unrolled: 1-line block ×3, first 2 shown]
	s_mov_b64 s[20:21], 0
	v_mov_b32_e32 v30, v0
	s_nop 1
	global_load_ushort v3, v24, s[10:11]
	s_waitcnt vmcnt(0)
	v_add_u32_e32 v5, v0, v3
	v_mul_lo_u32 v4, s6, v3
	v_mul_lo_u32 v5, s6, v5
	s_branch .LBB7_29
.LBB7_28:                               ;   in Loop: Header=BB7_29 Depth=2
	s_or_b64 exec, exec, s[22:23]
	s_and_b64 s[10:11], exec, vcc
	s_or_b64 s[20:21], s[10:11], s[20:21]
	ds_write_b8 v30, v2
	v_add_u32_e32 v5, v5, v4
	s_waitcnt vmcnt(0)
	v_mov_b32_e32 v2, v32
	v_mov_b32_e32 v30, v31
	s_andn2_b64 exec, exec, s[20:21]
	s_cbranch_execz .LBB7_31
.LBB7_29:                               ;   Parent Loop BB7_6 Depth=1
                                        ; =>  This Inner Loop Header: Depth=2
	v_add_u32_e32 v31, v30, v3
	v_cmp_gt_u32_e64 s[18:19], s60, v31
	v_cmp_le_u32_e32 vcc, s60, v31
	v_mov_b32_e32 v32, 0
	s_and_saveexec_b64 s[22:23], s[18:19]
	s_cbranch_execz .LBB7_28
; %bb.30:                               ;   in Loop: Header=BB7_29 Depth=2
	global_load_ubyte v32, v5, s[64:65]
	s_branch .LBB7_28
.LBB7_31:                               ;   in Loop: Header=BB7_6 Depth=1
	s_or_b64 exec, exec, s[16:17]
	s_waitcnt lgkmcnt(0)
	s_barrier
	s_mov_b64 s[16:17], exec
	v_readlane_b32 s10, v47, 16
	v_readlane_b32 s11, v47, 17
	s_and_b64 s[10:11], s[16:17], s[10:11]
	s_mov_b64 exec, s[10:11]
	s_cbranch_execz .LBB7_33
; %bb.32:                               ;   in Loop: Header=BB7_6 Depth=1
	s_waitcnt vmcnt(0)
	v_mov_b32_e32 v2, s60
	ds_write_b32 v24, v2 offset:4096
.LBB7_33:                               ;   in Loop: Header=BB7_6 Depth=1
	s_or_b64 exec, exec, s[16:17]
	s_mov_b64 s[18:19], -1
	s_waitcnt lgkmcnt(0)
	s_barrier
                                        ; implicit-def: $sgpr6
.LBB7_34:                               ;   in Loop: Header=BB7_6 Depth=1
	s_and_b64 vcc, exec, s[18:19]
	s_cbranch_vccz .LBB7_36
; %bb.35:                               ;   in Loop: Header=BB7_6 Depth=1
	s_waitcnt vmcnt(0)
	ds_read_b32 v2, v24 offset:4096
	s_waitcnt lgkmcnt(0)
	v_readfirstlane_b32 s6, v2
.LBB7_36:                               ;   in Loop: Header=BB7_6 Depth=1
	s_cmp_lt_i32 s6, 1
	s_cbranch_scc0 .LBB7_40
; %bb.37:                               ;   in Loop: Header=BB7_6 Depth=1
	s_waitcnt vmcnt(0)
	v_mov_b32_e32 v2, 0
	s_mov_b32 s12, 0
	v_mov_b32_e32 v3, 0
	v_mov_b32_e32 v4, v2
	;; [unrolled: 1-line block ×3, first 2 shown]
	s_mov_b64 s[84:85], exec
	v_readlane_b32 s10, v47, 43
	v_readlane_b32 s11, v47, 44
	s_and_b64 s[10:11], s[84:85], s[10:11]
	s_mov_b64 exec, s[10:11]
	s_cbranch_execnz .LBB7_41
; %bb.38:                               ;   in Loop: Header=BB7_6 Depth=1
	s_or_b64 exec, exec, s[84:85]
	v_mov_b32_e32 v32, 0
	s_and_saveexec_b64 s[16:17], s[14:15]
	s_cbranch_execnz .LBB7_44
.LBB7_39:                               ;   in Loop: Header=BB7_6 Depth=1
	s_or_b64 exec, exec, s[16:17]
	s_and_saveexec_b64 s[16:17], s[14:15]
	s_cbranch_execnz .LBB7_45
	s_branch .LBB7_50
.LBB7_40:                               ;   in Loop: Header=BB7_6 Depth=1
                                        ; implicit-def: $vgpr5
	s_cbranch_execnz .LBB7_51
	s_branch .LBB7_60
.LBB7_41:                               ;   in Loop: Header=BB7_6 Depth=1
	s_and_b32 s13, s80, 0xfe
	s_mov_b64 s[16:17], 0
	s_mov_b32 s74, 0
	s_mov_b32 s75, 0
	;; [unrolled: 1-line block ×4, first 2 shown]
	v_mov_b32_e32 v30, v14
.LBB7_42:                               ;   Parent Loop BB7_6 Depth=1
                                        ; =>  This Inner Loop Header: Depth=2
	v_add_u32_e32 v2, s12, v21
	v_add_u32_e32 v3, s12, v18
	;; [unrolled: 1-line block ×4, first 2 shown]
	global_load_ubyte v2, v2, s[64:65]
	s_nop 0
	global_load_ubyte v3, v3, s[64:65]
	s_nop 0
	;; [unrolled: 2-line block ×3, first 2 shown]
	global_load_ubyte v5, v5, s[64:65]
	v_add_u32_e32 v30, s9, v30
	s_add_i32 s12, s12, s79
	v_cmp_le_u32_e32 vcc, s78, v30
	s_waitcnt vmcnt(3)
	v_and_b32_e32 v31, v26, v2
	v_bfe_u32 v2, v2, s13, 2
	s_waitcnt vmcnt(2)
	v_and_b32_e32 v32, v26, v3
	v_bfe_u32 v3, v3, s13, 2
	v_cmp_eq_u32_e64 s[18:19], v31, v27
	v_cmp_eq_u32_e64 s[26:27], 0, v2
	s_waitcnt vmcnt(1)
	v_and_b32_e32 v33, v26, v4
	v_bfe_u32 v4, v4, s13, 2
	v_cmp_eq_u32_e64 s[20:21], v32, v27
	v_cmp_eq_u32_e64 s[28:29], 0, v3
	s_and_b64 s[26:27], s[18:19], s[26:27]
	s_waitcnt vmcnt(0)
	v_and_b32_e32 v34, v26, v5
	v_bfe_u32 v5, v5, s13, 2
	v_cmp_eq_u32_e64 s[22:23], v33, v27
	v_cmp_eq_u32_e64 s[30:31], 0, v4
	;; [unrolled: 1-line block ×5, first 2 shown]
	v_cndmask_b32_e64 v2, 0, 1, s[26:27]
	s_and_b64 s[26:27], s[20:21], s[28:29]
	v_cmp_eq_u32_e64 s[24:25], v34, v27
	v_cmp_eq_u32_e64 s[34:35], 0, v5
	;; [unrolled: 1-line block ×5, first 2 shown]
	v_cndmask_b32_e64 v3, 0, 1, s[26:27]
	s_and_b64 s[26:27], s[22:23], s[30:31]
	v_cmp_eq_u32_e64 s[40:41], 1, v4
	v_cmp_eq_u32_e64 s[48:49], 2, v4
	;; [unrolled: 1-line block ×3, first 2 shown]
	v_cndmask_b32_e64 v4, 0, 1, s[26:27]
	s_and_b64 s[26:27], s[24:25], s[34:35]
	v_cmp_eq_u32_e64 s[42:43], 1, v5
	v_cmp_eq_u32_e64 s[50:51], 2, v5
	;; [unrolled: 1-line block ×3, first 2 shown]
	v_cndmask_b32_e64 v5, 0, 1, s[26:27]
	s_and_b64 s[26:27], s[18:19], s[36:37]
	v_cndmask_b32_e64 v31, 0, 1, s[26:27]
	s_and_b64 s[26:27], s[20:21], s[38:39]
	;; [unrolled: 2-line block ×5, first 2 shown]
	s_and_b64 s[18:19], s[18:19], s[52:53]
	v_cndmask_b32_e64 v35, 0, 1, s[26:27]
	s_and_b64 s[26:27], s[20:21], s[46:47]
	v_cndmask_b32_e64 v39, 0, 1, s[18:19]
	;; [unrolled: 2-line block ×7, first 2 shown]
	v_cndmask_b32_e64 v42, 0, 1, s[18:19]
	v_cmp_ne_u32_e64 s[18:19], 0, v2
	v_cmp_ne_u32_e64 s[20:21], 0, v3
	;; [unrolled: 1-line block ×11, first 2 shown]
	s_bcnt1_i32_b64 s18, s[18:19]
	s_bcnt1_i32_b64 s19, s[20:21]
	;; [unrolled: 1-line block ×8, first 2 shown]
	v_cmp_ne_u32_e64 s[34:35], 0, v34
	v_cmp_ne_u32_e64 s[40:41], 0, v37
	v_cmp_ne_u32_e64 s[48:49], 0, v41
	s_bcnt1_i32_b64 s23, s[28:29]
	s_bcnt1_i32_b64 s27, s[38:39]
	;; [unrolled: 1-line block ×3, first 2 shown]
	s_add_i32 s11, s11, s18
	s_add_i32 s10, s10, s22
	;; [unrolled: 1-line block ×4, first 2 shown]
	v_cmp_ne_u32_e64 s[42:43], 0, v38
	v_cmp_ne_u32_e64 s[50:51], 0, v42
	s_bcnt1_i32_b64 s25, s[34:35]
	s_bcnt1_i32_b64 s28, s[40:41]
	;; [unrolled: 1-line block ×3, first 2 shown]
	s_add_i32 s11, s11, s19
	s_add_i32 s10, s10, s23
	;; [unrolled: 1-line block ×4, first 2 shown]
	s_bcnt1_i32_b64 s29, s[42:43]
	s_bcnt1_i32_b64 s35, s[50:51]
	s_add_i32 s11, s11, s20
	s_add_i32 s10, s10, s24
	;; [unrolled: 1-line block ×8, first 2 shown]
	s_or_b64 s[16:17], vcc, s[16:17]
	v_mov_b32_e32 v2, s11
	v_mov_b32_e32 v3, s10
	;; [unrolled: 1-line block ×4, first 2 shown]
	s_andn2_b64 exec, exec, s[16:17]
	s_cbranch_execnz .LBB7_42
; %bb.43:                               ;   in Loop: Header=BB7_6 Depth=1
	s_or_b64 exec, exec, s[16:17]
	s_or_b64 exec, exec, s[84:85]
	v_mov_b32_e32 v32, 0
	s_and_saveexec_b64 s[16:17], s[14:15]
	s_cbranch_execz .LBB7_39
.LBB7_44:                               ;   in Loop: Header=BB7_6 Depth=1
	global_load_ubyte v32, v[10:11], off
	s_or_b64 exec, exec, s[16:17]
	s_and_saveexec_b64 s[16:17], s[14:15]
	s_cbranch_execz .LBB7_50
.LBB7_45:                               ;   in Loop: Header=BB7_6 Depth=1
	s_and_b32 s10, s80, 0xfe
	s_mov_b64 s[20:21], 0
	v_mov_b32_e32 v30, v22
	v_mov_b32_e32 v31, v17
	s_branch .LBB7_47
.LBB7_46:                               ;   in Loop: Header=BB7_47 Depth=2
	s_or_b64 exec, exec, s[22:23]
	s_waitcnt vmcnt(0)
	v_and_b32_e32 v32, 0xff, v32
	s_and_b64 s[12:13], exec, vcc
	v_and_b32_e32 v34, v26, v32
	v_bfe_u32 v32, v32, s10, 2
	s_or_b64 s[20:21], s[12:13], s[20:21]
	v_cmp_eq_u32_e32 vcc, v34, v27
	v_cmp_eq_u32_e64 s[18:19], 0, v32
	s_and_b64 s[12:13], vcc, s[18:19]
	v_cndmask_b32_e64 v34, 0, 1, s[12:13]
	v_cmp_ne_u32_e64 s[18:19], 0, v34
	s_bcnt1_i32_b64 s11, s[18:19]
	v_cmp_eq_u32_e64 s[18:19], 1, v32
	s_and_b64 s[12:13], vcc, s[18:19]
	v_cndmask_b32_e64 v34, 0, 1, s[12:13]
	v_cmp_ne_u32_e64 s[18:19], 0, v34
	v_add_u32_e32 v2, s11, v2
	s_bcnt1_i32_b64 s11, s[18:19]
	v_cmp_eq_u32_e64 s[18:19], 2, v32
	s_and_b64 s[12:13], vcc, s[18:19]
	v_cndmask_b32_e64 v34, 0, 1, s[12:13]
	v_cmp_ne_u32_e64 s[18:19], 0, v34
	v_add_u32_e32 v3, s11, v3
	s_bcnt1_i32_b64 s11, s[18:19]
	v_cmp_eq_u32_e64 s[18:19], 3, v32
	s_and_b64 s[12:13], vcc, s[18:19]
	v_cndmask_b32_e64 v32, 0, 1, s[12:13]
	v_cmp_ne_u32_e32 vcc, 0, v32
	v_add_u32_e32 v4, s11, v4
	s_bcnt1_i32_b64 s11, vcc
	v_add_u32_e32 v5, s11, v5
	v_add_u32_e32 v30, s8, v30
	v_mov_b32_e32 v32, v33
	s_andn2_b64 exec, exec, s[20:21]
	s_cbranch_execz .LBB7_49
.LBB7_47:                               ;   Parent Loop BB7_6 Depth=1
                                        ; =>  This Inner Loop Header: Depth=2
	v_add_u32_e32 v31, s33, v31
	v_cmp_gt_u32_e64 s[18:19], s60, v31
	v_cmp_le_u32_e32 vcc, s60, v31
	v_mov_b32_e32 v33, 0
	s_and_saveexec_b64 s[22:23], s[18:19]
	s_cbranch_execz .LBB7_46
; %bb.48:                               ;   in Loop: Header=BB7_47 Depth=2
	global_load_ubyte v33, v30, s[64:65]
	s_branch .LBB7_46
.LBB7_49:                               ;   in Loop: Header=BB7_6 Depth=1
	s_or_b64 exec, exec, s[20:21]
.LBB7_50:                               ;   in Loop: Header=BB7_6 Depth=1
	s_or_b64 exec, exec, s[16:17]
	s_branch .LBB7_60
.LBB7_51:                               ;   in Loop: Header=BB7_6 Depth=1
	v_readlane_b32 s10, v47, 42
	s_mul_hi_u32 s10, s6, s10
	s_mul_i32 s10, s10, s9
	s_sub_i32 s10, s6, s10
	s_sub_i32 s11, s10, s9
	s_cmp_ge_u32 s10, s9
	s_cselect_b32 s10, s11, s10
	s_sub_i32 s11, s10, s9
	s_cmp_ge_u32 s10, s9
	s_cselect_b32 s10, s11, s10
	s_sub_i32 s12, s6, s10
	v_cmp_gt_u32_e32 vcc, s12, v14
	s_mov_b32 s74, 0
	s_waitcnt vmcnt(0)
	v_mov_b32_e32 v2, 0
	v_mov_b32_e32 v3, 0
	;; [unrolled: 1-line block ×4, first 2 shown]
	s_and_saveexec_b64 s[84:85], vcc
	s_cbranch_execz .LBB7_55
; %bb.52:                               ;   in Loop: Header=BB7_6 Depth=1
	s_and_b32 s13, s80, 0xfe
	s_mov_b64 s[16:17], 0
	s_mov_b32 s10, 0
	s_mov_b32 s11, 0
	;; [unrolled: 1-line block ×3, first 2 shown]
	v_mov_b32_e32 v30, v14
.LBB7_53:                               ;   Parent Loop BB7_6 Depth=1
                                        ; =>  This Inner Loop Header: Depth=2
	ds_read_b32 v2, v30
	v_add_u32_e32 v30, s9, v30
	v_cmp_le_u32_e32 vcc, s12, v30
	s_waitcnt lgkmcnt(0)
	v_and_b32_e32 v4, 0xff, v2
	v_bfe_u32 v5, v2, 8, 8
	v_and_b32_e32 v31, v26, v4
	v_bfe_u32 v4, v4, s13, 2
	v_lshrrev_b32_e32 v3, 24, v2
	v_bfe_u32 v2, v2, 16, 8
	v_and_b32_e32 v32, v26, v5
	v_bfe_u32 v5, v5, s13, 2
	v_cmp_eq_u32_e64 s[18:19], v31, v27
	v_cmp_eq_u32_e64 s[26:27], 0, v4
	v_and_b32_e32 v33, v26, v2
	v_bfe_u32 v2, v2, s13, 2
	v_cmp_eq_u32_e64 s[20:21], v32, v27
	v_cmp_eq_u32_e64 s[28:29], 0, v5
	s_and_b64 s[26:27], s[18:19], s[26:27]
	v_and_b32_e32 v34, v26, v3
	v_bfe_u32 v3, v3, s13, 2
	v_cmp_eq_u32_e64 s[22:23], v33, v27
	v_cmp_eq_u32_e64 s[30:31], 0, v2
	;; [unrolled: 1-line block ×5, first 2 shown]
	v_cndmask_b32_e64 v2, 0, 1, s[26:27]
	s_and_b64 s[26:27], s[20:21], s[28:29]
	v_cmp_eq_u32_e64 s[24:25], v34, v27
	v_cmp_eq_u32_e64 s[34:35], 0, v3
	;; [unrolled: 1-line block ×5, first 2 shown]
	v_cndmask_b32_e64 v3, 0, 1, s[26:27]
	s_and_b64 s[26:27], s[22:23], s[30:31]
	v_cmp_eq_u32_e64 s[36:37], 1, v4
	v_cmp_eq_u32_e64 s[44:45], 2, v4
	v_cmp_eq_u32_e64 s[52:53], 3, v4
	v_cndmask_b32_e64 v4, 0, 1, s[26:27]
	s_and_b64 s[26:27], s[24:25], s[34:35]
	v_cmp_eq_u32_e64 s[38:39], 1, v5
	v_cmp_eq_u32_e64 s[46:47], 2, v5
	;; [unrolled: 1-line block ×3, first 2 shown]
	v_cndmask_b32_e64 v5, 0, 1, s[26:27]
	s_and_b64 s[26:27], s[18:19], s[36:37]
	v_cndmask_b32_e64 v31, 0, 1, s[26:27]
	s_and_b64 s[26:27], s[20:21], s[38:39]
	;; [unrolled: 2-line block ×5, first 2 shown]
	s_and_b64 s[18:19], s[18:19], s[52:53]
	v_cndmask_b32_e64 v35, 0, 1, s[26:27]
	s_and_b64 s[26:27], s[20:21], s[46:47]
	v_cndmask_b32_e64 v39, 0, 1, s[18:19]
	;; [unrolled: 2-line block ×7, first 2 shown]
	v_cndmask_b32_e64 v42, 0, 1, s[18:19]
	v_cmp_ne_u32_e64 s[18:19], 0, v2
	v_cmp_ne_u32_e64 s[20:21], 0, v3
	;; [unrolled: 1-line block ×11, first 2 shown]
	s_bcnt1_i32_b64 s18, s[18:19]
	s_bcnt1_i32_b64 s19, s[20:21]
	;; [unrolled: 1-line block ×8, first 2 shown]
	v_cmp_ne_u32_e64 s[34:35], 0, v34
	v_cmp_ne_u32_e64 s[40:41], 0, v37
	v_cmp_ne_u32_e64 s[48:49], 0, v41
	s_bcnt1_i32_b64 s23, s[28:29]
	s_bcnt1_i32_b64 s27, s[38:39]
	s_bcnt1_i32_b64 s31, s[46:47]
	s_add_i32 s18, s75, s18
	s_add_i32 s11, s11, s22
	;; [unrolled: 1-line block ×4, first 2 shown]
	v_cmp_ne_u32_e64 s[42:43], 0, v38
	v_cmp_ne_u32_e64 s[50:51], 0, v42
	s_bcnt1_i32_b64 s25, s[34:35]
	s_bcnt1_i32_b64 s28, s[40:41]
	;; [unrolled: 1-line block ×3, first 2 shown]
	s_add_i32 s18, s18, s19
	s_add_i32 s11, s11, s23
	;; [unrolled: 1-line block ×4, first 2 shown]
	s_bcnt1_i32_b64 s29, s[42:43]
	s_bcnt1_i32_b64 s35, s[50:51]
	s_add_i32 s18, s18, s20
	s_add_i32 s11, s11, s24
	;; [unrolled: 1-line block ×8, first 2 shown]
	s_or_b64 s[16:17], vcc, s[16:17]
	v_mov_b32_e32 v2, s75
	v_mov_b32_e32 v3, s11
	;; [unrolled: 1-line block ×4, first 2 shown]
	s_andn2_b64 exec, exec, s[16:17]
	s_cbranch_execnz .LBB7_53
; %bb.54:                               ;   in Loop: Header=BB7_6 Depth=1
	s_or_b64 exec, exec, s[16:17]
.LBB7_55:                               ;   in Loop: Header=BB7_6 Depth=1
	s_or_b64 exec, exec, s[84:85]
	v_add_u32_e32 v30, s12, v0
	v_cmp_gt_u32_e32 vcc, s6, v30
	s_and_saveexec_b64 s[16:17], vcc
	s_cbranch_execz .LBB7_59
; %bb.56:                               ;   in Loop: Header=BB7_6 Depth=1
	s_and_b32 s10, s80, 0xfe
	s_mov_b64 s[28:29], 0
.LBB7_57:                               ;   Parent Loop BB7_6 Depth=1
                                        ; =>  This Inner Loop Header: Depth=2
	ds_read_u8 v31, v30
	v_add_u32_e32 v30, s33, v30
	v_cmp_le_u32_e32 vcc, s6, v30
	s_waitcnt lgkmcnt(0)
	v_and_b32_e32 v32, v26, v31
	v_bfe_u32 v31, v31, s10, 2
	v_cmp_eq_u32_e64 s[18:19], v32, v27
	v_cmp_eq_u32_e64 s[20:21], 0, v31
	;; [unrolled: 1-line block ×3, first 2 shown]
	s_and_b64 s[12:13], s[18:19], s[20:21]
	v_cmp_eq_u32_e64 s[24:25], 2, v31
	v_cmp_eq_u32_e64 s[26:27], 3, v31
	v_cndmask_b32_e64 v31, 0, 1, s[12:13]
	s_and_b64 s[12:13], s[18:19], s[22:23]
	v_cndmask_b32_e64 v32, 0, 1, s[12:13]
	s_and_b64 s[12:13], s[18:19], s[24:25]
	;; [unrolled: 2-line block ×3, first 2 shown]
	v_cndmask_b32_e64 v34, 0, 1, s[12:13]
	v_cmp_ne_u32_e64 s[18:19], 0, v31
	v_cmp_ne_u32_e64 s[20:21], 0, v32
	;; [unrolled: 1-line block ×4, first 2 shown]
	s_bcnt1_i32_b64 s11, s[18:19]
	s_bcnt1_i32_b64 s12, s[20:21]
	;; [unrolled: 1-line block ×4, first 2 shown]
	v_add_u32_e32 v2, s11, v2
	v_add_u32_e32 v3, s12, v3
	;; [unrolled: 1-line block ×3, first 2 shown]
	s_or_b64 s[28:29], vcc, s[28:29]
	v_add_u32_e32 v5, s18, v5
	s_andn2_b64 exec, exec, s[28:29]
	s_cbranch_execnz .LBB7_57
; %bb.58:                               ;   in Loop: Header=BB7_6 Depth=1
	s_or_b64 exec, exec, s[28:29]
.LBB7_59:                               ;   in Loop: Header=BB7_6 Depth=1
	s_or_b64 exec, exec, s[16:17]
.LBB7_60:                               ;   in Loop: Header=BB7_6 Depth=1
	s_lshl_b32 s6, s81, 6
	s_and_saveexec_b64 s[16:17], s[0:1]
	s_cbranch_execz .LBB7_62
; %bb.61:                               ;   in Loop: Header=BB7_6 Depth=1
	v_or_b32_e32 v30, s6, v16
	v_lshlrev_b32_e32 v30, 2, v30
	s_waitcnt vmcnt(0)
	ds_write_b128 v30, v[2:5] offset:3072
.LBB7_62:                               ;   in Loop: Header=BB7_6 Depth=1
	s_or_b64 exec, exec, s[16:17]
	s_waitcnt lgkmcnt(0)
	s_barrier
	s_and_saveexec_b64 s[16:17], s[76:77]
	s_cbranch_execz .LBB7_76
; %bb.63:                               ;   in Loop: Header=BB7_6 Depth=1
	v_readlane_b32 s10, v47, 23
	v_readlane_b32 s11, v47, 24
	v_add_u32_e32 v4, s6, v13
	s_andn2_b64 vcc, exec, s[10:11]
	s_waitcnt vmcnt(0)
	v_mov_b32_e32 v2, 0
	s_cbranch_vccnz .LBB7_75
; %bb.64:                               ;   in Loop: Header=BB7_6 Depth=1
	v_readlane_b32 s12, v47, 28
	v_readlane_b32 s13, v47, 29
	s_mov_b32 s10, 0
	s_and_b64 vcc, exec, s[12:13]
	v_mov_b32_e32 v2, 0
	s_cbranch_vccz .LBB7_68
; %bb.65:                               ;   in Loop: Header=BB7_6 Depth=1
	v_readlane_b32 s10, v47, 32
	v_readlane_b32 s18, v47, 10
	;; [unrolled: 1-line block ×3, first 2 shown]
	v_lshl_add_u32 v5, v4, 2, v25
	v_readlane_b32 s19, v47, 11
	s_andn2_b64 vcc, exec, s[10:11]
	s_cbranch_vccnz .LBB7_69
; %bb.66:                               ;   in Loop: Header=BB7_6 Depth=1
	v_writelane_b32 v47, s18, 10
	v_writelane_b32 v47, s19, 11
	s_mov_b32 s19, 1
	s_mov_b32 s18, 0
	v_mov_b32_e32 v2, 0
	v_readlane_b32 s10, v47, 34
	v_mov_b32_e32 v3, 0
.LBB7_67:                               ;   Parent Loop BB7_6 Depth=1
                                        ; =>  This Inner Loop Header: Depth=2
	v_lshl_add_u32 v42, s18, 4, v5
	v_lshl_add_u32 v44, s19, 4, v5
	ds_read2_b32 v[30:31], v42 offset1:8
	ds_read2_b32 v[32:33], v44 offset1:8
	ds_read2_b32 v[34:35], v42 offset0:16 offset1:24
	ds_read2_b32 v[36:37], v44 offset0:16 offset1:24
	;; [unrolled: 1-line block ×6, first 2 shown]
	s_waitcnt lgkmcnt(7)
	v_add3_u32 v2, v30, v2, v31
	s_waitcnt lgkmcnt(6)
	v_add3_u32 v3, v32, v3, v33
	;; [unrolled: 2-line block ×3, first 2 shown]
	v_add3_u32 v2, v34, v2, v35
	s_add_i32 s19, s19, 16
	s_add_i32 s18, s18, 16
	s_add_i32 s10, s10, -8
	s_waitcnt lgkmcnt(3)
	v_add3_u32 v2, v38, v2, v39
	s_waitcnt lgkmcnt(2)
	v_add3_u32 v3, v40, v3, v41
	s_cmp_lg_u32 s10, 0
	s_waitcnt lgkmcnt(0)
	v_add3_u32 v3, v44, v3, v45
	v_add3_u32 v2, v42, v2, v43
	s_cbranch_scc1 .LBB7_67
	s_branch .LBB7_70
.LBB7_68:                               ;   in Loop: Header=BB7_6 Depth=1
	s_cbranch_execnz .LBB7_73
	s_branch .LBB7_75
.LBB7_69:                               ;   in Loop: Header=BB7_6 Depth=1
	s_mov_b32 s10, s18
	s_mov_b32 s19, s18
	v_writelane_b32 v47, s10, 10
	v_pk_mov_b32 v[2:3], s[18:19], s[18:19] op_sel:[0,1]
	s_mov_b32 s19, 1
	v_writelane_b32 v47, s11, 11
.LBB7_70:                               ;   in Loop: Header=BB7_6 Depth=1
	v_readlane_b32 s10, v47, 36
	v_readlane_b32 s11, v47, 37
	s_andn2_b64 vcc, exec, s[10:11]
	v_readlane_b32 s10, v47, 35
	s_cbranch_vccnz .LBB7_72
.LBB7_71:                               ;   Parent Loop BB7_6 Depth=1
                                        ; =>  This Inner Loop Header: Depth=2
	v_lshl_add_u32 v30, s18, 4, v5
	v_lshl_add_u32 v31, s19, 4, v5
	ds_read_b32 v31, v31
	ds_read_b32 v30, v30
	s_add_i32 s19, s19, 2
	s_add_i32 s18, s18, 2
	s_add_i32 s10, s10, -1
	s_cmp_lg_u32 s10, 0
	s_waitcnt lgkmcnt(1)
	v_add_u32_e32 v3, v31, v3
	s_waitcnt lgkmcnt(0)
	v_add_u32_e32 v2, v30, v2
	s_cbranch_scc1 .LBB7_71
.LBB7_72:                               ;   in Loop: Header=BB7_6 Depth=1
	v_readlane_b32 s18, v47, 40
	v_add_u32_e32 v2, v2, v3
	v_readlane_b32 s10, v47, 39
	v_readlane_b32 s19, v47, 41
	s_and_b64 vcc, exec, s[18:19]
	s_cbranch_vccz .LBB7_75
.LBB7_73:                               ;   in Loop: Header=BB7_6 Depth=1
	s_lshl_b32 s11, s81, 8
	s_lshl_b32 s12, s10, 4
	s_add_i32 s11, s11, s12
	v_add_u32_e32 v3, s11, v23
	v_readlane_b32 s11, v47, 38
	s_sub_i32 s10, s11, s10
.LBB7_74:                               ;   Parent Loop BB7_6 Depth=1
                                        ; =>  This Inner Loop Header: Depth=2
	ds_read_b32 v5, v3
	s_add_i32 s10, s10, -1
	v_add_u32_e32 v3, 16, v3
	s_cmp_eq_u32 s10, 0
	s_waitcnt lgkmcnt(0)
	v_add_u32_e32 v2, v5, v2
	s_cbranch_scc0 .LBB7_74
.LBB7_75:                               ;   in Loop: Header=BB7_6 Depth=1
	v_lshlrev_b32_e32 v3, 2, v4
	ds_write_b32 v3, v2 offset:3072
.LBB7_76:                               ;   in Loop: Header=BB7_6 Depth=1
	s_or_b64 exec, exec, s[16:17]
	s_lshl_b32 s6, s6, 2
	s_waitcnt vmcnt(0)
	v_mov_b32_e32 v2, s6
	s_waitcnt lgkmcnt(0)
	s_barrier
	ds_read_b128 v[2:5], v2 offset:3072
	s_and_b32 s74, s80, 0xfe
	s_lshl_b32 s12, 3, s74
	s_not_b32 s13, s12
	s_andn2_b64 vcc, exec, s[62:63]
	s_waitcnt lgkmcnt(0)
	v_readfirstlane_b32 s75, v2
	v_readfirstlane_b32 s6, v3
	;; [unrolled: 1-line block ×4, first 2 shown]
	v_cmp_eq_u32_e64 s[18:19], 1, v29
	s_cbranch_vccnz .LBB7_88
; %bb.77:                               ;   in Loop: Header=BB7_6 Depth=1
	s_cmp_eq_u32 s75, 1
	s_cselect_b64 s[10:11], -1, 0
	s_and_b64 s[36:37], s[10:11], s[18:19]
	s_mov_b64 s[38:39], -1
	v_mov_b32_e32 v2, v27
	v_mov_b32_e32 v3, v26
	;; [unrolled: 1-line block ×3, first 2 shown]
                                        ; implicit-def: $sgpr22_sgpr23
                                        ; implicit-def: $sgpr28_sgpr29
                                        ; implicit-def: $sgpr26_sgpr27
	s_and_saveexec_b64 s[16:17], s[36:37]
	s_cbranch_execz .LBB7_103
; %bb.78:                               ;   in Loop: Header=BB7_6 Depth=1
	ds_read_b32 v2, v24 offset:4096
	s_waitcnt lgkmcnt(0)
	s_barrier
	v_readfirstlane_b32 s10, v2
	s_and_saveexec_b64 s[20:21], s[4:5]
	s_cbranch_execz .LBB7_80
; %bb.79:                               ;   in Loop: Header=BB7_6 Depth=1
	ds_write_b8 v0, v1 offset:3072
.LBB7_80:                               ;   in Loop: Header=BB7_6 Depth=1
	s_or_b64 exec, exec, s[20:21]
	v_and_b32_e32 v2, s13, v27
	v_or_b32_e32 v3, s12, v26
	s_cmp_eq_u32 s10, 0
	s_waitcnt lgkmcnt(0)
	s_barrier
	s_cbranch_scc1 .LBB7_90
; %bb.81:                               ;   in Loop: Header=BB7_6 Depth=1
	v_readlane_b32 s11, v47, 25
	s_add_i32 s11, s10, s11
	v_readlane_b32 s20, v47, 45
	s_mul_hi_u32 s20, s11, s20
	s_mul_i32 s20, s20, s33
	s_sub_i32 s20, s11, s20
	s_sub_i32 s21, s20, s33
	s_cmp_ge_u32 s20, s33
	s_cselect_b32 s20, s21, s20
	s_sub_i32 s21, s20, s33
	s_cmp_ge_u32 s20, s33
	s_cselect_b32 s20, s21, s20
	s_sub_i32 s11, s11, s20
	v_cmp_gt_u32_e32 vcc, s11, v0
	s_mov_b64 s[20:21], 0
                                        ; implicit-def: $vgpr4
	s_and_saveexec_b64 s[22:23], vcc
	s_cbranch_execz .LBB7_92
; %bb.82:                               ;   in Loop: Header=BB7_6 Depth=1
	v_mov_b32_e32 v4, v0
                                        ; implicit-def: $sgpr24_sgpr25
	s_branch .LBB7_84
.LBB7_83:                               ;   in Loop: Header=BB7_84 Depth=2
	s_or_b64 exec, exec, s[26:27]
	s_waitcnt lgkmcnt(0)
	s_barrier
	ds_read_u16 v5, v24 offset:3072
	v_add_u32_e32 v4, s33, v4
	v_cmp_le_u32_e32 vcc, s11, v4
	s_waitcnt lgkmcnt(0)
	s_barrier
	v_cmp_ne_u16_sdwa s[26:27], v5, v1 src0_sel:BYTE_0 src1_sel:DWORD
	s_or_b64 s[28:29], vcc, s[26:27]
	s_and_b64 s[28:29], exec, s[28:29]
	s_or_b64 s[20:21], s[28:29], s[20:21]
	s_andn2_b64 s[24:25], s[24:25], exec
	s_and_b64 s[26:27], s[26:27], exec
	s_or_b64 s[24:25], s[24:25], s[26:27]
	s_andn2_b64 exec, exec, s[20:21]
	s_cbranch_execz .LBB7_91
.LBB7_84:                               ;   Parent Loop BB7_6 Depth=1
                                        ; =>  This Inner Loop Header: Depth=2
	v_cmp_gt_u32_e32 vcc, s10, v4
	v_mov_b32_e32 v5, 0
	s_and_saveexec_b64 s[26:27], vcc
	s_cbranch_execz .LBB7_86
; %bb.85:                               ;   in Loop: Header=BB7_84 Depth=2
	ds_read_u8 v5, v4
.LBB7_86:                               ;   in Loop: Header=BB7_84 Depth=2
	s_or_b64 exec, exec, s[26:27]
	s_waitcnt lgkmcnt(0)
	v_and_b32_e32 v30, v5, v3
	v_cmp_eq_u32_sdwa s[26:27], v30, v2 src0_sel:BYTE_0 src1_sel:DWORD
	s_and_b64 s[28:29], vcc, s[26:27]
	s_and_saveexec_b64 s[26:27], s[28:29]
	s_cbranch_execz .LBB7_83
; %bb.87:                               ;   in Loop: Header=BB7_84 Depth=2
	v_lshlrev_b16_e32 v5, 8, v5
	v_or_b32_e32 v5, 1, v5
	ds_write_b16 v24, v5 offset:3072
	s_branch .LBB7_83
.LBB7_88:                               ;   in Loop: Header=BB7_6 Depth=1
	s_mov_b64 s[24:25], 0
	s_mov_b64 s[20:21], 0
                                        ; implicit-def: $sgpr26_sgpr27
                                        ; implicit-def: $sgpr28_sgpr29
                                        ; implicit-def: $sgpr22_sgpr23
                                        ; implicit-def: $vgpr30
                                        ; implicit-def: $vgpr5
                                        ; implicit-def: $vgpr2
                                        ; implicit-def: $vgpr3
                                        ; implicit-def: $vgpr4
	s_cbranch_execnz .LBB7_233
.LBB7_89:                               ;   in Loop: Header=BB7_6 Depth=1
	s_mov_b64 s[30:31], s[22:23]
	s_mov_b64 s[34:35], s[22:23]
	s_and_saveexec_b64 s[16:17], s[24:25]
	s_cbranch_execnz .LBB7_387
	s_branch .LBB7_388
.LBB7_90:                               ;   in Loop: Header=BB7_6 Depth=1
	s_mov_b64 s[22:23], -1
	s_mov_b64 s[20:21], 0
                                        ; implicit-def: $sgpr26_sgpr27
                                        ; implicit-def: $vgpr4
	s_mov_b64 s[28:29], s[22:23]
	s_cbranch_execnz .LBB7_93
	s_branch .LBB7_102
.LBB7_91:                               ;   in Loop: Header=BB7_6 Depth=1
	s_or_b64 exec, exec, s[20:21]
	v_lshrrev_b16_e32 v4, 8, v5
	s_and_b64 s[20:21], s[24:25], exec
.LBB7_92:                               ;   in Loop: Header=BB7_6 Depth=1
	s_or_b64 exec, exec, s[22:23]
	s_mov_b64 s[26:27], -1
	s_mov_b64 s[22:23], 0
	s_mov_b64 s[28:29], s[22:23]
	s_branch .LBB7_102
.LBB7_93:                               ;   in Loop: Header=BB7_6 Depth=1
	s_mov_b64 s[20:21], 0
                                        ; implicit-def: $vgpr4
	s_mov_b64 s[22:23], exec
	v_readlane_b32 s10, v47, 46
	v_readlane_b32 s11, v47, 47
	s_and_b64 s[10:11], s[22:23], s[10:11]
	s_mov_b64 exec, s[10:11]
	s_cbranch_execz .LBB7_101
; %bb.94:                               ;   in Loop: Header=BB7_6 Depth=1
	v_mov_b32_e32 v4, v15
	v_mov_b32_e32 v5, v0
                                        ; implicit-def: $sgpr24_sgpr25
	s_branch .LBB7_96
.LBB7_95:                               ;   in Loop: Header=BB7_96 Depth=2
	s_or_b64 exec, exec, s[26:27]
	s_waitcnt lgkmcnt(0)
	s_barrier
	ds_read_u16 v30, v24 offset:3072
	v_add_u32_e32 v5, s33, v5
	v_cmp_le_u32_e32 vcc, s7, v5
	v_add_u32_e32 v4, s8, v4
	s_waitcnt lgkmcnt(0)
	v_cmp_ne_u16_sdwa s[10:11], v30, v1 src0_sel:BYTE_0 src1_sel:DWORD
	s_or_b64 s[26:27], vcc, s[10:11]
	s_and_b64 s[26:27], exec, s[26:27]
	s_or_b64 s[20:21], s[26:27], s[20:21]
	s_andn2_b64 s[24:25], s[24:25], exec
	s_and_b64 s[10:11], s[10:11], exec
	s_or_b64 s[24:25], s[24:25], s[10:11]
	s_barrier
	s_andn2_b64 exec, exec, s[20:21]
	s_cbranch_execz .LBB7_100
.LBB7_96:                               ;   Parent Loop BB7_6 Depth=1
                                        ; =>  This Inner Loop Header: Depth=2
	v_cmp_gt_u32_e32 vcc, s60, v5
	v_mov_b32_e32 v30, 0
	s_and_saveexec_b64 s[26:27], vcc
	s_cbranch_execz .LBB7_98
; %bb.97:                               ;   in Loop: Header=BB7_96 Depth=2
	global_load_ubyte v30, v4, s[64:65]
.LBB7_98:                               ;   in Loop: Header=BB7_96 Depth=2
	s_or_b64 exec, exec, s[26:27]
	s_waitcnt vmcnt(0)
	v_and_b32_e32 v31, v30, v3
	v_cmp_eq_u32_sdwa s[10:11], v31, v2 src0_sel:BYTE_0 src1_sel:DWORD
	s_and_b64 s[10:11], vcc, s[10:11]
	s_and_saveexec_b64 s[26:27], s[10:11]
	s_cbranch_execz .LBB7_95
; %bb.99:                               ;   in Loop: Header=BB7_96 Depth=2
	v_lshlrev_b16_e32 v30, 8, v30
	v_or_b32_e32 v30, 1, v30
	ds_write_b16 v24, v30 offset:3072
	s_branch .LBB7_95
.LBB7_100:                              ;   in Loop: Header=BB7_6 Depth=1
	s_or_b64 exec, exec, s[20:21]
	v_lshrrev_b16_e32 v4, 8, v30
	s_and_b64 s[20:21], s[24:25], exec
.LBB7_101:                              ;   in Loop: Header=BB7_6 Depth=1
	s_or_b64 exec, exec, s[22:23]
	s_mov_b64 s[28:29], -1
	s_mov_b64 s[22:23], 0
	s_mov_b64 s[26:27], 0
.LBB7_102:                              ;   in Loop: Header=BB7_6 Depth=1
	s_orn2_b64 s[38:39], s[20:21], exec
.LBB7_103:                              ;   in Loop: Header=BB7_6 Depth=1
	s_or_b64 exec, exec, s[16:17]
	s_mov_b64 s[30:31], 0
	s_mov_b64 s[24:25], 0
	;; [unrolled: 1-line block ×3, first 2 shown]
                                        ; implicit-def: $vgpr30
                                        ; implicit-def: $vgpr5
	s_and_saveexec_b64 s[34:35], s[38:39]
	s_cbranch_execz .LBB7_232
; %bb.104:                              ;   in Loop: Header=BB7_6 Depth=1
	s_xor_b64 s[10:11], s[36:37], -1
	v_mov_b32_e32 v5, 1
	v_mov_b32_e32 v30, 1
	s_and_saveexec_b64 s[16:17], s[10:11]
	s_cbranch_execz .LBB7_114
; %bb.105:                              ;   in Loop: Header=BB7_6 Depth=1
	v_cmp_ge_u32_e32 vcc, s75, v29
                                        ; implicit-def: $sgpr10
                                        ; implicit-def: $sgpr20_sgpr21
	s_and_saveexec_b64 s[24:25], vcc
	s_xor_b64 s[24:25], exec, s[24:25]
	s_cbranch_execz .LBB7_111
; %bb.106:                              ;   in Loop: Header=BB7_6 Depth=1
	ds_read_b32 v5, v24 offset:4096
	s_waitcnt lgkmcnt(0)
	v_cmp_ne_u32_e32 vcc, 0, v5
	s_cbranch_vccnz .LBB7_110
; %bb.107:                              ;   in Loop: Header=BB7_6 Depth=1
	s_mov_b64 s[20:21], exec
	v_readlane_b32 s10, v47, 16
	v_readlane_b32 s11, v47, 17
	s_and_b64 s[10:11], s[20:21], s[10:11]
	s_mov_b64 exec, s[10:11]
	s_cbranch_execz .LBB7_109
; %bb.108:                              ;   in Loop: Header=BB7_6 Depth=1
	v_mov_b32_e32 v5, s75
	ds_write_b32 v24, v5 offset:4100
.LBB7_109:                              ;   in Loop: Header=BB7_6 Depth=1
	s_or_b64 exec, exec, s[20:21]
	s_waitcnt lgkmcnt(0)
	s_barrier
.LBB7_110:                              ;   in Loop: Header=BB7_6 Depth=1
	v_and_b32_e32 v2, s13, v2
	v_or_b32_e32 v3, s12, v3
	s_mov_b64 s[20:21], 0
	s_mov_b32 s10, 8
.LBB7_111:                              ;   in Loop: Header=BB7_6 Depth=1
	s_or_saveexec_b64 s[24:25], s[24:25]
	v_mov_b32_e32 v30, s10
	v_mov_b32_e32 v5, v29
	s_xor_b64 exec, exec, s[24:25]
; %bb.112:                              ;   in Loop: Header=BB7_6 Depth=1
	v_subrev_u32_e32 v5, s75, v29
	v_mov_b32_e32 v30, 0
	s_or_b64 s[20:21], s[20:21], exec
; %bb.113:                              ;   in Loop: Header=BB7_6 Depth=1
	s_or_b64 exec, exec, s[24:25]
	s_and_b64 s[20:21], s[20:21], exec
.LBB7_114:                              ;   in Loop: Header=BB7_6 Depth=1
	s_or_b64 exec, exec, s[16:17]
	s_mov_b64 s[38:39], -1
                                        ; implicit-def: $sgpr16_sgpr17
                                        ; implicit-def: $sgpr24_sgpr25
                                        ; implicit-def: $sgpr40_sgpr41
	s_and_saveexec_b64 s[10:11], s[20:21]
	s_xor_b64 s[20:21], exec, s[10:11]
	s_cbranch_execz .LBB7_229
; %bb.115:                              ;   in Loop: Header=BB7_6 Depth=1
	s_cmp_eq_u32 s6, 1
	s_cselect_b64 s[10:11], -1, 0
	v_cmp_eq_u32_e32 vcc, 1, v5
	s_and_b64 s[42:43], s[10:11], vcc
	s_mov_b64 s[46:47], -1
                                        ; implicit-def: $sgpr24_sgpr25
                                        ; implicit-def: $sgpr38_sgpr39
                                        ; implicit-def: $sgpr36_sgpr37
	s_and_saveexec_b64 s[16:17], s[42:43]
	s_cbranch_execz .LBB7_139
; %bb.116:                              ;   in Loop: Header=BB7_6 Depth=1
	ds_read_b32 v4, v24 offset:4096
	s_waitcnt lgkmcnt(0)
	s_barrier
	v_readfirstlane_b32 s10, v4
	s_and_saveexec_b64 s[24:25], s[4:5]
	s_cbranch_execz .LBB7_118
; %bb.117:                              ;   in Loop: Header=BB7_6 Depth=1
	ds_write_b8 v0, v1 offset:3072
.LBB7_118:                              ;   in Loop: Header=BB7_6 Depth=1
	s_or_b64 exec, exec, s[24:25]
	v_and_b32_e32 v2, s13, v2
	v_lshl_or_b32 v2, 1, s74, v2
	v_or_b32_e32 v3, s12, v3
	s_cmp_eq_u32 s10, 0
	s_waitcnt lgkmcnt(0)
	s_barrier
	s_cbranch_scc1 .LBB7_126
; %bb.119:                              ;   in Loop: Header=BB7_6 Depth=1
	v_readlane_b32 s11, v47, 25
	s_add_i32 s11, s10, s11
	v_readlane_b32 s24, v47, 45
	s_mul_hi_u32 s24, s11, s24
	s_mul_i32 s24, s24, s33
	s_sub_i32 s24, s11, s24
	s_sub_i32 s25, s24, s33
	s_cmp_ge_u32 s24, s33
	s_cselect_b32 s24, s25, s24
	s_sub_i32 s25, s24, s33
	s_cmp_ge_u32 s24, s33
	s_cselect_b32 s24, s25, s24
	s_sub_i32 s11, s11, s24
	v_cmp_gt_u32_e32 vcc, s11, v0
	s_mov_b64 s[40:41], 0
                                        ; implicit-def: $vgpr4
	s_and_saveexec_b64 s[24:25], vcc
	s_cbranch_execz .LBB7_128
; %bb.120:                              ;   in Loop: Header=BB7_6 Depth=1
	s_mov_b64 s[36:37], 0
	v_mov_b32_e32 v4, v0
                                        ; implicit-def: $sgpr38_sgpr39
	s_branch .LBB7_122
.LBB7_121:                              ;   in Loop: Header=BB7_122 Depth=2
	s_or_b64 exec, exec, s[40:41]
	s_waitcnt lgkmcnt(0)
	s_barrier
	ds_read_u16 v30, v24 offset:3072
	v_add_u32_e32 v4, s33, v4
	v_cmp_le_u32_e32 vcc, s11, v4
	s_waitcnt lgkmcnt(0)
	s_barrier
	v_cmp_ne_u16_sdwa s[40:41], v30, v1 src0_sel:BYTE_0 src1_sel:DWORD
	s_or_b64 s[44:45], vcc, s[40:41]
	s_and_b64 s[44:45], exec, s[44:45]
	s_or_b64 s[36:37], s[44:45], s[36:37]
	s_andn2_b64 s[38:39], s[38:39], exec
	s_and_b64 s[40:41], s[40:41], exec
	s_or_b64 s[38:39], s[38:39], s[40:41]
	s_andn2_b64 exec, exec, s[36:37]
	s_cbranch_execz .LBB7_127
.LBB7_122:                              ;   Parent Loop BB7_6 Depth=1
                                        ; =>  This Inner Loop Header: Depth=2
	v_cmp_gt_u32_e32 vcc, s10, v4
	v_mov_b32_e32 v30, 0
	s_and_saveexec_b64 s[40:41], vcc
	s_cbranch_execz .LBB7_124
; %bb.123:                              ;   in Loop: Header=BB7_122 Depth=2
	ds_read_u8 v30, v4
.LBB7_124:                              ;   in Loop: Header=BB7_122 Depth=2
	s_or_b64 exec, exec, s[40:41]
	s_waitcnt lgkmcnt(0)
	v_and_b32_e32 v31, v30, v3
	v_cmp_eq_u32_sdwa s[40:41], v31, v2 src0_sel:BYTE_0 src1_sel:DWORD
	s_and_b64 s[44:45], vcc, s[40:41]
	s_and_saveexec_b64 s[40:41], s[44:45]
	s_cbranch_execz .LBB7_121
; %bb.125:                              ;   in Loop: Header=BB7_122 Depth=2
	v_lshlrev_b16_e32 v30, 8, v30
	v_or_b32_e32 v30, 1, v30
	ds_write_b16 v24, v30 offset:3072
	s_branch .LBB7_121
.LBB7_126:                              ;   in Loop: Header=BB7_6 Depth=1
	s_mov_b64 s[24:25], -1
	s_mov_b64 s[40:41], 0
                                        ; implicit-def: $sgpr36_sgpr37
                                        ; implicit-def: $vgpr4
	s_mov_b64 s[38:39], s[24:25]
	s_cbranch_execnz .LBB7_129
	s_branch .LBB7_138
.LBB7_127:                              ;   in Loop: Header=BB7_6 Depth=1
	s_or_b64 exec, exec, s[36:37]
	v_lshrrev_b16_e32 v4, 8, v30
	s_and_b64 s[40:41], s[38:39], exec
.LBB7_128:                              ;   in Loop: Header=BB7_6 Depth=1
	s_or_b64 exec, exec, s[24:25]
	s_mov_b64 s[36:37], -1
	s_mov_b64 s[24:25], 0
	s_mov_b64 s[38:39], s[24:25]
	s_branch .LBB7_138
.LBB7_129:                              ;   in Loop: Header=BB7_6 Depth=1
	s_mov_b64 s[40:41], 0
                                        ; implicit-def: $vgpr4
	s_mov_b64 s[24:25], exec
	v_readlane_b32 s10, v47, 46
	v_readlane_b32 s11, v47, 47
	s_and_b64 s[10:11], s[24:25], s[10:11]
	s_mov_b64 exec, s[10:11]
	s_cbranch_execz .LBB7_137
; %bb.130:                              ;   in Loop: Header=BB7_6 Depth=1
	s_mov_b64 s[36:37], 0
	v_mov_b32_e32 v4, v15
	v_mov_b32_e32 v30, v0
                                        ; implicit-def: $sgpr38_sgpr39
	s_branch .LBB7_132
.LBB7_131:                              ;   in Loop: Header=BB7_132 Depth=2
	s_or_b64 exec, exec, s[40:41]
	s_waitcnt lgkmcnt(0)
	s_barrier
	ds_read_u16 v31, v24 offset:3072
	v_add_u32_e32 v30, s33, v30
	v_cmp_le_u32_e32 vcc, s7, v30
	v_add_u32_e32 v4, s8, v4
	s_waitcnt lgkmcnt(0)
	v_cmp_ne_u16_sdwa s[10:11], v31, v1 src0_sel:BYTE_0 src1_sel:DWORD
	s_or_b64 s[40:41], vcc, s[10:11]
	s_and_b64 s[40:41], exec, s[40:41]
	s_or_b64 s[36:37], s[40:41], s[36:37]
	s_andn2_b64 s[38:39], s[38:39], exec
	s_and_b64 s[10:11], s[10:11], exec
	s_or_b64 s[38:39], s[38:39], s[10:11]
	s_barrier
	s_andn2_b64 exec, exec, s[36:37]
	s_cbranch_execz .LBB7_136
.LBB7_132:                              ;   Parent Loop BB7_6 Depth=1
                                        ; =>  This Inner Loop Header: Depth=2
	v_cmp_gt_u32_e32 vcc, s60, v30
	v_mov_b32_e32 v31, 0
	s_and_saveexec_b64 s[40:41], vcc
	s_cbranch_execz .LBB7_134
; %bb.133:                              ;   in Loop: Header=BB7_132 Depth=2
	global_load_ubyte v31, v4, s[64:65]
.LBB7_134:                              ;   in Loop: Header=BB7_132 Depth=2
	s_or_b64 exec, exec, s[40:41]
	s_waitcnt vmcnt(0)
	v_and_b32_e32 v32, v31, v3
	v_cmp_eq_u32_sdwa s[10:11], v32, v2 src0_sel:BYTE_0 src1_sel:DWORD
	s_and_b64 s[10:11], vcc, s[10:11]
	s_and_saveexec_b64 s[40:41], s[10:11]
	s_cbranch_execz .LBB7_131
; %bb.135:                              ;   in Loop: Header=BB7_132 Depth=2
	v_lshlrev_b16_e32 v31, 8, v31
	v_or_b32_e32 v31, 1, v31
	ds_write_b16 v24, v31 offset:3072
	s_branch .LBB7_131
.LBB7_136:                              ;   in Loop: Header=BB7_6 Depth=1
	s_or_b64 exec, exec, s[36:37]
	v_lshrrev_b16_e32 v4, 8, v31
	s_and_b64 s[40:41], s[38:39], exec
.LBB7_137:                              ;   in Loop: Header=BB7_6 Depth=1
	s_or_b64 exec, exec, s[24:25]
	s_mov_b64 s[38:39], -1
	s_mov_b64 s[24:25], 0
	s_mov_b64 s[36:37], 0
.LBB7_138:                              ;   in Loop: Header=BB7_6 Depth=1
	s_orn2_b64 s[46:47], s[40:41], exec
.LBB7_139:                              ;   in Loop: Header=BB7_6 Depth=1
	s_or_b64 exec, exec, s[16:17]
	s_mov_b64 s[44:45], 0
                                        ; implicit-def: $vgpr30
	s_and_saveexec_b64 s[40:41], s[46:47]
	s_cbranch_execz .LBB7_228
; %bb.140:                              ;   in Loop: Header=BB7_6 Depth=1
	s_xor_b64 s[10:11], s[42:43], -1
	s_mov_b64 s[46:47], 0
	v_mov_b32_e32 v31, 1
	v_mov_b32_e32 v30, 1
	s_and_saveexec_b64 s[16:17], s[10:11]
	s_cbranch_execz .LBB7_150
; %bb.141:                              ;   in Loop: Header=BB7_6 Depth=1
	v_cmp_ge_u32_e32 vcc, s6, v5
                                        ; implicit-def: $sgpr10
                                        ; implicit-def: $sgpr42_sgpr43
	s_and_saveexec_b64 s[44:45], vcc
	s_xor_b64 s[44:45], exec, s[44:45]
	s_cbranch_execz .LBB7_147
; %bb.142:                              ;   in Loop: Header=BB7_6 Depth=1
	ds_read_b32 v30, v24 offset:4096
	s_waitcnt lgkmcnt(0)
	v_cmp_ne_u32_e32 vcc, 0, v30
	s_cbranch_vccnz .LBB7_146
; %bb.143:                              ;   in Loop: Header=BB7_6 Depth=1
	s_mov_b64 s[42:43], exec
	v_readlane_b32 s10, v47, 16
	v_readlane_b32 s11, v47, 17
	s_and_b64 s[10:11], s[42:43], s[10:11]
	s_mov_b64 exec, s[10:11]
	s_cbranch_execz .LBB7_145
; %bb.144:                              ;   in Loop: Header=BB7_6 Depth=1
	v_mov_b32_e32 v30, s6
	ds_write_b32 v24, v30 offset:4100
.LBB7_145:                              ;   in Loop: Header=BB7_6 Depth=1
	s_or_b64 exec, exec, s[42:43]
	s_waitcnt lgkmcnt(0)
	s_barrier
.LBB7_146:                              ;   in Loop: Header=BB7_6 Depth=1
	v_and_b32_e32 v2, s13, v2
	v_lshl_or_b32 v2, 1, s74, v2
	v_or_b32_e32 v3, s12, v3
	s_mov_b64 s[42:43], 0
	s_mov_b32 s10, 8
.LBB7_147:                              ;   in Loop: Header=BB7_6 Depth=1
	s_or_saveexec_b64 s[44:45], s[44:45]
	v_mov_b32_e32 v30, s10
	s_xor_b64 exec, exec, s[44:45]
; %bb.148:                              ;   in Loop: Header=BB7_6 Depth=1
	v_subrev_u32_e32 v5, s6, v5
	v_mov_b32_e32 v30, 0
	s_or_b64 s[42:43], s[42:43], exec
; %bb.149:                              ;   in Loop: Header=BB7_6 Depth=1
	s_or_b64 exec, exec, s[44:45]
	s_and_b64 s[46:47], s[42:43], exec
	v_mov_b32_e32 v31, v5
.LBB7_150:                              ;   in Loop: Header=BB7_6 Depth=1
	s_or_b64 exec, exec, s[16:17]
	s_mov_b64 s[16:17], -1
                                        ; implicit-def: $sgpr44_sgpr45
                                        ; implicit-def: $sgpr48_sgpr49
                                        ; implicit-def: $sgpr50_sgpr51
	s_and_saveexec_b64 s[42:43], s[46:47]
	s_cbranch_execz .LBB7_227
; %bb.151:                              ;   in Loop: Header=BB7_6 Depth=1
	s_cmp_eq_u32 s56, 1
	s_cselect_b64 s[10:11], -1, 0
	v_cmp_eq_u32_e32 vcc, 1, v31
	s_and_b64 s[52:53], s[10:11], vcc
	s_mov_b64 s[54:55], -1
                                        ; implicit-def: $sgpr44_sgpr45
                                        ; implicit-def: $sgpr48_sgpr49
                                        ; implicit-def: $sgpr46_sgpr47
	s_and_saveexec_b64 s[16:17], s[52:53]
	s_cbranch_execz .LBB7_175
; %bb.152:                              ;   in Loop: Header=BB7_6 Depth=1
	ds_read_b32 v4, v24 offset:4096
	s_waitcnt lgkmcnt(0)
	s_barrier
	v_readfirstlane_b32 s10, v4
	s_and_saveexec_b64 s[44:45], s[4:5]
	s_cbranch_execz .LBB7_154
; %bb.153:                              ;   in Loop: Header=BB7_6 Depth=1
	ds_write_b8 v0, v1 offset:3072
.LBB7_154:                              ;   in Loop: Header=BB7_6 Depth=1
	s_or_b64 exec, exec, s[44:45]
	v_and_b32_e32 v2, s13, v2
	v_lshl_or_b32 v2, 2, s74, v2
	v_or_b32_e32 v3, s12, v3
	s_cmp_eq_u32 s10, 0
	s_waitcnt lgkmcnt(0)
	s_barrier
	s_cbranch_scc1 .LBB7_162
; %bb.155:                              ;   in Loop: Header=BB7_6 Depth=1
	v_readlane_b32 s11, v47, 25
	s_add_i32 s11, s10, s11
	v_readlane_b32 s44, v47, 45
	s_mul_hi_u32 s44, s11, s44
	s_mul_i32 s44, s44, s33
	s_sub_i32 s44, s11, s44
	s_sub_i32 s45, s44, s33
	s_cmp_ge_u32 s44, s33
	s_cselect_b32 s44, s45, s44
	s_sub_i32 s45, s44, s33
	s_cmp_ge_u32 s44, s33
	s_cselect_b32 s44, s45, s44
	s_sub_i32 s11, s11, s44
	v_cmp_gt_u32_e32 vcc, s11, v0
	s_mov_b64 s[50:51], 0
                                        ; implicit-def: $vgpr4
	s_and_saveexec_b64 s[44:45], vcc
	s_cbranch_execz .LBB7_164
; %bb.156:                              ;   in Loop: Header=BB7_6 Depth=1
	s_mov_b64 s[46:47], 0
	v_mov_b32_e32 v4, v0
                                        ; implicit-def: $sgpr48_sgpr49
	s_branch .LBB7_158
.LBB7_157:                              ;   in Loop: Header=BB7_158 Depth=2
	s_or_b64 exec, exec, s[50:51]
	s_waitcnt lgkmcnt(0)
	s_barrier
	ds_read_u16 v5, v24 offset:3072
	v_add_u32_e32 v4, s33, v4
	v_cmp_le_u32_e32 vcc, s11, v4
	s_waitcnt lgkmcnt(0)
	s_barrier
	v_cmp_ne_u16_sdwa s[50:51], v5, v1 src0_sel:BYTE_0 src1_sel:DWORD
	s_or_b64 s[54:55], vcc, s[50:51]
	s_and_b64 s[54:55], exec, s[54:55]
	s_or_b64 s[46:47], s[54:55], s[46:47]
	s_andn2_b64 s[48:49], s[48:49], exec
	s_and_b64 s[50:51], s[50:51], exec
	s_or_b64 s[48:49], s[48:49], s[50:51]
	s_andn2_b64 exec, exec, s[46:47]
	s_cbranch_execz .LBB7_163
.LBB7_158:                              ;   Parent Loop BB7_6 Depth=1
                                        ; =>  This Inner Loop Header: Depth=2
	v_cmp_gt_u32_e32 vcc, s10, v4
	v_mov_b32_e32 v5, 0
	s_and_saveexec_b64 s[50:51], vcc
	s_cbranch_execz .LBB7_160
; %bb.159:                              ;   in Loop: Header=BB7_158 Depth=2
	ds_read_u8 v5, v4
.LBB7_160:                              ;   in Loop: Header=BB7_158 Depth=2
	s_or_b64 exec, exec, s[50:51]
	s_waitcnt lgkmcnt(0)
	v_and_b32_e32 v30, v5, v3
	v_cmp_eq_u32_sdwa s[50:51], v30, v2 src0_sel:BYTE_0 src1_sel:DWORD
	s_and_b64 s[54:55], vcc, s[50:51]
	s_and_saveexec_b64 s[50:51], s[54:55]
	s_cbranch_execz .LBB7_157
; %bb.161:                              ;   in Loop: Header=BB7_158 Depth=2
	v_lshlrev_b16_e32 v5, 8, v5
	v_or_b32_e32 v5, 1, v5
	ds_write_b16 v24, v5 offset:3072
	s_branch .LBB7_157
.LBB7_162:                              ;   in Loop: Header=BB7_6 Depth=1
	s_mov_b64 s[44:45], -1
	s_mov_b64 s[50:51], 0
                                        ; implicit-def: $sgpr46_sgpr47
                                        ; implicit-def: $vgpr4
	s_mov_b64 s[48:49], s[44:45]
	s_cbranch_execnz .LBB7_165
	s_branch .LBB7_174
.LBB7_163:                              ;   in Loop: Header=BB7_6 Depth=1
	s_or_b64 exec, exec, s[46:47]
	v_lshrrev_b16_e32 v4, 8, v5
	s_and_b64 s[50:51], s[48:49], exec
.LBB7_164:                              ;   in Loop: Header=BB7_6 Depth=1
	s_or_b64 exec, exec, s[44:45]
	s_mov_b64 s[46:47], -1
	s_mov_b64 s[44:45], 0
	s_mov_b64 s[48:49], s[44:45]
	s_branch .LBB7_174
.LBB7_165:                              ;   in Loop: Header=BB7_6 Depth=1
	s_mov_b64 s[50:51], 0
                                        ; implicit-def: $vgpr4
	s_mov_b64 s[44:45], exec
	v_readlane_b32 s10, v47, 46
	v_readlane_b32 s11, v47, 47
	s_and_b64 s[10:11], s[44:45], s[10:11]
	s_mov_b64 exec, s[10:11]
	s_cbranch_execz .LBB7_173
; %bb.166:                              ;   in Loop: Header=BB7_6 Depth=1
	s_mov_b64 s[46:47], 0
	v_mov_b32_e32 v4, v15
	v_mov_b32_e32 v5, v0
                                        ; implicit-def: $sgpr48_sgpr49
	s_branch .LBB7_168
.LBB7_167:                              ;   in Loop: Header=BB7_168 Depth=2
	s_or_b64 exec, exec, s[50:51]
	s_waitcnt lgkmcnt(0)
	s_barrier
	ds_read_u16 v30, v24 offset:3072
	v_add_u32_e32 v5, s33, v5
	v_cmp_le_u32_e32 vcc, s7, v5
	v_add_u32_e32 v4, s8, v4
	s_waitcnt lgkmcnt(0)
	v_cmp_ne_u16_sdwa s[10:11], v30, v1 src0_sel:BYTE_0 src1_sel:DWORD
	s_or_b64 s[50:51], vcc, s[10:11]
	s_and_b64 s[50:51], exec, s[50:51]
	s_or_b64 s[46:47], s[50:51], s[46:47]
	s_andn2_b64 s[48:49], s[48:49], exec
	s_and_b64 s[10:11], s[10:11], exec
	s_or_b64 s[48:49], s[48:49], s[10:11]
	s_barrier
	s_andn2_b64 exec, exec, s[46:47]
	s_cbranch_execz .LBB7_172
.LBB7_168:                              ;   Parent Loop BB7_6 Depth=1
                                        ; =>  This Inner Loop Header: Depth=2
	v_cmp_gt_u32_e32 vcc, s60, v5
	v_mov_b32_e32 v30, 0
	s_and_saveexec_b64 s[50:51], vcc
	s_cbranch_execz .LBB7_170
; %bb.169:                              ;   in Loop: Header=BB7_168 Depth=2
	global_load_ubyte v30, v4, s[64:65]
.LBB7_170:                              ;   in Loop: Header=BB7_168 Depth=2
	s_or_b64 exec, exec, s[50:51]
	s_waitcnt vmcnt(0)
	v_and_b32_e32 v32, v30, v3
	v_cmp_eq_u32_sdwa s[10:11], v32, v2 src0_sel:BYTE_0 src1_sel:DWORD
	s_and_b64 s[10:11], vcc, s[10:11]
	s_and_saveexec_b64 s[50:51], s[10:11]
	s_cbranch_execz .LBB7_167
; %bb.171:                              ;   in Loop: Header=BB7_168 Depth=2
	v_lshlrev_b16_e32 v30, 8, v30
	v_or_b32_e32 v30, 1, v30
	ds_write_b16 v24, v30 offset:3072
	s_branch .LBB7_167
.LBB7_172:                              ;   in Loop: Header=BB7_6 Depth=1
	s_or_b64 exec, exec, s[46:47]
	v_lshrrev_b16_e32 v4, 8, v30
	s_and_b64 s[50:51], s[48:49], exec
.LBB7_173:                              ;   in Loop: Header=BB7_6 Depth=1
	s_or_b64 exec, exec, s[44:45]
	s_mov_b64 s[48:49], -1
	s_mov_b64 s[44:45], 0
	s_mov_b64 s[46:47], 0
.LBB7_174:                              ;   in Loop: Header=BB7_6 Depth=1
	s_orn2_b64 s[54:55], s[50:51], exec
.LBB7_175:                              ;   in Loop: Header=BB7_6 Depth=1
	s_or_b64 exec, exec, s[16:17]
	s_mov_b64 s[16:17], 0
                                        ; implicit-def: $vgpr30
	s_and_saveexec_b64 s[50:51], s[54:55]
	s_cbranch_execz .LBB7_226
; %bb.176:                              ;   in Loop: Header=BB7_6 Depth=1
	s_xor_b64 s[10:11], s[52:53], -1
	s_mov_b64 s[54:55], 0
	v_mov_b32_e32 v5, 1
	v_mov_b32_e32 v30, 1
	s_and_saveexec_b64 s[16:17], s[10:11]
	s_cbranch_execz .LBB7_186
; %bb.177:                              ;   in Loop: Header=BB7_6 Depth=1
	v_cmp_ge_u32_e32 vcc, s56, v31
                                        ; implicit-def: $sgpr10
                                        ; implicit-def: $sgpr52_sgpr53
	s_and_saveexec_b64 s[54:55], vcc
	s_xor_b64 s[54:55], exec, s[54:55]
	s_cbranch_execz .LBB7_183
; %bb.178:                              ;   in Loop: Header=BB7_6 Depth=1
	ds_read_b32 v5, v24 offset:4096
	s_waitcnt lgkmcnt(0)
	v_cmp_ne_u32_e32 vcc, 0, v5
	s_cbranch_vccnz .LBB7_182
; %bb.179:                              ;   in Loop: Header=BB7_6 Depth=1
	s_mov_b64 s[52:53], exec
	v_readlane_b32 s10, v47, 16
	v_readlane_b32 s11, v47, 17
	s_and_b64 s[10:11], s[52:53], s[10:11]
	s_mov_b64 exec, s[10:11]
	s_cbranch_execz .LBB7_181
; %bb.180:                              ;   in Loop: Header=BB7_6 Depth=1
	v_mov_b32_e32 v5, s56
	ds_write_b32 v24, v5 offset:4100
.LBB7_181:                              ;   in Loop: Header=BB7_6 Depth=1
	s_or_b64 exec, exec, s[52:53]
	s_waitcnt lgkmcnt(0)
	s_barrier
.LBB7_182:                              ;   in Loop: Header=BB7_6 Depth=1
	v_and_b32_e32 v2, s13, v2
	v_lshl_or_b32 v2, 2, s74, v2
	v_or_b32_e32 v3, s12, v3
	s_mov_b64 s[52:53], 0
	s_mov_b32 s10, 8
.LBB7_183:                              ;   in Loop: Header=BB7_6 Depth=1
	s_or_saveexec_b64 s[54:55], s[54:55]
	v_mov_b32_e32 v30, s10
	s_xor_b64 exec, exec, s[54:55]
; %bb.184:                              ;   in Loop: Header=BB7_6 Depth=1
	v_subrev_u32_e32 v31, s56, v31
	v_mov_b32_e32 v30, 0
	s_or_b64 s[52:53], s[52:53], exec
; %bb.185:                              ;   in Loop: Header=BB7_6 Depth=1
	s_or_b64 exec, exec, s[54:55]
	s_and_b64 s[54:55], s[52:53], exec
	v_mov_b32_e32 v5, v31
.LBB7_186:                              ;   in Loop: Header=BB7_6 Depth=1
	s_or_b64 exec, exec, s[16:17]
	s_mov_b64 s[16:17], -1
                                        ; implicit-def: $sgpr84_sgpr85
                                        ; implicit-def: $sgpr58_sgpr59
                                        ; implicit-def: $sgpr10_sgpr11
                                        ; kill: killed $sgpr10_sgpr11
	s_and_saveexec_b64 s[52:53], s[54:55]
	s_cbranch_execz .LBB7_225
; %bb.187:                              ;   in Loop: Header=BB7_6 Depth=1
	s_cmp_eq_u32 s57, 1
	s_cselect_b64 s[10:11], -1, 0
	v_cmp_eq_u32_e32 vcc, 1, v5
	s_mov_b64 s[54:55], -1
	s_and_b64 s[10:11], s[10:11], vcc
                                        ; implicit-def: $sgpr84_sgpr85
                                        ; implicit-def: $sgpr58_sgpr59
                                        ; implicit-def: $sgpr16_sgpr17
                                        ; kill: killed $sgpr16_sgpr17
	s_mov_b64 s[16:17], exec
	v_writelane_b32 v47, s10, 55
	v_writelane_b32 v47, s11, 56
	;; [unrolled: 1-line block ×3, first 2 shown]
	s_and_b64 s[10:11], s[16:17], s[10:11]
	v_writelane_b32 v47, s17, 58
                                        ; implicit-def: $vgpr46 : SGPR spill to VGPR lane
	s_mov_b64 exec, s[10:11]
	s_cbranch_execz .LBB7_212
; %bb.188:                              ;   in Loop: Header=BB7_6 Depth=1
	ds_read_b32 v4, v24 offset:4096
	s_waitcnt lgkmcnt(0)
	s_barrier
	v_readfirstlane_b32 s10, v4
	s_and_saveexec_b64 s[54:55], s[4:5]
	s_cbranch_execz .LBB7_190
; %bb.189:                              ;   in Loop: Header=BB7_6 Depth=1
	ds_write_b8 v0, v1 offset:3072
.LBB7_190:                              ;   in Loop: Header=BB7_6 Depth=1
	s_or_b64 exec, exec, s[54:55]
	v_or_b32_e32 v2, s12, v2
	v_or_b32_e32 v3, s12, v3
	s_cmp_eq_u32 s10, 0
	s_waitcnt lgkmcnt(0)
	s_barrier
	s_cbranch_scc1 .LBB7_198
; %bb.191:                              ;   in Loop: Header=BB7_6 Depth=1
	v_readlane_b32 s11, v47, 25
	s_add_i32 s11, s10, s11
	v_readlane_b32 s16, v47, 45
	s_mul_hi_u32 s16, s11, s16
	s_mul_i32 s16, s16, s33
	s_sub_i32 s16, s11, s16
	s_sub_i32 s17, s16, s33
	s_cmp_ge_u32 s16, s33
	s_cselect_b32 s16, s17, s16
	s_sub_i32 s17, s16, s33
	s_cmp_ge_u32 s16, s33
	s_cselect_b32 s16, s17, s16
	s_sub_i32 s11, s11, s16
	s_mov_b64 s[54:55], 0
	v_cmp_gt_u32_e32 vcc, s11, v0
                                        ; implicit-def: $vgpr4
	s_mov_b64 s[16:17], exec
	v_writelane_b32 v47, s16, 61
	s_and_b64 s[58:59], s[16:17], vcc
	v_writelane_b32 v47, s17, 62
	s_mov_b64 exec, s[58:59]
	s_cbranch_execz .LBB7_200
; %bb.192:                              ;   in Loop: Header=BB7_6 Depth=1
	v_mov_b32_e32 v4, v0
                                        ; implicit-def: $sgpr58_sgpr59
	s_branch .LBB7_194
.LBB7_193:                              ;   in Loop: Header=BB7_194 Depth=2
	s_or_b64 exec, exec, s[84:85]
	s_waitcnt lgkmcnt(0)
	s_barrier
	ds_read_u16 v30, v24 offset:3072
	v_add_u32_e32 v4, s33, v4
	v_cmp_le_u32_e32 vcc, s11, v4
	s_waitcnt lgkmcnt(0)
	s_barrier
	v_cmp_ne_u16_sdwa s[16:17], v30, v1 src0_sel:BYTE_0 src1_sel:DWORD
	s_or_b64 s[84:85], vcc, s[16:17]
	s_and_b64 s[84:85], exec, s[84:85]
	s_or_b64 s[54:55], s[84:85], s[54:55]
	s_andn2_b64 s[58:59], s[58:59], exec
	s_and_b64 s[16:17], s[16:17], exec
	s_or_b64 s[58:59], s[58:59], s[16:17]
	s_andn2_b64 exec, exec, s[54:55]
	s_cbranch_execz .LBB7_199
.LBB7_194:                              ;   Parent Loop BB7_6 Depth=1
                                        ; =>  This Inner Loop Header: Depth=2
	v_cmp_gt_u32_e32 vcc, s10, v4
	v_mov_b32_e32 v30, 0
	s_and_saveexec_b64 s[84:85], vcc
	s_cbranch_execz .LBB7_196
; %bb.195:                              ;   in Loop: Header=BB7_194 Depth=2
	ds_read_u8 v30, v4
.LBB7_196:                              ;   in Loop: Header=BB7_194 Depth=2
	s_or_b64 exec, exec, s[84:85]
	s_waitcnt lgkmcnt(0)
	v_and_b32_e32 v31, v30, v3
	v_cmp_eq_u32_sdwa s[16:17], v31, v2 src0_sel:BYTE_0 src1_sel:DWORD
	s_and_b64 s[16:17], vcc, s[16:17]
	s_and_saveexec_b64 s[84:85], s[16:17]
	s_cbranch_execz .LBB7_193
; %bb.197:                              ;   in Loop: Header=BB7_194 Depth=2
	v_lshlrev_b16_e32 v30, 8, v30
	v_or_b32_e32 v30, 1, v30
	ds_write_b16 v24, v30 offset:3072
	s_branch .LBB7_193
.LBB7_198:                              ;   in Loop: Header=BB7_6 Depth=1
	s_mov_b64 s[84:85], -1
	s_mov_b64 s[54:55], 0
                                        ; implicit-def: $sgpr10_sgpr11
                                        ; implicit-def: $vgpr4
	s_branch .LBB7_201
.LBB7_199:                              ;   in Loop: Header=BB7_6 Depth=1
	s_or_b64 exec, exec, s[54:55]
	v_lshrrev_b16_e32 v4, 8, v30
	s_and_b64 s[54:55], s[58:59], exec
.LBB7_200:                              ;   in Loop: Header=BB7_6 Depth=1
	v_readlane_b32 s10, v47, 61
	v_readlane_b32 s11, v47, 62
	s_or_b64 exec, exec, s[10:11]
	s_mov_b64 s[10:11], -1
	s_mov_b64 s[84:85], 0
.LBB7_201:                              ;   in Loop: Header=BB7_6 Depth=1
	s_and_b64 vcc, exec, s[84:85]
	s_mov_b64 s[58:59], s[84:85]
	s_cbranch_vccz .LBB7_211
; %bb.202:                              ;   in Loop: Header=BB7_6 Depth=1
	s_mov_b64 s[54:55], 0
                                        ; implicit-def: $vgpr4
	s_mov_b64 s[16:17], exec
	v_readlane_b32 s10, v47, 46
	v_readlane_b32 s11, v47, 47
	v_writelane_b32 v47, s16, 63
	s_and_b64 s[10:11], s[16:17], s[10:11]
	v_writelane_b32 v46, s17, 0
	s_mov_b64 exec, s[10:11]
	s_cbranch_execz .LBB7_210
; %bb.203:                              ;   in Loop: Header=BB7_6 Depth=1
	v_mov_b32_e32 v4, v15
	v_mov_b32_e32 v30, v0
                                        ; implicit-def: $sgpr58_sgpr59
	s_branch .LBB7_205
.LBB7_204:                              ;   in Loop: Header=BB7_205 Depth=2
	s_or_b64 exec, exec, s[84:85]
	s_waitcnt lgkmcnt(0)
	s_barrier
	ds_read_u16 v31, v24 offset:3072
	v_add_u32_e32 v30, s33, v30
	v_cmp_le_u32_e32 vcc, s7, v30
	v_add_u32_e32 v4, s8, v4
	s_waitcnt lgkmcnt(0)
	v_cmp_ne_u16_sdwa s[10:11], v31, v1 src0_sel:BYTE_0 src1_sel:DWORD
	s_or_b64 s[16:17], vcc, s[10:11]
	s_and_b64 s[16:17], exec, s[16:17]
	s_or_b64 s[54:55], s[16:17], s[54:55]
	s_andn2_b64 s[16:17], s[58:59], exec
	s_and_b64 s[10:11], s[10:11], exec
	s_or_b64 s[58:59], s[16:17], s[10:11]
	s_barrier
	s_andn2_b64 exec, exec, s[54:55]
	s_cbranch_execz .LBB7_209
.LBB7_205:                              ;   Parent Loop BB7_6 Depth=1
                                        ; =>  This Inner Loop Header: Depth=2
	v_cmp_gt_u32_e32 vcc, s60, v30
	v_mov_b32_e32 v31, 0
	s_and_saveexec_b64 s[84:85], vcc
	s_cbranch_execz .LBB7_207
; %bb.206:                              ;   in Loop: Header=BB7_205 Depth=2
	global_load_ubyte v31, v4, s[64:65]
.LBB7_207:                              ;   in Loop: Header=BB7_205 Depth=2
	s_or_b64 exec, exec, s[84:85]
	s_waitcnt vmcnt(0)
	v_and_b32_e32 v32, v31, v3
	v_cmp_eq_u32_sdwa s[10:11], v32, v2 src0_sel:BYTE_0 src1_sel:DWORD
	s_and_b64 s[10:11], vcc, s[10:11]
	s_and_saveexec_b64 s[84:85], s[10:11]
	s_cbranch_execz .LBB7_204
; %bb.208:                              ;   in Loop: Header=BB7_205 Depth=2
	v_lshlrev_b16_e32 v31, 8, v31
	v_or_b32_e32 v31, 1, v31
	ds_write_b16 v24, v31 offset:3072
	s_branch .LBB7_204
.LBB7_209:                              ;   in Loop: Header=BB7_6 Depth=1
	s_or_b64 exec, exec, s[54:55]
	v_lshrrev_b16_e32 v4, 8, v31
	s_and_b64 s[54:55], s[58:59], exec
.LBB7_210:                              ;   in Loop: Header=BB7_6 Depth=1
	v_readlane_b32 s10, v47, 63
	v_readlane_b32 s11, v46, 0
	s_or_b64 exec, exec, s[10:11]
	s_mov_b64 s[58:59], -1
	s_mov_b64 s[84:85], 0
	s_mov_b64 s[10:11], 0
.LBB7_211:                              ;   in Loop: Header=BB7_6 Depth=1
	v_writelane_b32 v47, s10, 59
	s_orn2_b64 s[54:55], s[54:55], exec
	v_writelane_b32 v47, s11, 60
.LBB7_212:                              ;   in Loop: Header=BB7_6 Depth=1
	v_readlane_b32 s10, v47, 57
	v_readlane_b32 s11, v47, 58
	s_or_b64 exec, exec, s[10:11]
	s_mov_b64 vcc, 0
                                        ; implicit-def: $vgpr30
                                        ; implicit-def: $vgpr31
	s_and_saveexec_b64 s[16:17], s[54:55]
	s_cbranch_execz .LBB7_224
; %bb.213:                              ;   in Loop: Header=BB7_6 Depth=1
	v_readlane_b32 s10, v47, 55
	v_readlane_b32 s11, v47, 56
	s_xor_b64 s[10:11], s[10:11], -1
	v_mov_b32_e32 v30, 1
	v_mov_b32_e32 v31, 1
	s_and_saveexec_b64 s[54:55], s[10:11]
	s_cbranch_execz .LBB7_223
; %bb.214:                              ;   in Loop: Header=BB7_6 Depth=1
	v_cmp_ge_u32_e32 vcc, s57, v5
                                        ; implicit-def: $sgpr10
                                        ; kill: killed $sgpr10
	s_and_saveexec_b64 s[10:11], vcc
	s_xor_b64 s[10:11], exec, s[10:11]
	s_cbranch_execz .LBB7_220
; %bb.215:                              ;   in Loop: Header=BB7_6 Depth=1
	ds_read_b32 v30, v24 offset:4096
	s_waitcnt lgkmcnt(0)
	v_cmp_ne_u32_e32 vcc, 0, v30
	s_cbranch_vccnz .LBB7_219
; %bb.216:                              ;   in Loop: Header=BB7_6 Depth=1
	v_writelane_b32 v46, s10, 1
	v_writelane_b32 v46, s11, 2
	s_mov_b64 vcc, exec
	v_readlane_b32 s10, v47, 16
	v_readlane_b32 s11, v47, 17
	s_and_b64 s[10:11], vcc, s[10:11]
	s_mov_b64 exec, s[10:11]
	s_cbranch_execz .LBB7_218
; %bb.217:                              ;   in Loop: Header=BB7_6 Depth=1
	v_mov_b32_e32 v30, s57
	ds_write_b32 v24, v30 offset:4100
.LBB7_218:                              ;   in Loop: Header=BB7_6 Depth=1
	s_or_b64 exec, exec, vcc
	v_readlane_b32 s10, v46, 1
	v_readlane_b32 s11, v46, 2
	s_waitcnt lgkmcnt(0)
	s_barrier
.LBB7_219:                              ;   in Loop: Header=BB7_6 Depth=1
	v_or_b32_e32 v2, s12, v2
	v_or_b32_e32 v3, s12, v3
	s_mov_b32 vcc_lo, 8
	v_writelane_b32 v46, vcc_lo, 3
.LBB7_220:                              ;   in Loop: Header=BB7_6 Depth=1
	s_or_saveexec_b64 vcc, s[10:11]
	v_readlane_b32 s10, v46, 3
	v_mov_b32_e32 v30, s10
	s_xor_b64 exec, exec, vcc
; %bb.221:                              ;   in Loop: Header=BB7_6 Depth=1
	v_subrev_u32_e32 v5, s57, v5
	v_mov_b32_e32 v30, 8
; %bb.222:                              ;   in Loop: Header=BB7_6 Depth=1
	s_or_b64 exec, exec, vcc
	v_mov_b32_e32 v31, v5
.LBB7_223:                              ;   in Loop: Header=BB7_6 Depth=1
	s_or_b64 exec, exec, s[54:55]
	s_mov_b64 vcc, exec
.LBB7_224:                              ;   in Loop: Header=BB7_6 Depth=1
	s_or_b64 exec, exec, s[16:17]
	s_orn2_b64 s[16:17], vcc, exec
	v_mov_b32_e32 v5, v31
.LBB7_225:                              ;   in Loop: Header=BB7_6 Depth=1
	s_or_b64 exec, exec, s[52:53]
	s_andn2_b64 s[10:11], s[44:45], exec
	s_and_b64 s[44:45], s[84:85], exec
	s_or_b64 s[44:45], s[10:11], s[44:45]
	s_andn2_b64 s[10:11], s[48:49], exec
	s_and_b64 s[48:49], s[58:59], exec
	s_or_b64 s[48:49], s[10:11], s[48:49]
	s_andn2_b64 s[10:11], s[46:47], exec
	v_readlane_b32 s46, v47, 59
	v_readlane_b32 s47, v47, 60
	s_and_b64 s[46:47], s[46:47], exec
	s_or_b64 s[46:47], s[10:11], s[46:47]
	s_and_b64 s[16:17], s[16:17], exec
	v_mov_b32_e32 v31, v5
.LBB7_226:                              ;   in Loop: Header=BB7_6 Depth=1
	s_or_b64 exec, exec, s[50:51]
	s_and_b64 s[50:51], s[44:45], exec
	s_and_b64 s[48:49], s[48:49], exec
	;; [unrolled: 1-line block ×3, first 2 shown]
	s_orn2_b64 s[16:17], s[16:17], exec
.LBB7_227:                              ;   in Loop: Header=BB7_6 Depth=1
	s_or_b64 exec, exec, s[42:43]
	s_andn2_b64 s[10:11], s[24:25], exec
	s_and_b64 s[24:25], s[50:51], exec
	s_or_b64 s[24:25], s[10:11], s[24:25]
	s_andn2_b64 s[10:11], s[38:39], exec
	s_and_b64 s[38:39], s[48:49], exec
	s_or_b64 s[38:39], s[10:11], s[38:39]
	s_andn2_b64 s[10:11], s[36:37], exec
	s_and_b64 s[36:37], s[44:45], exec
	s_or_b64 s[36:37], s[10:11], s[36:37]
	s_and_b64 s[44:45], s[16:17], exec
	v_mov_b32_e32 v5, v31
.LBB7_228:                              ;   in Loop: Header=BB7_6 Depth=1
	s_or_b64 exec, exec, s[40:41]
	s_and_b64 s[40:41], s[24:25], exec
	s_and_b64 s[24:25], s[38:39], exec
	s_and_b64 s[16:17], s[36:37], exec
	s_orn2_b64 s[38:39], s[44:45], exec
.LBB7_229:                              ;   in Loop: Header=BB7_6 Depth=1
	s_or_b64 exec, exec, s[20:21]
	s_mov_b64 s[36:37], 0
	s_mov_b64 s[20:21], 0
	s_and_saveexec_b64 s[10:11], s[38:39]
	s_xor_b64 s[38:39], exec, s[10:11]
; %bb.230:                              ;   in Loop: Header=BB7_6 Depth=1
	v_cmp_eq_u32_e32 vcc, 8, v30
	v_cmp_ne_u32_e64 s[20:21], 8, v30
	s_andn2_b64 s[40:41], s[40:41], exec
	s_andn2_b64 s[24:25], s[24:25], exec
	;; [unrolled: 1-line block ×3, first 2 shown]
	s_and_b64 s[20:21], s[20:21], exec
	s_and_b64 s[36:37], vcc, exec
; %bb.231:                              ;   in Loop: Header=BB7_6 Depth=1
	s_or_b64 exec, exec, s[38:39]
	s_andn2_b64 s[10:11], s[22:23], exec
	s_and_b64 s[22:23], s[40:41], exec
	s_or_b64 s[22:23], s[10:11], s[22:23]
	s_andn2_b64 s[10:11], s[28:29], exec
	s_and_b64 s[24:25], s[24:25], exec
	s_or_b64 s[28:29], s[10:11], s[24:25]
	;; [unrolled: 3-line block ×3, first 2 shown]
	s_and_b64 s[20:21], s[20:21], exec
	s_and_b64 s[24:25], s[36:37], exec
.LBB7_232:                              ;   in Loop: Header=BB7_6 Depth=1
	s_or_b64 exec, exec, s[34:35]
	s_and_b64 vcc, exec, s[30:31]
	s_cbranch_vccz .LBB7_89
.LBB7_233:                              ;   in Loop: Header=BB7_6 Depth=1
	s_cmp_eq_u32 s57, 1
	s_cselect_b64 s[10:11], -1, 0
	s_and_b64 s[18:19], s[10:11], s[18:19]
	s_mov_b64 s[28:29], -1
                                        ; implicit-def: $sgpr30_sgpr31
                                        ; implicit-def: $sgpr34_sgpr35
                                        ; implicit-def: $sgpr22_sgpr23
	s_and_saveexec_b64 s[16:17], s[18:19]
	s_cbranch_execz .LBB7_257
; %bb.234:                              ;   in Loop: Header=BB7_6 Depth=1
	ds_read_b32 v2, v24 offset:4096
	s_waitcnt lgkmcnt(0)
	s_barrier
	v_readfirstlane_b32 s10, v2
	s_and_saveexec_b64 s[22:23], s[4:5]
	s_cbranch_execz .LBB7_236
; %bb.235:                              ;   in Loop: Header=BB7_6 Depth=1
	ds_write_b8 v0, v1 offset:3072
.LBB7_236:                              ;   in Loop: Header=BB7_6 Depth=1
	s_or_b64 exec, exec, s[22:23]
	v_or_b32_e32 v27, s12, v27
	v_or_b32_e32 v26, s12, v26
	s_cmp_eq_u32 s10, 0
	s_waitcnt lgkmcnt(0)
	s_barrier
	s_cbranch_scc1 .LBB7_244
; %bb.237:                              ;   in Loop: Header=BB7_6 Depth=1
	v_readlane_b32 s11, v47, 25
	s_add_i32 s11, s10, s11
	v_readlane_b32 s22, v47, 45
	s_mul_hi_u32 s22, s11, s22
	s_mul_i32 s22, s22, s33
	s_sub_i32 s22, s11, s22
	s_sub_i32 s23, s22, s33
	s_cmp_ge_u32 s22, s33
	s_cselect_b32 s22, s23, s22
	s_sub_i32 s23, s22, s33
	s_cmp_ge_u32 s22, s33
	s_cselect_b32 s22, s23, s22
	s_sub_i32 s11, s11, s22
	v_cmp_gt_u32_e32 vcc, s11, v0
	s_mov_b64 s[26:27], 0
                                        ; implicit-def: $vgpr28
	s_and_saveexec_b64 s[22:23], vcc
	s_cbranch_execz .LBB7_246
; %bb.238:                              ;   in Loop: Header=BB7_6 Depth=1
	v_mov_b32_e32 v2, v0
                                        ; implicit-def: $sgpr28_sgpr29
	s_branch .LBB7_240
.LBB7_239:                              ;   in Loop: Header=BB7_240 Depth=2
	s_or_b64 exec, exec, s[30:31]
	s_waitcnt lgkmcnt(0)
	s_barrier
	ds_read_u16 v3, v24 offset:3072
	v_add_u32_e32 v2, s33, v2
	v_cmp_le_u32_e32 vcc, s11, v2
	s_waitcnt lgkmcnt(0)
	s_barrier
	v_cmp_ne_u16_sdwa s[30:31], v3, v1 src0_sel:BYTE_0 src1_sel:DWORD
	s_or_b64 s[34:35], vcc, s[30:31]
	s_and_b64 s[34:35], exec, s[34:35]
	s_or_b64 s[26:27], s[34:35], s[26:27]
	s_andn2_b64 s[28:29], s[28:29], exec
	s_and_b64 s[30:31], s[30:31], exec
	s_or_b64 s[28:29], s[28:29], s[30:31]
	s_andn2_b64 exec, exec, s[26:27]
	s_cbranch_execz .LBB7_245
.LBB7_240:                              ;   Parent Loop BB7_6 Depth=1
                                        ; =>  This Inner Loop Header: Depth=2
	v_cmp_gt_u32_e32 vcc, s10, v2
	v_mov_b32_e32 v3, 0
	s_and_saveexec_b64 s[30:31], vcc
	s_cbranch_execz .LBB7_242
; %bb.241:                              ;   in Loop: Header=BB7_240 Depth=2
	ds_read_u8 v3, v2
.LBB7_242:                              ;   in Loop: Header=BB7_240 Depth=2
	s_or_b64 exec, exec, s[30:31]
	s_waitcnt lgkmcnt(0)
	v_and_b32_e32 v4, v3, v26
	v_cmp_eq_u32_sdwa s[30:31], v4, v27 src0_sel:BYTE_0 src1_sel:DWORD
	s_and_b64 s[34:35], vcc, s[30:31]
	s_and_saveexec_b64 s[30:31], s[34:35]
	s_cbranch_execz .LBB7_239
; %bb.243:                              ;   in Loop: Header=BB7_240 Depth=2
	v_lshlrev_b16_e32 v3, 8, v3
	v_or_b32_e32 v3, 1, v3
	ds_write_b16 v24, v3 offset:3072
	s_branch .LBB7_239
.LBB7_244:                              ;   in Loop: Header=BB7_6 Depth=1
	s_mov_b64 s[30:31], -1
	s_mov_b64 s[26:27], 0
                                        ; implicit-def: $sgpr34_sgpr35
                                        ; implicit-def: $vgpr28
	s_mov_b64 s[22:23], s[30:31]
	s_cbranch_execnz .LBB7_247
	s_branch .LBB7_256
.LBB7_245:                              ;   in Loop: Header=BB7_6 Depth=1
	s_or_b64 exec, exec, s[26:27]
	v_lshrrev_b16_e32 v28, 8, v3
	s_and_b64 s[26:27], s[28:29], exec
.LBB7_246:                              ;   in Loop: Header=BB7_6 Depth=1
	s_or_b64 exec, exec, s[22:23]
	s_mov_b64 s[30:31], 0
	s_mov_b64 s[34:35], -1
	s_mov_b64 s[22:23], s[30:31]
	s_branch .LBB7_256
.LBB7_247:                              ;   in Loop: Header=BB7_6 Depth=1
	s_mov_b64 s[26:27], 0
                                        ; implicit-def: $vgpr28
	s_mov_b64 s[22:23], exec
	v_readlane_b32 s10, v47, 46
	v_readlane_b32 s11, v47, 47
	s_and_b64 s[10:11], s[22:23], s[10:11]
	s_mov_b64 exec, s[10:11]
	s_cbranch_execz .LBB7_255
; %bb.248:                              ;   in Loop: Header=BB7_6 Depth=1
	v_mov_b32_e32 v2, v15
	v_mov_b32_e32 v3, v0
                                        ; implicit-def: $sgpr28_sgpr29
	s_branch .LBB7_250
.LBB7_249:                              ;   in Loop: Header=BB7_250 Depth=2
	s_or_b64 exec, exec, s[30:31]
	s_waitcnt lgkmcnt(0)
	s_barrier
	ds_read_u16 v4, v24 offset:3072
	v_add_u32_e32 v3, s33, v3
	v_cmp_le_u32_e32 vcc, s7, v3
	v_add_u32_e32 v2, s8, v2
	s_waitcnt lgkmcnt(0)
	v_cmp_ne_u16_sdwa s[10:11], v4, v1 src0_sel:BYTE_0 src1_sel:DWORD
	s_or_b64 s[30:31], vcc, s[10:11]
	s_and_b64 s[30:31], exec, s[30:31]
	s_or_b64 s[26:27], s[30:31], s[26:27]
	s_andn2_b64 s[28:29], s[28:29], exec
	s_and_b64 s[10:11], s[10:11], exec
	s_or_b64 s[28:29], s[28:29], s[10:11]
	s_barrier
	s_andn2_b64 exec, exec, s[26:27]
	s_cbranch_execz .LBB7_254
.LBB7_250:                              ;   Parent Loop BB7_6 Depth=1
                                        ; =>  This Inner Loop Header: Depth=2
	v_cmp_gt_u32_e32 vcc, s60, v3
	v_mov_b32_e32 v4, 0
	s_and_saveexec_b64 s[30:31], vcc
	s_cbranch_execz .LBB7_252
; %bb.251:                              ;   in Loop: Header=BB7_250 Depth=2
	global_load_ubyte v4, v2, s[64:65]
.LBB7_252:                              ;   in Loop: Header=BB7_250 Depth=2
	s_or_b64 exec, exec, s[30:31]
	s_waitcnt vmcnt(0)
	v_and_b32_e32 v5, v4, v26
	v_cmp_eq_u32_sdwa s[10:11], v5, v27 src0_sel:BYTE_0 src1_sel:DWORD
	s_and_b64 s[10:11], vcc, s[10:11]
	s_and_saveexec_b64 s[30:31], s[10:11]
	s_cbranch_execz .LBB7_249
; %bb.253:                              ;   in Loop: Header=BB7_250 Depth=2
	v_lshlrev_b16_e32 v4, 8, v4
	v_or_b32_e32 v4, 1, v4
	ds_write_b16 v24, v4 offset:3072
	s_branch .LBB7_249
.LBB7_254:                              ;   in Loop: Header=BB7_6 Depth=1
	s_or_b64 exec, exec, s[26:27]
	v_lshrrev_b16_e32 v28, 8, v4
	s_and_b64 s[26:27], s[28:29], exec
.LBB7_255:                              ;   in Loop: Header=BB7_6 Depth=1
	s_or_b64 exec, exec, s[22:23]
	s_mov_b64 s[34:35], 0
	s_mov_b64 s[30:31], -1
	s_mov_b64 s[22:23], 0
.LBB7_256:                              ;   in Loop: Header=BB7_6 Depth=1
	s_orn2_b64 s[28:29], s[26:27], exec
.LBB7_257:                              ;   in Loop: Header=BB7_6 Depth=1
	s_or_b64 exec, exec, s[16:17]
                                        ; implicit-def: $vgpr30
                                        ; implicit-def: $vgpr5
                                        ; implicit-def: $vgpr2
                                        ; implicit-def: $vgpr3
                                        ; implicit-def: $vgpr4
	s_and_saveexec_b64 s[26:27], s[28:29]
	s_cbranch_execz .LBB7_386
; %bb.258:                              ;   in Loop: Header=BB7_6 Depth=1
	s_xor_b64 s[10:11], s[18:19], -1
	s_mov_b64 s[18:19], 0
	v_mov_b32_e32 v5, 1
	v_mov_b32_e32 v30, 1
	s_and_saveexec_b64 s[16:17], s[10:11]
	s_cbranch_execz .LBB7_268
; %bb.259:                              ;   in Loop: Header=BB7_6 Depth=1
	v_cmp_ge_u32_e32 vcc, s57, v29
                                        ; implicit-def: $sgpr10
                                        ; implicit-def: $sgpr18_sgpr19
	s_and_saveexec_b64 s[28:29], vcc
	s_xor_b64 s[28:29], exec, s[28:29]
	s_cbranch_execz .LBB7_265
; %bb.260:                              ;   in Loop: Header=BB7_6 Depth=1
	ds_read_b32 v2, v24 offset:4096
	s_waitcnt lgkmcnt(0)
	v_cmp_ne_u32_e32 vcc, 0, v2
	s_cbranch_vccnz .LBB7_264
; %bb.261:                              ;   in Loop: Header=BB7_6 Depth=1
	s_mov_b64 s[18:19], exec
	v_readlane_b32 s10, v47, 16
	v_readlane_b32 s11, v47, 17
	s_and_b64 s[10:11], s[18:19], s[10:11]
	s_mov_b64 exec, s[10:11]
	s_cbranch_execz .LBB7_263
; %bb.262:                              ;   in Loop: Header=BB7_6 Depth=1
	v_mov_b32_e32 v2, s57
	ds_write_b32 v24, v2 offset:4100
.LBB7_263:                              ;   in Loop: Header=BB7_6 Depth=1
	s_or_b64 exec, exec, s[18:19]
	s_waitcnt lgkmcnt(0)
	s_barrier
.LBB7_264:                              ;   in Loop: Header=BB7_6 Depth=1
	v_or_b32_e32 v27, s12, v27
	v_or_b32_e32 v26, s12, v26
	s_mov_b64 s[18:19], 0
	s_mov_b32 s10, 5
.LBB7_265:                              ;   in Loop: Header=BB7_6 Depth=1
	s_or_saveexec_b64 s[28:29], s[28:29]
	v_mov_b32_e32 v30, s10
	s_xor_b64 exec, exec, s[28:29]
; %bb.266:                              ;   in Loop: Header=BB7_6 Depth=1
	v_subrev_u32_e32 v29, s57, v29
	v_mov_b32_e32 v30, 0
	s_or_b64 s[18:19], s[18:19], exec
; %bb.267:                              ;   in Loop: Header=BB7_6 Depth=1
	s_or_b64 exec, exec, s[28:29]
	s_and_b64 s[18:19], s[18:19], exec
	v_mov_b32_e32 v5, v29
.LBB7_268:                              ;   in Loop: Header=BB7_6 Depth=1
	s_or_b64 exec, exec, s[16:17]
	s_mov_b64 s[38:39], -1
                                        ; implicit-def: $sgpr16_sgpr17
                                        ; implicit-def: $sgpr28_sgpr29
                                        ; implicit-def: $sgpr40_sgpr41
	s_and_saveexec_b64 s[10:11], s[18:19]
	s_xor_b64 s[18:19], exec, s[10:11]
	s_cbranch_execz .LBB7_383
; %bb.269:                              ;   in Loop: Header=BB7_6 Depth=1
	s_cmp_eq_u32 s56, 1
	s_cselect_b64 s[10:11], -1, 0
	v_cmp_eq_u32_e32 vcc, 1, v5
	s_and_b64 s[42:43], s[10:11], vcc
	s_mov_b64 s[46:47], -1
                                        ; implicit-def: $sgpr28_sgpr29
                                        ; implicit-def: $sgpr36_sgpr37
                                        ; implicit-def: $sgpr38_sgpr39
	s_and_saveexec_b64 s[16:17], s[42:43]
	s_cbranch_execz .LBB7_293
; %bb.270:                              ;   in Loop: Header=BB7_6 Depth=1
	ds_read_b32 v2, v24 offset:4096
	s_waitcnt lgkmcnt(0)
	s_barrier
	v_readfirstlane_b32 s10, v2
	s_and_saveexec_b64 s[28:29], s[4:5]
	s_cbranch_execz .LBB7_272
; %bb.271:                              ;   in Loop: Header=BB7_6 Depth=1
	ds_write_b8 v0, v1 offset:3072
.LBB7_272:                              ;   in Loop: Header=BB7_6 Depth=1
	s_or_b64 exec, exec, s[28:29]
	v_and_b32_e32 v2, s13, v27
	v_lshl_or_b32 v27, 2, s74, v2
	v_or_b32_e32 v26, s12, v26
	s_cmp_eq_u32 s10, 0
	s_waitcnt lgkmcnt(0)
	s_barrier
	s_cbranch_scc1 .LBB7_280
; %bb.273:                              ;   in Loop: Header=BB7_6 Depth=1
	v_readlane_b32 s11, v47, 25
	s_add_i32 s11, s10, s11
	v_readlane_b32 s28, v47, 45
	s_mul_hi_u32 s28, s11, s28
	s_mul_i32 s28, s28, s33
	s_sub_i32 s28, s11, s28
	s_sub_i32 s29, s28, s33
	s_cmp_ge_u32 s28, s33
	s_cselect_b32 s28, s29, s28
	s_sub_i32 s29, s28, s33
	s_cmp_ge_u32 s28, s33
	s_cselect_b32 s28, s29, s28
	s_sub_i32 s11, s11, s28
	v_cmp_gt_u32_e32 vcc, s11, v0
	s_mov_b64 s[40:41], 0
                                        ; implicit-def: $vgpr28
	s_and_saveexec_b64 s[28:29], vcc
	s_cbranch_execz .LBB7_282
; %bb.274:                              ;   in Loop: Header=BB7_6 Depth=1
	s_mov_b64 s[36:37], 0
	v_mov_b32_e32 v2, v0
                                        ; implicit-def: $sgpr38_sgpr39
	s_branch .LBB7_276
.LBB7_275:                              ;   in Loop: Header=BB7_276 Depth=2
	s_or_b64 exec, exec, s[40:41]
	s_waitcnt lgkmcnt(0)
	s_barrier
	ds_read_u16 v3, v24 offset:3072
	v_add_u32_e32 v2, s33, v2
	v_cmp_le_u32_e32 vcc, s11, v2
	s_waitcnt lgkmcnt(0)
	s_barrier
	v_cmp_ne_u16_sdwa s[40:41], v3, v1 src0_sel:BYTE_0 src1_sel:DWORD
	s_or_b64 s[44:45], vcc, s[40:41]
	s_and_b64 s[44:45], exec, s[44:45]
	s_or_b64 s[36:37], s[44:45], s[36:37]
	s_andn2_b64 s[38:39], s[38:39], exec
	s_and_b64 s[40:41], s[40:41], exec
	s_or_b64 s[38:39], s[38:39], s[40:41]
	s_andn2_b64 exec, exec, s[36:37]
	s_cbranch_execz .LBB7_281
.LBB7_276:                              ;   Parent Loop BB7_6 Depth=1
                                        ; =>  This Inner Loop Header: Depth=2
	v_cmp_gt_u32_e32 vcc, s10, v2
	v_mov_b32_e32 v3, 0
	s_and_saveexec_b64 s[40:41], vcc
	s_cbranch_execz .LBB7_278
; %bb.277:                              ;   in Loop: Header=BB7_276 Depth=2
	ds_read_u8 v3, v2
.LBB7_278:                              ;   in Loop: Header=BB7_276 Depth=2
	s_or_b64 exec, exec, s[40:41]
	s_waitcnt lgkmcnt(0)
	v_and_b32_e32 v4, v3, v26
	v_cmp_eq_u32_sdwa s[40:41], v4, v27 src0_sel:BYTE_0 src1_sel:DWORD
	s_and_b64 s[44:45], vcc, s[40:41]
	s_and_saveexec_b64 s[40:41], s[44:45]
	s_cbranch_execz .LBB7_275
; %bb.279:                              ;   in Loop: Header=BB7_276 Depth=2
	v_lshlrev_b16_e32 v3, 8, v3
	v_or_b32_e32 v3, 1, v3
	ds_write_b16 v24, v3 offset:3072
	s_branch .LBB7_275
.LBB7_280:                              ;   in Loop: Header=BB7_6 Depth=1
	s_mov_b64 s[28:29], -1
	s_mov_b64 s[40:41], 0
                                        ; implicit-def: $sgpr36_sgpr37
                                        ; implicit-def: $vgpr28
	s_mov_b64 s[38:39], s[28:29]
	s_cbranch_execnz .LBB7_283
	s_branch .LBB7_292
.LBB7_281:                              ;   in Loop: Header=BB7_6 Depth=1
	s_or_b64 exec, exec, s[36:37]
	v_lshrrev_b16_e32 v28, 8, v3
	s_and_b64 s[40:41], s[38:39], exec
.LBB7_282:                              ;   in Loop: Header=BB7_6 Depth=1
	s_or_b64 exec, exec, s[28:29]
	s_mov_b64 s[28:29], 0
	s_mov_b64 s[36:37], -1
	s_mov_b64 s[38:39], s[28:29]
	s_branch .LBB7_292
.LBB7_283:                              ;   in Loop: Header=BB7_6 Depth=1
	s_mov_b64 s[40:41], 0
                                        ; implicit-def: $vgpr28
	s_mov_b64 s[28:29], exec
	v_readlane_b32 s10, v47, 46
	v_readlane_b32 s11, v47, 47
	s_and_b64 s[10:11], s[28:29], s[10:11]
	s_mov_b64 exec, s[10:11]
	s_cbranch_execz .LBB7_291
; %bb.284:                              ;   in Loop: Header=BB7_6 Depth=1
	s_mov_b64 s[36:37], 0
	v_mov_b32_e32 v2, v15
	v_mov_b32_e32 v3, v0
                                        ; implicit-def: $sgpr38_sgpr39
	s_branch .LBB7_286
.LBB7_285:                              ;   in Loop: Header=BB7_286 Depth=2
	s_or_b64 exec, exec, s[40:41]
	s_waitcnt lgkmcnt(0)
	s_barrier
	ds_read_u16 v4, v24 offset:3072
	v_add_u32_e32 v3, s33, v3
	v_cmp_le_u32_e32 vcc, s7, v3
	v_add_u32_e32 v2, s8, v2
	s_waitcnt lgkmcnt(0)
	v_cmp_ne_u16_sdwa s[10:11], v4, v1 src0_sel:BYTE_0 src1_sel:DWORD
	s_or_b64 s[40:41], vcc, s[10:11]
	s_and_b64 s[40:41], exec, s[40:41]
	s_or_b64 s[36:37], s[40:41], s[36:37]
	s_andn2_b64 s[38:39], s[38:39], exec
	s_and_b64 s[10:11], s[10:11], exec
	s_or_b64 s[38:39], s[38:39], s[10:11]
	s_barrier
	s_andn2_b64 exec, exec, s[36:37]
	s_cbranch_execz .LBB7_290
.LBB7_286:                              ;   Parent Loop BB7_6 Depth=1
                                        ; =>  This Inner Loop Header: Depth=2
	v_cmp_gt_u32_e32 vcc, s60, v3
	v_mov_b32_e32 v4, 0
	s_and_saveexec_b64 s[40:41], vcc
	s_cbranch_execz .LBB7_288
; %bb.287:                              ;   in Loop: Header=BB7_286 Depth=2
	global_load_ubyte v4, v2, s[64:65]
.LBB7_288:                              ;   in Loop: Header=BB7_286 Depth=2
	s_or_b64 exec, exec, s[40:41]
	s_waitcnt vmcnt(0)
	v_and_b32_e32 v28, v4, v26
	v_cmp_eq_u32_sdwa s[10:11], v28, v27 src0_sel:BYTE_0 src1_sel:DWORD
	s_and_b64 s[10:11], vcc, s[10:11]
	s_and_saveexec_b64 s[40:41], s[10:11]
	s_cbranch_execz .LBB7_285
; %bb.289:                              ;   in Loop: Header=BB7_286 Depth=2
	v_lshlrev_b16_e32 v4, 8, v4
	v_or_b32_e32 v4, 1, v4
	ds_write_b16 v24, v4 offset:3072
	s_branch .LBB7_285
.LBB7_290:                              ;   in Loop: Header=BB7_6 Depth=1
	s_or_b64 exec, exec, s[36:37]
	v_lshrrev_b16_e32 v28, 8, v4
	s_and_b64 s[40:41], s[38:39], exec
.LBB7_291:                              ;   in Loop: Header=BB7_6 Depth=1
	s_or_b64 exec, exec, s[28:29]
	s_mov_b64 s[36:37], 0
	s_mov_b64 s[28:29], -1
	s_mov_b64 s[38:39], 0
.LBB7_292:                              ;   in Loop: Header=BB7_6 Depth=1
	s_orn2_b64 s[46:47], s[40:41], exec
.LBB7_293:                              ;   in Loop: Header=BB7_6 Depth=1
	s_or_b64 exec, exec, s[16:17]
	s_mov_b64 s[44:45], 0
                                        ; implicit-def: $vgpr30
	s_and_saveexec_b64 s[40:41], s[46:47]
	s_cbranch_execz .LBB7_382
; %bb.294:                              ;   in Loop: Header=BB7_6 Depth=1
	s_xor_b64 s[10:11], s[42:43], -1
	s_mov_b64 s[48:49], 0
	v_mov_b32_e32 v2, 1
	v_mov_b32_e32 v30, 1
	s_and_saveexec_b64 s[16:17], s[10:11]
	s_cbranch_execz .LBB7_304
; %bb.295:                              ;   in Loop: Header=BB7_6 Depth=1
	v_cmp_ge_u32_e32 vcc, s56, v5
                                        ; implicit-def: $sgpr10
                                        ; implicit-def: $sgpr42_sgpr43
	s_and_saveexec_b64 s[44:45], vcc
	s_xor_b64 s[44:45], exec, s[44:45]
	s_cbranch_execz .LBB7_301
; %bb.296:                              ;   in Loop: Header=BB7_6 Depth=1
	ds_read_b32 v2, v24 offset:4096
	s_waitcnt lgkmcnt(0)
	v_cmp_ne_u32_e32 vcc, 0, v2
	s_cbranch_vccnz .LBB7_300
; %bb.297:                              ;   in Loop: Header=BB7_6 Depth=1
	s_mov_b64 s[42:43], exec
	v_readlane_b32 s10, v47, 16
	v_readlane_b32 s11, v47, 17
	s_and_b64 s[10:11], s[42:43], s[10:11]
	s_mov_b64 exec, s[10:11]
	s_cbranch_execz .LBB7_299
; %bb.298:                              ;   in Loop: Header=BB7_6 Depth=1
	v_mov_b32_e32 v2, s56
	ds_write_b32 v24, v2 offset:4100
.LBB7_299:                              ;   in Loop: Header=BB7_6 Depth=1
	s_or_b64 exec, exec, s[42:43]
	s_waitcnt lgkmcnt(0)
	s_barrier
.LBB7_300:                              ;   in Loop: Header=BB7_6 Depth=1
	v_and_b32_e32 v2, s13, v27
	v_lshl_or_b32 v27, 2, s74, v2
	v_or_b32_e32 v26, s12, v26
	s_mov_b64 s[42:43], 0
	s_mov_b32 s10, 5
.LBB7_301:                              ;   in Loop: Header=BB7_6 Depth=1
	s_or_saveexec_b64 s[44:45], s[44:45]
	v_mov_b32_e32 v30, s10
	s_xor_b64 exec, exec, s[44:45]
; %bb.302:                              ;   in Loop: Header=BB7_6 Depth=1
	v_subrev_u32_e32 v5, s56, v5
	v_mov_b32_e32 v30, 0
	s_or_b64 s[42:43], s[42:43], exec
; %bb.303:                              ;   in Loop: Header=BB7_6 Depth=1
	s_or_b64 exec, exec, s[44:45]
	s_and_b64 s[48:49], s[42:43], exec
	v_mov_b32_e32 v2, v5
.LBB7_304:                              ;   in Loop: Header=BB7_6 Depth=1
	s_or_b64 exec, exec, s[16:17]
	s_mov_b64 s[16:17], -1
                                        ; implicit-def: $sgpr44_sgpr45
                                        ; implicit-def: $sgpr46_sgpr47
                                        ; implicit-def: $sgpr50_sgpr51
	s_and_saveexec_b64 s[42:43], s[48:49]
	s_cbranch_execz .LBB7_381
; %bb.305:                              ;   in Loop: Header=BB7_6 Depth=1
	s_cmp_eq_u32 s6, 1
	s_cselect_b64 s[10:11], -1, 0
	v_cmp_eq_u32_e32 vcc, 1, v2
	s_and_b64 s[52:53], s[10:11], vcc
	s_mov_b64 s[54:55], -1
                                        ; implicit-def: $sgpr44_sgpr45
                                        ; implicit-def: $sgpr46_sgpr47
                                        ; implicit-def: $sgpr48_sgpr49
	s_and_saveexec_b64 s[16:17], s[52:53]
	s_cbranch_execz .LBB7_329
; %bb.306:                              ;   in Loop: Header=BB7_6 Depth=1
	ds_read_b32 v3, v24 offset:4096
	s_waitcnt lgkmcnt(0)
	s_barrier
	v_readfirstlane_b32 s10, v3
	s_and_saveexec_b64 s[44:45], s[4:5]
	s_cbranch_execz .LBB7_308
; %bb.307:                              ;   in Loop: Header=BB7_6 Depth=1
	ds_write_b8 v0, v1 offset:3072
.LBB7_308:                              ;   in Loop: Header=BB7_6 Depth=1
	s_or_b64 exec, exec, s[44:45]
	v_and_b32_e32 v3, s13, v27
	v_lshl_or_b32 v27, 1, s74, v3
	v_or_b32_e32 v26, s12, v26
	s_cmp_eq_u32 s10, 0
	s_waitcnt lgkmcnt(0)
	s_barrier
	s_cbranch_scc1 .LBB7_316
; %bb.309:                              ;   in Loop: Header=BB7_6 Depth=1
	v_readlane_b32 s11, v47, 25
	s_add_i32 s11, s10, s11
	v_readlane_b32 s44, v47, 45
	s_mul_hi_u32 s44, s11, s44
	s_mul_i32 s44, s44, s33
	s_sub_i32 s44, s11, s44
	s_sub_i32 s45, s44, s33
	s_cmp_ge_u32 s44, s33
	s_cselect_b32 s44, s45, s44
	s_sub_i32 s45, s44, s33
	s_cmp_ge_u32 s44, s33
	s_cselect_b32 s44, s45, s44
	s_sub_i32 s11, s11, s44
	v_cmp_gt_u32_e32 vcc, s11, v0
	s_mov_b64 s[50:51], 0
                                        ; implicit-def: $vgpr28
	s_and_saveexec_b64 s[44:45], vcc
	s_cbranch_execz .LBB7_318
; %bb.310:                              ;   in Loop: Header=BB7_6 Depth=1
	s_mov_b64 s[46:47], 0
	v_mov_b32_e32 v3, v0
                                        ; implicit-def: $sgpr48_sgpr49
	s_branch .LBB7_312
.LBB7_311:                              ;   in Loop: Header=BB7_312 Depth=2
	s_or_b64 exec, exec, s[50:51]
	s_waitcnt lgkmcnt(0)
	s_barrier
	ds_read_u16 v4, v24 offset:3072
	v_add_u32_e32 v3, s33, v3
	v_cmp_le_u32_e32 vcc, s11, v3
	s_waitcnt lgkmcnt(0)
	s_barrier
	v_cmp_ne_u16_sdwa s[50:51], v4, v1 src0_sel:BYTE_0 src1_sel:DWORD
	s_or_b64 s[54:55], vcc, s[50:51]
	s_and_b64 s[54:55], exec, s[54:55]
	s_or_b64 s[46:47], s[54:55], s[46:47]
	s_andn2_b64 s[48:49], s[48:49], exec
	s_and_b64 s[50:51], s[50:51], exec
	s_or_b64 s[48:49], s[48:49], s[50:51]
	s_andn2_b64 exec, exec, s[46:47]
	s_cbranch_execz .LBB7_317
.LBB7_312:                              ;   Parent Loop BB7_6 Depth=1
                                        ; =>  This Inner Loop Header: Depth=2
	v_cmp_gt_u32_e32 vcc, s10, v3
	v_mov_b32_e32 v4, 0
	s_and_saveexec_b64 s[50:51], vcc
	s_cbranch_execz .LBB7_314
; %bb.313:                              ;   in Loop: Header=BB7_312 Depth=2
	ds_read_u8 v4, v3
.LBB7_314:                              ;   in Loop: Header=BB7_312 Depth=2
	s_or_b64 exec, exec, s[50:51]
	s_waitcnt lgkmcnt(0)
	v_and_b32_e32 v5, v4, v26
	v_cmp_eq_u32_sdwa s[50:51], v5, v27 src0_sel:BYTE_0 src1_sel:DWORD
	s_and_b64 s[54:55], vcc, s[50:51]
	s_and_saveexec_b64 s[50:51], s[54:55]
	s_cbranch_execz .LBB7_311
; %bb.315:                              ;   in Loop: Header=BB7_312 Depth=2
	v_lshlrev_b16_e32 v4, 8, v4
	v_or_b32_e32 v4, 1, v4
	ds_write_b16 v24, v4 offset:3072
	s_branch .LBB7_311
.LBB7_316:                              ;   in Loop: Header=BB7_6 Depth=1
	s_mov_b64 s[44:45], -1
	s_mov_b64 s[50:51], 0
                                        ; implicit-def: $sgpr46_sgpr47
                                        ; implicit-def: $vgpr28
	s_mov_b64 s[48:49], s[44:45]
	s_cbranch_execnz .LBB7_319
	s_branch .LBB7_328
.LBB7_317:                              ;   in Loop: Header=BB7_6 Depth=1
	s_or_b64 exec, exec, s[46:47]
	v_lshrrev_b16_e32 v28, 8, v4
	s_and_b64 s[50:51], s[48:49], exec
.LBB7_318:                              ;   in Loop: Header=BB7_6 Depth=1
	s_or_b64 exec, exec, s[44:45]
	s_mov_b64 s[44:45], 0
	s_mov_b64 s[46:47], -1
	s_mov_b64 s[48:49], s[44:45]
	s_branch .LBB7_328
.LBB7_319:                              ;   in Loop: Header=BB7_6 Depth=1
	s_mov_b64 s[50:51], 0
                                        ; implicit-def: $vgpr28
	s_mov_b64 s[44:45], exec
	v_readlane_b32 s10, v47, 46
	v_readlane_b32 s11, v47, 47
	s_and_b64 s[10:11], s[44:45], s[10:11]
	s_mov_b64 exec, s[10:11]
	s_cbranch_execz .LBB7_327
; %bb.320:                              ;   in Loop: Header=BB7_6 Depth=1
	s_mov_b64 s[46:47], 0
	v_mov_b32_e32 v3, v15
	v_mov_b32_e32 v4, v0
                                        ; implicit-def: $sgpr48_sgpr49
	s_branch .LBB7_322
.LBB7_321:                              ;   in Loop: Header=BB7_322 Depth=2
	s_or_b64 exec, exec, s[50:51]
	s_waitcnt lgkmcnt(0)
	s_barrier
	ds_read_u16 v5, v24 offset:3072
	v_add_u32_e32 v4, s33, v4
	v_cmp_le_u32_e32 vcc, s7, v4
	v_add_u32_e32 v3, s8, v3
	s_waitcnt lgkmcnt(0)
	v_cmp_ne_u16_sdwa s[10:11], v5, v1 src0_sel:BYTE_0 src1_sel:DWORD
	s_or_b64 s[50:51], vcc, s[10:11]
	s_and_b64 s[50:51], exec, s[50:51]
	s_or_b64 s[46:47], s[50:51], s[46:47]
	s_andn2_b64 s[48:49], s[48:49], exec
	s_and_b64 s[10:11], s[10:11], exec
	s_or_b64 s[48:49], s[48:49], s[10:11]
	s_barrier
	s_andn2_b64 exec, exec, s[46:47]
	s_cbranch_execz .LBB7_326
.LBB7_322:                              ;   Parent Loop BB7_6 Depth=1
                                        ; =>  This Inner Loop Header: Depth=2
	v_cmp_gt_u32_e32 vcc, s60, v4
	v_mov_b32_e32 v5, 0
	s_and_saveexec_b64 s[50:51], vcc
	s_cbranch_execz .LBB7_324
; %bb.323:                              ;   in Loop: Header=BB7_322 Depth=2
	global_load_ubyte v5, v3, s[64:65]
.LBB7_324:                              ;   in Loop: Header=BB7_322 Depth=2
	s_or_b64 exec, exec, s[50:51]
	s_waitcnt vmcnt(0)
	v_and_b32_e32 v28, v5, v26
	v_cmp_eq_u32_sdwa s[10:11], v28, v27 src0_sel:BYTE_0 src1_sel:DWORD
	s_and_b64 s[10:11], vcc, s[10:11]
	s_and_saveexec_b64 s[50:51], s[10:11]
	s_cbranch_execz .LBB7_321
; %bb.325:                              ;   in Loop: Header=BB7_322 Depth=2
	v_lshlrev_b16_e32 v5, 8, v5
	v_or_b32_e32 v5, 1, v5
	ds_write_b16 v24, v5 offset:3072
	s_branch .LBB7_321
.LBB7_326:                              ;   in Loop: Header=BB7_6 Depth=1
	s_or_b64 exec, exec, s[46:47]
	v_lshrrev_b16_e32 v28, 8, v5
	s_and_b64 s[50:51], s[48:49], exec
.LBB7_327:                              ;   in Loop: Header=BB7_6 Depth=1
	s_or_b64 exec, exec, s[44:45]
	s_mov_b64 s[46:47], 0
	s_mov_b64 s[44:45], -1
	s_mov_b64 s[48:49], 0
.LBB7_328:                              ;   in Loop: Header=BB7_6 Depth=1
	s_orn2_b64 s[54:55], s[50:51], exec
.LBB7_329:                              ;   in Loop: Header=BB7_6 Depth=1
	s_or_b64 exec, exec, s[16:17]
	s_mov_b64 s[16:17], 0
                                        ; implicit-def: $vgpr30
	s_and_saveexec_b64 s[50:51], s[54:55]
	s_cbranch_execz .LBB7_380
; %bb.330:                              ;   in Loop: Header=BB7_6 Depth=1
	s_xor_b64 s[10:11], s[52:53], -1
	s_mov_b64 s[54:55], 0
	v_mov_b32_e32 v3, 1
	v_mov_b32_e32 v30, 1
	s_and_saveexec_b64 s[16:17], s[10:11]
	s_cbranch_execz .LBB7_340
; %bb.331:                              ;   in Loop: Header=BB7_6 Depth=1
	v_cmp_ge_u32_e32 vcc, s6, v2
                                        ; implicit-def: $sgpr10
                                        ; implicit-def: $sgpr52_sgpr53
	s_and_saveexec_b64 s[54:55], vcc
	s_xor_b64 s[54:55], exec, s[54:55]
	s_cbranch_execz .LBB7_337
; %bb.332:                              ;   in Loop: Header=BB7_6 Depth=1
	ds_read_b32 v3, v24 offset:4096
	s_waitcnt lgkmcnt(0)
	v_cmp_ne_u32_e32 vcc, 0, v3
	s_cbranch_vccnz .LBB7_336
; %bb.333:                              ;   in Loop: Header=BB7_6 Depth=1
	s_mov_b64 s[52:53], exec
	v_readlane_b32 s10, v47, 16
	v_readlane_b32 s11, v47, 17
	s_and_b64 s[10:11], s[52:53], s[10:11]
	s_mov_b64 exec, s[10:11]
	s_cbranch_execz .LBB7_335
; %bb.334:                              ;   in Loop: Header=BB7_6 Depth=1
	v_mov_b32_e32 v3, s6
	ds_write_b32 v24, v3 offset:4100
.LBB7_335:                              ;   in Loop: Header=BB7_6 Depth=1
	s_or_b64 exec, exec, s[52:53]
	s_waitcnt lgkmcnt(0)
	s_barrier
.LBB7_336:                              ;   in Loop: Header=BB7_6 Depth=1
	v_and_b32_e32 v3, s13, v27
	v_lshl_or_b32 v27, 1, s74, v3
	v_or_b32_e32 v26, s12, v26
	s_mov_b64 s[52:53], 0
	s_mov_b32 s10, 5
.LBB7_337:                              ;   in Loop: Header=BB7_6 Depth=1
	s_or_saveexec_b64 s[54:55], s[54:55]
	v_mov_b32_e32 v30, s10
	s_xor_b64 exec, exec, s[54:55]
; %bb.338:                              ;   in Loop: Header=BB7_6 Depth=1
	v_subrev_u32_e32 v2, s6, v2
	v_mov_b32_e32 v30, 0
	s_or_b64 s[52:53], s[52:53], exec
; %bb.339:                              ;   in Loop: Header=BB7_6 Depth=1
	s_or_b64 exec, exec, s[54:55]
	s_and_b64 s[54:55], s[52:53], exec
	v_mov_b32_e32 v3, v2
.LBB7_340:                              ;   in Loop: Header=BB7_6 Depth=1
	s_or_b64 exec, exec, s[16:17]
	s_mov_b64 s[16:17], -1
                                        ; implicit-def: $sgpr56_sgpr57
                                        ; implicit-def: $sgpr58_sgpr59
                                        ; implicit-def: $sgpr84_sgpr85
	s_and_saveexec_b64 s[52:53], s[54:55]
	s_cbranch_execz .LBB7_379
; %bb.341:                              ;   in Loop: Header=BB7_6 Depth=1
	s_cmp_eq_u32 s75, 1
	s_cselect_b64 s[10:11], -1, 0
	v_cmp_eq_u32_e32 vcc, 1, v3
	s_mov_b64 s[54:55], -1
	s_and_b64 s[10:11], s[10:11], vcc
                                        ; implicit-def: $sgpr56_sgpr57
                                        ; implicit-def: $sgpr58_sgpr59
                                        ; implicit-def: $sgpr84_sgpr85
	s_mov_b64 s[16:17], exec
	v_writelane_b32 v47, s10, 49
	v_writelane_b32 v47, s11, 50
	s_and_b64 s[10:11], s[16:17], s[10:11]
	s_mov_b64 exec, s[10:11]
	s_cbranch_execz .LBB7_366
; %bb.342:                              ;   in Loop: Header=BB7_6 Depth=1
	ds_read_b32 v2, v24 offset:4096
	s_waitcnt lgkmcnt(0)
	s_barrier
	v_readfirstlane_b32 s6, v2
	s_and_saveexec_b64 s[54:55], s[4:5]
	s_cbranch_execz .LBB7_344
; %bb.343:                              ;   in Loop: Header=BB7_6 Depth=1
	ds_write_b8 v0, v1 offset:3072
.LBB7_344:                              ;   in Loop: Header=BB7_6 Depth=1
	s_or_b64 exec, exec, s[54:55]
	v_and_b32_e32 v27, s13, v27
	v_or_b32_e32 v26, s12, v26
	s_cmp_eq_u32 s6, 0
	s_waitcnt lgkmcnt(0)
	s_barrier
	s_cbranch_scc1 .LBB7_352
; %bb.345:                              ;   in Loop: Header=BB7_6 Depth=1
	v_readlane_b32 s10, v47, 25
	s_add_i32 s10, s6, s10
	v_readlane_b32 s11, v47, 45
	s_mul_hi_u32 s11, s10, s11
	s_mul_i32 s11, s11, s33
	s_sub_i32 s11, s10, s11
	s_sub_i32 s54, s11, s33
	s_cmp_ge_u32 s11, s33
	s_cselect_b32 s11, s54, s11
	s_sub_i32 s54, s11, s33
	s_cmp_ge_u32 s11, s33
	s_cselect_b32 s11, s54, s11
	s_sub_i32 s10, s10, s11
	s_mov_b64 s[54:55], 0
	v_cmp_gt_u32_e32 vcc, s10, v0
                                        ; implicit-def: $vgpr28
	s_mov_b64 s[56:57], exec
	v_writelane_b32 v47, s56, 51
	s_and_b64 s[58:59], s[56:57], vcc
	v_writelane_b32 v47, s57, 52
	s_mov_b64 exec, s[58:59]
	s_cbranch_execz .LBB7_354
; %bb.346:                              ;   in Loop: Header=BB7_6 Depth=1
	v_mov_b32_e32 v2, v0
                                        ; implicit-def: $sgpr58_sgpr59
	s_branch .LBB7_348
.LBB7_347:                              ;   in Loop: Header=BB7_348 Depth=2
	s_or_b64 exec, exec, s[84:85]
	s_waitcnt lgkmcnt(0)
	s_barrier
	ds_read_u16 v4, v24 offset:3072
	v_add_u32_e32 v2, s33, v2
	v_cmp_le_u32_e32 vcc, s10, v2
	s_waitcnt lgkmcnt(0)
	s_barrier
	v_cmp_ne_u16_sdwa s[56:57], v4, v1 src0_sel:BYTE_0 src1_sel:DWORD
	s_or_b64 s[84:85], vcc, s[56:57]
	s_and_b64 s[84:85], exec, s[84:85]
	s_or_b64 s[54:55], s[84:85], s[54:55]
	s_andn2_b64 s[58:59], s[58:59], exec
	s_and_b64 s[56:57], s[56:57], exec
	s_or_b64 s[58:59], s[58:59], s[56:57]
	s_andn2_b64 exec, exec, s[54:55]
	s_cbranch_execz .LBB7_353
.LBB7_348:                              ;   Parent Loop BB7_6 Depth=1
                                        ; =>  This Inner Loop Header: Depth=2
	v_cmp_gt_u32_e32 vcc, s6, v2
	v_mov_b32_e32 v4, 0
	s_and_saveexec_b64 s[84:85], vcc
	s_cbranch_execz .LBB7_350
; %bb.349:                              ;   in Loop: Header=BB7_348 Depth=2
	ds_read_u8 v4, v2
.LBB7_350:                              ;   in Loop: Header=BB7_348 Depth=2
	s_or_b64 exec, exec, s[84:85]
	s_waitcnt lgkmcnt(0)
	v_and_b32_e32 v5, v4, v26
	v_cmp_eq_u32_sdwa s[56:57], v5, v27 src0_sel:BYTE_0 src1_sel:DWORD
	s_and_b64 s[56:57], vcc, s[56:57]
	s_and_saveexec_b64 s[84:85], s[56:57]
	s_cbranch_execz .LBB7_347
; %bb.351:                              ;   in Loop: Header=BB7_348 Depth=2
	v_lshlrev_b16_e32 v4, 8, v4
	v_or_b32_e32 v4, 1, v4
	ds_write_b16 v24, v4 offset:3072
	s_branch .LBB7_347
.LBB7_352:                              ;   in Loop: Header=BB7_6 Depth=1
	s_mov_b64 s[56:57], -1
	s_mov_b64 s[54:55], 0
                                        ; implicit-def: $sgpr58_sgpr59
                                        ; implicit-def: $vgpr28
	s_branch .LBB7_355
.LBB7_353:                              ;   in Loop: Header=BB7_6 Depth=1
	s_or_b64 exec, exec, s[54:55]
	v_lshrrev_b16_e32 v28, 8, v4
	s_and_b64 s[54:55], s[58:59], exec
.LBB7_354:                              ;   in Loop: Header=BB7_6 Depth=1
	v_readlane_b32 s10, v47, 51
	v_readlane_b32 s11, v47, 52
	s_or_b64 exec, exec, s[10:11]
	s_mov_b64 s[56:57], 0
	s_mov_b64 s[58:59], -1
.LBB7_355:                              ;   in Loop: Header=BB7_6 Depth=1
	s_and_b64 vcc, exec, s[56:57]
	s_mov_b64 s[84:85], s[56:57]
	s_cbranch_vccz .LBB7_365
; %bb.356:                              ;   in Loop: Header=BB7_6 Depth=1
	s_mov_b64 s[54:55], 0
                                        ; implicit-def: $vgpr28
	s_mov_b64 s[56:57], exec
	v_readlane_b32 s10, v47, 46
	v_readlane_b32 s11, v47, 47
	s_and_b64 s[10:11], s[56:57], s[10:11]
	s_mov_b64 exec, s[10:11]
	s_cbranch_execz .LBB7_364
; %bb.357:                              ;   in Loop: Header=BB7_6 Depth=1
	v_mov_b32_e32 v2, v15
	v_mov_b32_e32 v4, v0
                                        ; implicit-def: $sgpr58_sgpr59
	s_branch .LBB7_359
.LBB7_358:                              ;   in Loop: Header=BB7_359 Depth=2
	s_or_b64 exec, exec, s[84:85]
	s_waitcnt lgkmcnt(0)
	s_barrier
	ds_read_u16 v5, v24 offset:3072
	v_add_u32_e32 v4, s33, v4
	v_cmp_le_u32_e32 vcc, s7, v4
	v_add_u32_e32 v2, s8, v2
	s_waitcnt lgkmcnt(0)
	v_cmp_ne_u16_sdwa s[10:11], v5, v1 src0_sel:BYTE_0 src1_sel:DWORD
	s_or_b64 s[84:85], vcc, s[10:11]
	s_and_b64 s[84:85], exec, s[84:85]
	s_or_b64 s[54:55], s[84:85], s[54:55]
	s_andn2_b64 s[58:59], s[58:59], exec
	s_and_b64 s[10:11], s[10:11], exec
	s_or_b64 s[58:59], s[58:59], s[10:11]
	s_barrier
	s_andn2_b64 exec, exec, s[54:55]
	s_cbranch_execz .LBB7_363
.LBB7_359:                              ;   Parent Loop BB7_6 Depth=1
                                        ; =>  This Inner Loop Header: Depth=2
	v_cmp_gt_u32_e32 vcc, s60, v4
	v_mov_b32_e32 v5, 0
	s_and_saveexec_b64 s[84:85], vcc
	s_cbranch_execz .LBB7_361
; %bb.360:                              ;   in Loop: Header=BB7_359 Depth=2
	global_load_ubyte v5, v2, s[64:65]
.LBB7_361:                              ;   in Loop: Header=BB7_359 Depth=2
	s_or_b64 exec, exec, s[84:85]
	s_waitcnt vmcnt(0)
	v_and_b32_e32 v28, v5, v26
	v_cmp_eq_u32_sdwa s[10:11], v28, v27 src0_sel:BYTE_0 src1_sel:DWORD
	s_and_b64 s[10:11], vcc, s[10:11]
	s_and_saveexec_b64 s[84:85], s[10:11]
	s_cbranch_execz .LBB7_358
; %bb.362:                              ;   in Loop: Header=BB7_359 Depth=2
	v_lshlrev_b16_e32 v5, 8, v5
	v_or_b32_e32 v5, 1, v5
	ds_write_b16 v24, v5 offset:3072
	s_branch .LBB7_358
.LBB7_363:                              ;   in Loop: Header=BB7_6 Depth=1
	s_or_b64 exec, exec, s[54:55]
	v_lshrrev_b16_e32 v28, 8, v5
	s_and_b64 s[54:55], s[58:59], exec
.LBB7_364:                              ;   in Loop: Header=BB7_6 Depth=1
	s_or_b64 exec, exec, s[56:57]
	s_mov_b64 s[58:59], 0
	s_mov_b64 s[56:57], -1
	s_mov_b64 s[84:85], 0
.LBB7_365:                              ;   in Loop: Header=BB7_6 Depth=1
	s_orn2_b64 s[54:55], s[54:55], exec
.LBB7_366:                              ;   in Loop: Header=BB7_6 Depth=1
	s_or_b64 exec, exec, s[16:17]
	s_mov_b64 vcc, 0
                                        ; implicit-def: $vgpr30
                                        ; implicit-def: $vgpr2
	s_and_saveexec_b64 s[16:17], s[54:55]
	s_cbranch_execz .LBB7_378
; %bb.367:                              ;   in Loop: Header=BB7_6 Depth=1
	v_readlane_b32 s10, v47, 49
	v_readlane_b32 s11, v47, 50
	s_xor_b64 s[10:11], s[10:11], -1
	v_mov_b32_e32 v30, 1
	v_mov_b32_e32 v2, 1
	s_and_saveexec_b64 s[54:55], s[10:11]
	s_cbranch_execz .LBB7_377
; %bb.368:                              ;   in Loop: Header=BB7_6 Depth=1
	v_cmp_ge_u32_e32 vcc, s75, v3
                                        ; implicit-def: $sgpr6
	s_and_saveexec_b64 s[10:11], vcc
	s_xor_b64 s[10:11], exec, s[10:11]
	s_cbranch_execz .LBB7_374
; %bb.369:                              ;   in Loop: Header=BB7_6 Depth=1
	ds_read_b32 v2, v24 offset:4096
	s_waitcnt lgkmcnt(0)
	v_cmp_ne_u32_e32 vcc, 0, v2
	s_cbranch_vccnz .LBB7_373
; %bb.370:                              ;   in Loop: Header=BB7_6 Depth=1
	v_writelane_b32 v47, s10, 53
	v_writelane_b32 v47, s11, 54
	s_mov_b64 vcc, exec
	v_readlane_b32 s10, v47, 16
	v_readlane_b32 s11, v47, 17
	s_and_b64 s[10:11], vcc, s[10:11]
	s_mov_b64 exec, s[10:11]
	s_cbranch_execz .LBB7_372
; %bb.371:                              ;   in Loop: Header=BB7_6 Depth=1
	v_mov_b32_e32 v2, s75
	ds_write_b32 v24, v2 offset:4100
.LBB7_372:                              ;   in Loop: Header=BB7_6 Depth=1
	s_or_b64 exec, exec, vcc
	v_readlane_b32 s10, v47, 53
	v_readlane_b32 s11, v47, 54
	s_waitcnt lgkmcnt(0)
	s_barrier
.LBB7_373:                              ;   in Loop: Header=BB7_6 Depth=1
	v_and_b32_e32 v27, s13, v27
	v_or_b32_e32 v26, s12, v26
	s_mov_b32 s6, 5
.LBB7_374:                              ;   in Loop: Header=BB7_6 Depth=1
	s_or_saveexec_b64 vcc, s[10:11]
	v_mov_b32_e32 v30, s6
	s_xor_b64 exec, exec, vcc
; %bb.375:                              ;   in Loop: Header=BB7_6 Depth=1
	v_subrev_u32_e32 v3, s75, v3
	v_mov_b32_e32 v30, 5
; %bb.376:                              ;   in Loop: Header=BB7_6 Depth=1
	s_or_b64 exec, exec, vcc
	v_mov_b32_e32 v2, v3
.LBB7_377:                              ;   in Loop: Header=BB7_6 Depth=1
	s_or_b64 exec, exec, s[54:55]
	s_mov_b64 vcc, exec
.LBB7_378:                              ;   in Loop: Header=BB7_6 Depth=1
	s_or_b64 exec, exec, s[16:17]
	s_orn2_b64 s[16:17], vcc, exec
	v_mov_b32_e32 v3, v2
.LBB7_379:                              ;   in Loop: Header=BB7_6 Depth=1
	s_or_b64 exec, exec, s[52:53]
	s_andn2_b64 s[10:11], s[44:45], exec
	s_and_b64 s[12:13], s[56:57], exec
	s_or_b64 s[44:45], s[10:11], s[12:13]
	s_andn2_b64 s[10:11], s[46:47], exec
	s_and_b64 s[12:13], s[58:59], exec
	s_or_b64 s[46:47], s[10:11], s[12:13]
	;; [unrolled: 3-line block ×3, first 2 shown]
	s_and_b64 s[16:17], s[16:17], exec
	v_mov_b32_e32 v2, v3
.LBB7_380:                              ;   in Loop: Header=BB7_6 Depth=1
	s_or_b64 exec, exec, s[50:51]
	s_and_b64 s[50:51], s[44:45], exec
	s_and_b64 s[46:47], s[46:47], exec
	;; [unrolled: 1-line block ×3, first 2 shown]
	s_orn2_b64 s[16:17], s[16:17], exec
.LBB7_381:                              ;   in Loop: Header=BB7_6 Depth=1
	s_or_b64 exec, exec, s[42:43]
	s_andn2_b64 s[10:11], s[28:29], exec
	s_and_b64 s[12:13], s[50:51], exec
	s_or_b64 s[28:29], s[10:11], s[12:13]
	s_andn2_b64 s[10:11], s[36:37], exec
	s_and_b64 s[12:13], s[46:47], exec
	s_or_b64 s[36:37], s[10:11], s[12:13]
	;; [unrolled: 3-line block ×3, first 2 shown]
	s_and_b64 s[44:45], s[16:17], exec
	v_mov_b32_e32 v5, v2
.LBB7_382:                              ;   in Loop: Header=BB7_6 Depth=1
	s_or_b64 exec, exec, s[40:41]
	s_and_b64 s[40:41], s[28:29], exec
	s_and_b64 s[28:29], s[36:37], exec
	;; [unrolled: 1-line block ×3, first 2 shown]
	s_orn2_b64 s[38:39], s[44:45], exec
.LBB7_383:                              ;   in Loop: Header=BB7_6 Depth=1
	s_or_b64 exec, exec, s[18:19]
	s_mov_b64 s[18:19], s[24:25]
	s_mov_b64 s[36:37], s[20:21]
	s_and_saveexec_b64 s[42:43], s[38:39]
; %bb.384:                              ;   in Loop: Header=BB7_6 Depth=1
	v_cmp_ne_u32_e64 s[18:19], 5, v30
	v_cmp_eq_u32_e32 vcc, 5, v30
	s_andn2_b64 s[10:11], s[20:21], exec
	s_and_b64 s[12:13], s[18:19], exec
	s_or_b64 s[36:37], s[10:11], s[12:13]
	s_andn2_b64 s[10:11], s[24:25], exec
	s_and_b64 s[12:13], vcc, exec
	s_andn2_b64 s[40:41], s[40:41], exec
	s_andn2_b64 s[28:29], s[28:29], exec
	;; [unrolled: 1-line block ×3, first 2 shown]
	s_or_b64 s[18:19], s[10:11], s[12:13]
; %bb.385:                              ;   in Loop: Header=BB7_6 Depth=1
	s_or_b64 exec, exec, s[42:43]
	s_andn2_b64 s[10:11], s[30:31], exec
	s_and_b64 s[12:13], s[40:41], exec
	s_or_b64 s[30:31], s[10:11], s[12:13]
	s_andn2_b64 s[10:11], s[34:35], exec
	s_and_b64 s[12:13], s[28:29], exec
	s_or_b64 s[34:35], s[10:11], s[12:13]
	;; [unrolled: 3-line block ×5, first 2 shown]
	v_mov_b32_e32 v2, v27
	v_mov_b32_e32 v3, v26
	;; [unrolled: 1-line block ×3, first 2 shown]
.LBB7_386:                              ;   in Loop: Header=BB7_6 Depth=1
	s_or_b64 exec, exec, s[26:27]
	s_mov_b64 s[28:29], s[22:23]
	s_mov_b64 s[26:27], s[22:23]
	s_and_saveexec_b64 s[16:17], s[24:25]
.LBB7_387:                              ;   in Loop: Header=BB7_6 Depth=1
	v_mov_b32_e32 v30, 0
	s_andn2_b64 s[22:23], s[22:23], exec
	s_andn2_b64 s[30:31], s[30:31], exec
	;; [unrolled: 1-line block ×5, first 2 shown]
	s_or_b64 s[20:21], s[20:21], exec
.LBB7_388:                              ;   in Loop: Header=BB7_6 Depth=1
	s_or_b64 exec, exec, s[16:17]
	s_andn2_b64 s[10:11], s[82:83], exec
	s_and_b64 s[12:13], s[22:23], exec
	s_or_b64 s[82:83], s[10:11], s[12:13]
	s_andn2_b64 s[10:11], s[90:91], exec
	s_and_b64 s[12:13], s[30:31], exec
	s_or_b64 s[90:91], s[10:11], s[12:13]
	;; [unrolled: 3-line block ×4, first 2 shown]
	s_andn2_b64 s[2:3], s[2:3], exec
	s_and_b64 s[10:11], s[26:27], exec
	s_mov_b64 s[18:19], -1
	s_or_b64 s[2:3], s[2:3], s[10:11]
                                        ; implicit-def: $vgpr26
                                        ; implicit-def: $vgpr27
                                        ; implicit-def: $vgpr29
                                        ; implicit-def: $vgpr28
	s_and_saveexec_b64 s[10:11], s[20:21]
	s_xor_b64 s[16:17], exec, s[10:11]
	s_cbranch_execz .LBB7_5
; %bb.389:                              ;   in Loop: Header=BB7_6 Depth=1
	v_cmp_eq_u32_e32 vcc, 0, v30
	s_mov_b64 s[20:21], -1
	s_and_saveexec_b64 s[22:23], vcc
	s_cbranch_execz .LBB7_4
; %bb.390:                              ;   in Loop: Header=BB7_6 Depth=1
	s_xor_b32 s81, s81, 1
	s_add_i32 s6, s80, -2
	s_cmp_eq_u32 s80, 0
	s_cselect_b64 s[10:11], -1, 0
	s_xor_b64 s[20:21], exec, -1
	s_orn2_b64 s[18:19], s[10:11], exec
	s_mov_b32 s80, s6
	s_branch .LBB7_4
.LBB7_391:
	s_or_b64 exec, exec, s[92:93]
	s_xor_b64 s[16:17], s[72:73], -1
	s_xor_b64 s[20:21], s[70:71], -1
	;; [unrolled: 1-line block ×5, first 2 shown]
	s_mov_b64 s[12:13], 0
	s_and_saveexec_b64 s[6:7], s[4:5]
	s_xor_b64 s[10:11], exec, s[6:7]
	s_cbranch_execnz .LBB7_396
; %bb.392:
	s_andn2_saveexec_b64 s[0:1], s[10:11]
	s_cbranch_execnz .LBB7_415
.LBB7_393:
	s_or_b64 exec, exec, s[0:1]
	s_and_saveexec_b64 s[0:1], s[12:13]
.LBB7_394:
	; divergent unreachable
.LBB7_395:
	s_endpgm
.LBB7_396:
	s_mov_b64 s[14:15], 0
	s_and_saveexec_b64 s[4:5], s[18:19]
	s_xor_b64 s[12:13], exec, s[4:5]
	s_cbranch_execz .LBB7_413
; %bb.397:
	s_mov_b64 s[18:19], 0
	s_and_saveexec_b64 s[4:5], s[20:21]
	s_xor_b64 s[14:15], exec, s[4:5]
	s_cbranch_execz .LBB7_411
; %bb.398:
	s_and_saveexec_b64 s[4:5], s[16:17]
	s_xor_b64 s[16:17], exec, s[4:5]
	s_cbranch_execz .LBB7_409
; %bb.399:
	s_and_saveexec_b64 s[4:5], s[2:3]
	s_xor_b64 s[2:3], exec, s[4:5]
; %bb.400:
	v_mov_b32_e32 v4, v2
; %bb.401:
	s_or_b64 exec, exec, s[2:3]
	s_mov_b64 s[2:3], exec
	v_readlane_b32 s4, v47, 16
	v_readlane_b32 s5, v47, 17
	;; [unrolled: 1-line block ×3, first 2 shown]
	s_and_b64 s[4:5], s[2:3], s[4:5]
	v_readlane_b32 s35, v47, 20
	v_readlane_b32 s22, v47, 48
	s_mov_b64 exec, s[4:5]
	s_cbranch_execz .LBB7_403
; %bb.402:
	v_mov_b32_e32 v1, 0
	ds_write_b32 v1, v1 offset:4108
.LBB7_403:
	s_or_b64 exec, exec, s[2:3]
	v_mov_b32_e32 v1, 0
	s_waitcnt lgkmcnt(0)
	s_barrier
	s_mov_b64 s[2:3], exec
	v_readlane_b32 s4, v47, 30
	v_readlane_b32 s5, v47, 31
	s_and_b64 s[4:5], s[2:3], s[4:5]
	s_mov_b64 exec, s[4:5]
	s_cbranch_execz .LBB7_405
; %bb.404:
	global_load_ubyte v1, v[8:9], off
.LBB7_405:
	s_or_b64 exec, exec, s[2:3]
	v_readlane_b32 s5, v47, 12
	v_readlane_b32 s7, v47, 13
	s_mul_i32 s2, s7, s5
	v_readlane_b32 s6, v47, 18
	s_add_i32 s9, s60, 63
	s_sub_i32 s2, s6, s2
	s_andn2_b32 s9, s9, 63
	s_add_i32 s3, s7, 1
	s_sub_i32 s4, s2, s5
	s_cmp_ge_u32 s2, s5
	s_cselect_b32 s3, s3, s7
	s_cselect_b32 s2, s4, s2
	s_add_i32 s4, s3, 1
	s_cmp_ge_u32 s2, s5
	s_cselect_b32 s2, s4, s3
	s_mul_i32 s3, s2, s5
	v_readlane_b32 s4, v47, 2
	s_sub_i32 s3, s6, s3
	v_readlane_b32 s5, v47, 3
	s_mul_i32 s3, s3, s5
	s_mul_i32 s2, s2, s4
	v_readlane_b32 s7, v47, 14
	v_readlane_b32 s18, v47, 15
	s_add_i32 s4, s2, s3
	s_mul_i32 s2, s18, s7
	s_sub_i32 s2, s6, s2
	s_add_i32 s3, s18, 1
	s_sub_i32 s5, s2, s7
	s_cmp_ge_u32 s2, s7
	s_cselect_b32 s3, s3, s18
	s_cselect_b32 s2, s5, s2
	s_add_i32 s5, s3, 1
	s_cmp_ge_u32 s2, s7
	s_cselect_b32 s2, s5, s3
	s_mul_i32 s3, s2, s7
	s_sub_i32 s3, s6, s3
	v_readlane_b32 s6, v47, 4
	v_readlane_b32 s7, v47, 5
	s_mul_i32 s3, s3, s7
	s_mul_i32 s2, s2, s6
	s_add_i32 s2, s2, s3
	v_readlane_b32 s6, v47, 8
	s_mov_b32 s3, 0
	v_readlane_b32 s7, v47, 9
	s_add_u32 s42, s6, s4
	s_addc_u32 s43, s7, 0
	s_lshl_b64 s[2:3], s[2:3], 3
	v_readlane_b32 s4, v47, 0
	v_readlane_b32 s5, v47, 1
	s_add_u32 s44, s4, s2
	s_addc_u32 s45, s5, s3
	v_readlane_b32 s2, v47, 6
	v_readlane_b32 s3, v47, 7
	s_load_dword s46, s[2:3], 0x1c8
	s_load_dword s47, s[2:3], 0x2a8
	v_add_u32_e32 v2, s33, v0
	v_cmp_gt_u32_e32 vcc, s9, v0
	s_mov_b64 s[20:21], -1
	s_mov_b64 s[2:3], 0
	v_mul_lo_u32 v5, s22, v2
	s_mov_b64 s[4:5], 0
	s_and_saveexec_b64 s[18:19], vcc
	s_cbranch_execnz .LBB7_416
; %bb.406:
	s_or_b64 exec, exec, s[18:19]
	s_and_saveexec_b64 s[18:19], s[20:21]
	s_cbranch_execnz .LBB7_431
.LBB7_407:
	s_or_b64 exec, exec, s[18:19]
	s_and_saveexec_b64 s[0:1], s[4:5]
	s_xor_b64 s[0:1], exec, s[0:1]
	s_cbranch_execnz .LBB7_453
.LBB7_408:
	s_or_b64 exec, exec, s[0:1]
	s_and_b64 s[18:19], s[2:3], exec
.LBB7_409:
	s_andn2_saveexec_b64 s[0:1], s[16:17]
	s_cbranch_execnz .LBB7_456
.LBB7_410:
	s_or_b64 exec, exec, s[0:1]
	s_and_b64 s[18:19], s[18:19], exec
.LBB7_411:
	s_andn2_saveexec_b64 s[0:1], s[14:15]
	s_cbranch_execnz .LBB7_455
.LBB7_412:
	s_or_b64 exec, exec, s[0:1]
	s_and_b64 s[14:15], s[18:19], exec
.LBB7_413:
	s_andn2_saveexec_b64 s[0:1], s[12:13]
	s_cbranch_execnz .LBB7_454
.LBB7_414:
	s_or_b64 exec, exec, s[0:1]
	s_and_b64 s[12:13], s[14:15], exec
	s_andn2_saveexec_b64 s[0:1], s[10:11]
	s_cbranch_execz .LBB7_393
.LBB7_415:
	s_or_b64 s[12:13], s[12:13], exec
	s_trap 2
	s_or_b64 exec, exec, s[0:1]
	s_and_saveexec_b64 s[0:1], s[12:13]
	s_cbranch_execnz .LBB7_394
	s_branch .LBB7_395
.LBB7_416:
	v_mul_lo_u32 v10, s22, v2
	s_mov_b64 s[20:21], 0
	v_mov_b32_e32 v3, 0
	v_mov_b32_e32 v2, v0
                                        ; implicit-def: $sgpr22_sgpr23
                                        ; implicit-def: $vgpr14
	s_branch .LBB7_418
.LBB7_417:                              ;   in Loop: Header=BB7_418 Depth=1
	s_or_b64 exec, exec, s[24:25]
	s_xor_b64 s[6:7], s[28:29], -1
	s_and_b64 s[4:5], exec, s[4:5]
	s_or_b64 s[20:21], s[4:5], s[20:21]
	s_andn2_b64 s[4:5], s[22:23], exec
	s_and_b64 s[6:7], s[6:7], exec
	s_or_b64 s[22:23], s[4:5], s[6:7]
	v_mov_b32_e32 v1, v13
	v_mov_b32_e32 v2, v11
	s_andn2_b64 exec, exec, s[20:21]
	s_cbranch_execz .LBB7_430
.LBB7_418:                              ; =>This Inner Loop Header: Depth=1
	v_add_u32_e32 v11, s33, v2
	v_cmp_gt_u32_e32 vcc, s60, v11
	v_mov_b32_e32 v13, 0
	s_and_saveexec_b64 s[4:5], vcc
	s_cbranch_execz .LBB7_420
; %bb.419:                              ;   in Loop: Header=BB7_418 Depth=1
	global_load_ubyte v13, v10, s[64:65]
.LBB7_420:                              ;   in Loop: Header=BB7_418 Depth=1
	s_or_b64 exec, exec, s[4:5]
	s_waitcnt vmcnt(0)
	v_and_b32_e32 v15, 0xff, v1
	v_cmp_gt_u16_sdwa s[4:5], v15, v4 src0_sel:DWORD src1_sel:BYTE_0
	v_cndmask_b32_e64 v16, 0, 1, s[4:5]
	v_cmp_lt_u16_sdwa s[4:5], v15, v4 src0_sel:DWORD src1_sel:BYTE_0
	v_cndmask_b32_e64 v15, 0, 1, s[4:5]
	v_cndmask_b32_e64 v15, v15, v16, s[34:35]
	v_and_b32_e32 v15, 1, v15
	v_cmp_gt_u32_e32 vcc, s60, v2
	v_cmp_eq_u32_e64 s[4:5], 1, v15
	s_and_b64 s[24:25], vcc, s[4:5]
	v_cndmask_b32_e64 v15, 0, 1, s[24:25]
	v_cmp_ne_u32_e32 vcc, 0, v15
	s_cmp_lg_u64 vcc, 0
	s_cselect_b64 s[4:5], -1, 0
	s_and_b64 s[4:5], s[0:1], s[4:5]
	s_and_saveexec_b64 s[26:27], s[4:5]
	s_cbranch_execz .LBB7_424
; %bb.421:                              ;   in Loop: Header=BB7_418 Depth=1
	s_mov_b64 s[30:31], exec
	s_waitcnt lgkmcnt(0)
	v_mbcnt_lo_u32_b32 v14, s30, 0
	v_mbcnt_hi_u32_b32 v14, s31, v14
	s_bcnt1_i32_b64 s6, vcc
	v_cmp_eq_u32_e64 s[4:5], 0, v14
                                        ; implicit-def: $vgpr15
	s_and_saveexec_b64 s[28:29], s[4:5]
	s_cbranch_execz .LBB7_423
; %bb.422:                              ;   in Loop: Header=BB7_418 Depth=1
	s_bcnt1_i32_b64 s4, s[30:31]
	s_mul_i32 s4, s6, s4
	v_mov_b32_e32 v15, s4
	ds_add_rtn_u32 v15, v3, v15 offset:4108
.LBB7_423:                              ;   in Loop: Header=BB7_418 Depth=1
	s_or_b64 exec, exec, s[28:29]
	s_waitcnt lgkmcnt(0)
	v_readfirstlane_b32 s4, v15
	v_mov_b32_e32 v15, s4
	v_mad_u32_u24 v14, s6, v14, v15
.LBB7_424:                              ;   in Loop: Header=BB7_418 Depth=1
	s_or_b64 exec, exec, s[26:27]
	s_waitcnt lgkmcnt(0)
	ds_bpermute_b32 v14, v12, v14
	s_mov_b64 s[4:5], -1
	s_mov_b64 s[30:31], -1
                                        ; implicit-def: $sgpr28_sgpr29
	s_and_saveexec_b64 s[26:27], s[24:25]
	s_cbranch_execz .LBB7_428
; %bb.425:                              ;   in Loop: Header=BB7_418 Depth=1
	v_and_b32_e32 v16, vcc_lo, v6
	v_and_b32_e32 v15, vcc_hi, v7
	v_bcnt_u32_b32 v16, v16, 0
	v_bcnt_u32_b32 v15, v15, v16
	s_waitcnt lgkmcnt(0)
	v_add_u32_e32 v15, v14, v15
	v_cmp_gt_u32_e32 vcc, s61, v15
	s_mov_b64 s[24:25], 0
	s_and_saveexec_b64 s[28:29], vcc
	s_cbranch_execz .LBB7_427
; %bb.426:                              ;   in Loop: Header=BB7_418 Depth=1
	v_mul_lo_u32 v17, v15, s46
	v_mul_lo_u32 v16, v15, s47
	global_store_byte v17, v1, s[42:43]
	v_mov_b32_e32 v17, v3
	v_lshlrev_b64 v[16:17], 3, v[16:17]
	v_mov_b32_e32 v1, s45
	v_add_co_u32_e32 v16, vcc, s44, v16
	s_mov_b64 s[24:25], exec
	v_addc_co_u32_e32 v17, vcc, v1, v17, vcc
	global_store_dwordx2 v[16:17], v[2:3], off
.LBB7_427:                              ;   in Loop: Header=BB7_418 Depth=1
	s_or_b64 exec, exec, s[28:29]
	s_mov_b64 s[28:29], -1
	s_orn2_b64 s[30:31], s[24:25], exec
.LBB7_428:                              ;   in Loop: Header=BB7_418 Depth=1
	s_or_b64 exec, exec, s[26:27]
	s_and_saveexec_b64 s[24:25], s[30:31]
	s_cbranch_execz .LBB7_417
; %bb.429:                              ;   in Loop: Header=BB7_418 Depth=1
	v_cmp_le_u32_e32 vcc, s9, v11
	v_add_u32_e32 v10, s8, v10
	s_andn2_b64 s[28:29], s[28:29], exec
	s_orn2_b64 s[4:5], vcc, exec
	s_branch .LBB7_417
.LBB7_430:
	s_or_b64 exec, exec, s[20:21]
	s_mov_b64 s[4:5], exec
	s_orn2_b64 s[20:21], s[22:23], exec
	s_or_b64 exec, exec, s[18:19]
	s_and_saveexec_b64 s[18:19], s[20:21]
	s_cbranch_execz .LBB7_407
.LBB7_431:
	s_waitcnt vmcnt(0)
	v_mov_b32_e32 v1, 0
	v_mov_b32_e32 v3, 0
	s_waitcnt lgkmcnt(0)
	s_barrier
	s_mov_b64 s[2:3], exec
	v_readlane_b32 s6, v47, 30
	v_readlane_b32 s7, v47, 31
	s_and_b64 s[6:7], s[2:3], s[6:7]
	s_mov_b64 exec, s[6:7]
	s_cbranch_execz .LBB7_433
; %bb.432:
	global_load_ubyte v3, v[8:9], off
.LBB7_433:
	s_or_b64 exec, exec, s[2:3]
	s_mov_b64 s[20:21], 0
                                        ; implicit-def: $sgpr6_sgpr7
                                        ; implicit-def: $sgpr22_sgpr23
                                        ; implicit-def: $sgpr24_sgpr25
                                        ; implicit-def: $vgpr2
	s_branch .LBB7_436
.LBB7_434:                              ;   in Loop: Header=BB7_436 Depth=1
	s_or_b64 exec, exec, s[30:31]
	s_andn2_b64 s[2:3], s[24:25], exec
	s_and_b64 s[24:25], s[36:37], exec
	s_or_b64 s[24:25], s[2:3], s[24:25]
	s_andn2_b64 s[2:3], s[22:23], exec
	s_and_b64 s[22:23], s[28:29], exec
	s_or_b64 s[22:23], s[2:3], s[22:23]
	v_mov_b32_e32 v0, v8
.LBB7_435:                              ;   in Loop: Header=BB7_436 Depth=1
	s_or_b64 exec, exec, s[26:27]
	s_xor_b64 s[2:3], s[24:25], -1
	s_and_b64 s[26:27], exec, s[22:23]
	s_or_b64 s[20:21], s[26:27], s[20:21]
	s_andn2_b64 s[6:7], s[6:7], exec
	s_and_b64 s[2:3], s[2:3], exec
	s_or_b64 s[6:7], s[6:7], s[2:3]
	s_andn2_b64 exec, exec, s[20:21]
	s_cbranch_execz .LBB7_451
.LBB7_436:                              ; =>This Inner Loop Header: Depth=1
	v_cmp_gt_u32_e32 vcc, s9, v0
	s_or_b64 s[24:25], s[24:25], exec
	s_or_b64 s[22:23], s[22:23], exec
	s_and_saveexec_b64 s[26:27], vcc
	s_cbranch_execz .LBB7_435
; %bb.437:                              ;   in Loop: Header=BB7_436 Depth=1
	v_add_u32_e32 v8, s33, v0
	v_cmp_gt_u32_e32 vcc, s60, v8
	v_mov_b32_e32 v9, 0
	s_and_saveexec_b64 s[2:3], vcc
	s_cbranch_execz .LBB7_439
; %bb.438:                              ;   in Loop: Header=BB7_436 Depth=1
	global_load_ubyte v9, v5, s[64:65]
.LBB7_439:                              ;   in Loop: Header=BB7_436 Depth=1
	s_or_b64 exec, exec, s[2:3]
	s_waitcnt vmcnt(0)
	v_and_b32_e32 v10, 0xff, v3
	v_cmp_gt_u32_e32 vcc, s60, v0
	v_cmp_eq_u16_sdwa s[2:3], v10, v4 src0_sel:DWORD src1_sel:BYTE_0
	s_and_b64 s[30:31], vcc, s[2:3]
	v_cndmask_b32_e64 v10, 0, 1, s[30:31]
	v_cmp_ne_u32_e32 vcc, 0, v10
	s_cmp_lg_u64 vcc, 0
	s_cselect_b64 s[2:3], -1, 0
	s_and_b64 s[2:3], s[0:1], s[2:3]
	s_and_saveexec_b64 s[28:29], s[2:3]
	s_cbranch_execz .LBB7_443
; %bb.440:                              ;   in Loop: Header=BB7_436 Depth=1
	s_mov_b64 s[36:37], exec
	v_mbcnt_lo_u32_b32 v2, s36, 0
	v_mbcnt_hi_u32_b32 v2, s37, v2
	s_bcnt1_i32_b64 s38, vcc
	v_cmp_eq_u32_e64 s[2:3], 0, v2
                                        ; implicit-def: $vgpr10
	s_and_saveexec_b64 s[34:35], s[2:3]
	s_cbranch_execz .LBB7_442
; %bb.441:                              ;   in Loop: Header=BB7_436 Depth=1
	s_bcnt1_i32_b64 s2, s[36:37]
	s_mul_i32 s2, s38, s2
	v_mov_b32_e32 v10, s2
	ds_add_rtn_u32 v10, v1, v10 offset:4108
.LBB7_442:                              ;   in Loop: Header=BB7_436 Depth=1
	s_or_b64 exec, exec, s[34:35]
	s_waitcnt lgkmcnt(0)
	v_readfirstlane_b32 s2, v10
	v_mov_b32_e32 v10, s2
	v_mad_u32_u24 v2, s38, v2, v10
.LBB7_443:                              ;   in Loop: Header=BB7_436 Depth=1
	s_or_b64 exec, exec, s[28:29]
	ds_bpermute_b32 v2, v12, v2
	s_cmp_eq_u64 vcc, 0
	s_cselect_b64 s[34:35], -1, 0
	s_mov_b64 s[28:29], -1
	s_mov_b64 s[36:37], -1
	s_waitcnt lgkmcnt(0)
	v_cmp_gt_u32_e64 s[2:3], s61, v2
	s_or_b64 s[2:3], s[34:35], s[2:3]
	v_cndmask_b32_e64 v3, v3, v9, s[2:3]
	s_and_b64 s[38:39], s[30:31], s[2:3]
	s_mov_b64 s[34:35], -1
	s_and_saveexec_b64 s[30:31], s[38:39]
	s_cbranch_execz .LBB7_449
; %bb.444:                              ;   in Loop: Header=BB7_436 Depth=1
	v_and_b32_e32 v10, vcc_lo, v6
	v_and_b32_e32 v3, vcc_hi, v7
	v_bcnt_u32_b32 v10, v10, 0
	v_bcnt_u32_b32 v3, v3, v10
	v_sub_u32_e32 v10, s61, v2
	v_cmp_le_u32_e64 s[34:35], v10, v3
	v_cmp_gt_u32_e32 vcc, v10, v3
	s_mov_b64 s[38:39], -1
	s_and_saveexec_b64 s[36:37], vcc
	s_cbranch_execz .LBB7_448
; %bb.445:                              ;   in Loop: Header=BB7_436 Depth=1
	v_add_u32_e32 v3, v2, v3
	v_cmp_gt_u32_e32 vcc, s61, v3
	s_mov_b64 s[40:41], s[34:35]
	s_and_saveexec_b64 s[38:39], vcc
	s_cbranch_execz .LBB7_447
; %bb.446:                              ;   in Loop: Header=BB7_436 Depth=1
	v_mul_lo_u32 v11, v3, s46
	v_mul_lo_u32 v10, v3, s47
	global_store_byte v11, v4, s[42:43]
	v_mov_b32_e32 v11, v1
	v_lshlrev_b64 v[10:11], 3, v[10:11]
	v_mov_b32_e32 v3, s45
	v_add_co_u32_e32 v10, vcc, s44, v10
	v_addc_co_u32_e32 v11, vcc, v3, v11, vcc
	s_or_b64 s[40:41], s[34:35], exec
	global_store_dwordx2 v[10:11], v[0:1], off
.LBB7_447:                              ;   in Loop: Header=BB7_436 Depth=1
	s_or_b64 exec, exec, s[38:39]
	s_andn2_b64 s[34:35], s[34:35], exec
	s_and_b64 s[40:41], s[40:41], exec
	s_xor_b64 s[38:39], exec, -1
	s_or_b64 s[34:35], s[34:35], s[40:41]
.LBB7_448:                              ;   in Loop: Header=BB7_436 Depth=1
	s_or_b64 exec, exec, s[36:37]
	s_orn2_b64 s[36:37], s[38:39], exec
	s_or_b64 s[2:3], s[2:3], exec
	s_orn2_b64 s[34:35], s[34:35], exec
	v_mov_b32_e32 v3, v9
.LBB7_449:                              ;   in Loop: Header=BB7_436 Depth=1
	s_or_b64 exec, exec, s[30:31]
	s_and_saveexec_b64 s[30:31], s[34:35]
	s_cbranch_execz .LBB7_434
; %bb.450:                              ;   in Loop: Header=BB7_436 Depth=1
	s_xor_b64 s[2:3], s[2:3], -1
	v_add_u32_e32 v5, s8, v5
	s_or_b64 s[36:37], s[36:37], exec
	s_orn2_b64 s[28:29], s[2:3], exec
	s_branch .LBB7_434
.LBB7_451:
	s_or_b64 exec, exec, s[20:21]
	s_mov_b64 s[0:1], 0
	s_and_saveexec_b64 s[2:3], s[6:7]
	s_xor_b64 s[2:3], exec, s[2:3]
	s_cbranch_execnz .LBB7_457
.LBB7_452:
	s_or_b64 exec, exec, s[2:3]
	s_and_b64 s[2:3], s[0:1], exec
	s_andn2_b64 s[4:5], s[4:5], exec
	s_or_b64 exec, exec, s[18:19]
	s_and_saveexec_b64 s[0:1], s[4:5]
	s_xor_b64 s[0:1], exec, s[0:1]
	s_cbranch_execz .LBB7_408
.LBB7_453:
	s_or_b64 s[2:3], s[2:3], exec
	s_trap 2
	s_branch .LBB7_408
.LBB7_454:
	s_or_b64 s[14:15], s[14:15], exec
	s_trap 2
	s_branch .LBB7_414
.LBB7_455:
	s_or_b64 s[18:19], s[18:19], exec
	s_trap 2
	s_branch .LBB7_412
.LBB7_456:
	s_trap 2
	s_or_b64 s[18:19], s[18:19], exec
	s_branch .LBB7_410
.LBB7_457:
	s_mov_b64 s[0:1], exec
	s_trap 2
	s_branch .LBB7_452
	.section	.rodata,"a",@progbits
	.p2align	6, 0x0
	.amdhsa_kernel _ZN2at6native6sbtopk10gatherTopKIhjLi2ELb0EEEvNS_4cuda6detail10TensorInfoIKT_T0_EES8_S8_bS8_S8_NS5_IS6_S8_EES8_NS5_IlS8_EES8_PS6_
		.amdhsa_group_segment_fixed_size 4112
		.amdhsa_private_segment_fixed_size 0
		.amdhsa_kernarg_size 952
		.amdhsa_user_sgpr_count 6
		.amdhsa_user_sgpr_private_segment_buffer 1
		.amdhsa_user_sgpr_dispatch_ptr 0
		.amdhsa_user_sgpr_queue_ptr 0
		.amdhsa_user_sgpr_kernarg_segment_ptr 1
		.amdhsa_user_sgpr_dispatch_id 0
		.amdhsa_user_sgpr_flat_scratch_init 0
		.amdhsa_user_sgpr_kernarg_preload_length 0
		.amdhsa_user_sgpr_kernarg_preload_offset 0
		.amdhsa_user_sgpr_private_segment_size 0
		.amdhsa_uses_dynamic_stack 0
		.amdhsa_system_sgpr_private_segment_wavefront_offset 0
		.amdhsa_system_sgpr_workgroup_id_x 1
		.amdhsa_system_sgpr_workgroup_id_y 1
		.amdhsa_system_sgpr_workgroup_id_z 1
		.amdhsa_system_sgpr_workgroup_info 0
		.amdhsa_system_vgpr_workitem_id 0
		.amdhsa_next_free_vgpr 48
		.amdhsa_next_free_sgpr 96
		.amdhsa_accum_offset 48
		.amdhsa_reserve_vcc 1
		.amdhsa_reserve_flat_scratch 0
		.amdhsa_float_round_mode_32 0
		.amdhsa_float_round_mode_16_64 0
		.amdhsa_float_denorm_mode_32 3
		.amdhsa_float_denorm_mode_16_64 3
		.amdhsa_dx10_clamp 1
		.amdhsa_ieee_mode 1
		.amdhsa_fp16_overflow 0
		.amdhsa_tg_split 0
		.amdhsa_exception_fp_ieee_invalid_op 0
		.amdhsa_exception_fp_denorm_src 0
		.amdhsa_exception_fp_ieee_div_zero 0
		.amdhsa_exception_fp_ieee_overflow 0
		.amdhsa_exception_fp_ieee_underflow 0
		.amdhsa_exception_fp_ieee_inexact 0
		.amdhsa_exception_int_div_zero 0
	.end_amdhsa_kernel
	.section	.text._ZN2at6native6sbtopk10gatherTopKIhjLi2ELb0EEEvNS_4cuda6detail10TensorInfoIKT_T0_EES8_S8_bS8_S8_NS5_IS6_S8_EES8_NS5_IlS8_EES8_PS6_,"axG",@progbits,_ZN2at6native6sbtopk10gatherTopKIhjLi2ELb0EEEvNS_4cuda6detail10TensorInfoIKT_T0_EES8_S8_bS8_S8_NS5_IS6_S8_EES8_NS5_IlS8_EES8_PS6_,comdat
.Lfunc_end7:
	.size	_ZN2at6native6sbtopk10gatherTopKIhjLi2ELb0EEEvNS_4cuda6detail10TensorInfoIKT_T0_EES8_S8_bS8_S8_NS5_IS6_S8_EES8_NS5_IlS8_EES8_PS6_, .Lfunc_end7-_ZN2at6native6sbtopk10gatherTopKIhjLi2ELb0EEEvNS_4cuda6detail10TensorInfoIKT_T0_EES8_S8_bS8_S8_NS5_IS6_S8_EES8_NS5_IlS8_EES8_PS6_
                                        ; -- End function
	.section	.AMDGPU.csdata,"",@progbits
; Kernel info:
; codeLenInByte = 15008
; NumSgprs: 100
; NumVgprs: 48
; NumAgprs: 0
; TotalNumVgprs: 48
; ScratchSize: 0
; MemoryBound: 0
; FloatMode: 240
; IeeeMode: 1
; LDSByteSize: 4112 bytes/workgroup (compile time only)
; SGPRBlocks: 12
; VGPRBlocks: 5
; NumSGPRsForWavesPerEU: 100
; NumVGPRsForWavesPerEU: 48
; AccumOffset: 48
; Occupancy: 8
; WaveLimiterHint : 1
; COMPUTE_PGM_RSRC2:SCRATCH_EN: 0
; COMPUTE_PGM_RSRC2:USER_SGPR: 6
; COMPUTE_PGM_RSRC2:TRAP_HANDLER: 0
; COMPUTE_PGM_RSRC2:TGID_X_EN: 1
; COMPUTE_PGM_RSRC2:TGID_Y_EN: 1
; COMPUTE_PGM_RSRC2:TGID_Z_EN: 1
; COMPUTE_PGM_RSRC2:TIDIG_COMP_CNT: 0
; COMPUTE_PGM_RSRC3_GFX90A:ACCUM_OFFSET: 11
; COMPUTE_PGM_RSRC3_GFX90A:TG_SPLIT: 0
	.section	.text._ZN2at6native6mbtopk23computeBlockDigitCountsIhjjLi3EEEvNS_4cuda6detail10TensorInfoIKT_T0_EEjPjjS8_iijT1_PSB_Ps,"axG",@progbits,_ZN2at6native6mbtopk23computeBlockDigitCountsIhjjLi3EEEvNS_4cuda6detail10TensorInfoIKT_T0_EEjPjjS8_iijT1_PSB_Ps,comdat
	.protected	_ZN2at6native6mbtopk23computeBlockDigitCountsIhjjLi3EEEvNS_4cuda6detail10TensorInfoIKT_T0_EEjPjjS8_iijT1_PSB_Ps ; -- Begin function _ZN2at6native6mbtopk23computeBlockDigitCountsIhjjLi3EEEvNS_4cuda6detail10TensorInfoIKT_T0_EEjPjjS8_iijT1_PSB_Ps
	.globl	_ZN2at6native6mbtopk23computeBlockDigitCountsIhjjLi3EEEvNS_4cuda6detail10TensorInfoIKT_T0_EEjPjjS8_iijT1_PSB_Ps
	.p2align	8
	.type	_ZN2at6native6mbtopk23computeBlockDigitCountsIhjjLi3EEEvNS_4cuda6detail10TensorInfoIKT_T0_EEjPjjS8_iijT1_PSB_Ps,@function
_ZN2at6native6mbtopk23computeBlockDigitCountsIhjjLi3EEEvNS_4cuda6detail10TensorInfoIKT_T0_EEjPjjS8_iijT1_PSB_Ps: ; @_ZN2at6native6mbtopk23computeBlockDigitCountsIhjjLi3EEEvNS_4cuda6detail10TensorInfoIKT_T0_EEjPjjS8_iijT1_PSB_Ps
; %bb.0:
	s_load_dwordx2 s[10:11], s[4:5], 0xf8
	s_load_dwordx4 s[12:15], s[4:5], 0xe8
	s_load_dwordx2 s[0:1], s[4:5], 0x110
	s_mov_b32 s9, 0
	s_waitcnt lgkmcnt(0)
	v_cvt_f32_u32_e32 v1, s10
	s_sub_i32 s2, 0, s10
	s_mul_i32 s1, s1, s8
	s_add_i32 s1, s1, s7
	v_rcp_iflag_f32_e32 v1, v1
	s_mul_i32 s18, s1, s0
	s_add_i32 s18, s18, s6
	v_mul_f32_e32 v1, 0x4f7ffffe, v1
	v_cvt_u32_f32_e32 v1, v1
	v_readfirstlane_b32 s0, v1
	s_mul_i32 s2, s2, s0
	s_mul_hi_u32 s1, s0, s2
	s_add_i32 s0, s0, s1
	s_mul_hi_u32 s0, s18, s0
	s_mul_i32 s1, s0, s10
	s_sub_i32 s1, s18, s1
	s_add_i32 s2, s0, 1
	s_sub_i32 s3, s1, s10
	s_cmp_ge_u32 s1, s10
	s_cselect_b32 s0, s2, s0
	s_cselect_b32 s1, s3, s1
	s_add_i32 s2, s0, 1
	s_cmp_ge_u32 s1, s10
	s_cselect_b32 s8, s2, s0
	s_cmp_ge_u32 s8, s12
	s_cbranch_scc1 .LBB8_29
; %bb.1:
	s_load_dwordx2 s[6:7], s[4:5], 0xc
	s_load_dwordx4 s[0:3], s[4:5], 0x100
	s_lshl_b64 s[16:17], s[8:9], 2
	s_movk_i32 s9, 0x100
	v_cmp_gt_u32_e32 vcc, s9, v0
	s_waitcnt lgkmcnt(0)
	v_cvt_f32_u32_e32 v1, s7
	v_cvt_f32_u32_e32 v2, s6
	s_add_u32 s0, s0, s16
	s_addc_u32 s1, s1, s17
	v_rcp_iflag_f32_e32 v1, v1
	s_sub_i32 s12, 0, s7
	v_rcp_iflag_f32_e32 v2, v2
	v_mul_f32_e32 v1, 0x4f7ffffe, v1
	v_cvt_u32_f32_e32 v1, v1
	v_mul_f32_e32 v2, 0x4f7ffffe, v2
	v_cvt_u32_f32_e32 v2, v2
	v_readfirstlane_b32 s16, v1
	s_mul_i32 s12, s12, s16
	s_mul_hi_u32 s12, s16, s12
	s_add_i32 s16, s16, s12
	s_mul_hi_u32 s12, s8, s16
	s_mul_i32 s16, s12, s7
	s_sub_i32 s16, s8, s16
	s_add_i32 s17, s12, 1
	s_sub_i32 s19, s16, s7
	s_cmp_ge_u32 s16, s7
	s_cselect_b32 s12, s17, s12
	s_cselect_b32 s16, s19, s16
	s_add_i32 s17, s12, 1
	s_cmp_ge_u32 s16, s7
	v_readfirstlane_b32 s20, v2
	s_cselect_b32 s19, s17, s12
	v_lshlrev_b32_e32 v1, 2, v0
	s_and_saveexec_b64 s[16:17], vcc
	s_cbranch_execz .LBB8_3
; %bb.2:
	v_mov_b32_e32 v2, 0
	ds_write_b32 v1, v2
.LBB8_3:
	s_or_b64 exec, exec, s[16:17]
	s_load_dword s9, s[4:5], 0xd8
	s_mul_i32 s12, s8, s10
	s_sub_i32 s12, s18, s12
	s_add_i32 s16, s12, 1
	s_mul_i32 s12, s15, s12
	s_lshl_b32 s12, s12, 8
	s_waitcnt lgkmcnt(0)
	s_sub_i32 s17, s9, s12
	s_add_u32 s17, s17, 0xff
	s_addc_u32 s21, 0, 0
	v_mov_b32_e32 v2, s17
	v_alignbit_b32 v2, s21, v2, 8
	s_cmp_lt_u32 s16, s10
	v_readfirstlane_b32 s10, v2
	s_cselect_b32 s16, s15, s10
	s_cmp_lt_i32 s16, 1
	s_mov_b32 s15, 0
	s_barrier
	s_cbranch_scc1 .LBB8_25
; %bb.4:
	s_sub_i32 s10, 0, s6
	s_mul_i32 s10, s10, s20
	s_mul_hi_u32 s10, s20, s10
	s_add_i32 s10, s20, s10
	s_load_dwordx4 s[20:23], s[4:5], 0x6c
	s_load_dwordx2 s[24:25], s[4:5], 0x0
	s_mul_hi_u32 s4, s19, s10
	s_load_dword s10, s[0:1], 0x0
	s_mul_i32 s1, s4, s6
	s_mul_i32 s0, s19, s7
	s_sub_i32 s1, s19, s1
	s_sub_i32 s0, s8, s0
	s_add_i32 s5, s4, 1
	s_sub_i32 s7, s1, s6
	s_cmp_ge_u32 s1, s6
	s_cselect_b32 s4, s5, s4
	s_cselect_b32 s1, s7, s1
	s_add_i32 s5, s4, 1
	s_cmp_ge_u32 s1, s6
	s_cselect_b32 s1, s5, s4
	s_mul_i32 s4, s1, s6
	s_sub_i32 s4, s19, s4
	s_waitcnt lgkmcnt(0)
	s_mul_i32 s0, s0, s22
	s_mul_i32 s4, s4, s21
	s_add_i32 s0, s4, s0
	s_mul_i32 s1, s1, s20
	s_add_i32 s0, s0, s1
	s_add_u32 s4, s24, s0
	s_addc_u32 s5, s25, 0
	s_and_b32 s8, s14, 0xff
	s_cmp_lt_u32 s16, 4
	s_cbranch_scc1 .LBB8_19
; %bb.5:
	v_add_u32_e32 v6, s12, v0
	v_add_u32_e32 v2, 0x300, v6
	v_add_u32_e32 v4, 0x200, v6
	v_add_u32_e32 v5, 0x100, v6
	s_and_b32 s15, s16, 0x7ffffffc
	v_mul_lo_u32 v3, s13, v2
	s_lshl_b32 s14, s13, 10
	v_mul_lo_u32 v4, s13, v4
	v_mul_lo_u32 v5, s13, v5
	;; [unrolled: 1-line block ×3, first 2 shown]
	s_mov_b32 s17, 0
	v_mov_b32_e32 v7, 1
	s_mov_b32 s19, 0
	s_branch .LBB8_7
.LBB8_6:                                ;   in Loop: Header=BB8_7 Depth=1
	s_or_b64 exec, exec, s[6:7]
	s_add_i32 s19, s19, 4
	s_add_i32 s17, s17, s14
	s_cmp_eq_u32 s15, s19
	v_add_u32_e32 v2, 0x400, v2
	s_cbranch_scc1 .LBB8_19
.LBB8_7:                                ; =>This Inner Loop Header: Depth=1
	v_add_u32_e32 v8, 0xfffffd00, v2
	v_cmp_gt_u32_e64 s[0:1], s9, v8
	s_and_saveexec_b64 s[6:7], s[0:1]
	s_cbranch_execz .LBB8_10
; %bb.8:                                ;   in Loop: Header=BB8_7 Depth=1
	v_add_u32_e32 v8, s17, v6
	global_load_ubyte v8, v8, s[4:5]
	s_waitcnt vmcnt(0)
	v_xor_b32_e32 v9, s10, v8
	v_and_b32_e32 v9, s11, v9
	v_cmp_eq_u32_e64 s[0:1], 0, v9
	s_and_b64 exec, exec, s[0:1]
	s_cbranch_execz .LBB8_10
; %bb.9:                                ;   in Loop: Header=BB8_7 Depth=1
	v_lshrrev_b32_e32 v8, s8, v8
	v_lshlrev_b32_e32 v8, 2, v8
	ds_add_u32 v8, v7
.LBB8_10:                               ;   in Loop: Header=BB8_7 Depth=1
	s_or_b64 exec, exec, s[6:7]
	v_add_u32_e32 v8, 0xfffffe00, v2
	v_cmp_gt_u32_e64 s[0:1], s9, v8
	s_and_saveexec_b64 s[6:7], s[0:1]
	s_cbranch_execz .LBB8_13
; %bb.11:                               ;   in Loop: Header=BB8_7 Depth=1
	v_add_u32_e32 v8, s17, v5
	global_load_ubyte v8, v8, s[4:5]
	s_waitcnt vmcnt(0)
	v_xor_b32_e32 v9, s10, v8
	v_and_b32_e32 v9, s11, v9
	v_cmp_eq_u32_e64 s[0:1], 0, v9
	s_and_b64 exec, exec, s[0:1]
	s_cbranch_execz .LBB8_13
; %bb.12:                               ;   in Loop: Header=BB8_7 Depth=1
	v_lshrrev_b32_e32 v8, s8, v8
	v_lshlrev_b32_e32 v8, 2, v8
	ds_add_u32 v8, v7
.LBB8_13:                               ;   in Loop: Header=BB8_7 Depth=1
	s_or_b64 exec, exec, s[6:7]
	v_add_u32_e32 v8, 0xffffff00, v2
	v_cmp_gt_u32_e64 s[0:1], s9, v8
	s_and_saveexec_b64 s[6:7], s[0:1]
	s_cbranch_execz .LBB8_16
; %bb.14:                               ;   in Loop: Header=BB8_7 Depth=1
	v_add_u32_e32 v8, s17, v4
	global_load_ubyte v8, v8, s[4:5]
	s_waitcnt vmcnt(0)
	v_xor_b32_e32 v9, s10, v8
	v_and_b32_e32 v9, s11, v9
	v_cmp_eq_u32_e64 s[0:1], 0, v9
	s_and_b64 exec, exec, s[0:1]
	s_cbranch_execz .LBB8_16
; %bb.15:                               ;   in Loop: Header=BB8_7 Depth=1
	v_lshrrev_b32_e32 v8, s8, v8
	v_lshlrev_b32_e32 v8, 2, v8
	ds_add_u32 v8, v7
.LBB8_16:                               ;   in Loop: Header=BB8_7 Depth=1
	s_or_b64 exec, exec, s[6:7]
	v_cmp_gt_u32_e64 s[0:1], s9, v2
	s_and_saveexec_b64 s[6:7], s[0:1]
	s_cbranch_execz .LBB8_6
; %bb.17:                               ;   in Loop: Header=BB8_7 Depth=1
	v_add_u32_e32 v8, s17, v3
	global_load_ubyte v8, v8, s[4:5]
	s_waitcnt vmcnt(0)
	v_xor_b32_e32 v9, s10, v8
	v_and_b32_e32 v9, s11, v9
	v_cmp_eq_u32_e64 s[0:1], 0, v9
	s_and_b64 exec, exec, s[0:1]
	s_cbranch_execz .LBB8_6
; %bb.18:                               ;   in Loop: Header=BB8_7 Depth=1
	v_lshrrev_b32_e32 v8, s8, v8
	v_lshlrev_b32_e32 v8, 2, v8
	ds_add_u32 v8, v7
	s_branch .LBB8_6
.LBB8_19:
	s_and_b32 s14, s16, 3
	s_cmp_eq_u32 s14, 0
	s_cbranch_scc1 .LBB8_25
; %bb.20:
	s_lshl_b32 s0, s15, 8
	s_add_i32 s0, s0, s12
	v_add_u32_e32 v2, s0, v0
	v_mul_lo_u32 v3, s13, v2
	s_lshl_b32 s12, s13, 8
	v_mov_b32_e32 v4, 1
	s_branch .LBB8_22
.LBB8_21:                               ;   in Loop: Header=BB8_22 Depth=1
	s_or_b64 exec, exec, s[6:7]
	s_add_i32 s14, s14, -1
	v_add_u32_e32 v3, s12, v3
	s_cmp_lg_u32 s14, 0
	v_add_u32_e32 v2, 0x100, v2
	s_cbranch_scc0 .LBB8_25
.LBB8_22:                               ; =>This Inner Loop Header: Depth=1
	v_cmp_gt_u32_e64 s[0:1], s9, v2
	s_and_saveexec_b64 s[6:7], s[0:1]
	s_cbranch_execz .LBB8_21
; %bb.23:                               ;   in Loop: Header=BB8_22 Depth=1
	global_load_ubyte v5, v3, s[4:5]
	s_waitcnt vmcnt(0)
	v_xor_b32_e32 v6, s10, v5
	v_and_b32_e32 v6, s11, v6
	v_cmp_eq_u32_e64 s[0:1], 0, v6
	s_and_b64 exec, exec, s[0:1]
	s_cbranch_execz .LBB8_21
; %bb.24:                               ;   in Loop: Header=BB8_22 Depth=1
	v_lshrrev_b32_e32 v5, s8, v5
	v_lshlrev_b32_e32 v5, 2, v5
	ds_add_u32 v5, v4
	s_branch .LBB8_21
.LBB8_25:
	v_mov_b32_e32 v2, 0
	s_waitcnt lgkmcnt(0)
	s_barrier
	s_and_saveexec_b64 s[0:1], vcc
	s_cbranch_execz .LBB8_27
; %bb.26:
	ds_read_b32 v2, v1
.LBB8_27:
	s_or_b64 exec, exec, s[0:1]
	s_and_saveexec_b64 s[0:1], vcc
	s_cbranch_execz .LBB8_29
; %bb.28:
	v_lshl_or_b32 v0, s18, 8, v0
	v_mov_b32_e32 v1, 0
	v_lshlrev_b64 v[0:1], 1, v[0:1]
	v_mov_b32_e32 v3, s3
	v_add_co_u32_e32 v0, vcc, s2, v0
	v_addc_co_u32_e32 v1, vcc, v3, v1, vcc
	s_waitcnt lgkmcnt(0)
	global_store_short v[0:1], v2, off
.LBB8_29:
	s_endpgm
	.section	.rodata,"a",@progbits
	.p2align	6, 0x0
	.amdhsa_kernel _ZN2at6native6mbtopk23computeBlockDigitCountsIhjjLi3EEEvNS_4cuda6detail10TensorInfoIKT_T0_EEjPjjS8_iijT1_PSB_Ps
		.amdhsa_group_segment_fixed_size 1024
		.amdhsa_private_segment_fixed_size 0
		.amdhsa_kernarg_size 528
		.amdhsa_user_sgpr_count 6
		.amdhsa_user_sgpr_private_segment_buffer 1
		.amdhsa_user_sgpr_dispatch_ptr 0
		.amdhsa_user_sgpr_queue_ptr 0
		.amdhsa_user_sgpr_kernarg_segment_ptr 1
		.amdhsa_user_sgpr_dispatch_id 0
		.amdhsa_user_sgpr_flat_scratch_init 0
		.amdhsa_user_sgpr_kernarg_preload_length 0
		.amdhsa_user_sgpr_kernarg_preload_offset 0
		.amdhsa_user_sgpr_private_segment_size 0
		.amdhsa_uses_dynamic_stack 0
		.amdhsa_system_sgpr_private_segment_wavefront_offset 0
		.amdhsa_system_sgpr_workgroup_id_x 1
		.amdhsa_system_sgpr_workgroup_id_y 1
		.amdhsa_system_sgpr_workgroup_id_z 1
		.amdhsa_system_sgpr_workgroup_info 0
		.amdhsa_system_vgpr_workitem_id 0
		.amdhsa_next_free_vgpr 10
		.amdhsa_next_free_sgpr 26
		.amdhsa_accum_offset 12
		.amdhsa_reserve_vcc 1
		.amdhsa_reserve_flat_scratch 0
		.amdhsa_float_round_mode_32 0
		.amdhsa_float_round_mode_16_64 0
		.amdhsa_float_denorm_mode_32 3
		.amdhsa_float_denorm_mode_16_64 3
		.amdhsa_dx10_clamp 1
		.amdhsa_ieee_mode 1
		.amdhsa_fp16_overflow 0
		.amdhsa_tg_split 0
		.amdhsa_exception_fp_ieee_invalid_op 0
		.amdhsa_exception_fp_denorm_src 0
		.amdhsa_exception_fp_ieee_div_zero 0
		.amdhsa_exception_fp_ieee_overflow 0
		.amdhsa_exception_fp_ieee_underflow 0
		.amdhsa_exception_fp_ieee_inexact 0
		.amdhsa_exception_int_div_zero 0
	.end_amdhsa_kernel
	.section	.text._ZN2at6native6mbtopk23computeBlockDigitCountsIhjjLi3EEEvNS_4cuda6detail10TensorInfoIKT_T0_EEjPjjS8_iijT1_PSB_Ps,"axG",@progbits,_ZN2at6native6mbtopk23computeBlockDigitCountsIhjjLi3EEEvNS_4cuda6detail10TensorInfoIKT_T0_EEjPjjS8_iijT1_PSB_Ps,comdat
.Lfunc_end8:
	.size	_ZN2at6native6mbtopk23computeBlockDigitCountsIhjjLi3EEEvNS_4cuda6detail10TensorInfoIKT_T0_EEjPjjS8_iijT1_PSB_Ps, .Lfunc_end8-_ZN2at6native6mbtopk23computeBlockDigitCountsIhjjLi3EEEvNS_4cuda6detail10TensorInfoIKT_T0_EEjPjjS8_iijT1_PSB_Ps
                                        ; -- End function
	.section	.AMDGPU.csdata,"",@progbits
; Kernel info:
; codeLenInByte = 1228
; NumSgprs: 30
; NumVgprs: 10
; NumAgprs: 0
; TotalNumVgprs: 10
; ScratchSize: 0
; MemoryBound: 0
; FloatMode: 240
; IeeeMode: 1
; LDSByteSize: 1024 bytes/workgroup (compile time only)
; SGPRBlocks: 3
; VGPRBlocks: 1
; NumSGPRsForWavesPerEU: 30
; NumVGPRsForWavesPerEU: 10
; AccumOffset: 12
; Occupancy: 8
; WaveLimiterHint : 1
; COMPUTE_PGM_RSRC2:SCRATCH_EN: 0
; COMPUTE_PGM_RSRC2:USER_SGPR: 6
; COMPUTE_PGM_RSRC2:TRAP_HANDLER: 0
; COMPUTE_PGM_RSRC2:TGID_X_EN: 1
; COMPUTE_PGM_RSRC2:TGID_Y_EN: 1
; COMPUTE_PGM_RSRC2:TGID_Z_EN: 1
; COMPUTE_PGM_RSRC2:TIDIG_COMP_CNT: 0
; COMPUTE_PGM_RSRC3_GFX90A:ACCUM_OFFSET: 2
; COMPUTE_PGM_RSRC3_GFX90A:TG_SPLIT: 0
	.section	.text._ZN2at6native6mbtopk10gatherTopKIhjLi3EEEvNS_4cuda6detail10TensorInfoIKT_T0_EES8_S8_bjS8_NS5_IS6_S8_EES8_NS5_IlS8_EES8_jjPS6_PjSD_j,"axG",@progbits,_ZN2at6native6mbtopk10gatherTopKIhjLi3EEEvNS_4cuda6detail10TensorInfoIKT_T0_EES8_S8_bjS8_NS5_IS6_S8_EES8_NS5_IlS8_EES8_jjPS6_PjSD_j,comdat
	.protected	_ZN2at6native6mbtopk10gatherTopKIhjLi3EEEvNS_4cuda6detail10TensorInfoIKT_T0_EES8_S8_bjS8_NS5_IS6_S8_EES8_NS5_IlS8_EES8_jjPS6_PjSD_j ; -- Begin function _ZN2at6native6mbtopk10gatherTopKIhjLi3EEEvNS_4cuda6detail10TensorInfoIKT_T0_EES8_S8_bjS8_NS5_IS6_S8_EES8_NS5_IlS8_EES8_jjPS6_PjSD_j
	.globl	_ZN2at6native6mbtopk10gatherTopKIhjLi3EEEvNS_4cuda6detail10TensorInfoIKT_T0_EES8_S8_bjS8_NS5_IS6_S8_EES8_NS5_IlS8_EES8_jjPS6_PjSD_j
	.p2align	8
	.type	_ZN2at6native6mbtopk10gatherTopKIhjLi3EEEvNS_4cuda6detail10TensorInfoIKT_T0_EES8_S8_bjS8_NS5_IS6_S8_EES8_NS5_IlS8_EES8_jjPS6_PjSD_j,@function
_ZN2at6native6mbtopk10gatherTopKIhjLi3EEEvNS_4cuda6detail10TensorInfoIKT_T0_EES8_S8_bjS8_NS5_IS6_S8_EES8_NS5_IlS8_EES8_jjPS6_PjSD_j: ; @_ZN2at6native6mbtopk10gatherTopKIhjLi3EEEvNS_4cuda6detail10TensorInfoIKT_T0_EES8_S8_bjS8_NS5_IS6_S8_EES8_NS5_IlS8_EES8_jjPS6_PjSD_j
; %bb.0:
	s_load_dwordx2 s[0:1], s[4:5], 0x2d8
	s_load_dword s2, s[4:5], 0x2d0
	s_waitcnt lgkmcnt(0)
	s_mul_i32 s1, s1, s8
	s_add_i32 s1, s1, s7
	s_mul_i32 s0, s1, s0
	s_add_i32 s0, s0, s6
	s_cmp_ge_u32 s0, s2
	s_cbranch_scc1 .LBB9_40
; %bb.1:
	s_load_dwordx8 s[8:15], s[4:5], 0x2a8
	s_load_dwordx4 s[16:19], s[4:5], 0x23c
	s_load_dwordx2 s[36:37], s[4:5], 0x1dc
	s_load_dwordx2 s[6:7], s[4:5], 0x1d0
	s_load_dwordx4 s[20:23], s[4:5], 0x15c
	s_load_dwordx2 s[40:41], s[4:5], 0xfc
	s_load_dwordx2 s[34:35], s[4:5], 0xf0
	s_load_dwordx4 s[24:27], s[4:5], 0x6c
	s_load_dwordx2 s[38:39], s[4:5], 0x0
	s_load_dwordx2 s[42:43], s[4:5], 0xc
	s_mov_b32 s45, 0
	s_waitcnt lgkmcnt(0)
	v_cvt_f32_u32_e32 v1, s10
	s_sub_i32 s1, 0, s10
	v_cvt_f32_u32_e32 v2, s43
	v_rcp_iflag_f32_e32 v1, v1
	v_mul_f32_e32 v1, 0x4f7ffffe, v1
	v_cvt_u32_f32_e32 v1, v1
	v_readfirstlane_b32 s2, v1
	s_mul_i32 s1, s1, s2
	s_mul_hi_u32 s1, s2, s1
	s_add_i32 s2, s2, s1
	s_mul_hi_u32 s1, s0, s2
	v_rcp_iflag_f32_e32 v1, v2
	s_mul_i32 s2, s1, s10
	s_sub_i32 s2, s0, s2
	s_add_i32 s3, s1, 1
	s_sub_i32 s11, s2, s10
	s_cmp_ge_u32 s2, s10
	v_mul_f32_e32 v1, 0x4f7ffffe, v1
	s_cselect_b32 s1, s3, s1
	v_cvt_u32_f32_e32 v1, v1
	s_cselect_b32 s2, s11, s2
	s_add_i32 s3, s1, 1
	s_cmp_ge_u32 s2, s10
	s_cselect_b32 s11, s3, s1
	v_readfirstlane_b32 s1, v1
	v_mov_b32_e32 v1, s11
	global_load_ubyte v5, v1, s[12:13]
	v_cvt_f32_u32_e32 v1, s42
	s_mul_i32 s44, s11, s10
	s_sub_i32 s19, s0, s44
	s_sub_i32 s0, 0, s43
	s_mul_i32 s0, s0, s1
	s_mul_hi_u32 s0, s1, s0
	v_rcp_iflag_f32_e32 v1, v1
	s_add_i32 s1, s1, s0
	v_cvt_f32_u32_e32 v2, s41
	s_mul_hi_u32 s0, s11, s1
	s_mul_i32 s1, s0, s43
	s_sub_i32 s1, s11, s1
	v_mul_f32_e32 v1, 0x4f7ffffe, v1
	s_add_i32 s2, s0, 1
	s_sub_i32 s3, s1, s43
	v_cvt_u32_f32_e32 v1, v1
	v_rcp_iflag_f32_e32 v2, v2
	s_cmp_ge_u32 s1, s43
	s_cselect_b32 s0, s2, s0
	s_cselect_b32 s1, s3, s1
	s_add_i32 s2, s0, 1
	s_cmp_ge_u32 s1, s43
	v_readfirstlane_b32 s1, v1
	v_mul_f32_e32 v1, 0x4f7ffffe, v2
	s_cselect_b32 s23, s2, s0
	s_sub_i32 s0, 0, s42
	v_cvt_u32_f32_e32 v1, v1
	s_mul_i32 s0, s0, s1
	s_mul_hi_u32 s0, s1, s0
	s_add_i32 s1, s1, s0
	s_mul_hi_u32 s33, s23, s1
	v_readfirstlane_b32 s1, v1
	v_cvt_f32_u32_e32 v1, s40
	s_sub_i32 s0, 0, s41
	s_mul_i32 s0, s0, s1
	s_mul_hi_u32 s0, s1, s0
	v_rcp_iflag_f32_e32 v1, v1
	s_add_i32 s1, s1, s0
	v_cvt_f32_u32_e32 v2, s37
	s_mul_hi_u32 s0, s11, s1
	s_mul_i32 s1, s0, s41
	s_sub_i32 s1, s11, s1
	v_mul_f32_e32 v1, 0x4f7ffffe, v1
	s_add_i32 s2, s0, 1
	s_sub_i32 s3, s1, s41
	v_cvt_u32_f32_e32 v1, v1
	v_rcp_iflag_f32_e32 v2, v2
	s_cmp_ge_u32 s1, s41
	s_cselect_b32 s0, s2, s0
	s_cselect_b32 s1, s3, s1
	s_add_i32 s2, s0, 1
	s_cmp_ge_u32 s1, s41
	v_readfirstlane_b32 s1, v1
	v_mul_f32_e32 v1, 0x4f7ffffe, v2
	s_cselect_b32 s27, s2, s0
	s_sub_i32 s0, 0, s40
	v_cvt_u32_f32_e32 v1, v1
	s_mul_i32 s0, s0, s1
	s_mul_hi_u32 s0, s1, s0
	s_add_i32 s1, s1, s0
	s_mul_hi_u32 s53, s27, s1
	v_readfirstlane_b32 s1, v1
	v_cvt_f32_u32_e32 v1, s36
	s_sub_i32 s0, 0, s37
	s_mul_i32 s0, s0, s1
	s_mul_hi_u32 s0, s1, s0
	s_add_i32 s1, s1, s0
	v_rcp_iflag_f32_e32 v1, v1
	s_mul_hi_u32 s0, s11, s1
	s_mul_i32 s1, s0, s37
	s_sub_i32 s1, s11, s1
	s_add_i32 s2, s0, 1
	s_sub_i32 s3, s1, s37
	v_mul_f32_e32 v1, 0x4f7ffffe, v1
	s_cmp_ge_u32 s1, s37
	v_cvt_u32_f32_e32 v1, v1
	s_cselect_b32 s0, s2, s0
	s_cselect_b32 s1, s3, s1
	s_add_i32 s2, s0, 1
	s_cmp_ge_u32 s1, s37
	s_cselect_b32 s52, s2, s0
	s_sub_i32 s0, 0, s36
	v_readfirstlane_b32 s1, v1
	s_mul_i32 s0, s0, s1
	s_mul_hi_u32 s0, s1, s0
	s_add_i32 s1, s1, s0
	s_mul_hi_u32 s54, s52, s1
	v_cmp_ne_u32_e64 s[0:1], 0, v0
	v_cmp_eq_u32_e64 s[2:3], 0, v0
	s_and_saveexec_b64 s[12:13], s[2:3]
	s_cbranch_execz .LBB9_17
; %bb.2:
	s_load_dwordx2 s[46:47], s[4:5], 0x2c8
	s_lshl_b64 s[48:49], s[44:45], 2
	s_add_u32 s28, s14, s48
	s_addc_u32 s29, s15, s49
	s_mov_b32 s44, 0
	s_waitcnt lgkmcnt(0)
	s_add_u32 s30, s46, s48
	s_addc_u32 s31, s47, s49
	s_mov_b32 s55, 0
	s_cmp_lt_u32 s10, 4
	s_cbranch_scc1 .LBB9_14
; %bb.3:
	s_mov_b32 s56, 0
.LBB9_4:                                ; =>This Inner Loop Header: Depth=1
	s_add_u32 s28, s14, s48
	s_addc_u32 s29, s15, s49
	s_load_dwordx4 s[28:31], s[28:29], 0x0
	s_add_u32 s50, s46, s48
	s_addc_u32 s51, s47, s49
	s_cmp_ge_u32 s56, s19
	s_cbranch_scc0 .LBB9_11
; %bb.5:                                ;   in Loop: Header=BB9_4 Depth=1
	s_add_i32 s57, s56, 1
	s_cmp_ge_u32 s57, s19
	s_cbranch_scc0 .LBB9_12
.LBB9_6:                                ;   in Loop: Header=BB9_4 Depth=1
	s_add_i32 s57, s57, 1
	s_cmp_ge_u32 s57, s19
	s_cbranch_scc0 .LBB9_13
.LBB9_7:                                ;   in Loop: Header=BB9_4 Depth=1
	s_add_i32 s57, s57, 1
	s_cmp_ge_u32 s57, s19
	s_cbranch_scc1 .LBB9_9
.LBB9_8:                                ;   in Loop: Header=BB9_4 Depth=1
	s_load_dword s50, s[50:51], 0xc
	s_waitcnt lgkmcnt(0)
	s_add_i32 s45, s45, s31
	s_add_i32 s44, s50, s44
.LBB9_9:                                ;   in Loop: Header=BB9_4 Depth=1
	s_waitcnt lgkmcnt(0)
	s_add_i32 s28, s28, s55
	s_add_i32 s28, s28, s29
	;; [unrolled: 1-line block ×4, first 2 shown]
	s_add_u32 s14, s14, 16
	s_addc_u32 s15, s15, 0
	s_add_u32 s46, s46, 16
	s_addc_u32 s47, s47, 0
	s_add_i32 s51, s57, 4
	s_add_u32 s30, s46, s48
	s_addc_u32 s31, s47, s49
	s_add_u32 s28, s14, s48
	s_addc_u32 s29, s15, s49
	s_add_i32 s50, s57, 1
	s_cmp_ge_u32 s51, s10
	s_cbranch_scc1 .LBB9_15
; %bb.10:                               ;   in Loop: Header=BB9_4 Depth=1
	s_mov_b32 s56, s50
	s_branch .LBB9_4
.LBB9_11:                               ;   in Loop: Header=BB9_4 Depth=1
	s_load_dword s57, s[50:51], 0x0
	s_waitcnt lgkmcnt(0)
	s_add_i32 s45, s28, s45
	s_add_i32 s44, s57, s44
	;; [unrolled: 1-line block ×3, first 2 shown]
	s_cmp_ge_u32 s57, s19
	s_cbranch_scc1 .LBB9_6
.LBB9_12:                               ;   in Loop: Header=BB9_4 Depth=1
	s_load_dword s58, s[50:51], 0x4
	s_waitcnt lgkmcnt(0)
	s_add_i32 s45, s45, s29
	s_add_i32 s44, s58, s44
	s_add_i32 s57, s57, 1
	s_cmp_ge_u32 s57, s19
	s_cbranch_scc1 .LBB9_7
.LBB9_13:                               ;   in Loop: Header=BB9_4 Depth=1
	s_load_dword s58, s[50:51], 0x8
	s_waitcnt lgkmcnt(0)
	s_add_i32 s45, s45, s30
	s_add_i32 s44, s58, s44
	;; [unrolled: 1-line block ×3, first 2 shown]
	s_cmp_ge_u32 s57, s19
	s_cbranch_scc0 .LBB9_8
	s_branch .LBB9_9
.LBB9_14:
	s_mov_b32 s14, 0
	s_cmp_ge_u32 s14, s10
	s_cbranch_scc0 .LBB9_38
	s_branch .LBB9_16
.LBB9_15:
	s_add_i32 s14, s56, 4
	s_cmp_ge_u32 s14, s10
	s_cbranch_scc0 .LBB9_38
.LBB9_16:
	v_mov_b32_e32 v2, s44
	v_mov_b32_e32 v3, s55
	v_mov_b32_e32 v4, s45
	v_mov_b32_e32 v1, 0
	ds_write_b96 v1, v[2:4] offset:1056
.LBB9_17:
	s_or_b64 exec, exec, s[12:13]
	s_load_dwordx4 s[12:15], s[4:5], 0xd8
	s_waitcnt lgkmcnt(0)
	s_mul_i32 s15, s9, s19
	s_lshl_b32 s15, s15, 8
	s_add_i32 s28, s19, 1
	s_mov_b32 s19, 0
	s_sub_i32 s29, s12, s15
	s_add_u32 s29, s29, 0xff
	s_addc_u32 s30, 0, 0
	v_mov_b32_e32 v1, s29
	v_alignbit_b32 v1, s30, v1, 8
	s_cmp_lt_u32 s28, s10
	v_readfirstlane_b32 s10, v1
	s_cselect_b32 s9, s9, s10
	s_cmp_eq_u32 s9, 0
	s_barrier
	s_cbranch_scc1 .LBB9_40
; %bb.18:
	s_mul_i32 s10, s23, s43
	s_sub_i32 s10, s11, s10
	s_mul_i32 s10, s10, s26
	s_mul_i32 s26, s33, s42
	s_sub_i32 s26, s23, s26
	s_add_i32 s28, s33, 1
	s_sub_i32 s29, s26, s42
	s_cmp_ge_u32 s26, s42
	s_cselect_b32 s28, s28, s33
	s_cselect_b32 s26, s29, s26
	s_add_i32 s29, s28, 1
	s_cmp_ge_u32 s26, s42
	s_cselect_b32 s26, s29, s28
	s_mul_i32 s28, s26, s42
	s_sub_i32 s23, s23, s28
	s_mul_i32 s23, s23, s25
	s_add_i32 s10, s23, s10
	s_mul_i32 s23, s27, s41
	s_sub_i32 s23, s11, s23
	s_mul_i32 s23, s23, s22
	s_mul_i32 s22, s53, s40
	;; [unrolled: 1-line block ×3, first 2 shown]
	s_sub_i32 s22, s27, s22
	s_add_i32 s10, s10, s26
	s_add_i32 s24, s53, 1
	s_sub_i32 s25, s22, s40
	s_cmp_ge_u32 s22, s40
	s_cselect_b32 s24, s24, s53
	s_cselect_b32 s22, s25, s22
	s_add_i32 s25, s24, 1
	s_cmp_ge_u32 s22, s40
	s_cselect_b32 s22, s25, s24
	s_mul_i32 s24, s22, s40
	s_mul_i32 s22, s22, s20
	;; [unrolled: 1-line block ×3, first 2 shown]
	s_sub_i32 s24, s27, s24
	s_sub_i32 s11, s11, s20
	s_mul_i32 s21, s24, s21
	s_mul_i32 s11, s11, s18
	;; [unrolled: 1-line block ×3, first 2 shown]
	s_add_i32 s21, s21, s23
	s_sub_i32 s18, s52, s18
	s_add_i32 s21, s21, s22
	s_add_i32 s20, s54, 1
	s_sub_i32 s22, s18, s36
	s_cmp_ge_u32 s18, s36
	s_cselect_b32 s20, s20, s54
	s_cselect_b32 s18, s22, s18
	s_add_i32 s22, s20, 1
	s_cmp_ge_u32 s18, s36
	s_cselect_b32 s18, s22, s20
	s_mul_i32 s20, s18, s36
	s_sub_i32 s20, s52, s20
	s_mul_i32 s17, s20, s17
	s_add_i32 s11, s17, s11
	s_mul_i32 s18, s18, s16
	s_add_i32 s18, s11, s18
	s_add_u32 s10, s38, s10
	s_addc_u32 s11, s39, 0
	s_add_u32 s16, s34, s21
	v_mov_b32_e32 v1, 0
	s_addc_u32 s17, s35, 0
	s_lshl_b64 s[18:19], s[18:19], 3
	ds_read_b96 v[2:4], v1 offset:1056
	s_add_u32 s18, s6, s18
	s_addc_u32 s19, s7, s19
	s_bitcmp1_b32 s14, 0
	s_load_dword s14, s[4:5], 0xe8
	s_load_dword s20, s[4:5], 0x1c8
	v_lshlrev_b32_e32 v6, 2, v0
	v_lshrrev_b32_e32 v7, 3, v0
	s_waitcnt lgkmcnt(0)
	v_add_u32_e32 v2, v2, v3
	v_lshrrev_b32_e32 v3, 5, v0
	v_add_lshl_u32 v6, v7, v6, 2
	v_add_u32_e32 v7, -1, v0
	v_mbcnt_lo_u32_b32 v9, -1, 0
	v_add_lshl_u32 v3, v3, v0, 2
	v_cmp_gt_u32_e64 s[4:5], 64, v0
	v_lshrrev_b32_e32 v8, 5, v7
	v_add_u32_e32 v0, s15, v0
	v_mbcnt_hi_u32_b32 v9, -1, v9
	s_cselect_b64 s[6:7], -1, 0
	v_add_lshl_u32 v7, v8, v7, 2
	v_mul_lo_u32 v8, s14, v0
	s_lshl_b32 s21, s14, 8
	v_and_b32_e32 v10, 15, v9
	v_bfe_i32 v11, v9, 4, 1
	v_add_u32_e32 v12, -1, v9
	v_and_b32_e32 v13, 64, v9
                                        ; implicit-def: $vgpr14
	s_branch .LBB9_21
.LBB9_19:                               ;   in Loop: Header=BB9_21 Depth=1
	s_or_b64 exec, exec, s[14:15]
	v_add_u32_e32 v2, v17, v2
.LBB9_20:                               ;   in Loop: Header=BB9_21 Depth=1
	s_add_i32 s9, s9, -1
	v_add_u32_e32 v4, v16, v4
	v_add_u32_e32 v8, s21, v8
	s_cmp_lg_u32 s9, 0
	v_add_u32_e32 v0, 0x100, v0
	s_cbranch_scc0 .LBB9_40
.LBB9_21:                               ; =>This Inner Loop Header: Depth=1
	v_cmp_gt_u32_e32 vcc, s12, v0
	v_mov_b32_e32 v17, 0
	v_mov_b32_e32 v15, 0
	s_and_saveexec_b64 s[14:15], vcc
	s_cbranch_execz .LBB9_23
; %bb.22:                               ;   in Loop: Header=BB9_21 Depth=1
	global_load_ubyte v14, v8, s[10:11]
	s_waitcnt vmcnt(0)
	v_cmp_gt_u16_sdwa s[22:23], v14, v5 src0_sel:DWORD src1_sel:BYTE_0
	v_cndmask_b32_e64 v15, 0, 1, s[22:23]
	v_cmp_lt_u16_sdwa s[22:23], v14, v5 src0_sel:DWORD src1_sel:BYTE_0
	v_cndmask_b32_e64 v16, 0, 1, s[22:23]
	v_cndmask_b32_e64 v15, v16, v15, s[6:7]
	v_cmp_eq_u16_sdwa s[22:23], v14, v5 src0_sel:DWORD src1_sel:BYTE_0
	v_and_b32_e32 v17, 1, v15
	v_cndmask_b32_e64 v15, 0, 1, s[22:23]
.LBB9_23:                               ;   in Loop: Header=BB9_21 Depth=1
	s_or_b64 exec, exec, s[14:15]
	ds_write_b32 v3, v17
	s_waitcnt lgkmcnt(0)
	s_barrier
	s_and_saveexec_b64 s[14:15], s[4:5]
	s_cbranch_execz .LBB9_25
; %bb.24:                               ;   in Loop: Header=BB9_21 Depth=1
	ds_read2_b32 v[18:19], v6 offset1:1
	ds_read2_b32 v[20:21], v6 offset0:2 offset1:3
	v_cmp_ne_u32_e32 vcc, 0, v10
	; wave barrier
	s_waitcnt lgkmcnt(1)
	v_add_u32_e32 v16, v19, v18
	s_waitcnt lgkmcnt(0)
	v_add3_u32 v16, v16, v20, v21
	s_nop 1
	v_mov_b32_dpp v19, v16 row_shr:1 row_mask:0xf bank_mask:0xf
	v_cndmask_b32_e32 v19, 0, v19, vcc
	v_add_u32_e32 v16, v19, v16
	v_cmp_lt_u32_e32 vcc, 1, v10
	s_nop 0
	v_mov_b32_dpp v19, v16 row_shr:2 row_mask:0xf bank_mask:0xf
	v_cndmask_b32_e32 v19, 0, v19, vcc
	v_add_u32_e32 v16, v16, v19
	v_cmp_lt_u32_e32 vcc, 3, v10
	s_nop 0
	v_mov_b32_dpp v19, v16 row_shr:4 row_mask:0xf bank_mask:0xf
	v_cndmask_b32_e32 v19, 0, v19, vcc
	v_add_u32_e32 v16, v16, v19
	v_cmp_lt_u32_e32 vcc, 7, v10
	s_nop 0
	v_mov_b32_dpp v19, v16 row_shr:8 row_mask:0xf bank_mask:0xf
	v_cndmask_b32_e32 v19, 0, v19, vcc
	v_add_u32_e32 v16, v16, v19
	v_cmp_lt_u32_e32 vcc, 31, v9
	s_nop 0
	v_mov_b32_dpp v19, v16 row_bcast:15 row_mask:0xf bank_mask:0xf
	v_and_b32_e32 v19, v11, v19
	v_add_u32_e32 v16, v16, v19
	s_nop 1
	v_mov_b32_dpp v19, v16 row_bcast:31 row_mask:0xf bank_mask:0xf
	v_cndmask_b32_e32 v19, 0, v19, vcc
	v_cmp_lt_i32_e32 vcc, v12, v13
	v_add_u32_e32 v16, v16, v19
	v_cndmask_b32_e32 v19, v12, v9, vcc
	v_lshlrev_b32_e32 v19, 2, v19
	ds_bpermute_b32 v16, v19, v16
	s_waitcnt lgkmcnt(0)
	v_add_u32_e32 v16, v16, v18
	v_cndmask_b32_e64 v16, v16, v17, s[2:3]
	ds_write_b32 v6, v16
	; wave barrier
	ds_read2_b32 v[18:19], v6 offset0:1 offset1:2
	ds_read_b32 v20, v6 offset:12
	s_waitcnt lgkmcnt(1)
	v_add_u32_e32 v16, v18, v16
	v_add_u32_e32 v18, v19, v16
	ds_write2_b32 v6, v16, v18 offset0:1 offset1:2
	s_waitcnt lgkmcnt(1)
	v_add_u32_e32 v16, v20, v18
	ds_write_b32 v6, v16 offset:12
.LBB9_25:                               ;   in Loop: Header=BB9_21 Depth=1
	s_or_b64 exec, exec, s[14:15]
	v_mov_b32_e32 v18, 0
	s_waitcnt lgkmcnt(0)
	s_barrier
	s_and_saveexec_b64 s[14:15], s[0:1]
	s_cbranch_execz .LBB9_27
; %bb.26:                               ;   in Loop: Header=BB9_21 Depth=1
	ds_read_b32 v18, v7
.LBB9_27:                               ;   in Loop: Header=BB9_21 Depth=1
	s_or_b64 exec, exec, s[14:15]
	ds_read_b32 v16, v1 offset:1048
	v_cmp_ne_u32_e32 vcc, 0, v17
	s_waitcnt lgkmcnt(0)
	s_barrier
	s_and_saveexec_b64 s[14:15], vcc
	s_cbranch_execz .LBB9_29
; %bb.28:                               ;   in Loop: Header=BB9_21 Depth=1
	v_add_u32_e32 v17, v18, v4
	v_mul_lo_u32 v18, v17, s20
	global_store_byte v18, v14, s[16:17]
	v_mul_lo_u32 v18, v17, s8
	v_mov_b32_e32 v19, v1
	v_lshlrev_b64 v[18:19], 3, v[18:19]
	v_mov_b32_e32 v17, s19
	v_add_co_u32_e32 v18, vcc, s18, v18
	v_addc_co_u32_e32 v19, vcc, v17, v19, vcc
	global_store_dwordx2 v[18:19], v[0:1], off
.LBB9_29:                               ;   in Loop: Header=BB9_21 Depth=1
	s_or_b64 exec, exec, s[14:15]
	v_cmp_le_u32_e32 vcc, s13, v2
	s_cbranch_vccnz .LBB9_20
; %bb.30:                               ;   in Loop: Header=BB9_21 Depth=1
	ds_write_b32 v3, v15
	s_waitcnt lgkmcnt(0)
	s_barrier
	s_and_saveexec_b64 s[14:15], s[4:5]
	s_cbranch_execz .LBB9_32
; %bb.31:                               ;   in Loop: Header=BB9_21 Depth=1
	ds_read2_b32 v[18:19], v6 offset1:1
	ds_read2_b32 v[20:21], v6 offset0:2 offset1:3
	v_cmp_ne_u32_e32 vcc, 0, v10
	; wave barrier
	s_waitcnt lgkmcnt(1)
	v_add_u32_e32 v17, v19, v18
	s_waitcnt lgkmcnt(0)
	v_add3_u32 v17, v17, v20, v21
	s_nop 1
	v_mov_b32_dpp v19, v17 row_shr:1 row_mask:0xf bank_mask:0xf
	v_cndmask_b32_e32 v19, 0, v19, vcc
	v_add_u32_e32 v17, v19, v17
	v_cmp_lt_u32_e32 vcc, 1, v10
	s_nop 0
	v_mov_b32_dpp v19, v17 row_shr:2 row_mask:0xf bank_mask:0xf
	v_cndmask_b32_e32 v19, 0, v19, vcc
	v_add_u32_e32 v17, v17, v19
	v_cmp_lt_u32_e32 vcc, 3, v10
	s_nop 0
	v_mov_b32_dpp v19, v17 row_shr:4 row_mask:0xf bank_mask:0xf
	v_cndmask_b32_e32 v19, 0, v19, vcc
	v_add_u32_e32 v17, v17, v19
	v_cmp_lt_u32_e32 vcc, 7, v10
	s_nop 0
	v_mov_b32_dpp v19, v17 row_shr:8 row_mask:0xf bank_mask:0xf
	v_cndmask_b32_e32 v19, 0, v19, vcc
	v_add_u32_e32 v17, v17, v19
	v_cmp_lt_u32_e32 vcc, 31, v9
	s_nop 0
	v_mov_b32_dpp v19, v17 row_bcast:15 row_mask:0xf bank_mask:0xf
	v_and_b32_e32 v19, v11, v19
	v_add_u32_e32 v17, v17, v19
	s_nop 1
	v_mov_b32_dpp v19, v17 row_bcast:31 row_mask:0xf bank_mask:0xf
	v_cndmask_b32_e32 v19, 0, v19, vcc
	v_cmp_lt_i32_e32 vcc, v12, v13
	v_add_u32_e32 v17, v17, v19
	v_cndmask_b32_e32 v19, v12, v9, vcc
	v_lshlrev_b32_e32 v19, 2, v19
	ds_bpermute_b32 v17, v19, v17
	s_waitcnt lgkmcnt(0)
	v_add_u32_e32 v17, v17, v18
	v_cndmask_b32_e64 v17, v17, v15, s[2:3]
	ds_write_b32 v6, v17
	; wave barrier
	ds_read2_b32 v[18:19], v6 offset0:1 offset1:2
	ds_read_b32 v20, v6 offset:12
	s_waitcnt lgkmcnt(1)
	v_add_u32_e32 v17, v18, v17
	v_add_u32_e32 v18, v19, v17
	ds_write2_b32 v6, v17, v18 offset0:1 offset1:2
	s_waitcnt lgkmcnt(1)
	v_add_u32_e32 v17, v20, v18
	ds_write_b32 v6, v17 offset:12
.LBB9_32:                               ;   in Loop: Header=BB9_21 Depth=1
	s_or_b64 exec, exec, s[14:15]
	v_mov_b32_e32 v18, 0
	s_waitcnt lgkmcnt(0)
	s_barrier
	s_and_saveexec_b64 s[14:15], s[0:1]
	s_cbranch_execz .LBB9_34
; %bb.33:                               ;   in Loop: Header=BB9_21 Depth=1
	ds_read_b32 v18, v7
.LBB9_34:                               ;   in Loop: Header=BB9_21 Depth=1
	s_or_b64 exec, exec, s[14:15]
	ds_read_b32 v17, v1 offset:1048
	v_cmp_ne_u32_e32 vcc, 0, v15
	s_waitcnt lgkmcnt(0)
	s_barrier
	s_and_saveexec_b64 s[14:15], vcc
	s_cbranch_execz .LBB9_19
; %bb.35:                               ;   in Loop: Header=BB9_21 Depth=1
	v_add_u32_e32 v15, v18, v2
	v_cmp_gt_u32_e32 vcc, s13, v15
	s_and_b64 exec, exec, vcc
	s_cbranch_execz .LBB9_19
; %bb.36:                               ;   in Loop: Header=BB9_21 Depth=1
	v_mul_lo_u32 v18, v15, s20
	global_store_byte v18, v14, s[16:17]
	v_mul_lo_u32 v18, v15, s8
	v_mov_b32_e32 v19, v1
	v_lshlrev_b64 v[18:19], 3, v[18:19]
	v_mov_b32_e32 v15, s19
	v_add_co_u32_e32 v18, vcc, s18, v18
	v_addc_co_u32_e32 v19, vcc, v15, v19, vcc
	global_store_dwordx2 v[18:19], v[0:1], off
	s_branch .LBB9_19
.LBB9_37:                               ;   in Loop: Header=BB9_38 Depth=1
	s_add_u32 s28, s28, 4
	s_addc_u32 s29, s29, 0
	s_waitcnt lgkmcnt(0)
	s_add_i32 s55, s15, s55
	s_add_u32 s30, s30, 4
	s_addc_u32 s31, s31, 0
	s_add_i32 s14, s14, 1
	s_cmp_lt_u32 s14, s10
	s_cbranch_scc0 .LBB9_16
.LBB9_38:                               ; =>This Inner Loop Header: Depth=1
	s_load_dword s15, s[28:29], 0x0
	s_cmp_ge_u32 s14, s19
	s_cbranch_scc1 .LBB9_37
; %bb.39:                               ;   in Loop: Header=BB9_38 Depth=1
	s_load_dword s46, s[30:31], 0x0
	s_waitcnt lgkmcnt(0)
	s_add_i32 s45, s15, s45
	s_add_i32 s44, s46, s44
	s_branch .LBB9_37
.LBB9_40:
	s_endpgm
	.section	.rodata,"a",@progbits
	.p2align	6, 0x0
	.amdhsa_kernel _ZN2at6native6mbtopk10gatherTopKIhjLi3EEEvNS_4cuda6detail10TensorInfoIKT_T0_EES8_S8_bjS8_NS5_IS6_S8_EES8_NS5_IlS8_EES8_jjPS6_PjSD_j
		.amdhsa_group_segment_fixed_size 1068
		.amdhsa_private_segment_fixed_size 0
		.amdhsa_kernarg_size 984
		.amdhsa_user_sgpr_count 6
		.amdhsa_user_sgpr_private_segment_buffer 1
		.amdhsa_user_sgpr_dispatch_ptr 0
		.amdhsa_user_sgpr_queue_ptr 0
		.amdhsa_user_sgpr_kernarg_segment_ptr 1
		.amdhsa_user_sgpr_dispatch_id 0
		.amdhsa_user_sgpr_flat_scratch_init 0
		.amdhsa_user_sgpr_kernarg_preload_length 0
		.amdhsa_user_sgpr_kernarg_preload_offset 0
		.amdhsa_user_sgpr_private_segment_size 0
		.amdhsa_uses_dynamic_stack 0
		.amdhsa_system_sgpr_private_segment_wavefront_offset 0
		.amdhsa_system_sgpr_workgroup_id_x 1
		.amdhsa_system_sgpr_workgroup_id_y 1
		.amdhsa_system_sgpr_workgroup_id_z 1
		.amdhsa_system_sgpr_workgroup_info 0
		.amdhsa_system_vgpr_workitem_id 0
		.amdhsa_next_free_vgpr 22
		.amdhsa_next_free_sgpr 59
		.amdhsa_accum_offset 24
		.amdhsa_reserve_vcc 1
		.amdhsa_reserve_flat_scratch 0
		.amdhsa_float_round_mode_32 0
		.amdhsa_float_round_mode_16_64 0
		.amdhsa_float_denorm_mode_32 3
		.amdhsa_float_denorm_mode_16_64 3
		.amdhsa_dx10_clamp 1
		.amdhsa_ieee_mode 1
		.amdhsa_fp16_overflow 0
		.amdhsa_tg_split 0
		.amdhsa_exception_fp_ieee_invalid_op 0
		.amdhsa_exception_fp_denorm_src 0
		.amdhsa_exception_fp_ieee_div_zero 0
		.amdhsa_exception_fp_ieee_overflow 0
		.amdhsa_exception_fp_ieee_underflow 0
		.amdhsa_exception_fp_ieee_inexact 0
		.amdhsa_exception_int_div_zero 0
	.end_amdhsa_kernel
	.section	.text._ZN2at6native6mbtopk10gatherTopKIhjLi3EEEvNS_4cuda6detail10TensorInfoIKT_T0_EES8_S8_bjS8_NS5_IS6_S8_EES8_NS5_IlS8_EES8_jjPS6_PjSD_j,"axG",@progbits,_ZN2at6native6mbtopk10gatherTopKIhjLi3EEEvNS_4cuda6detail10TensorInfoIKT_T0_EES8_S8_bjS8_NS5_IS6_S8_EES8_NS5_IlS8_EES8_jjPS6_PjSD_j,comdat
.Lfunc_end9:
	.size	_ZN2at6native6mbtopk10gatherTopKIhjLi3EEEvNS_4cuda6detail10TensorInfoIKT_T0_EES8_S8_bjS8_NS5_IS6_S8_EES8_NS5_IlS8_EES8_jjPS6_PjSD_j, .Lfunc_end9-_ZN2at6native6mbtopk10gatherTopKIhjLi3EEEvNS_4cuda6detail10TensorInfoIKT_T0_EES8_S8_bjS8_NS5_IS6_S8_EES8_NS5_IlS8_EES8_jjPS6_PjSD_j
                                        ; -- End function
	.section	.AMDGPU.csdata,"",@progbits
; Kernel info:
; codeLenInByte = 2584
; NumSgprs: 63
; NumVgprs: 22
; NumAgprs: 0
; TotalNumVgprs: 22
; ScratchSize: 0
; MemoryBound: 0
; FloatMode: 240
; IeeeMode: 1
; LDSByteSize: 1068 bytes/workgroup (compile time only)
; SGPRBlocks: 7
; VGPRBlocks: 2
; NumSGPRsForWavesPerEU: 63
; NumVGPRsForWavesPerEU: 22
; AccumOffset: 24
; Occupancy: 8
; WaveLimiterHint : 1
; COMPUTE_PGM_RSRC2:SCRATCH_EN: 0
; COMPUTE_PGM_RSRC2:USER_SGPR: 6
; COMPUTE_PGM_RSRC2:TRAP_HANDLER: 0
; COMPUTE_PGM_RSRC2:TGID_X_EN: 1
; COMPUTE_PGM_RSRC2:TGID_Y_EN: 1
; COMPUTE_PGM_RSRC2:TGID_Z_EN: 1
; COMPUTE_PGM_RSRC2:TIDIG_COMP_CNT: 0
; COMPUTE_PGM_RSRC3_GFX90A:ACCUM_OFFSET: 5
; COMPUTE_PGM_RSRC3_GFX90A:TG_SPLIT: 0
	.section	.text._ZN2at6native6sbtopk10gatherTopKIhjLi3ELb0EEEvNS_4cuda6detail10TensorInfoIKT_T0_EES8_S8_bS8_S8_NS5_IS6_S8_EES8_NS5_IlS8_EES8_PS6_,"axG",@progbits,_ZN2at6native6sbtopk10gatherTopKIhjLi3ELb0EEEvNS_4cuda6detail10TensorInfoIKT_T0_EES8_S8_bS8_S8_NS5_IS6_S8_EES8_NS5_IlS8_EES8_PS6_,comdat
	.protected	_ZN2at6native6sbtopk10gatherTopKIhjLi3ELb0EEEvNS_4cuda6detail10TensorInfoIKT_T0_EES8_S8_bS8_S8_NS5_IS6_S8_EES8_NS5_IlS8_EES8_PS6_ ; -- Begin function _ZN2at6native6sbtopk10gatherTopKIhjLi3ELb0EEEvNS_4cuda6detail10TensorInfoIKT_T0_EES8_S8_bS8_S8_NS5_IS6_S8_EES8_NS5_IlS8_EES8_PS6_
	.globl	_ZN2at6native6sbtopk10gatherTopKIhjLi3ELb0EEEvNS_4cuda6detail10TensorInfoIKT_T0_EES8_S8_bS8_S8_NS5_IS6_S8_EES8_NS5_IlS8_EES8_PS6_
	.p2align	8
	.type	_ZN2at6native6sbtopk10gatherTopKIhjLi3ELb0EEEvNS_4cuda6detail10TensorInfoIKT_T0_EES8_S8_bS8_S8_NS5_IS6_S8_EES8_NS5_IlS8_EES8_PS6_,@function
_ZN2at6native6sbtopk10gatherTopKIhjLi3ELb0EEEvNS_4cuda6detail10TensorInfoIKT_T0_EES8_S8_bS8_S8_NS5_IS6_S8_EES8_NS5_IlS8_EES8_PS6_: ; @_ZN2at6native6sbtopk10gatherTopKIhjLi3ELb0EEEvNS_4cuda6detail10TensorInfoIKT_T0_EES8_S8_bS8_S8_NS5_IS6_S8_EES8_NS5_IlS8_EES8_PS6_
; %bb.0:
	s_load_dwordx2 s[12:13], s[4:5], 0x2b8
	s_load_dwordx4 s[60:63], s[4:5], 0xd8
	s_add_u32 s10, s4, 0x2b8
	s_addc_u32 s11, s5, 0
	s_waitcnt lgkmcnt(0)
	s_mul_i32 s0, s13, s8
	s_add_i32 s0, s0, s7
	s_mul_i32 s0, s0, s12
	s_add_i32 s20, s0, s6
	s_cmp_ge_u32 s20, s63
	s_cbranch_scc1 .LBB10_395
; %bb.1:
	s_load_dwordx4 s[0:3], s[4:5], 0x23c
                                        ; implicit-def: $vgpr47 : SGPR spill to VGPR lane
	s_load_dwordx2 s[16:17], s[4:5], 0xc
	s_load_dwordx2 s[14:15], s[4:5], 0x0
	s_load_dword s13, s[4:5], 0xe8
	s_waitcnt lgkmcnt(0)
	v_writelane_b32 v47, s0, 0
	v_writelane_b32 v47, s1, 1
	v_writelane_b32 v47, s2, 2
	v_writelane_b32 v47, s3, 3
	s_load_dwordx2 s[18:19], s[4:5], 0x1dc
	s_load_dwordx2 s[0:1], s[4:5], 0x1d0
	v_cvt_f32_u32_e32 v1, s17
	s_waitcnt lgkmcnt(0)
	v_writelane_b32 v47, s0, 4
	v_writelane_b32 v47, s1, 5
	s_load_dwordx4 s[0:3], s[4:5], 0x15c
	v_rcp_iflag_f32_e32 v1, v1
	v_mul_f32_e32 v1, 0x4f7ffffe, v1
	s_waitcnt lgkmcnt(0)
	v_writelane_b32 v47, s0, 6
	v_writelane_b32 v47, s1, 7
	;; [unrolled: 1-line block ×4, first 2 shown]
	s_load_dwordx2 s[22:23], s[4:5], 0xfc
	s_load_dwordx2 s[0:1], s[4:5], 0xf0
	v_cvt_u32_f32_e32 v1, v1
	s_waitcnt lgkmcnt(0)
	v_cvt_f32_u32_e32 v2, s23
	v_writelane_b32 v47, s0, 10
	v_writelane_b32 v47, s1, 11
	;; [unrolled: 1-line block ×4, first 2 shown]
	s_load_dwordx4 s[0:3], s[4:5], 0x6c
	s_mov_b32 s4, 0
	v_writelane_b32 v47, s4, 14
	v_writelane_b32 v47, s5, 15
	v_readfirstlane_b32 s4, v1
	v_cvt_f32_u32_e32 v1, s16
	s_waitcnt lgkmcnt(0)
	s_sub_i32 s3, 0, s17
	s_mul_i32 s3, s3, s4
	s_mul_hi_u32 s3, s4, s3
	s_add_i32 s4, s4, s3
	v_rcp_iflag_f32_e32 v1, v1
	s_mul_hi_u32 s3, s20, s4
	s_mul_i32 s4, s3, s17
	s_sub_i32 s4, s20, s4
	s_add_i32 s5, s3, 1
	s_sub_i32 s7, s4, s17
	v_mul_f32_e32 v1, 0x4f7ffffe, v1
	s_cmp_ge_u32 s4, s17
	v_cvt_u32_f32_e32 v1, v1
	v_rcp_iflag_f32_e32 v2, v2
	s_cselect_b32 s3, s5, s3
	s_cselect_b32 s4, s7, s4
	s_add_i32 s5, s3, 1
	s_cmp_ge_u32 s4, s17
	s_cselect_b32 s3, s5, s3
	v_readfirstlane_b32 s5, v1
	v_mul_f32_e32 v1, 0x4f7ffffe, v2
	v_cvt_u32_f32_e32 v1, v1
	s_sub_i32 s4, 0, s16
	s_mul_i32 s4, s4, s5
	s_mul_hi_u32 s4, s5, s4
	v_readfirstlane_b32 s7, v1
	v_cvt_f32_u32_e32 v1, s22
	s_add_i32 s5, s5, s4
	s_mul_hi_u32 s4, s3, s5
	s_sub_i32 s5, 0, s23
	s_mul_i32 s5, s5, s7
	s_mul_hi_u32 s5, s7, s5
	v_rcp_iflag_f32_e32 v1, v1
	s_add_i32 s7, s7, s5
	v_cvt_f32_u32_e32 v2, s19
	s_mul_hi_u32 s5, s20, s7
	s_mul_i32 s7, s5, s23
	s_sub_i32 s7, s20, s7
	v_mul_f32_e32 v1, 0x4f7ffffe, v1
	s_add_i32 s8, s5, 1
	s_sub_i32 s9, s7, s23
	v_cvt_u32_f32_e32 v1, v1
	v_rcp_iflag_f32_e32 v2, v2
	s_cmp_ge_u32 s7, s23
	s_cselect_b32 s5, s8, s5
	s_cselect_b32 s7, s9, s7
	s_add_i32 s8, s5, 1
	s_cmp_ge_u32 s7, s23
	v_readfirstlane_b32 s7, v1
	v_mul_f32_e32 v1, 0x4f7ffffe, v2
	s_cselect_b32 s8, s8, s5
	v_writelane_b32 v47, s22, 16
	s_sub_i32 s5, 0, s22
	v_cvt_u32_f32_e32 v1, v1
	s_mul_i32 s5, s5, s7
	s_mul_hi_u32 s5, s7, s5
	v_writelane_b32 v47, s23, 17
	s_add_i32 s7, s7, s5
	v_writelane_b32 v47, s8, 18
	s_mul_hi_u32 s5, s8, s7
	v_readfirstlane_b32 s7, v1
	v_cvt_f32_u32_e32 v1, s18
	v_writelane_b32 v47, s5, 19
	s_sub_i32 s5, 0, s19
	s_mul_i32 s5, s5, s7
	s_mul_hi_u32 s5, s7, s5
	s_add_i32 s7, s7, s5
	v_rcp_iflag_f32_e32 v1, v1
	s_mul_hi_u32 s5, s20, s7
	s_mul_i32 s7, s5, s19
	s_sub_i32 s7, s20, s7
	s_add_i32 s8, s5, 1
	s_sub_i32 s9, s7, s19
	v_mul_f32_e32 v1, 0x4f7ffffe, v1
	s_cmp_ge_u32 s7, s19
	v_cvt_u32_f32_e32 v1, v1
	s_cselect_b32 s5, s8, s5
	s_cselect_b32 s7, s9, s7
	s_add_i32 s8, s5, 1
	s_cmp_ge_u32 s7, s19
	s_cselect_b32 s8, s8, s5
	v_writelane_b32 v47, s18, 20
	s_sub_i32 s5, 0, s18
	v_readfirstlane_b32 s7, v1
	s_mul_i32 s5, s5, s7
	s_mul_hi_u32 s5, s7, s5
	v_writelane_b32 v47, s19, 21
	s_add_i32 s7, s7, s5
	v_writelane_b32 v47, s8, 22
	s_mul_hi_u32 s5, s8, s7
	v_writelane_b32 v47, s5, 23
	v_cmp_eq_u32_e64 s[8:9], 0, v0
	s_mov_b64 s[18:19], exec
	v_writelane_b32 v47, s8, 24
	v_writelane_b32 v47, s9, 25
	s_and_b64 s[8:9], s[18:19], s[8:9]
	s_mov_b64 exec, s[8:9]
	s_cbranch_execz .LBB10_3
; %bb.2:
	v_mov_b32_e32 v2, 0
	v_mov_b32_e32 v3, s60
	;; [unrolled: 1-line block ×3, first 2 shown]
	ds_write_b96 v2, v[2:4] offset:4096
.LBB10_3:
	s_or_b64 exec, exec, s[18:19]
	s_mul_i32 s5, s3, s17
	s_sub_i32 s5, s20, s5
	s_mul_i32 s5, s5, s2
	s_mul_i32 s2, s4, s16
	s_sub_i32 s2, s3, s2
	s_add_i32 s7, s4, 1
	s_sub_i32 s8, s2, s16
	s_cmp_ge_u32 s2, s16
	s_cselect_b32 s4, s7, s4
	s_cselect_b32 s2, s8, s2
	s_add_i32 s7, s4, 1
	s_cmp_ge_u32 s2, s16
	s_cselect_b32 s2, s7, s4
	s_mul_i32 s4, s2, s16
	s_sub_i32 s3, s3, s4
	s_mul_i32 s1, s3, s1
	s_add_i32 s1, s1, s5
	s_mul_i32 s2, s2, s0
	s_waitcnt lgkmcnt(0)
	s_barrier
	s_load_dword s0, s[10:11], 0xc
	s_add_i32 s1, s1, s2
	s_add_u32 s72, s14, s1
	s_addc_u32 s73, s15, 0
	v_mbcnt_lo_u32_b32 v2, -1, 0
	s_bitcmp1_b32 s62, 0
	v_mbcnt_hi_u32_b32 v13, -1, v2
	v_writelane_b32 v47, s20, 26
	s_cselect_b64 s[2:3], -1, 0
	s_waitcnt lgkmcnt(0)
	s_and_b32 s33, s0, 0xffff
	s_bfe_u32 s7, s0, 0xa0006
	v_cmp_gt_u32_e32 vcc, 64, v0
	v_cmp_gt_i32_e64 s[0:1], 4, v13
	v_writelane_b32 v47, s2, 27
	s_xor_b64 s[62:63], s[2:3], -1
	s_lshl_b32 s9, s33, 2
	s_and_b64 s[84:85], vcc, s[0:1]
	s_cmpk_gt_u32 s60, 0xc00
	v_writelane_b32 v47, s3, 28
	s_cselect_b64 s[0:1], -1, 0
	v_writelane_b32 v47, s0, 29
	s_cmp_gt_u32 s33, 63
	v_writelane_b32 v47, s1, 30
	s_cselect_b64 s[0:1], -1, 0
	v_writelane_b32 v47, s0, 31
	v_writelane_b32 v47, s1, 32
	s_add_i32 s0, s33, -1
	s_add_i32 s2, s0, s60
	s_cmp_lt_u32 s6, s12
	v_writelane_b32 v47, s0, 33
	s_cselect_b32 s0, 12, 18
	s_add_u32 s0, s10, s0
	s_addc_u32 s1, s11, 0
	v_writelane_b32 v47, s0, 34
	s_add_i32 s3, s7, -2
	v_writelane_b32 v47, s1, 35
	s_lshr_b32 s0, s3, 1
	v_mul_lo_u32 v15, v0, s13
	s_add_i32 s6, s0, 1
	v_mov_b32_e32 v2, s73
	v_add_co_u32_e32 v8, vcc, s72, v15
	s_cmpk_gt_u32 s33, 0x7f
	v_addc_co_u32_e32 v9, vcc, 0, v2, vcc
	v_lshrrev_b32_e32 v2, 4, v0
	s_cselect_b64 s[0:1], -1, 0
	v_and_b32_e32 v16, 60, v2
	v_lshlrev_b64 v[2:3], v13, -1
	v_writelane_b32 v47, s0, 36
	v_not_b32_e32 v6, v2
	v_cvt_f32_u32_e32 v2, s9
	v_writelane_b32 v47, s1, 37
	v_cmp_gt_u32_e64 s[4:5], s60, v0
	s_and_b32 s8, s7, 0x3fe
	s_and_b32 s10, s6, 7
	v_writelane_b32 v47, s4, 38
	s_cmp_gt_u32 s3, 13
	v_writelane_b32 v47, s5, 39
	s_cselect_b64 s[14:15], -1, 0
	v_writelane_b32 v47, s14, 40
	v_rcp_iflag_f32_e32 v2, v2
	v_writelane_b32 v47, s15, 41
	s_and_b32 s3, s6, -8
	v_writelane_b32 v47, s3, 42
	s_cmp_lg_u32 s10, 0
	v_writelane_b32 v47, s10, 43
	s_cselect_b64 s[10:11], -1, 0
	v_writelane_b32 v47, s10, 44
	v_mul_f32_e32 v2, 0x4f7ffffe, v2
	v_writelane_b32 v47, s11, 45
	v_cvt_u32_f32_e32 v2, v2
	v_writelane_b32 v47, s7, 46
	s_cmp_lg_u32 s8, s7
	v_writelane_b32 v47, s8, 47
	s_cselect_b64 s[6:7], -1, 0
	v_writelane_b32 v47, s6, 48
	v_writelane_b32 v47, s7, 49
	s_sub_i32 s3, 0, s9
	v_readfirstlane_b32 s6, v2
	s_mul_i32 s3, s3, s6
	s_mul_hi_u32 s3, s6, s3
	s_add_i32 s3, s6, s3
	v_cvt_f32_u32_e32 v2, s33
	v_writelane_b32 v47, s3, 50
	s_mul_hi_u32 s3, s60, s3
	s_mul_i32 s3, s3, s9
	s_sub_i32 s3, s60, s3
	s_sub_i32 s6, s3, s9
	v_rcp_iflag_f32_e32 v2, v2
	s_cmp_ge_u32 s3, s9
	s_cselect_b32 s3, s6, s3
	s_sub_i32 s6, s3, s9
	s_cmp_ge_u32 s3, s9
	v_mul_f32_e32 v2, 0x4f7ffffe, v2
	s_cselect_b32 s3, s6, s3
	v_cvt_u32_f32_e32 v2, v2
	v_lshlrev_b32_e32 v14, 2, v0
	s_sub_i32 s86, s60, s3
	v_cmp_gt_u32_e64 s[6:7], s86, v14
	v_writelane_b32 v47, s6, 51
	v_writelane_b32 v47, s7, 52
	s_sub_i32 s6, 0, s33
	v_readfirstlane_b32 s7, v2
	s_mul_i32 s6, s6, s7
	s_mul_hi_u32 s6, s7, s6
	s_add_i32 s6, s7, s6
	v_writelane_b32 v47, s6, 53
	s_mul_hi_u32 s6, s2, s6
	s_mul_i32 s6, s6, s33
	s_sub_i32 s6, s2, s6
	s_sub_i32 s7, s6, s33
	s_cmp_ge_u32 s6, s33
	s_cselect_b32 s6, s7, s6
	s_sub_i32 s7, s6, s33
	s_cmp_ge_u32 s6, s33
	v_mul_lo_u32 v2, s13, v14
	s_cselect_b32 s6, s7, s6
	v_add_u32_e32 v18, s13, v2
	v_or_b32_e32 v2, 2, v14
	v_add_u32_e32 v17, s86, v0
	s_sub_i32 s7, s2, s6
	v_mul_lo_u32 v19, s13, v2
	v_or_b32_e32 v2, 3, v14
	s_add_i32 s2, s33, s60
	v_not_b32_e32 v7, v3
	v_mul_lo_u32 v3, v17, s13
	v_cmp_gt_u32_e64 s[10:11], s7, v0
	v_mul_lo_u32 v20, s13, v2
	v_add_u32_e32 v2, s2, v0
	v_lshlrev_b32_e32 v4, 2, v13
	v_mov_b32_e32 v5, s73
	v_add_co_u32_e32 v10, vcc, s72, v3
	v_writelane_b32 v47, s10, 54
	s_mul_i32 s8, s13, s33
	v_subrev_u32_e32 v2, s3, v2
	v_mov_b32_e32 v1, 0
	v_cmp_eq_u32_e64 s[0:1], 0, v13
	v_cmp_gt_u32_e64 s[4:5], 2, v0
	v_and_b32_e32 v12, 0x100, v4
	v_cmp_gt_u32_e64 s[14:15], s60, v17
	v_addc_co_u32_e32 v11, vcc, 0, v5, vcc
	v_writelane_b32 v47, s11, 55
	s_lshl_b32 s87, s8, 2
	v_lshlrev_b32_e32 v21, 2, v15
	v_mul_lo_u32 v22, s13, v2
	v_or_b32_e32 v23, 0xc00, v4
	s_mov_b32 s88, 6
	s_mov_b64 s[64:65], 0
	v_mov_b32_e32 v24, 0
	v_mov_b32_e32 v29, s61
	v_mov_b32_e32 v25, 0xc00
	v_mov_b32_e32 v28, 0
	s_mov_b32 s89, 0
	v_mov_b32_e32 v27, 0
	v_mov_b32_e32 v26, 0
	v_writelane_b32 v47, s13, 56
                                        ; implicit-def: $sgpr66_sgpr67
                                        ; implicit-def: $sgpr68_sgpr69
                                        ; implicit-def: $sgpr2_sgpr3
                                        ; implicit-def: $sgpr78_sgpr79
                                        ; implicit-def: $sgpr70_sgpr71
                                        ; implicit-def: $sgpr80_sgpr81
                                        ; implicit-def: $sgpr94_sgpr95
                                        ; implicit-def: $sgpr74_sgpr75
                                        ; implicit-def: $sgpr76_sgpr77
                                        ; implicit-def: $sgpr90_sgpr91
	s_branch .LBB10_6
.LBB10_4:                               ;   in Loop: Header=BB10_6 Depth=1
	s_or_b64 exec, exec, s[22:23]
	s_andn2_b64 s[10:11], s[90:91], exec
	s_and_b64 s[12:13], s[20:21], exec
	s_or_b64 s[90:91], s[10:11], s[12:13]
	s_andn2_b64 s[76:77], s[76:77], exec
	s_andn2_b64 s[74:75], s[74:75], exec
	;; [unrolled: 1-line block ×4, first 2 shown]
	s_orn2_b64 s[18:19], s[18:19], exec
	v_mov_b32_e32 v26, v3
	v_mov_b32_e32 v27, v2
	;; [unrolled: 1-line block ×4, first 2 shown]
.LBB10_5:                               ;   in Loop: Header=BB10_6 Depth=1
	s_or_b64 exec, exec, s[16:17]
	s_and_b64 s[10:11], exec, s[18:19]
	s_or_b64 s[64:65], s[10:11], s[64:65]
	s_andn2_b64 s[10:11], s[70:71], exec
	s_and_b64 s[12:13], s[90:91], exec
	s_or_b64 s[70:71], s[10:11], s[12:13]
	s_andn2_b64 s[10:11], s[78:79], exec
	s_and_b64 s[12:13], s[76:77], exec
	;; [unrolled: 3-line block ×5, first 2 shown]
	s_or_b64 s[66:67], s[10:11], s[12:13]
	s_andn2_b64 exec, exec, s[64:65]
	s_cbranch_execz .LBB10_391
.LBB10_6:                               ; =>This Loop Header: Depth=1
                                        ;     Child Loop BB10_11 Depth 2
                                        ;     Child Loop BB10_29 Depth 2
	;; [unrolled: 1-line block ×25, first 2 shown]
	ds_read_b64 v[2:3], v24 offset:4096
	s_waitcnt lgkmcnt(0)
	v_readfirstlane_b32 s6, v2
	s_cmp_lg_u32 s6, 0
	s_cbranch_scc1 .LBB10_36
; %bb.7:                                ;   in Loop: Header=BB10_6 Depth=1
	v_readlane_b32 s10, v47, 29
	v_readlane_b32 s11, v47, 30
	s_and_b64 vcc, exec, s[10:11]
	s_cbranch_vccz .LBB10_19
; %bb.8:                                ;   in Loop: Header=BB10_6 Depth=1
	s_movk_i32 s6, 0xc01
	v_cmp_gt_u32_e32 vcc, s6, v3
	s_mov_b64 s[16:17], 0
	s_mov_b64 s[18:19], 0
	s_cbranch_vccz .LBB10_20
; %bb.9:                                ;   in Loop: Header=BB10_6 Depth=1
	v_readlane_b32 s10, v47, 34
	v_readlane_b32 s11, v47, 35
	s_nop 4
	global_load_ushort v2, v24, s[10:11]
	global_load_ubyte v3, v[8:9], off
	v_readlane_b32 s6, v47, 56
	s_mov_b64 s[20:21], 0
	v_mov_b32_e32 v30, v0
	s_waitcnt vmcnt(1)
	v_add_u32_e32 v5, v0, v2
	v_mul_lo_u32 v4, s6, v2
	v_mul_lo_u32 v5, s6, v5
	s_branch .LBB10_11
.LBB10_10:                              ;   in Loop: Header=BB10_11 Depth=2
	s_or_b64 exec, exec, s[18:19]
	v_add_u32_e32 v5, v5, v4
	v_mov_b32_e32 v3, v31
	s_andn2_b64 exec, exec, s[20:21]
	s_cbranch_execz .LBB10_21
.LBB10_11:                              ;   Parent Loop BB10_6 Depth=1
                                        ; =>  This Inner Loop Header: Depth=2
	v_add_u32_e32 v30, v30, v2
	v_cmp_gt_u32_e64 s[18:19], s60, v30
	v_cmp_le_u32_e32 vcc, s60, v30
	s_waitcnt lgkmcnt(0)
	v_mov_b32_e32 v32, 0
	v_mov_b32_e32 v31, 0
	s_and_saveexec_b64 s[22:23], s[18:19]
	s_cbranch_execz .LBB10_13
; %bb.12:                               ;   in Loop: Header=BB10_11 Depth=2
	global_load_ubyte v31, v5, s[72:73]
.LBB10_13:                              ;   in Loop: Header=BB10_11 Depth=2
	s_or_b64 exec, exec, s[22:23]
	s_waitcnt vmcnt(0)
	v_and_b32_e32 v33, v3, v26
	v_cmp_eq_u32_sdwa s[22:23], v33, v27 src0_sel:BYTE_0 src1_sel:DWORD
	s_cmp_lg_u64 s[22:23], 0
	s_cselect_b64 s[10:11], -1, 0
	s_and_b64 s[10:11], s[0:1], s[10:11]
	s_and_saveexec_b64 s[24:25], s[10:11]
	s_cbranch_execz .LBB10_17
; %bb.14:                               ;   in Loop: Header=BB10_11 Depth=2
	s_mov_b64 s[28:29], exec
	v_mbcnt_lo_u32_b32 v32, s28, 0
	v_mbcnt_hi_u32_b32 v32, s29, v32
	s_bcnt1_i32_b64 s6, s[22:23]
	v_cmp_eq_u32_e64 s[18:19], 0, v32
                                        ; implicit-def: $vgpr33
	s_and_saveexec_b64 s[26:27], s[18:19]
	s_cbranch_execz .LBB10_16
; %bb.15:                               ;   in Loop: Header=BB10_11 Depth=2
	s_bcnt1_i32_b64 s10, s[28:29]
	s_mul_i32 s10, s6, s10
	v_mov_b32_e32 v33, s10
	ds_add_rtn_u32 v33, v24, v33 offset:4104
.LBB10_16:                              ;   in Loop: Header=BB10_11 Depth=2
	s_or_b64 exec, exec, s[26:27]
	s_waitcnt lgkmcnt(0)
	v_readfirstlane_b32 s10, v33
	v_mov_b32_e32 v33, s10
	v_mad_u32_u24 v32, s6, v32, v33
.LBB10_17:                              ;   in Loop: Header=BB10_11 Depth=2
	s_or_b64 exec, exec, s[24:25]
	ds_bpermute_b32 v32, v12, v32
	s_and_b64 s[10:11], exec, vcc
	s_or_b64 s[20:21], s[10:11], s[20:21]
	s_and_saveexec_b64 s[18:19], s[22:23]
	s_cbranch_execz .LBB10_10
; %bb.18:                               ;   in Loop: Header=BB10_11 Depth=2
	v_and_b32_e32 v34, s22, v6
	v_and_b32_e32 v33, s23, v7
	v_bcnt_u32_b32 v34, v34, 0
	v_bcnt_u32_b32 v33, v33, v34
	s_waitcnt lgkmcnt(0)
	v_add_u32_e32 v32, v32, v33
	ds_write_b8 v32, v3
	s_branch .LBB10_10
.LBB10_19:                              ;   in Loop: Header=BB10_6 Depth=1
	s_mov_b64 s[18:19], 0
                                        ; implicit-def: $sgpr6
	s_cbranch_execnz .LBB10_24
	s_branch .LBB10_34
.LBB10_20:                              ;   in Loop: Header=BB10_6 Depth=1
	s_mov_b32 s6, 0
	s_and_b64 vcc, exec, s[16:17]
	s_cbranch_vccnz .LBB10_24
	s_branch .LBB10_34
.LBB10_21:                              ;   in Loop: Header=BB10_6 Depth=1
	s_or_b64 exec, exec, s[20:21]
	s_waitcnt lgkmcnt(0)
	s_barrier
	s_mov_b64 s[18:19], exec
	v_readlane_b32 s10, v47, 24
	v_readlane_b32 s11, v47, 25
	s_and_b64 s[10:11], s[18:19], s[10:11]
	s_mov_b64 exec, s[10:11]
	s_cbranch_execz .LBB10_23
; %bb.22:                               ;   in Loop: Header=BB10_6 Depth=1
	ds_read_b32 v2, v24 offset:4104
	s_waitcnt lgkmcnt(0)
	ds_write_b32 v24, v2 offset:4096
.LBB10_23:                              ;   in Loop: Header=BB10_6 Depth=1
	s_or_b64 exec, exec, s[18:19]
	s_waitcnt lgkmcnt(0)
	s_barrier
	s_mov_b64 s[18:19], -1
	s_mov_b32 s6, 0
	s_and_b64 vcc, exec, s[16:17]
	s_cbranch_vccz .LBB10_34
.LBB10_24:                              ;   in Loop: Header=BB10_6 Depth=1
	v_mov_b32_e32 v2, 0
	s_mov_b64 s[16:17], exec
	v_readlane_b32 s10, v47, 38
	v_readlane_b32 s11, v47, 39
	s_and_b64 s[10:11], s[16:17], s[10:11]
	s_mov_b64 exec, s[10:11]
	s_cbranch_execz .LBB10_26
; %bb.25:                               ;   in Loop: Header=BB10_6 Depth=1
	global_load_ubyte v2, v[8:9], off
.LBB10_26:                              ;   in Loop: Header=BB10_6 Depth=1
	s_or_b64 exec, exec, s[16:17]
	s_mov_b64 s[16:17], exec
	v_readlane_b32 s10, v47, 38
	v_readlane_b32 s11, v47, 39
	s_and_b64 s[10:11], s[16:17], s[10:11]
	s_mov_b64 exec, s[10:11]
	s_cbranch_execz .LBB10_31
; %bb.27:                               ;   in Loop: Header=BB10_6 Depth=1
	v_readlane_b32 s10, v47, 34
	v_readlane_b32 s11, v47, 35
	;; [unrolled: 1-line block ×3, first 2 shown]
	s_mov_b64 s[20:21], 0
	v_mov_b32_e32 v30, v0
	s_nop 1
	global_load_ushort v3, v24, s[10:11]
	s_waitcnt vmcnt(0)
	v_add_u32_e32 v5, v0, v3
	v_mul_lo_u32 v4, s6, v3
	v_mul_lo_u32 v5, s6, v5
	s_branch .LBB10_29
.LBB10_28:                              ;   in Loop: Header=BB10_29 Depth=2
	s_or_b64 exec, exec, s[22:23]
	s_and_b64 s[10:11], exec, vcc
	s_or_b64 s[20:21], s[10:11], s[20:21]
	ds_write_b8 v30, v2
	v_add_u32_e32 v5, v5, v4
	s_waitcnt vmcnt(0)
	v_mov_b32_e32 v2, v32
	v_mov_b32_e32 v30, v31
	s_andn2_b64 exec, exec, s[20:21]
	s_cbranch_execz .LBB10_31
.LBB10_29:                              ;   Parent Loop BB10_6 Depth=1
                                        ; =>  This Inner Loop Header: Depth=2
	v_add_u32_e32 v31, v30, v3
	v_cmp_gt_u32_e64 s[18:19], s60, v31
	v_cmp_le_u32_e32 vcc, s60, v31
	v_mov_b32_e32 v32, 0
	s_and_saveexec_b64 s[22:23], s[18:19]
	s_cbranch_execz .LBB10_28
; %bb.30:                               ;   in Loop: Header=BB10_29 Depth=2
	global_load_ubyte v32, v5, s[72:73]
	s_branch .LBB10_28
.LBB10_31:                              ;   in Loop: Header=BB10_6 Depth=1
	s_or_b64 exec, exec, s[16:17]
	s_waitcnt lgkmcnt(0)
	s_barrier
	s_mov_b64 s[16:17], exec
	v_readlane_b32 s10, v47, 24
	v_readlane_b32 s11, v47, 25
	s_and_b64 s[10:11], s[16:17], s[10:11]
	s_mov_b64 exec, s[10:11]
	s_cbranch_execz .LBB10_33
; %bb.32:                               ;   in Loop: Header=BB10_6 Depth=1
	s_waitcnt vmcnt(0)
	v_mov_b32_e32 v2, s60
	ds_write_b32 v24, v2 offset:4096
.LBB10_33:                              ;   in Loop: Header=BB10_6 Depth=1
	s_or_b64 exec, exec, s[16:17]
	s_mov_b64 s[18:19], -1
	s_waitcnt lgkmcnt(0)
	s_barrier
                                        ; implicit-def: $sgpr6
.LBB10_34:                              ;   in Loop: Header=BB10_6 Depth=1
	s_and_b64 vcc, exec, s[18:19]
	s_cbranch_vccz .LBB10_36
; %bb.35:                               ;   in Loop: Header=BB10_6 Depth=1
	s_waitcnt vmcnt(0)
	ds_read_b32 v2, v24 offset:4096
	s_waitcnt lgkmcnt(0)
	v_readfirstlane_b32 s6, v2
.LBB10_36:                              ;   in Loop: Header=BB10_6 Depth=1
	s_cmp_lt_i32 s6, 1
	s_cbranch_scc0 .LBB10_40
; %bb.37:                               ;   in Loop: Header=BB10_6 Depth=1
	s_waitcnt vmcnt(0)
	v_mov_b32_e32 v2, 0
	s_mov_b32 s12, 0
	v_mov_b32_e32 v3, 0
	v_mov_b32_e32 v4, v2
	;; [unrolled: 1-line block ×3, first 2 shown]
	s_mov_b64 s[92:93], exec
	v_readlane_b32 s10, v47, 51
	v_readlane_b32 s11, v47, 52
	s_and_b64 s[10:11], s[92:93], s[10:11]
	s_mov_b64 exec, s[10:11]
	s_cbranch_execnz .LBB10_41
; %bb.38:                               ;   in Loop: Header=BB10_6 Depth=1
	s_or_b64 exec, exec, s[92:93]
	v_mov_b32_e32 v32, 0
	s_and_saveexec_b64 s[16:17], s[14:15]
	s_cbranch_execnz .LBB10_44
.LBB10_39:                              ;   in Loop: Header=BB10_6 Depth=1
	s_or_b64 exec, exec, s[16:17]
	s_and_saveexec_b64 s[16:17], s[14:15]
	s_cbranch_execnz .LBB10_45
	s_branch .LBB10_50
.LBB10_40:                              ;   in Loop: Header=BB10_6 Depth=1
                                        ; implicit-def: $vgpr5
	s_cbranch_execnz .LBB10_51
	s_branch .LBB10_60
.LBB10_41:                              ;   in Loop: Header=BB10_6 Depth=1
	s_and_b32 s13, s88, 0xfe
	s_mov_b64 s[16:17], 0
	s_mov_b32 s82, 0
	s_mov_b32 s83, 0
	;; [unrolled: 1-line block ×4, first 2 shown]
	v_mov_b32_e32 v30, v14
.LBB10_42:                              ;   Parent Loop BB10_6 Depth=1
                                        ; =>  This Inner Loop Header: Depth=2
	v_add_u32_e32 v2, s12, v21
	v_add_u32_e32 v3, s12, v18
	v_add_u32_e32 v4, s12, v19
	v_add_u32_e32 v5, s12, v20
	global_load_ubyte v2, v2, s[72:73]
	s_nop 0
	global_load_ubyte v3, v3, s[72:73]
	s_nop 0
	;; [unrolled: 2-line block ×3, first 2 shown]
	global_load_ubyte v5, v5, s[72:73]
	v_add_u32_e32 v30, s9, v30
	s_add_i32 s12, s12, s87
	v_cmp_le_u32_e32 vcc, s86, v30
	s_waitcnt vmcnt(3)
	v_and_b32_e32 v31, v26, v2
	v_bfe_u32 v2, v2, s13, 2
	s_waitcnt vmcnt(2)
	v_and_b32_e32 v32, v26, v3
	v_bfe_u32 v3, v3, s13, 2
	v_cmp_eq_u32_e64 s[18:19], v31, v27
	v_cmp_eq_u32_e64 s[26:27], 0, v2
	s_waitcnt vmcnt(1)
	v_and_b32_e32 v33, v26, v4
	v_bfe_u32 v4, v4, s13, 2
	v_cmp_eq_u32_e64 s[20:21], v32, v27
	v_cmp_eq_u32_e64 s[28:29], 0, v3
	s_and_b64 s[26:27], s[18:19], s[26:27]
	s_waitcnt vmcnt(0)
	v_and_b32_e32 v34, v26, v5
	v_bfe_u32 v5, v5, s13, 2
	v_cmp_eq_u32_e64 s[22:23], v33, v27
	v_cmp_eq_u32_e64 s[30:31], 0, v4
	;; [unrolled: 1-line block ×5, first 2 shown]
	v_cndmask_b32_e64 v2, 0, 1, s[26:27]
	s_and_b64 s[26:27], s[20:21], s[28:29]
	v_cmp_eq_u32_e64 s[24:25], v34, v27
	v_cmp_eq_u32_e64 s[34:35], 0, v5
	;; [unrolled: 1-line block ×5, first 2 shown]
	v_cndmask_b32_e64 v3, 0, 1, s[26:27]
	s_and_b64 s[26:27], s[22:23], s[30:31]
	v_cmp_eq_u32_e64 s[40:41], 1, v4
	v_cmp_eq_u32_e64 s[48:49], 2, v4
	;; [unrolled: 1-line block ×3, first 2 shown]
	v_cndmask_b32_e64 v4, 0, 1, s[26:27]
	s_and_b64 s[26:27], s[24:25], s[34:35]
	v_cmp_eq_u32_e64 s[42:43], 1, v5
	v_cmp_eq_u32_e64 s[50:51], 2, v5
	;; [unrolled: 1-line block ×3, first 2 shown]
	v_cndmask_b32_e64 v5, 0, 1, s[26:27]
	s_and_b64 s[26:27], s[18:19], s[36:37]
	v_cndmask_b32_e64 v31, 0, 1, s[26:27]
	s_and_b64 s[26:27], s[20:21], s[38:39]
	;; [unrolled: 2-line block ×5, first 2 shown]
	s_and_b64 s[18:19], s[18:19], s[52:53]
	v_cndmask_b32_e64 v35, 0, 1, s[26:27]
	s_and_b64 s[26:27], s[20:21], s[46:47]
	v_cndmask_b32_e64 v39, 0, 1, s[18:19]
	;; [unrolled: 2-line block ×7, first 2 shown]
	v_cndmask_b32_e64 v42, 0, 1, s[18:19]
	v_cmp_ne_u32_e64 s[18:19], 0, v2
	v_cmp_ne_u32_e64 s[20:21], 0, v3
	;; [unrolled: 1-line block ×11, first 2 shown]
	s_bcnt1_i32_b64 s18, s[18:19]
	s_bcnt1_i32_b64 s19, s[20:21]
	;; [unrolled: 1-line block ×8, first 2 shown]
	v_cmp_ne_u32_e64 s[34:35], 0, v34
	v_cmp_ne_u32_e64 s[40:41], 0, v37
	;; [unrolled: 1-line block ×3, first 2 shown]
	s_bcnt1_i32_b64 s23, s[28:29]
	s_bcnt1_i32_b64 s27, s[38:39]
	s_bcnt1_i32_b64 s31, s[46:47]
	s_add_i32 s11, s11, s18
	s_add_i32 s10, s10, s22
	;; [unrolled: 1-line block ×4, first 2 shown]
	v_cmp_ne_u32_e64 s[42:43], 0, v38
	v_cmp_ne_u32_e64 s[50:51], 0, v42
	s_bcnt1_i32_b64 s25, s[34:35]
	s_bcnt1_i32_b64 s28, s[40:41]
	;; [unrolled: 1-line block ×3, first 2 shown]
	s_add_i32 s11, s11, s19
	s_add_i32 s10, s10, s23
	;; [unrolled: 1-line block ×4, first 2 shown]
	s_bcnt1_i32_b64 s29, s[42:43]
	s_bcnt1_i32_b64 s35, s[50:51]
	s_add_i32 s11, s11, s20
	s_add_i32 s10, s10, s24
	;; [unrolled: 1-line block ×8, first 2 shown]
	s_or_b64 s[16:17], vcc, s[16:17]
	v_mov_b32_e32 v2, s11
	v_mov_b32_e32 v3, s10
	;; [unrolled: 1-line block ×4, first 2 shown]
	s_andn2_b64 exec, exec, s[16:17]
	s_cbranch_execnz .LBB10_42
; %bb.43:                               ;   in Loop: Header=BB10_6 Depth=1
	s_or_b64 exec, exec, s[16:17]
	s_or_b64 exec, exec, s[92:93]
	v_mov_b32_e32 v32, 0
	s_and_saveexec_b64 s[16:17], s[14:15]
	s_cbranch_execz .LBB10_39
.LBB10_44:                              ;   in Loop: Header=BB10_6 Depth=1
	global_load_ubyte v32, v[10:11], off
	s_or_b64 exec, exec, s[16:17]
	s_and_saveexec_b64 s[16:17], s[14:15]
	s_cbranch_execz .LBB10_50
.LBB10_45:                              ;   in Loop: Header=BB10_6 Depth=1
	s_and_b32 s10, s88, 0xfe
	s_mov_b64 s[20:21], 0
	v_mov_b32_e32 v30, v22
	v_mov_b32_e32 v31, v17
	s_branch .LBB10_47
.LBB10_46:                              ;   in Loop: Header=BB10_47 Depth=2
	s_or_b64 exec, exec, s[22:23]
	s_waitcnt vmcnt(0)
	v_and_b32_e32 v32, 0xff, v32
	s_and_b64 s[12:13], exec, vcc
	v_and_b32_e32 v34, v26, v32
	v_bfe_u32 v32, v32, s10, 2
	s_or_b64 s[20:21], s[12:13], s[20:21]
	v_cmp_eq_u32_e32 vcc, v34, v27
	v_cmp_eq_u32_e64 s[18:19], 0, v32
	s_and_b64 s[12:13], vcc, s[18:19]
	v_cndmask_b32_e64 v34, 0, 1, s[12:13]
	v_cmp_ne_u32_e64 s[18:19], 0, v34
	s_bcnt1_i32_b64 s11, s[18:19]
	v_cmp_eq_u32_e64 s[18:19], 1, v32
	s_and_b64 s[12:13], vcc, s[18:19]
	v_cndmask_b32_e64 v34, 0, 1, s[12:13]
	v_cmp_ne_u32_e64 s[18:19], 0, v34
	v_add_u32_e32 v2, s11, v2
	s_bcnt1_i32_b64 s11, s[18:19]
	v_cmp_eq_u32_e64 s[18:19], 2, v32
	s_and_b64 s[12:13], vcc, s[18:19]
	v_cndmask_b32_e64 v34, 0, 1, s[12:13]
	v_cmp_ne_u32_e64 s[18:19], 0, v34
	v_add_u32_e32 v3, s11, v3
	s_bcnt1_i32_b64 s11, s[18:19]
	v_cmp_eq_u32_e64 s[18:19], 3, v32
	s_and_b64 s[12:13], vcc, s[18:19]
	v_cndmask_b32_e64 v32, 0, 1, s[12:13]
	v_cmp_ne_u32_e32 vcc, 0, v32
	v_add_u32_e32 v4, s11, v4
	s_bcnt1_i32_b64 s11, vcc
	v_add_u32_e32 v5, s11, v5
	v_add_u32_e32 v30, s8, v30
	v_mov_b32_e32 v32, v33
	s_andn2_b64 exec, exec, s[20:21]
	s_cbranch_execz .LBB10_49
.LBB10_47:                              ;   Parent Loop BB10_6 Depth=1
                                        ; =>  This Inner Loop Header: Depth=2
	v_add_u32_e32 v31, s33, v31
	v_cmp_gt_u32_e64 s[18:19], s60, v31
	v_cmp_le_u32_e32 vcc, s60, v31
	v_mov_b32_e32 v33, 0
	s_and_saveexec_b64 s[22:23], s[18:19]
	s_cbranch_execz .LBB10_46
; %bb.48:                               ;   in Loop: Header=BB10_47 Depth=2
	global_load_ubyte v33, v30, s[72:73]
	s_branch .LBB10_46
.LBB10_49:                              ;   in Loop: Header=BB10_6 Depth=1
	s_or_b64 exec, exec, s[20:21]
.LBB10_50:                              ;   in Loop: Header=BB10_6 Depth=1
	s_or_b64 exec, exec, s[16:17]
	s_branch .LBB10_60
.LBB10_51:                              ;   in Loop: Header=BB10_6 Depth=1
	v_readlane_b32 s10, v47, 50
	s_mul_hi_u32 s10, s6, s10
	s_mul_i32 s10, s10, s9
	s_sub_i32 s10, s6, s10
	s_sub_i32 s11, s10, s9
	s_cmp_ge_u32 s10, s9
	s_cselect_b32 s10, s11, s10
	s_sub_i32 s11, s10, s9
	s_cmp_ge_u32 s10, s9
	s_cselect_b32 s10, s11, s10
	s_sub_i32 s12, s6, s10
	v_cmp_gt_u32_e32 vcc, s12, v14
	s_mov_b32 s82, 0
	s_waitcnt vmcnt(0)
	v_mov_b32_e32 v2, 0
	v_mov_b32_e32 v3, 0
	;; [unrolled: 1-line block ×4, first 2 shown]
	s_and_saveexec_b64 s[92:93], vcc
	s_cbranch_execz .LBB10_55
; %bb.52:                               ;   in Loop: Header=BB10_6 Depth=1
	s_and_b32 s13, s88, 0xfe
	s_mov_b64 s[16:17], 0
	s_mov_b32 s10, 0
	s_mov_b32 s11, 0
	;; [unrolled: 1-line block ×3, first 2 shown]
	v_mov_b32_e32 v30, v14
.LBB10_53:                              ;   Parent Loop BB10_6 Depth=1
                                        ; =>  This Inner Loop Header: Depth=2
	ds_read_b32 v2, v30
	v_add_u32_e32 v30, s9, v30
	v_cmp_le_u32_e32 vcc, s12, v30
	s_waitcnt lgkmcnt(0)
	v_and_b32_e32 v4, 0xff, v2
	v_bfe_u32 v5, v2, 8, 8
	v_and_b32_e32 v31, v26, v4
	v_bfe_u32 v4, v4, s13, 2
	v_lshrrev_b32_e32 v3, 24, v2
	v_bfe_u32 v2, v2, 16, 8
	v_and_b32_e32 v32, v26, v5
	v_bfe_u32 v5, v5, s13, 2
	v_cmp_eq_u32_e64 s[18:19], v31, v27
	v_cmp_eq_u32_e64 s[26:27], 0, v4
	v_and_b32_e32 v33, v26, v2
	v_bfe_u32 v2, v2, s13, 2
	v_cmp_eq_u32_e64 s[20:21], v32, v27
	v_cmp_eq_u32_e64 s[28:29], 0, v5
	s_and_b64 s[26:27], s[18:19], s[26:27]
	v_and_b32_e32 v34, v26, v3
	v_bfe_u32 v3, v3, s13, 2
	v_cmp_eq_u32_e64 s[22:23], v33, v27
	v_cmp_eq_u32_e64 s[30:31], 0, v2
	;; [unrolled: 1-line block ×5, first 2 shown]
	v_cndmask_b32_e64 v2, 0, 1, s[26:27]
	s_and_b64 s[26:27], s[20:21], s[28:29]
	v_cmp_eq_u32_e64 s[24:25], v34, v27
	v_cmp_eq_u32_e64 s[34:35], 0, v3
	;; [unrolled: 1-line block ×5, first 2 shown]
	v_cndmask_b32_e64 v3, 0, 1, s[26:27]
	s_and_b64 s[26:27], s[22:23], s[30:31]
	v_cmp_eq_u32_e64 s[36:37], 1, v4
	v_cmp_eq_u32_e64 s[44:45], 2, v4
	v_cmp_eq_u32_e64 s[52:53], 3, v4
	v_cndmask_b32_e64 v4, 0, 1, s[26:27]
	s_and_b64 s[26:27], s[24:25], s[34:35]
	v_cmp_eq_u32_e64 s[38:39], 1, v5
	v_cmp_eq_u32_e64 s[46:47], 2, v5
	;; [unrolled: 1-line block ×3, first 2 shown]
	v_cndmask_b32_e64 v5, 0, 1, s[26:27]
	s_and_b64 s[26:27], s[18:19], s[36:37]
	v_cndmask_b32_e64 v31, 0, 1, s[26:27]
	s_and_b64 s[26:27], s[20:21], s[38:39]
	v_cndmask_b32_e64 v32, 0, 1, s[26:27]
	s_and_b64 s[26:27], s[22:23], s[40:41]
	v_cndmask_b32_e64 v33, 0, 1, s[26:27]
	s_and_b64 s[26:27], s[24:25], s[42:43]
	v_cndmask_b32_e64 v34, 0, 1, s[26:27]
	s_and_b64 s[26:27], s[18:19], s[44:45]
	s_and_b64 s[18:19], s[18:19], s[52:53]
	v_cndmask_b32_e64 v35, 0, 1, s[26:27]
	s_and_b64 s[26:27], s[20:21], s[46:47]
	v_cndmask_b32_e64 v39, 0, 1, s[18:19]
	;; [unrolled: 2-line block ×7, first 2 shown]
	v_cndmask_b32_e64 v42, 0, 1, s[18:19]
	v_cmp_ne_u32_e64 s[18:19], 0, v2
	v_cmp_ne_u32_e64 s[20:21], 0, v3
	;; [unrolled: 1-line block ×11, first 2 shown]
	s_bcnt1_i32_b64 s18, s[18:19]
	s_bcnt1_i32_b64 s19, s[20:21]
	;; [unrolled: 1-line block ×8, first 2 shown]
	v_cmp_ne_u32_e64 s[34:35], 0, v34
	v_cmp_ne_u32_e64 s[40:41], 0, v37
	;; [unrolled: 1-line block ×3, first 2 shown]
	s_bcnt1_i32_b64 s23, s[28:29]
	s_bcnt1_i32_b64 s27, s[38:39]
	;; [unrolled: 1-line block ×3, first 2 shown]
	s_add_i32 s18, s83, s18
	s_add_i32 s11, s11, s22
	;; [unrolled: 1-line block ×4, first 2 shown]
	v_cmp_ne_u32_e64 s[42:43], 0, v38
	v_cmp_ne_u32_e64 s[50:51], 0, v42
	s_bcnt1_i32_b64 s25, s[34:35]
	s_bcnt1_i32_b64 s28, s[40:41]
	;; [unrolled: 1-line block ×3, first 2 shown]
	s_add_i32 s18, s18, s19
	s_add_i32 s11, s11, s23
	;; [unrolled: 1-line block ×4, first 2 shown]
	s_bcnt1_i32_b64 s29, s[42:43]
	s_bcnt1_i32_b64 s35, s[50:51]
	s_add_i32 s18, s18, s20
	s_add_i32 s11, s11, s24
	;; [unrolled: 1-line block ×8, first 2 shown]
	s_or_b64 s[16:17], vcc, s[16:17]
	v_mov_b32_e32 v2, s83
	v_mov_b32_e32 v3, s11
	;; [unrolled: 1-line block ×4, first 2 shown]
	s_andn2_b64 exec, exec, s[16:17]
	s_cbranch_execnz .LBB10_53
; %bb.54:                               ;   in Loop: Header=BB10_6 Depth=1
	s_or_b64 exec, exec, s[16:17]
.LBB10_55:                              ;   in Loop: Header=BB10_6 Depth=1
	s_or_b64 exec, exec, s[92:93]
	v_add_u32_e32 v30, s12, v0
	v_cmp_gt_u32_e32 vcc, s6, v30
	s_and_saveexec_b64 s[16:17], vcc
	s_cbranch_execz .LBB10_59
; %bb.56:                               ;   in Loop: Header=BB10_6 Depth=1
	s_and_b32 s10, s88, 0xfe
	s_mov_b64 s[28:29], 0
.LBB10_57:                              ;   Parent Loop BB10_6 Depth=1
                                        ; =>  This Inner Loop Header: Depth=2
	ds_read_u8 v31, v30
	v_add_u32_e32 v30, s33, v30
	v_cmp_le_u32_e32 vcc, s6, v30
	s_waitcnt lgkmcnt(0)
	v_and_b32_e32 v32, v26, v31
	v_bfe_u32 v31, v31, s10, 2
	v_cmp_eq_u32_e64 s[18:19], v32, v27
	v_cmp_eq_u32_e64 s[20:21], 0, v31
	;; [unrolled: 1-line block ×3, first 2 shown]
	s_and_b64 s[12:13], s[18:19], s[20:21]
	v_cmp_eq_u32_e64 s[24:25], 2, v31
	v_cmp_eq_u32_e64 s[26:27], 3, v31
	v_cndmask_b32_e64 v31, 0, 1, s[12:13]
	s_and_b64 s[12:13], s[18:19], s[22:23]
	v_cndmask_b32_e64 v32, 0, 1, s[12:13]
	s_and_b64 s[12:13], s[18:19], s[24:25]
	;; [unrolled: 2-line block ×3, first 2 shown]
	v_cndmask_b32_e64 v34, 0, 1, s[12:13]
	v_cmp_ne_u32_e64 s[18:19], 0, v31
	v_cmp_ne_u32_e64 s[20:21], 0, v32
	;; [unrolled: 1-line block ×4, first 2 shown]
	s_bcnt1_i32_b64 s11, s[18:19]
	s_bcnt1_i32_b64 s12, s[20:21]
	;; [unrolled: 1-line block ×4, first 2 shown]
	v_add_u32_e32 v2, s11, v2
	v_add_u32_e32 v3, s12, v3
	;; [unrolled: 1-line block ×3, first 2 shown]
	s_or_b64 s[28:29], vcc, s[28:29]
	v_add_u32_e32 v5, s18, v5
	s_andn2_b64 exec, exec, s[28:29]
	s_cbranch_execnz .LBB10_57
; %bb.58:                               ;   in Loop: Header=BB10_6 Depth=1
	s_or_b64 exec, exec, s[28:29]
.LBB10_59:                              ;   in Loop: Header=BB10_6 Depth=1
	s_or_b64 exec, exec, s[16:17]
.LBB10_60:                              ;   in Loop: Header=BB10_6 Depth=1
	s_lshl_b32 s6, s89, 6
	s_and_saveexec_b64 s[16:17], s[0:1]
	s_cbranch_execz .LBB10_62
; %bb.61:                               ;   in Loop: Header=BB10_6 Depth=1
	v_or_b32_e32 v30, s6, v16
	v_lshlrev_b32_e32 v30, 2, v30
	s_waitcnt vmcnt(0)
	ds_write_b128 v30, v[2:5] offset:3072
.LBB10_62:                              ;   in Loop: Header=BB10_6 Depth=1
	s_or_b64 exec, exec, s[16:17]
	s_waitcnt lgkmcnt(0)
	s_barrier
	s_and_saveexec_b64 s[16:17], s[84:85]
	s_cbranch_execz .LBB10_76
; %bb.63:                               ;   in Loop: Header=BB10_6 Depth=1
	v_readlane_b32 s10, v47, 31
	v_readlane_b32 s11, v47, 32
	v_add_u32_e32 v4, s6, v13
	s_andn2_b64 vcc, exec, s[10:11]
	s_waitcnt vmcnt(0)
	v_mov_b32_e32 v2, 0
	s_cbranch_vccnz .LBB10_75
; %bb.64:                               ;   in Loop: Header=BB10_6 Depth=1
	v_readlane_b32 s12, v47, 36
	v_readlane_b32 s13, v47, 37
	s_mov_b32 s10, 0
	s_and_b64 vcc, exec, s[12:13]
	v_mov_b32_e32 v2, 0
	s_cbranch_vccz .LBB10_68
; %bb.65:                               ;   in Loop: Header=BB10_6 Depth=1
	v_readlane_b32 s10, v47, 40
	v_readlane_b32 s18, v47, 14
	;; [unrolled: 1-line block ×3, first 2 shown]
	v_lshl_add_u32 v5, v4, 2, v25
	v_readlane_b32 s19, v47, 15
	s_andn2_b64 vcc, exec, s[10:11]
	s_cbranch_vccnz .LBB10_69
; %bb.66:                               ;   in Loop: Header=BB10_6 Depth=1
	v_writelane_b32 v47, s18, 14
	v_writelane_b32 v47, s19, 15
	s_mov_b32 s19, 1
	s_mov_b32 s18, 0
	v_mov_b32_e32 v2, 0
	v_readlane_b32 s10, v47, 42
	v_mov_b32_e32 v3, 0
.LBB10_67:                              ;   Parent Loop BB10_6 Depth=1
                                        ; =>  This Inner Loop Header: Depth=2
	v_lshl_add_u32 v42, s18, 4, v5
	v_lshl_add_u32 v44, s19, 4, v5
	ds_read2_b32 v[30:31], v42 offset1:8
	ds_read2_b32 v[32:33], v44 offset1:8
	ds_read2_b32 v[34:35], v42 offset0:16 offset1:24
	ds_read2_b32 v[36:37], v44 offset0:16 offset1:24
	;; [unrolled: 1-line block ×6, first 2 shown]
	s_waitcnt lgkmcnt(7)
	v_add3_u32 v2, v30, v2, v31
	s_waitcnt lgkmcnt(6)
	v_add3_u32 v3, v32, v3, v33
	;; [unrolled: 2-line block ×3, first 2 shown]
	v_add3_u32 v2, v34, v2, v35
	s_add_i32 s19, s19, 16
	s_add_i32 s18, s18, 16
	s_add_i32 s10, s10, -8
	s_waitcnt lgkmcnt(3)
	v_add3_u32 v2, v38, v2, v39
	s_waitcnt lgkmcnt(2)
	v_add3_u32 v3, v40, v3, v41
	s_cmp_lg_u32 s10, 0
	s_waitcnt lgkmcnt(0)
	v_add3_u32 v3, v44, v3, v45
	v_add3_u32 v2, v42, v2, v43
	s_cbranch_scc1 .LBB10_67
	s_branch .LBB10_70
.LBB10_68:                              ;   in Loop: Header=BB10_6 Depth=1
	s_cbranch_execnz .LBB10_73
	s_branch .LBB10_75
.LBB10_69:                              ;   in Loop: Header=BB10_6 Depth=1
	s_mov_b32 s10, s18
	s_mov_b32 s19, s18
	v_writelane_b32 v47, s10, 14
	v_pk_mov_b32 v[2:3], s[18:19], s[18:19] op_sel:[0,1]
	s_mov_b32 s19, 1
	v_writelane_b32 v47, s11, 15
.LBB10_70:                              ;   in Loop: Header=BB10_6 Depth=1
	v_readlane_b32 s10, v47, 44
	v_readlane_b32 s11, v47, 45
	s_andn2_b64 vcc, exec, s[10:11]
	v_readlane_b32 s10, v47, 43
	s_cbranch_vccnz .LBB10_72
.LBB10_71:                              ;   Parent Loop BB10_6 Depth=1
                                        ; =>  This Inner Loop Header: Depth=2
	v_lshl_add_u32 v30, s18, 4, v5
	v_lshl_add_u32 v31, s19, 4, v5
	ds_read_b32 v31, v31
	ds_read_b32 v30, v30
	s_add_i32 s19, s19, 2
	s_add_i32 s18, s18, 2
	s_add_i32 s10, s10, -1
	s_cmp_lg_u32 s10, 0
	s_waitcnt lgkmcnt(1)
	v_add_u32_e32 v3, v31, v3
	s_waitcnt lgkmcnt(0)
	v_add_u32_e32 v2, v30, v2
	s_cbranch_scc1 .LBB10_71
.LBB10_72:                              ;   in Loop: Header=BB10_6 Depth=1
	v_readlane_b32 s18, v47, 48
	v_add_u32_e32 v2, v2, v3
	v_readlane_b32 s10, v47, 47
	v_readlane_b32 s19, v47, 49
	s_and_b64 vcc, exec, s[18:19]
	s_cbranch_vccz .LBB10_75
.LBB10_73:                              ;   in Loop: Header=BB10_6 Depth=1
	s_lshl_b32 s11, s89, 8
	s_lshl_b32 s12, s10, 4
	s_add_i32 s11, s11, s12
	v_add_u32_e32 v3, s11, v23
	v_readlane_b32 s11, v47, 46
	s_sub_i32 s10, s11, s10
.LBB10_74:                              ;   Parent Loop BB10_6 Depth=1
                                        ; =>  This Inner Loop Header: Depth=2
	ds_read_b32 v5, v3
	s_add_i32 s10, s10, -1
	v_add_u32_e32 v3, 16, v3
	s_cmp_eq_u32 s10, 0
	s_waitcnt lgkmcnt(0)
	v_add_u32_e32 v2, v5, v2
	s_cbranch_scc0 .LBB10_74
.LBB10_75:                              ;   in Loop: Header=BB10_6 Depth=1
	v_lshlrev_b32_e32 v3, 2, v4
	ds_write_b32 v3, v2 offset:3072
.LBB10_76:                              ;   in Loop: Header=BB10_6 Depth=1
	s_or_b64 exec, exec, s[16:17]
	s_lshl_b32 s6, s6, 2
	s_waitcnt vmcnt(0)
	v_mov_b32_e32 v2, s6
	s_waitcnt lgkmcnt(0)
	s_barrier
	ds_read_b128 v[2:5], v2 offset:3072
	s_and_b32 s82, s88, 0xfe
	s_lshl_b32 s12, 3, s82
	s_not_b32 s13, s12
	s_andn2_b64 vcc, exec, s[62:63]
	s_waitcnt lgkmcnt(0)
	v_readfirstlane_b32 s83, v2
	v_readfirstlane_b32 s6, v3
	;; [unrolled: 1-line block ×4, first 2 shown]
	v_cmp_eq_u32_e64 s[18:19], 1, v29
	s_cbranch_vccnz .LBB10_88
; %bb.77:                               ;   in Loop: Header=BB10_6 Depth=1
	s_cmp_eq_u32 s83, 1
	s_cselect_b64 s[10:11], -1, 0
	s_and_b64 s[36:37], s[10:11], s[18:19]
	s_mov_b64 s[38:39], -1
	v_mov_b32_e32 v2, v27
	v_mov_b32_e32 v3, v26
	v_mov_b32_e32 v4, v28
                                        ; implicit-def: $sgpr22_sgpr23
                                        ; implicit-def: $sgpr28_sgpr29
                                        ; implicit-def: $sgpr26_sgpr27
	s_and_saveexec_b64 s[16:17], s[36:37]
	s_cbranch_execz .LBB10_103
; %bb.78:                               ;   in Loop: Header=BB10_6 Depth=1
	ds_read_b32 v2, v24 offset:4096
	s_waitcnt lgkmcnt(0)
	s_barrier
	v_readfirstlane_b32 s10, v2
	s_and_saveexec_b64 s[20:21], s[4:5]
	s_cbranch_execz .LBB10_80
; %bb.79:                               ;   in Loop: Header=BB10_6 Depth=1
	ds_write_b8 v0, v1 offset:3072
.LBB10_80:                              ;   in Loop: Header=BB10_6 Depth=1
	s_or_b64 exec, exec, s[20:21]
	v_and_b32_e32 v2, s13, v27
	v_or_b32_e32 v3, s12, v26
	s_cmp_eq_u32 s10, 0
	s_waitcnt lgkmcnt(0)
	s_barrier
	s_cbranch_scc1 .LBB10_90
; %bb.81:                               ;   in Loop: Header=BB10_6 Depth=1
	v_readlane_b32 s11, v47, 33
	s_add_i32 s11, s10, s11
	v_readlane_b32 s20, v47, 53
	s_mul_hi_u32 s20, s11, s20
	s_mul_i32 s20, s20, s33
	s_sub_i32 s20, s11, s20
	s_sub_i32 s21, s20, s33
	s_cmp_ge_u32 s20, s33
	s_cselect_b32 s20, s21, s20
	s_sub_i32 s21, s20, s33
	s_cmp_ge_u32 s20, s33
	s_cselect_b32 s20, s21, s20
	s_sub_i32 s11, s11, s20
	v_cmp_gt_u32_e32 vcc, s11, v0
	s_mov_b64 s[20:21], 0
                                        ; implicit-def: $vgpr4
	s_and_saveexec_b64 s[22:23], vcc
	s_cbranch_execz .LBB10_92
; %bb.82:                               ;   in Loop: Header=BB10_6 Depth=1
	v_mov_b32_e32 v4, v0
                                        ; implicit-def: $sgpr24_sgpr25
	s_branch .LBB10_84
.LBB10_83:                              ;   in Loop: Header=BB10_84 Depth=2
	s_or_b64 exec, exec, s[26:27]
	s_waitcnt lgkmcnt(0)
	s_barrier
	ds_read_u16 v5, v24 offset:3072
	v_add_u32_e32 v4, s33, v4
	v_cmp_le_u32_e32 vcc, s11, v4
	s_waitcnt lgkmcnt(0)
	s_barrier
	v_cmp_ne_u16_sdwa s[26:27], v5, v1 src0_sel:BYTE_0 src1_sel:DWORD
	s_or_b64 s[28:29], vcc, s[26:27]
	s_and_b64 s[28:29], exec, s[28:29]
	s_or_b64 s[20:21], s[28:29], s[20:21]
	s_andn2_b64 s[24:25], s[24:25], exec
	s_and_b64 s[26:27], s[26:27], exec
	s_or_b64 s[24:25], s[24:25], s[26:27]
	s_andn2_b64 exec, exec, s[20:21]
	s_cbranch_execz .LBB10_91
.LBB10_84:                              ;   Parent Loop BB10_6 Depth=1
                                        ; =>  This Inner Loop Header: Depth=2
	v_cmp_gt_u32_e32 vcc, s10, v4
	v_mov_b32_e32 v5, 0
	s_and_saveexec_b64 s[26:27], vcc
	s_cbranch_execz .LBB10_86
; %bb.85:                               ;   in Loop: Header=BB10_84 Depth=2
	ds_read_u8 v5, v4
.LBB10_86:                              ;   in Loop: Header=BB10_84 Depth=2
	s_or_b64 exec, exec, s[26:27]
	s_waitcnt lgkmcnt(0)
	v_and_b32_e32 v30, v5, v3
	v_cmp_eq_u32_sdwa s[26:27], v30, v2 src0_sel:BYTE_0 src1_sel:DWORD
	s_and_b64 s[28:29], vcc, s[26:27]
	s_and_saveexec_b64 s[26:27], s[28:29]
	s_cbranch_execz .LBB10_83
; %bb.87:                               ;   in Loop: Header=BB10_84 Depth=2
	v_lshlrev_b16_e32 v5, 8, v5
	v_or_b32_e32 v5, 1, v5
	ds_write_b16 v24, v5 offset:3072
	s_branch .LBB10_83
.LBB10_88:                              ;   in Loop: Header=BB10_6 Depth=1
	s_mov_b64 s[24:25], 0
	s_mov_b64 s[20:21], 0
                                        ; implicit-def: $sgpr26_sgpr27
                                        ; implicit-def: $sgpr28_sgpr29
                                        ; implicit-def: $sgpr22_sgpr23
                                        ; implicit-def: $vgpr30
                                        ; implicit-def: $vgpr5
                                        ; implicit-def: $vgpr2
                                        ; implicit-def: $vgpr3
                                        ; implicit-def: $vgpr4
	s_cbranch_execnz .LBB10_233
.LBB10_89:                              ;   in Loop: Header=BB10_6 Depth=1
	s_mov_b64 s[30:31], s[22:23]
	s_mov_b64 s[34:35], s[22:23]
	s_and_saveexec_b64 s[16:17], s[24:25]
	s_cbranch_execnz .LBB10_387
	s_branch .LBB10_388
.LBB10_90:                              ;   in Loop: Header=BB10_6 Depth=1
	s_mov_b64 s[22:23], -1
	s_mov_b64 s[20:21], 0
                                        ; implicit-def: $sgpr26_sgpr27
                                        ; implicit-def: $vgpr4
	s_mov_b64 s[28:29], s[22:23]
	s_cbranch_execnz .LBB10_93
	s_branch .LBB10_102
.LBB10_91:                              ;   in Loop: Header=BB10_6 Depth=1
	s_or_b64 exec, exec, s[20:21]
	v_lshrrev_b16_e32 v4, 8, v5
	s_and_b64 s[20:21], s[24:25], exec
.LBB10_92:                              ;   in Loop: Header=BB10_6 Depth=1
	s_or_b64 exec, exec, s[22:23]
	s_mov_b64 s[26:27], -1
	s_mov_b64 s[22:23], 0
	s_mov_b64 s[28:29], s[22:23]
	s_branch .LBB10_102
.LBB10_93:                              ;   in Loop: Header=BB10_6 Depth=1
	s_mov_b64 s[20:21], 0
                                        ; implicit-def: $vgpr4
	s_mov_b64 s[22:23], exec
	v_readlane_b32 s10, v47, 54
	v_readlane_b32 s11, v47, 55
	s_and_b64 s[10:11], s[22:23], s[10:11]
	s_mov_b64 exec, s[10:11]
	s_cbranch_execz .LBB10_101
; %bb.94:                               ;   in Loop: Header=BB10_6 Depth=1
	v_mov_b32_e32 v4, v15
	v_mov_b32_e32 v5, v0
                                        ; implicit-def: $sgpr24_sgpr25
	s_branch .LBB10_96
.LBB10_95:                              ;   in Loop: Header=BB10_96 Depth=2
	s_or_b64 exec, exec, s[26:27]
	s_waitcnt lgkmcnt(0)
	s_barrier
	ds_read_u16 v30, v24 offset:3072
	v_add_u32_e32 v5, s33, v5
	v_cmp_le_u32_e32 vcc, s7, v5
	v_add_u32_e32 v4, s8, v4
	s_waitcnt lgkmcnt(0)
	v_cmp_ne_u16_sdwa s[10:11], v30, v1 src0_sel:BYTE_0 src1_sel:DWORD
	s_or_b64 s[26:27], vcc, s[10:11]
	s_and_b64 s[26:27], exec, s[26:27]
	s_or_b64 s[20:21], s[26:27], s[20:21]
	s_andn2_b64 s[24:25], s[24:25], exec
	s_and_b64 s[10:11], s[10:11], exec
	s_or_b64 s[24:25], s[24:25], s[10:11]
	s_barrier
	s_andn2_b64 exec, exec, s[20:21]
	s_cbranch_execz .LBB10_100
.LBB10_96:                              ;   Parent Loop BB10_6 Depth=1
                                        ; =>  This Inner Loop Header: Depth=2
	v_cmp_gt_u32_e32 vcc, s60, v5
	v_mov_b32_e32 v30, 0
	s_and_saveexec_b64 s[26:27], vcc
	s_cbranch_execz .LBB10_98
; %bb.97:                               ;   in Loop: Header=BB10_96 Depth=2
	global_load_ubyte v30, v4, s[72:73]
.LBB10_98:                              ;   in Loop: Header=BB10_96 Depth=2
	s_or_b64 exec, exec, s[26:27]
	s_waitcnt vmcnt(0)
	v_and_b32_e32 v31, v30, v3
	v_cmp_eq_u32_sdwa s[10:11], v31, v2 src0_sel:BYTE_0 src1_sel:DWORD
	s_and_b64 s[10:11], vcc, s[10:11]
	s_and_saveexec_b64 s[26:27], s[10:11]
	s_cbranch_execz .LBB10_95
; %bb.99:                               ;   in Loop: Header=BB10_96 Depth=2
	v_lshlrev_b16_e32 v30, 8, v30
	v_or_b32_e32 v30, 1, v30
	ds_write_b16 v24, v30 offset:3072
	s_branch .LBB10_95
.LBB10_100:                             ;   in Loop: Header=BB10_6 Depth=1
	s_or_b64 exec, exec, s[20:21]
	v_lshrrev_b16_e32 v4, 8, v30
	s_and_b64 s[20:21], s[24:25], exec
.LBB10_101:                             ;   in Loop: Header=BB10_6 Depth=1
	s_or_b64 exec, exec, s[22:23]
	s_mov_b64 s[28:29], -1
	s_mov_b64 s[22:23], 0
	s_mov_b64 s[26:27], 0
.LBB10_102:                             ;   in Loop: Header=BB10_6 Depth=1
	s_orn2_b64 s[38:39], s[20:21], exec
.LBB10_103:                             ;   in Loop: Header=BB10_6 Depth=1
	s_or_b64 exec, exec, s[16:17]
	s_mov_b64 s[30:31], 0
	s_mov_b64 s[24:25], 0
	;; [unrolled: 1-line block ×3, first 2 shown]
                                        ; implicit-def: $vgpr30
                                        ; implicit-def: $vgpr5
	s_and_saveexec_b64 s[34:35], s[38:39]
	s_cbranch_execz .LBB10_232
; %bb.104:                              ;   in Loop: Header=BB10_6 Depth=1
	s_xor_b64 s[10:11], s[36:37], -1
	v_mov_b32_e32 v5, 1
	v_mov_b32_e32 v30, 1
	s_and_saveexec_b64 s[16:17], s[10:11]
	s_cbranch_execz .LBB10_114
; %bb.105:                              ;   in Loop: Header=BB10_6 Depth=1
	v_cmp_ge_u32_e32 vcc, s83, v29
                                        ; implicit-def: $sgpr10
                                        ; implicit-def: $sgpr20_sgpr21
	s_and_saveexec_b64 s[24:25], vcc
	s_xor_b64 s[24:25], exec, s[24:25]
	s_cbranch_execz .LBB10_111
; %bb.106:                              ;   in Loop: Header=BB10_6 Depth=1
	ds_read_b32 v5, v24 offset:4096
	s_waitcnt lgkmcnt(0)
	v_cmp_ne_u32_e32 vcc, 0, v5
	s_cbranch_vccnz .LBB10_110
; %bb.107:                              ;   in Loop: Header=BB10_6 Depth=1
	s_mov_b64 s[20:21], exec
	v_readlane_b32 s10, v47, 24
	v_readlane_b32 s11, v47, 25
	s_and_b64 s[10:11], s[20:21], s[10:11]
	s_mov_b64 exec, s[10:11]
	s_cbranch_execz .LBB10_109
; %bb.108:                              ;   in Loop: Header=BB10_6 Depth=1
	v_mov_b32_e32 v5, s83
	ds_write_b32 v24, v5 offset:4100
.LBB10_109:                             ;   in Loop: Header=BB10_6 Depth=1
	s_or_b64 exec, exec, s[20:21]
	s_waitcnt lgkmcnt(0)
	s_barrier
.LBB10_110:                             ;   in Loop: Header=BB10_6 Depth=1
	v_and_b32_e32 v2, s13, v2
	v_or_b32_e32 v3, s12, v3
	s_mov_b64 s[20:21], 0
	s_mov_b32 s10, 8
.LBB10_111:                             ;   in Loop: Header=BB10_6 Depth=1
	s_or_saveexec_b64 s[24:25], s[24:25]
	v_mov_b32_e32 v30, s10
	v_mov_b32_e32 v5, v29
	s_xor_b64 exec, exec, s[24:25]
; %bb.112:                              ;   in Loop: Header=BB10_6 Depth=1
	v_subrev_u32_e32 v5, s83, v29
	v_mov_b32_e32 v30, 0
	s_or_b64 s[20:21], s[20:21], exec
; %bb.113:                              ;   in Loop: Header=BB10_6 Depth=1
	s_or_b64 exec, exec, s[24:25]
	s_and_b64 s[20:21], s[20:21], exec
.LBB10_114:                             ;   in Loop: Header=BB10_6 Depth=1
	s_or_b64 exec, exec, s[16:17]
	s_mov_b64 s[38:39], -1
                                        ; implicit-def: $sgpr16_sgpr17
                                        ; implicit-def: $sgpr24_sgpr25
                                        ; implicit-def: $sgpr40_sgpr41
	s_and_saveexec_b64 s[10:11], s[20:21]
	s_xor_b64 s[20:21], exec, s[10:11]
	s_cbranch_execz .LBB10_229
; %bb.115:                              ;   in Loop: Header=BB10_6 Depth=1
	s_cmp_eq_u32 s6, 1
	s_cselect_b64 s[10:11], -1, 0
	v_cmp_eq_u32_e32 vcc, 1, v5
	s_and_b64 s[42:43], s[10:11], vcc
	s_mov_b64 s[46:47], -1
                                        ; implicit-def: $sgpr24_sgpr25
                                        ; implicit-def: $sgpr38_sgpr39
                                        ; implicit-def: $sgpr36_sgpr37
	s_and_saveexec_b64 s[16:17], s[42:43]
	s_cbranch_execz .LBB10_139
; %bb.116:                              ;   in Loop: Header=BB10_6 Depth=1
	ds_read_b32 v4, v24 offset:4096
	s_waitcnt lgkmcnt(0)
	s_barrier
	v_readfirstlane_b32 s10, v4
	s_and_saveexec_b64 s[24:25], s[4:5]
	s_cbranch_execz .LBB10_118
; %bb.117:                              ;   in Loop: Header=BB10_6 Depth=1
	ds_write_b8 v0, v1 offset:3072
.LBB10_118:                             ;   in Loop: Header=BB10_6 Depth=1
	s_or_b64 exec, exec, s[24:25]
	v_and_b32_e32 v2, s13, v2
	v_lshl_or_b32 v2, 1, s82, v2
	v_or_b32_e32 v3, s12, v3
	s_cmp_eq_u32 s10, 0
	s_waitcnt lgkmcnt(0)
	s_barrier
	s_cbranch_scc1 .LBB10_126
; %bb.119:                              ;   in Loop: Header=BB10_6 Depth=1
	v_readlane_b32 s11, v47, 33
	s_add_i32 s11, s10, s11
	v_readlane_b32 s24, v47, 53
	s_mul_hi_u32 s24, s11, s24
	s_mul_i32 s24, s24, s33
	s_sub_i32 s24, s11, s24
	s_sub_i32 s25, s24, s33
	s_cmp_ge_u32 s24, s33
	s_cselect_b32 s24, s25, s24
	s_sub_i32 s25, s24, s33
	s_cmp_ge_u32 s24, s33
	s_cselect_b32 s24, s25, s24
	s_sub_i32 s11, s11, s24
	v_cmp_gt_u32_e32 vcc, s11, v0
	s_mov_b64 s[40:41], 0
                                        ; implicit-def: $vgpr4
	s_and_saveexec_b64 s[24:25], vcc
	s_cbranch_execz .LBB10_128
; %bb.120:                              ;   in Loop: Header=BB10_6 Depth=1
	s_mov_b64 s[36:37], 0
	v_mov_b32_e32 v4, v0
                                        ; implicit-def: $sgpr38_sgpr39
	s_branch .LBB10_122
.LBB10_121:                             ;   in Loop: Header=BB10_122 Depth=2
	s_or_b64 exec, exec, s[40:41]
	s_waitcnt lgkmcnt(0)
	s_barrier
	ds_read_u16 v30, v24 offset:3072
	v_add_u32_e32 v4, s33, v4
	v_cmp_le_u32_e32 vcc, s11, v4
	s_waitcnt lgkmcnt(0)
	s_barrier
	v_cmp_ne_u16_sdwa s[40:41], v30, v1 src0_sel:BYTE_0 src1_sel:DWORD
	s_or_b64 s[44:45], vcc, s[40:41]
	s_and_b64 s[44:45], exec, s[44:45]
	s_or_b64 s[36:37], s[44:45], s[36:37]
	s_andn2_b64 s[38:39], s[38:39], exec
	s_and_b64 s[40:41], s[40:41], exec
	s_or_b64 s[38:39], s[38:39], s[40:41]
	s_andn2_b64 exec, exec, s[36:37]
	s_cbranch_execz .LBB10_127
.LBB10_122:                             ;   Parent Loop BB10_6 Depth=1
                                        ; =>  This Inner Loop Header: Depth=2
	v_cmp_gt_u32_e32 vcc, s10, v4
	v_mov_b32_e32 v30, 0
	s_and_saveexec_b64 s[40:41], vcc
	s_cbranch_execz .LBB10_124
; %bb.123:                              ;   in Loop: Header=BB10_122 Depth=2
	ds_read_u8 v30, v4
.LBB10_124:                             ;   in Loop: Header=BB10_122 Depth=2
	s_or_b64 exec, exec, s[40:41]
	s_waitcnt lgkmcnt(0)
	v_and_b32_e32 v31, v30, v3
	v_cmp_eq_u32_sdwa s[40:41], v31, v2 src0_sel:BYTE_0 src1_sel:DWORD
	s_and_b64 s[44:45], vcc, s[40:41]
	s_and_saveexec_b64 s[40:41], s[44:45]
	s_cbranch_execz .LBB10_121
; %bb.125:                              ;   in Loop: Header=BB10_122 Depth=2
	v_lshlrev_b16_e32 v30, 8, v30
	v_or_b32_e32 v30, 1, v30
	ds_write_b16 v24, v30 offset:3072
	s_branch .LBB10_121
.LBB10_126:                             ;   in Loop: Header=BB10_6 Depth=1
	s_mov_b64 s[24:25], -1
	s_mov_b64 s[40:41], 0
                                        ; implicit-def: $sgpr36_sgpr37
                                        ; implicit-def: $vgpr4
	s_mov_b64 s[38:39], s[24:25]
	s_cbranch_execnz .LBB10_129
	s_branch .LBB10_138
.LBB10_127:                             ;   in Loop: Header=BB10_6 Depth=1
	s_or_b64 exec, exec, s[36:37]
	v_lshrrev_b16_e32 v4, 8, v30
	s_and_b64 s[40:41], s[38:39], exec
.LBB10_128:                             ;   in Loop: Header=BB10_6 Depth=1
	s_or_b64 exec, exec, s[24:25]
	s_mov_b64 s[36:37], -1
	s_mov_b64 s[24:25], 0
	s_mov_b64 s[38:39], s[24:25]
	s_branch .LBB10_138
.LBB10_129:                             ;   in Loop: Header=BB10_6 Depth=1
	s_mov_b64 s[40:41], 0
                                        ; implicit-def: $vgpr4
	s_mov_b64 s[24:25], exec
	v_readlane_b32 s10, v47, 54
	v_readlane_b32 s11, v47, 55
	s_and_b64 s[10:11], s[24:25], s[10:11]
	s_mov_b64 exec, s[10:11]
	s_cbranch_execz .LBB10_137
; %bb.130:                              ;   in Loop: Header=BB10_6 Depth=1
	s_mov_b64 s[36:37], 0
	v_mov_b32_e32 v4, v15
	v_mov_b32_e32 v30, v0
                                        ; implicit-def: $sgpr38_sgpr39
	s_branch .LBB10_132
.LBB10_131:                             ;   in Loop: Header=BB10_132 Depth=2
	s_or_b64 exec, exec, s[40:41]
	s_waitcnt lgkmcnt(0)
	s_barrier
	ds_read_u16 v31, v24 offset:3072
	v_add_u32_e32 v30, s33, v30
	v_cmp_le_u32_e32 vcc, s7, v30
	v_add_u32_e32 v4, s8, v4
	s_waitcnt lgkmcnt(0)
	v_cmp_ne_u16_sdwa s[10:11], v31, v1 src0_sel:BYTE_0 src1_sel:DWORD
	s_or_b64 s[40:41], vcc, s[10:11]
	s_and_b64 s[40:41], exec, s[40:41]
	s_or_b64 s[36:37], s[40:41], s[36:37]
	s_andn2_b64 s[38:39], s[38:39], exec
	s_and_b64 s[10:11], s[10:11], exec
	s_or_b64 s[38:39], s[38:39], s[10:11]
	s_barrier
	s_andn2_b64 exec, exec, s[36:37]
	s_cbranch_execz .LBB10_136
.LBB10_132:                             ;   Parent Loop BB10_6 Depth=1
                                        ; =>  This Inner Loop Header: Depth=2
	v_cmp_gt_u32_e32 vcc, s60, v30
	v_mov_b32_e32 v31, 0
	s_and_saveexec_b64 s[40:41], vcc
	s_cbranch_execz .LBB10_134
; %bb.133:                              ;   in Loop: Header=BB10_132 Depth=2
	global_load_ubyte v31, v4, s[72:73]
.LBB10_134:                             ;   in Loop: Header=BB10_132 Depth=2
	s_or_b64 exec, exec, s[40:41]
	s_waitcnt vmcnt(0)
	v_and_b32_e32 v32, v31, v3
	v_cmp_eq_u32_sdwa s[10:11], v32, v2 src0_sel:BYTE_0 src1_sel:DWORD
	s_and_b64 s[10:11], vcc, s[10:11]
	s_and_saveexec_b64 s[40:41], s[10:11]
	s_cbranch_execz .LBB10_131
; %bb.135:                              ;   in Loop: Header=BB10_132 Depth=2
	v_lshlrev_b16_e32 v31, 8, v31
	v_or_b32_e32 v31, 1, v31
	ds_write_b16 v24, v31 offset:3072
	s_branch .LBB10_131
.LBB10_136:                             ;   in Loop: Header=BB10_6 Depth=1
	s_or_b64 exec, exec, s[36:37]
	v_lshrrev_b16_e32 v4, 8, v31
	s_and_b64 s[40:41], s[38:39], exec
.LBB10_137:                             ;   in Loop: Header=BB10_6 Depth=1
	s_or_b64 exec, exec, s[24:25]
	s_mov_b64 s[38:39], -1
	s_mov_b64 s[24:25], 0
	s_mov_b64 s[36:37], 0
.LBB10_138:                             ;   in Loop: Header=BB10_6 Depth=1
	s_orn2_b64 s[46:47], s[40:41], exec
.LBB10_139:                             ;   in Loop: Header=BB10_6 Depth=1
	s_or_b64 exec, exec, s[16:17]
	s_mov_b64 s[44:45], 0
                                        ; implicit-def: $vgpr30
	s_and_saveexec_b64 s[40:41], s[46:47]
	s_cbranch_execz .LBB10_228
; %bb.140:                              ;   in Loop: Header=BB10_6 Depth=1
	s_xor_b64 s[10:11], s[42:43], -1
	s_mov_b64 s[46:47], 0
	v_mov_b32_e32 v31, 1
	v_mov_b32_e32 v30, 1
	s_and_saveexec_b64 s[16:17], s[10:11]
	s_cbranch_execz .LBB10_150
; %bb.141:                              ;   in Loop: Header=BB10_6 Depth=1
	v_cmp_ge_u32_e32 vcc, s6, v5
                                        ; implicit-def: $sgpr10
                                        ; implicit-def: $sgpr42_sgpr43
	s_and_saveexec_b64 s[44:45], vcc
	s_xor_b64 s[44:45], exec, s[44:45]
	s_cbranch_execz .LBB10_147
; %bb.142:                              ;   in Loop: Header=BB10_6 Depth=1
	ds_read_b32 v30, v24 offset:4096
	s_waitcnt lgkmcnt(0)
	v_cmp_ne_u32_e32 vcc, 0, v30
	s_cbranch_vccnz .LBB10_146
; %bb.143:                              ;   in Loop: Header=BB10_6 Depth=1
	s_mov_b64 s[42:43], exec
	v_readlane_b32 s10, v47, 24
	v_readlane_b32 s11, v47, 25
	s_and_b64 s[10:11], s[42:43], s[10:11]
	s_mov_b64 exec, s[10:11]
	s_cbranch_execz .LBB10_145
; %bb.144:                              ;   in Loop: Header=BB10_6 Depth=1
	v_mov_b32_e32 v30, s6
	ds_write_b32 v24, v30 offset:4100
.LBB10_145:                             ;   in Loop: Header=BB10_6 Depth=1
	s_or_b64 exec, exec, s[42:43]
	s_waitcnt lgkmcnt(0)
	s_barrier
.LBB10_146:                             ;   in Loop: Header=BB10_6 Depth=1
	v_and_b32_e32 v2, s13, v2
	v_lshl_or_b32 v2, 1, s82, v2
	v_or_b32_e32 v3, s12, v3
	s_mov_b64 s[42:43], 0
	s_mov_b32 s10, 8
.LBB10_147:                             ;   in Loop: Header=BB10_6 Depth=1
	s_or_saveexec_b64 s[44:45], s[44:45]
	v_mov_b32_e32 v30, s10
	s_xor_b64 exec, exec, s[44:45]
; %bb.148:                              ;   in Loop: Header=BB10_6 Depth=1
	v_subrev_u32_e32 v5, s6, v5
	v_mov_b32_e32 v30, 0
	s_or_b64 s[42:43], s[42:43], exec
; %bb.149:                              ;   in Loop: Header=BB10_6 Depth=1
	s_or_b64 exec, exec, s[44:45]
	s_and_b64 s[46:47], s[42:43], exec
	v_mov_b32_e32 v31, v5
.LBB10_150:                             ;   in Loop: Header=BB10_6 Depth=1
	s_or_b64 exec, exec, s[16:17]
	s_mov_b64 s[16:17], -1
                                        ; implicit-def: $sgpr44_sgpr45
                                        ; implicit-def: $sgpr48_sgpr49
                                        ; implicit-def: $sgpr50_sgpr51
	s_and_saveexec_b64 s[42:43], s[46:47]
	s_cbranch_execz .LBB10_227
; %bb.151:                              ;   in Loop: Header=BB10_6 Depth=1
	s_cmp_eq_u32 s56, 1
	s_cselect_b64 s[10:11], -1, 0
	v_cmp_eq_u32_e32 vcc, 1, v31
	s_and_b64 s[52:53], s[10:11], vcc
	s_mov_b64 s[54:55], -1
                                        ; implicit-def: $sgpr44_sgpr45
                                        ; implicit-def: $sgpr48_sgpr49
                                        ; implicit-def: $sgpr46_sgpr47
	s_and_saveexec_b64 s[16:17], s[52:53]
	s_cbranch_execz .LBB10_175
; %bb.152:                              ;   in Loop: Header=BB10_6 Depth=1
	ds_read_b32 v4, v24 offset:4096
	s_waitcnt lgkmcnt(0)
	s_barrier
	v_readfirstlane_b32 s10, v4
	s_and_saveexec_b64 s[44:45], s[4:5]
	s_cbranch_execz .LBB10_154
; %bb.153:                              ;   in Loop: Header=BB10_6 Depth=1
	ds_write_b8 v0, v1 offset:3072
.LBB10_154:                             ;   in Loop: Header=BB10_6 Depth=1
	s_or_b64 exec, exec, s[44:45]
	v_and_b32_e32 v2, s13, v2
	v_lshl_or_b32 v2, 2, s82, v2
	v_or_b32_e32 v3, s12, v3
	s_cmp_eq_u32 s10, 0
	s_waitcnt lgkmcnt(0)
	s_barrier
	s_cbranch_scc1 .LBB10_162
; %bb.155:                              ;   in Loop: Header=BB10_6 Depth=1
	v_readlane_b32 s11, v47, 33
	s_add_i32 s11, s10, s11
	v_readlane_b32 s44, v47, 53
	s_mul_hi_u32 s44, s11, s44
	s_mul_i32 s44, s44, s33
	s_sub_i32 s44, s11, s44
	s_sub_i32 s45, s44, s33
	s_cmp_ge_u32 s44, s33
	s_cselect_b32 s44, s45, s44
	s_sub_i32 s45, s44, s33
	s_cmp_ge_u32 s44, s33
	s_cselect_b32 s44, s45, s44
	s_sub_i32 s11, s11, s44
	v_cmp_gt_u32_e32 vcc, s11, v0
	s_mov_b64 s[50:51], 0
                                        ; implicit-def: $vgpr4
	s_and_saveexec_b64 s[44:45], vcc
	s_cbranch_execz .LBB10_164
; %bb.156:                              ;   in Loop: Header=BB10_6 Depth=1
	s_mov_b64 s[46:47], 0
	v_mov_b32_e32 v4, v0
                                        ; implicit-def: $sgpr48_sgpr49
	s_branch .LBB10_158
.LBB10_157:                             ;   in Loop: Header=BB10_158 Depth=2
	s_or_b64 exec, exec, s[50:51]
	s_waitcnt lgkmcnt(0)
	s_barrier
	ds_read_u16 v5, v24 offset:3072
	v_add_u32_e32 v4, s33, v4
	v_cmp_le_u32_e32 vcc, s11, v4
	s_waitcnt lgkmcnt(0)
	s_barrier
	v_cmp_ne_u16_sdwa s[50:51], v5, v1 src0_sel:BYTE_0 src1_sel:DWORD
	s_or_b64 s[54:55], vcc, s[50:51]
	s_and_b64 s[54:55], exec, s[54:55]
	s_or_b64 s[46:47], s[54:55], s[46:47]
	s_andn2_b64 s[48:49], s[48:49], exec
	s_and_b64 s[50:51], s[50:51], exec
	s_or_b64 s[48:49], s[48:49], s[50:51]
	s_andn2_b64 exec, exec, s[46:47]
	s_cbranch_execz .LBB10_163
.LBB10_158:                             ;   Parent Loop BB10_6 Depth=1
                                        ; =>  This Inner Loop Header: Depth=2
	v_cmp_gt_u32_e32 vcc, s10, v4
	v_mov_b32_e32 v5, 0
	s_and_saveexec_b64 s[50:51], vcc
	s_cbranch_execz .LBB10_160
; %bb.159:                              ;   in Loop: Header=BB10_158 Depth=2
	ds_read_u8 v5, v4
.LBB10_160:                             ;   in Loop: Header=BB10_158 Depth=2
	s_or_b64 exec, exec, s[50:51]
	s_waitcnt lgkmcnt(0)
	v_and_b32_e32 v30, v5, v3
	v_cmp_eq_u32_sdwa s[50:51], v30, v2 src0_sel:BYTE_0 src1_sel:DWORD
	s_and_b64 s[54:55], vcc, s[50:51]
	s_and_saveexec_b64 s[50:51], s[54:55]
	s_cbranch_execz .LBB10_157
; %bb.161:                              ;   in Loop: Header=BB10_158 Depth=2
	v_lshlrev_b16_e32 v5, 8, v5
	v_or_b32_e32 v5, 1, v5
	ds_write_b16 v24, v5 offset:3072
	s_branch .LBB10_157
.LBB10_162:                             ;   in Loop: Header=BB10_6 Depth=1
	s_mov_b64 s[44:45], -1
	s_mov_b64 s[50:51], 0
                                        ; implicit-def: $sgpr46_sgpr47
                                        ; implicit-def: $vgpr4
	s_mov_b64 s[48:49], s[44:45]
	s_cbranch_execnz .LBB10_165
	s_branch .LBB10_174
.LBB10_163:                             ;   in Loop: Header=BB10_6 Depth=1
	s_or_b64 exec, exec, s[46:47]
	v_lshrrev_b16_e32 v4, 8, v5
	s_and_b64 s[50:51], s[48:49], exec
.LBB10_164:                             ;   in Loop: Header=BB10_6 Depth=1
	s_or_b64 exec, exec, s[44:45]
	s_mov_b64 s[46:47], -1
	s_mov_b64 s[44:45], 0
	s_mov_b64 s[48:49], s[44:45]
	s_branch .LBB10_174
.LBB10_165:                             ;   in Loop: Header=BB10_6 Depth=1
	s_mov_b64 s[50:51], 0
                                        ; implicit-def: $vgpr4
	s_mov_b64 s[44:45], exec
	v_readlane_b32 s10, v47, 54
	v_readlane_b32 s11, v47, 55
	s_and_b64 s[10:11], s[44:45], s[10:11]
	s_mov_b64 exec, s[10:11]
	s_cbranch_execz .LBB10_173
; %bb.166:                              ;   in Loop: Header=BB10_6 Depth=1
	s_mov_b64 s[46:47], 0
	v_mov_b32_e32 v4, v15
	v_mov_b32_e32 v5, v0
                                        ; implicit-def: $sgpr48_sgpr49
	s_branch .LBB10_168
.LBB10_167:                             ;   in Loop: Header=BB10_168 Depth=2
	s_or_b64 exec, exec, s[50:51]
	s_waitcnt lgkmcnt(0)
	s_barrier
	ds_read_u16 v30, v24 offset:3072
	v_add_u32_e32 v5, s33, v5
	v_cmp_le_u32_e32 vcc, s7, v5
	v_add_u32_e32 v4, s8, v4
	s_waitcnt lgkmcnt(0)
	v_cmp_ne_u16_sdwa s[10:11], v30, v1 src0_sel:BYTE_0 src1_sel:DWORD
	s_or_b64 s[50:51], vcc, s[10:11]
	s_and_b64 s[50:51], exec, s[50:51]
	s_or_b64 s[46:47], s[50:51], s[46:47]
	s_andn2_b64 s[48:49], s[48:49], exec
	s_and_b64 s[10:11], s[10:11], exec
	s_or_b64 s[48:49], s[48:49], s[10:11]
	s_barrier
	s_andn2_b64 exec, exec, s[46:47]
	s_cbranch_execz .LBB10_172
.LBB10_168:                             ;   Parent Loop BB10_6 Depth=1
                                        ; =>  This Inner Loop Header: Depth=2
	v_cmp_gt_u32_e32 vcc, s60, v5
	v_mov_b32_e32 v30, 0
	s_and_saveexec_b64 s[50:51], vcc
	s_cbranch_execz .LBB10_170
; %bb.169:                              ;   in Loop: Header=BB10_168 Depth=2
	global_load_ubyte v30, v4, s[72:73]
.LBB10_170:                             ;   in Loop: Header=BB10_168 Depth=2
	s_or_b64 exec, exec, s[50:51]
	s_waitcnt vmcnt(0)
	v_and_b32_e32 v32, v30, v3
	v_cmp_eq_u32_sdwa s[10:11], v32, v2 src0_sel:BYTE_0 src1_sel:DWORD
	s_and_b64 s[10:11], vcc, s[10:11]
	s_and_saveexec_b64 s[50:51], s[10:11]
	s_cbranch_execz .LBB10_167
; %bb.171:                              ;   in Loop: Header=BB10_168 Depth=2
	v_lshlrev_b16_e32 v30, 8, v30
	v_or_b32_e32 v30, 1, v30
	ds_write_b16 v24, v30 offset:3072
	s_branch .LBB10_167
.LBB10_172:                             ;   in Loop: Header=BB10_6 Depth=1
	s_or_b64 exec, exec, s[46:47]
	v_lshrrev_b16_e32 v4, 8, v30
	s_and_b64 s[50:51], s[48:49], exec
.LBB10_173:                             ;   in Loop: Header=BB10_6 Depth=1
	s_or_b64 exec, exec, s[44:45]
	s_mov_b64 s[48:49], -1
	s_mov_b64 s[44:45], 0
	s_mov_b64 s[46:47], 0
.LBB10_174:                             ;   in Loop: Header=BB10_6 Depth=1
	s_orn2_b64 s[54:55], s[50:51], exec
.LBB10_175:                             ;   in Loop: Header=BB10_6 Depth=1
	s_or_b64 exec, exec, s[16:17]
	s_mov_b64 s[16:17], 0
                                        ; implicit-def: $vgpr30
	s_and_saveexec_b64 s[50:51], s[54:55]
	s_cbranch_execz .LBB10_226
; %bb.176:                              ;   in Loop: Header=BB10_6 Depth=1
	s_xor_b64 s[10:11], s[52:53], -1
	s_mov_b64 s[54:55], 0
	v_mov_b32_e32 v5, 1
	v_mov_b32_e32 v30, 1
	s_and_saveexec_b64 s[16:17], s[10:11]
	s_cbranch_execz .LBB10_186
; %bb.177:                              ;   in Loop: Header=BB10_6 Depth=1
	v_cmp_ge_u32_e32 vcc, s56, v31
                                        ; implicit-def: $sgpr10
                                        ; implicit-def: $sgpr52_sgpr53
	s_and_saveexec_b64 s[54:55], vcc
	s_xor_b64 s[54:55], exec, s[54:55]
	s_cbranch_execz .LBB10_183
; %bb.178:                              ;   in Loop: Header=BB10_6 Depth=1
	ds_read_b32 v5, v24 offset:4096
	s_waitcnt lgkmcnt(0)
	v_cmp_ne_u32_e32 vcc, 0, v5
	s_cbranch_vccnz .LBB10_182
; %bb.179:                              ;   in Loop: Header=BB10_6 Depth=1
	s_mov_b64 s[52:53], exec
	v_readlane_b32 s10, v47, 24
	v_readlane_b32 s11, v47, 25
	s_and_b64 s[10:11], s[52:53], s[10:11]
	s_mov_b64 exec, s[10:11]
	s_cbranch_execz .LBB10_181
; %bb.180:                              ;   in Loop: Header=BB10_6 Depth=1
	v_mov_b32_e32 v5, s56
	ds_write_b32 v24, v5 offset:4100
.LBB10_181:                             ;   in Loop: Header=BB10_6 Depth=1
	s_or_b64 exec, exec, s[52:53]
	s_waitcnt lgkmcnt(0)
	s_barrier
.LBB10_182:                             ;   in Loop: Header=BB10_6 Depth=1
	v_and_b32_e32 v2, s13, v2
	v_lshl_or_b32 v2, 2, s82, v2
	v_or_b32_e32 v3, s12, v3
	s_mov_b64 s[52:53], 0
	s_mov_b32 s10, 8
.LBB10_183:                             ;   in Loop: Header=BB10_6 Depth=1
	s_or_saveexec_b64 s[54:55], s[54:55]
	v_mov_b32_e32 v30, s10
	s_xor_b64 exec, exec, s[54:55]
; %bb.184:                              ;   in Loop: Header=BB10_6 Depth=1
	v_subrev_u32_e32 v31, s56, v31
	v_mov_b32_e32 v30, 0
	s_or_b64 s[52:53], s[52:53], exec
; %bb.185:                              ;   in Loop: Header=BB10_6 Depth=1
	s_or_b64 exec, exec, s[54:55]
	s_and_b64 s[54:55], s[52:53], exec
	v_mov_b32_e32 v5, v31
.LBB10_186:                             ;   in Loop: Header=BB10_6 Depth=1
	s_or_b64 exec, exec, s[16:17]
	s_mov_b64 s[16:17], -1
                                        ; implicit-def: $sgpr92_sgpr93
                                        ; implicit-def: $sgpr58_sgpr59
                                        ; implicit-def: $sgpr10_sgpr11
                                        ; kill: killed $sgpr10_sgpr11
	s_and_saveexec_b64 s[52:53], s[54:55]
                                        ; implicit-def: $vgpr46 : SGPR spill to VGPR lane
	s_cbranch_execz .LBB10_225
; %bb.187:                              ;   in Loop: Header=BB10_6 Depth=1
	s_cmp_eq_u32 s57, 1
	s_cselect_b64 s[10:11], -1, 0
	v_cmp_eq_u32_e32 vcc, 1, v5
	s_mov_b64 s[54:55], -1
	s_and_b64 s[10:11], s[10:11], vcc
                                        ; implicit-def: $sgpr92_sgpr93
                                        ; implicit-def: $sgpr58_sgpr59
                                        ; implicit-def: $sgpr16_sgpr17
                                        ; kill: killed $sgpr16_sgpr17
	s_mov_b64 s[16:17], exec
	v_writelane_b32 v47, s10, 63
	v_writelane_b32 v46, s11, 0
	;; [unrolled: 1-line block ×3, first 2 shown]
	s_and_b64 s[10:11], s[16:17], s[10:11]
	v_writelane_b32 v46, s17, 2
	s_mov_b64 exec, s[10:11]
	s_cbranch_execz .LBB10_212
; %bb.188:                              ;   in Loop: Header=BB10_6 Depth=1
	ds_read_b32 v4, v24 offset:4096
	s_waitcnt lgkmcnt(0)
	s_barrier
	v_readfirstlane_b32 s10, v4
	s_and_saveexec_b64 s[54:55], s[4:5]
	s_cbranch_execz .LBB10_190
; %bb.189:                              ;   in Loop: Header=BB10_6 Depth=1
	ds_write_b8 v0, v1 offset:3072
.LBB10_190:                             ;   in Loop: Header=BB10_6 Depth=1
	s_or_b64 exec, exec, s[54:55]
	v_or_b32_e32 v2, s12, v2
	v_or_b32_e32 v3, s12, v3
	s_cmp_eq_u32 s10, 0
	s_waitcnt lgkmcnt(0)
	s_barrier
	s_cbranch_scc1 .LBB10_198
; %bb.191:                              ;   in Loop: Header=BB10_6 Depth=1
	v_readlane_b32 s11, v47, 33
	s_add_i32 s11, s10, s11
	v_readlane_b32 s16, v47, 53
	s_mul_hi_u32 s16, s11, s16
	s_mul_i32 s16, s16, s33
	s_sub_i32 s16, s11, s16
	s_sub_i32 s17, s16, s33
	s_cmp_ge_u32 s16, s33
	s_cselect_b32 s16, s17, s16
	s_sub_i32 s17, s16, s33
	s_cmp_ge_u32 s16, s33
	s_cselect_b32 s16, s17, s16
	s_sub_i32 s11, s11, s16
	s_mov_b64 s[54:55], 0
	v_cmp_gt_u32_e32 vcc, s11, v0
                                        ; implicit-def: $vgpr4
	s_mov_b64 s[16:17], exec
	v_writelane_b32 v46, s16, 5
	s_and_b64 s[58:59], s[16:17], vcc
	v_writelane_b32 v46, s17, 6
	s_mov_b64 exec, s[58:59]
	s_cbranch_execz .LBB10_200
; %bb.192:                              ;   in Loop: Header=BB10_6 Depth=1
	v_mov_b32_e32 v4, v0
                                        ; implicit-def: $sgpr58_sgpr59
	s_branch .LBB10_194
.LBB10_193:                             ;   in Loop: Header=BB10_194 Depth=2
	s_or_b64 exec, exec, s[92:93]
	s_waitcnt lgkmcnt(0)
	s_barrier
	ds_read_u16 v30, v24 offset:3072
	v_add_u32_e32 v4, s33, v4
	v_cmp_le_u32_e32 vcc, s11, v4
	s_waitcnt lgkmcnt(0)
	s_barrier
	v_cmp_ne_u16_sdwa s[16:17], v30, v1 src0_sel:BYTE_0 src1_sel:DWORD
	s_or_b64 s[92:93], vcc, s[16:17]
	s_and_b64 s[92:93], exec, s[92:93]
	s_or_b64 s[54:55], s[92:93], s[54:55]
	s_andn2_b64 s[58:59], s[58:59], exec
	s_and_b64 s[16:17], s[16:17], exec
	s_or_b64 s[58:59], s[58:59], s[16:17]
	s_andn2_b64 exec, exec, s[54:55]
	s_cbranch_execz .LBB10_199
.LBB10_194:                             ;   Parent Loop BB10_6 Depth=1
                                        ; =>  This Inner Loop Header: Depth=2
	v_cmp_gt_u32_e32 vcc, s10, v4
	v_mov_b32_e32 v30, 0
	s_and_saveexec_b64 s[92:93], vcc
	s_cbranch_execz .LBB10_196
; %bb.195:                              ;   in Loop: Header=BB10_194 Depth=2
	ds_read_u8 v30, v4
.LBB10_196:                             ;   in Loop: Header=BB10_194 Depth=2
	s_or_b64 exec, exec, s[92:93]
	s_waitcnt lgkmcnt(0)
	v_and_b32_e32 v31, v30, v3
	v_cmp_eq_u32_sdwa s[16:17], v31, v2 src0_sel:BYTE_0 src1_sel:DWORD
	s_and_b64 s[16:17], vcc, s[16:17]
	s_and_saveexec_b64 s[92:93], s[16:17]
	s_cbranch_execz .LBB10_193
; %bb.197:                              ;   in Loop: Header=BB10_194 Depth=2
	v_lshlrev_b16_e32 v30, 8, v30
	v_or_b32_e32 v30, 1, v30
	ds_write_b16 v24, v30 offset:3072
	s_branch .LBB10_193
.LBB10_198:                             ;   in Loop: Header=BB10_6 Depth=1
	s_mov_b64 s[92:93], -1
	s_mov_b64 s[54:55], 0
                                        ; implicit-def: $sgpr10_sgpr11
                                        ; implicit-def: $vgpr4
	s_branch .LBB10_201
.LBB10_199:                             ;   in Loop: Header=BB10_6 Depth=1
	s_or_b64 exec, exec, s[54:55]
	v_lshrrev_b16_e32 v4, 8, v30
	s_and_b64 s[54:55], s[58:59], exec
.LBB10_200:                             ;   in Loop: Header=BB10_6 Depth=1
	v_readlane_b32 s10, v46, 5
	v_readlane_b32 s11, v46, 6
	s_or_b64 exec, exec, s[10:11]
	s_mov_b64 s[10:11], -1
	s_mov_b64 s[92:93], 0
.LBB10_201:                             ;   in Loop: Header=BB10_6 Depth=1
	s_and_b64 vcc, exec, s[92:93]
	s_mov_b64 s[58:59], s[92:93]
	s_cbranch_vccz .LBB10_211
; %bb.202:                              ;   in Loop: Header=BB10_6 Depth=1
	s_mov_b64 s[54:55], 0
                                        ; implicit-def: $vgpr4
	s_mov_b64 s[16:17], exec
	v_readlane_b32 s10, v47, 54
	v_readlane_b32 s11, v47, 55
	v_writelane_b32 v46, s16, 7
	s_and_b64 s[10:11], s[16:17], s[10:11]
	v_writelane_b32 v46, s17, 8
	s_mov_b64 exec, s[10:11]
	s_cbranch_execz .LBB10_210
; %bb.203:                              ;   in Loop: Header=BB10_6 Depth=1
	v_mov_b32_e32 v4, v15
	v_mov_b32_e32 v30, v0
                                        ; implicit-def: $sgpr58_sgpr59
	s_branch .LBB10_205
.LBB10_204:                             ;   in Loop: Header=BB10_205 Depth=2
	s_or_b64 exec, exec, s[92:93]
	s_waitcnt lgkmcnt(0)
	s_barrier
	ds_read_u16 v31, v24 offset:3072
	v_add_u32_e32 v30, s33, v30
	v_cmp_le_u32_e32 vcc, s7, v30
	v_add_u32_e32 v4, s8, v4
	s_waitcnt lgkmcnt(0)
	v_cmp_ne_u16_sdwa s[10:11], v31, v1 src0_sel:BYTE_0 src1_sel:DWORD
	s_or_b64 s[16:17], vcc, s[10:11]
	s_and_b64 s[16:17], exec, s[16:17]
	s_or_b64 s[54:55], s[16:17], s[54:55]
	s_andn2_b64 s[16:17], s[58:59], exec
	s_and_b64 s[10:11], s[10:11], exec
	s_or_b64 s[58:59], s[16:17], s[10:11]
	s_barrier
	s_andn2_b64 exec, exec, s[54:55]
	s_cbranch_execz .LBB10_209
.LBB10_205:                             ;   Parent Loop BB10_6 Depth=1
                                        ; =>  This Inner Loop Header: Depth=2
	v_cmp_gt_u32_e32 vcc, s60, v30
	v_mov_b32_e32 v31, 0
	s_and_saveexec_b64 s[92:93], vcc
	s_cbranch_execz .LBB10_207
; %bb.206:                              ;   in Loop: Header=BB10_205 Depth=2
	global_load_ubyte v31, v4, s[72:73]
.LBB10_207:                             ;   in Loop: Header=BB10_205 Depth=2
	s_or_b64 exec, exec, s[92:93]
	s_waitcnt vmcnt(0)
	v_and_b32_e32 v32, v31, v3
	v_cmp_eq_u32_sdwa s[10:11], v32, v2 src0_sel:BYTE_0 src1_sel:DWORD
	s_and_b64 s[10:11], vcc, s[10:11]
	s_and_saveexec_b64 s[92:93], s[10:11]
	s_cbranch_execz .LBB10_204
; %bb.208:                              ;   in Loop: Header=BB10_205 Depth=2
	v_lshlrev_b16_e32 v31, 8, v31
	v_or_b32_e32 v31, 1, v31
	ds_write_b16 v24, v31 offset:3072
	s_branch .LBB10_204
.LBB10_209:                             ;   in Loop: Header=BB10_6 Depth=1
	s_or_b64 exec, exec, s[54:55]
	v_lshrrev_b16_e32 v4, 8, v31
	s_and_b64 s[54:55], s[58:59], exec
.LBB10_210:                             ;   in Loop: Header=BB10_6 Depth=1
	v_readlane_b32 s10, v46, 7
	v_readlane_b32 s11, v46, 8
	s_or_b64 exec, exec, s[10:11]
	s_mov_b64 s[58:59], -1
	s_mov_b64 s[92:93], 0
	s_mov_b64 s[10:11], 0
.LBB10_211:                             ;   in Loop: Header=BB10_6 Depth=1
	v_writelane_b32 v46, s10, 3
	s_orn2_b64 s[54:55], s[54:55], exec
	v_writelane_b32 v46, s11, 4
.LBB10_212:                             ;   in Loop: Header=BB10_6 Depth=1
	v_readlane_b32 s10, v46, 1
	v_readlane_b32 s11, v46, 2
	s_or_b64 exec, exec, s[10:11]
	s_mov_b64 vcc, 0
                                        ; implicit-def: $vgpr30
                                        ; implicit-def: $vgpr31
	s_and_saveexec_b64 s[16:17], s[54:55]
	s_cbranch_execz .LBB10_224
; %bb.213:                              ;   in Loop: Header=BB10_6 Depth=1
	v_readlane_b32 s10, v47, 63
	v_readlane_b32 s11, v46, 0
	s_xor_b64 s[10:11], s[10:11], -1
	v_mov_b32_e32 v30, 1
	v_mov_b32_e32 v31, 1
	s_and_saveexec_b64 s[54:55], s[10:11]
	s_cbranch_execz .LBB10_223
; %bb.214:                              ;   in Loop: Header=BB10_6 Depth=1
	v_cmp_ge_u32_e32 vcc, s57, v5
                                        ; implicit-def: $sgpr10
                                        ; kill: killed $sgpr10
	s_and_saveexec_b64 s[10:11], vcc
	s_xor_b64 s[10:11], exec, s[10:11]
	s_cbranch_execz .LBB10_220
; %bb.215:                              ;   in Loop: Header=BB10_6 Depth=1
	ds_read_b32 v30, v24 offset:4096
	s_waitcnt lgkmcnt(0)
	v_cmp_ne_u32_e32 vcc, 0, v30
	s_cbranch_vccnz .LBB10_219
; %bb.216:                              ;   in Loop: Header=BB10_6 Depth=1
	v_writelane_b32 v46, s10, 9
	v_writelane_b32 v46, s11, 10
	s_mov_b64 vcc, exec
	v_readlane_b32 s10, v47, 24
	v_readlane_b32 s11, v47, 25
	s_and_b64 s[10:11], vcc, s[10:11]
	s_mov_b64 exec, s[10:11]
	s_cbranch_execz .LBB10_218
; %bb.217:                              ;   in Loop: Header=BB10_6 Depth=1
	v_mov_b32_e32 v30, s57
	ds_write_b32 v24, v30 offset:4100
.LBB10_218:                             ;   in Loop: Header=BB10_6 Depth=1
	s_or_b64 exec, exec, vcc
	v_readlane_b32 s10, v46, 9
	v_readlane_b32 s11, v46, 10
	s_waitcnt lgkmcnt(0)
	s_barrier
.LBB10_219:                             ;   in Loop: Header=BB10_6 Depth=1
	v_or_b32_e32 v2, s12, v2
	v_or_b32_e32 v3, s12, v3
	s_mov_b32 vcc_lo, 8
	v_writelane_b32 v46, vcc_lo, 11
.LBB10_220:                             ;   in Loop: Header=BB10_6 Depth=1
	s_or_saveexec_b64 vcc, s[10:11]
	v_readlane_b32 s10, v46, 11
	v_mov_b32_e32 v30, s10
	s_xor_b64 exec, exec, vcc
; %bb.221:                              ;   in Loop: Header=BB10_6 Depth=1
	v_subrev_u32_e32 v5, s57, v5
	v_mov_b32_e32 v30, 8
; %bb.222:                              ;   in Loop: Header=BB10_6 Depth=1
	s_or_b64 exec, exec, vcc
	v_mov_b32_e32 v31, v5
.LBB10_223:                             ;   in Loop: Header=BB10_6 Depth=1
	s_or_b64 exec, exec, s[54:55]
	s_mov_b64 vcc, exec
.LBB10_224:                             ;   in Loop: Header=BB10_6 Depth=1
	s_or_b64 exec, exec, s[16:17]
	s_orn2_b64 s[16:17], vcc, exec
	v_mov_b32_e32 v5, v31
.LBB10_225:                             ;   in Loop: Header=BB10_6 Depth=1
	s_or_b64 exec, exec, s[52:53]
	s_andn2_b64 s[10:11], s[44:45], exec
	s_and_b64 s[44:45], s[92:93], exec
	s_or_b64 s[44:45], s[10:11], s[44:45]
	s_andn2_b64 s[10:11], s[48:49], exec
	s_and_b64 s[48:49], s[58:59], exec
	s_or_b64 s[48:49], s[10:11], s[48:49]
	s_andn2_b64 s[10:11], s[46:47], exec
	v_readlane_b32 s46, v46, 3
	v_readlane_b32 s47, v46, 4
	s_and_b64 s[46:47], s[46:47], exec
	s_or_b64 s[46:47], s[10:11], s[46:47]
	s_and_b64 s[16:17], s[16:17], exec
	v_mov_b32_e32 v31, v5
.LBB10_226:                             ;   in Loop: Header=BB10_6 Depth=1
	s_or_b64 exec, exec, s[50:51]
	s_and_b64 s[50:51], s[44:45], exec
	s_and_b64 s[48:49], s[48:49], exec
	;; [unrolled: 1-line block ×3, first 2 shown]
	s_orn2_b64 s[16:17], s[16:17], exec
.LBB10_227:                             ;   in Loop: Header=BB10_6 Depth=1
	s_or_b64 exec, exec, s[42:43]
	s_andn2_b64 s[10:11], s[24:25], exec
	s_and_b64 s[24:25], s[50:51], exec
	s_or_b64 s[24:25], s[10:11], s[24:25]
	s_andn2_b64 s[10:11], s[38:39], exec
	s_and_b64 s[38:39], s[48:49], exec
	s_or_b64 s[38:39], s[10:11], s[38:39]
	;; [unrolled: 3-line block ×3, first 2 shown]
	s_and_b64 s[44:45], s[16:17], exec
	v_mov_b32_e32 v5, v31
.LBB10_228:                             ;   in Loop: Header=BB10_6 Depth=1
	s_or_b64 exec, exec, s[40:41]
	s_and_b64 s[40:41], s[24:25], exec
	s_and_b64 s[24:25], s[38:39], exec
	;; [unrolled: 1-line block ×3, first 2 shown]
	s_orn2_b64 s[38:39], s[44:45], exec
.LBB10_229:                             ;   in Loop: Header=BB10_6 Depth=1
	s_or_b64 exec, exec, s[20:21]
	s_mov_b64 s[36:37], 0
	s_mov_b64 s[20:21], 0
	s_and_saveexec_b64 s[10:11], s[38:39]
	s_xor_b64 s[38:39], exec, s[10:11]
; %bb.230:                              ;   in Loop: Header=BB10_6 Depth=1
	v_cmp_eq_u32_e32 vcc, 8, v30
	v_cmp_ne_u32_e64 s[20:21], 8, v30
	s_andn2_b64 s[40:41], s[40:41], exec
	s_andn2_b64 s[24:25], s[24:25], exec
	;; [unrolled: 1-line block ×3, first 2 shown]
	s_and_b64 s[20:21], s[20:21], exec
	s_and_b64 s[36:37], vcc, exec
; %bb.231:                              ;   in Loop: Header=BB10_6 Depth=1
	s_or_b64 exec, exec, s[38:39]
	s_andn2_b64 s[10:11], s[22:23], exec
	s_and_b64 s[22:23], s[40:41], exec
	s_or_b64 s[22:23], s[10:11], s[22:23]
	s_andn2_b64 s[10:11], s[28:29], exec
	s_and_b64 s[24:25], s[24:25], exec
	s_or_b64 s[28:29], s[10:11], s[24:25]
	s_andn2_b64 s[10:11], s[26:27], exec
	s_and_b64 s[16:17], s[16:17], exec
	s_or_b64 s[26:27], s[10:11], s[16:17]
	s_and_b64 s[20:21], s[20:21], exec
	s_and_b64 s[24:25], s[36:37], exec
.LBB10_232:                             ;   in Loop: Header=BB10_6 Depth=1
	s_or_b64 exec, exec, s[34:35]
	s_and_b64 vcc, exec, s[30:31]
	s_cbranch_vccz .LBB10_89
.LBB10_233:                             ;   in Loop: Header=BB10_6 Depth=1
	s_cmp_eq_u32 s57, 1
	s_cselect_b64 s[10:11], -1, 0
	s_and_b64 s[18:19], s[10:11], s[18:19]
	s_mov_b64 s[28:29], -1
                                        ; implicit-def: $sgpr30_sgpr31
                                        ; implicit-def: $sgpr34_sgpr35
                                        ; implicit-def: $sgpr22_sgpr23
	s_and_saveexec_b64 s[16:17], s[18:19]
	s_cbranch_execz .LBB10_257
; %bb.234:                              ;   in Loop: Header=BB10_6 Depth=1
	ds_read_b32 v2, v24 offset:4096
	s_waitcnt lgkmcnt(0)
	s_barrier
	v_readfirstlane_b32 s10, v2
	s_and_saveexec_b64 s[22:23], s[4:5]
	s_cbranch_execz .LBB10_236
; %bb.235:                              ;   in Loop: Header=BB10_6 Depth=1
	ds_write_b8 v0, v1 offset:3072
.LBB10_236:                             ;   in Loop: Header=BB10_6 Depth=1
	s_or_b64 exec, exec, s[22:23]
	v_or_b32_e32 v27, s12, v27
	v_or_b32_e32 v26, s12, v26
	s_cmp_eq_u32 s10, 0
	s_waitcnt lgkmcnt(0)
	s_barrier
	s_cbranch_scc1 .LBB10_244
; %bb.237:                              ;   in Loop: Header=BB10_6 Depth=1
	v_readlane_b32 s11, v47, 33
	s_add_i32 s11, s10, s11
	v_readlane_b32 s22, v47, 53
	s_mul_hi_u32 s22, s11, s22
	s_mul_i32 s22, s22, s33
	s_sub_i32 s22, s11, s22
	s_sub_i32 s23, s22, s33
	s_cmp_ge_u32 s22, s33
	s_cselect_b32 s22, s23, s22
	s_sub_i32 s23, s22, s33
	s_cmp_ge_u32 s22, s33
	s_cselect_b32 s22, s23, s22
	s_sub_i32 s11, s11, s22
	v_cmp_gt_u32_e32 vcc, s11, v0
	s_mov_b64 s[26:27], 0
                                        ; implicit-def: $vgpr28
	s_and_saveexec_b64 s[22:23], vcc
	s_cbranch_execz .LBB10_246
; %bb.238:                              ;   in Loop: Header=BB10_6 Depth=1
	v_mov_b32_e32 v2, v0
                                        ; implicit-def: $sgpr28_sgpr29
	s_branch .LBB10_240
.LBB10_239:                             ;   in Loop: Header=BB10_240 Depth=2
	s_or_b64 exec, exec, s[30:31]
	s_waitcnt lgkmcnt(0)
	s_barrier
	ds_read_u16 v3, v24 offset:3072
	v_add_u32_e32 v2, s33, v2
	v_cmp_le_u32_e32 vcc, s11, v2
	s_waitcnt lgkmcnt(0)
	s_barrier
	v_cmp_ne_u16_sdwa s[30:31], v3, v1 src0_sel:BYTE_0 src1_sel:DWORD
	s_or_b64 s[34:35], vcc, s[30:31]
	s_and_b64 s[34:35], exec, s[34:35]
	s_or_b64 s[26:27], s[34:35], s[26:27]
	s_andn2_b64 s[28:29], s[28:29], exec
	s_and_b64 s[30:31], s[30:31], exec
	s_or_b64 s[28:29], s[28:29], s[30:31]
	s_andn2_b64 exec, exec, s[26:27]
	s_cbranch_execz .LBB10_245
.LBB10_240:                             ;   Parent Loop BB10_6 Depth=1
                                        ; =>  This Inner Loop Header: Depth=2
	v_cmp_gt_u32_e32 vcc, s10, v2
	v_mov_b32_e32 v3, 0
	s_and_saveexec_b64 s[30:31], vcc
	s_cbranch_execz .LBB10_242
; %bb.241:                              ;   in Loop: Header=BB10_240 Depth=2
	ds_read_u8 v3, v2
.LBB10_242:                             ;   in Loop: Header=BB10_240 Depth=2
	s_or_b64 exec, exec, s[30:31]
	s_waitcnt lgkmcnt(0)
	v_and_b32_e32 v4, v3, v26
	v_cmp_eq_u32_sdwa s[30:31], v4, v27 src0_sel:BYTE_0 src1_sel:DWORD
	s_and_b64 s[34:35], vcc, s[30:31]
	s_and_saveexec_b64 s[30:31], s[34:35]
	s_cbranch_execz .LBB10_239
; %bb.243:                              ;   in Loop: Header=BB10_240 Depth=2
	v_lshlrev_b16_e32 v3, 8, v3
	v_or_b32_e32 v3, 1, v3
	ds_write_b16 v24, v3 offset:3072
	s_branch .LBB10_239
.LBB10_244:                             ;   in Loop: Header=BB10_6 Depth=1
	s_mov_b64 s[30:31], -1
	s_mov_b64 s[26:27], 0
                                        ; implicit-def: $sgpr34_sgpr35
                                        ; implicit-def: $vgpr28
	s_mov_b64 s[22:23], s[30:31]
	s_cbranch_execnz .LBB10_247
	s_branch .LBB10_256
.LBB10_245:                             ;   in Loop: Header=BB10_6 Depth=1
	s_or_b64 exec, exec, s[26:27]
	v_lshrrev_b16_e32 v28, 8, v3
	s_and_b64 s[26:27], s[28:29], exec
.LBB10_246:                             ;   in Loop: Header=BB10_6 Depth=1
	s_or_b64 exec, exec, s[22:23]
	s_mov_b64 s[30:31], 0
	s_mov_b64 s[34:35], -1
	s_mov_b64 s[22:23], s[30:31]
	s_branch .LBB10_256
.LBB10_247:                             ;   in Loop: Header=BB10_6 Depth=1
	s_mov_b64 s[26:27], 0
                                        ; implicit-def: $vgpr28
	s_mov_b64 s[22:23], exec
	v_readlane_b32 s10, v47, 54
	v_readlane_b32 s11, v47, 55
	s_and_b64 s[10:11], s[22:23], s[10:11]
	s_mov_b64 exec, s[10:11]
	s_cbranch_execz .LBB10_255
; %bb.248:                              ;   in Loop: Header=BB10_6 Depth=1
	v_mov_b32_e32 v2, v15
	v_mov_b32_e32 v3, v0
                                        ; implicit-def: $sgpr28_sgpr29
	s_branch .LBB10_250
.LBB10_249:                             ;   in Loop: Header=BB10_250 Depth=2
	s_or_b64 exec, exec, s[30:31]
	s_waitcnt lgkmcnt(0)
	s_barrier
	ds_read_u16 v4, v24 offset:3072
	v_add_u32_e32 v3, s33, v3
	v_cmp_le_u32_e32 vcc, s7, v3
	v_add_u32_e32 v2, s8, v2
	s_waitcnt lgkmcnt(0)
	v_cmp_ne_u16_sdwa s[10:11], v4, v1 src0_sel:BYTE_0 src1_sel:DWORD
	s_or_b64 s[30:31], vcc, s[10:11]
	s_and_b64 s[30:31], exec, s[30:31]
	s_or_b64 s[26:27], s[30:31], s[26:27]
	s_andn2_b64 s[28:29], s[28:29], exec
	s_and_b64 s[10:11], s[10:11], exec
	s_or_b64 s[28:29], s[28:29], s[10:11]
	s_barrier
	s_andn2_b64 exec, exec, s[26:27]
	s_cbranch_execz .LBB10_254
.LBB10_250:                             ;   Parent Loop BB10_6 Depth=1
                                        ; =>  This Inner Loop Header: Depth=2
	v_cmp_gt_u32_e32 vcc, s60, v3
	v_mov_b32_e32 v4, 0
	s_and_saveexec_b64 s[30:31], vcc
	s_cbranch_execz .LBB10_252
; %bb.251:                              ;   in Loop: Header=BB10_250 Depth=2
	global_load_ubyte v4, v2, s[72:73]
.LBB10_252:                             ;   in Loop: Header=BB10_250 Depth=2
	s_or_b64 exec, exec, s[30:31]
	s_waitcnt vmcnt(0)
	v_and_b32_e32 v5, v4, v26
	v_cmp_eq_u32_sdwa s[10:11], v5, v27 src0_sel:BYTE_0 src1_sel:DWORD
	s_and_b64 s[10:11], vcc, s[10:11]
	s_and_saveexec_b64 s[30:31], s[10:11]
	s_cbranch_execz .LBB10_249
; %bb.253:                              ;   in Loop: Header=BB10_250 Depth=2
	v_lshlrev_b16_e32 v4, 8, v4
	v_or_b32_e32 v4, 1, v4
	ds_write_b16 v24, v4 offset:3072
	s_branch .LBB10_249
.LBB10_254:                             ;   in Loop: Header=BB10_6 Depth=1
	s_or_b64 exec, exec, s[26:27]
	v_lshrrev_b16_e32 v28, 8, v4
	s_and_b64 s[26:27], s[28:29], exec
.LBB10_255:                             ;   in Loop: Header=BB10_6 Depth=1
	s_or_b64 exec, exec, s[22:23]
	s_mov_b64 s[34:35], 0
	s_mov_b64 s[30:31], -1
	s_mov_b64 s[22:23], 0
.LBB10_256:                             ;   in Loop: Header=BB10_6 Depth=1
	s_orn2_b64 s[28:29], s[26:27], exec
.LBB10_257:                             ;   in Loop: Header=BB10_6 Depth=1
	s_or_b64 exec, exec, s[16:17]
                                        ; implicit-def: $vgpr30
                                        ; implicit-def: $vgpr5
                                        ; implicit-def: $vgpr2
                                        ; implicit-def: $vgpr3
                                        ; implicit-def: $vgpr4
	s_and_saveexec_b64 s[26:27], s[28:29]
	s_cbranch_execz .LBB10_386
; %bb.258:                              ;   in Loop: Header=BB10_6 Depth=1
	s_xor_b64 s[10:11], s[18:19], -1
	s_mov_b64 s[18:19], 0
	v_mov_b32_e32 v5, 1
	v_mov_b32_e32 v30, 1
	s_and_saveexec_b64 s[16:17], s[10:11]
	s_cbranch_execz .LBB10_268
; %bb.259:                              ;   in Loop: Header=BB10_6 Depth=1
	v_cmp_ge_u32_e32 vcc, s57, v29
                                        ; implicit-def: $sgpr10
                                        ; implicit-def: $sgpr18_sgpr19
	s_and_saveexec_b64 s[28:29], vcc
	s_xor_b64 s[28:29], exec, s[28:29]
	s_cbranch_execz .LBB10_265
; %bb.260:                              ;   in Loop: Header=BB10_6 Depth=1
	ds_read_b32 v2, v24 offset:4096
	s_waitcnt lgkmcnt(0)
	v_cmp_ne_u32_e32 vcc, 0, v2
	s_cbranch_vccnz .LBB10_264
; %bb.261:                              ;   in Loop: Header=BB10_6 Depth=1
	s_mov_b64 s[18:19], exec
	v_readlane_b32 s10, v47, 24
	v_readlane_b32 s11, v47, 25
	s_and_b64 s[10:11], s[18:19], s[10:11]
	s_mov_b64 exec, s[10:11]
	s_cbranch_execz .LBB10_263
; %bb.262:                              ;   in Loop: Header=BB10_6 Depth=1
	v_mov_b32_e32 v2, s57
	ds_write_b32 v24, v2 offset:4100
.LBB10_263:                             ;   in Loop: Header=BB10_6 Depth=1
	s_or_b64 exec, exec, s[18:19]
	s_waitcnt lgkmcnt(0)
	s_barrier
.LBB10_264:                             ;   in Loop: Header=BB10_6 Depth=1
	v_or_b32_e32 v27, s12, v27
	v_or_b32_e32 v26, s12, v26
	s_mov_b64 s[18:19], 0
	s_mov_b32 s10, 5
.LBB10_265:                             ;   in Loop: Header=BB10_6 Depth=1
	s_or_saveexec_b64 s[28:29], s[28:29]
	v_mov_b32_e32 v30, s10
	s_xor_b64 exec, exec, s[28:29]
; %bb.266:                              ;   in Loop: Header=BB10_6 Depth=1
	v_subrev_u32_e32 v29, s57, v29
	v_mov_b32_e32 v30, 0
	s_or_b64 s[18:19], s[18:19], exec
; %bb.267:                              ;   in Loop: Header=BB10_6 Depth=1
	s_or_b64 exec, exec, s[28:29]
	s_and_b64 s[18:19], s[18:19], exec
	v_mov_b32_e32 v5, v29
.LBB10_268:                             ;   in Loop: Header=BB10_6 Depth=1
	s_or_b64 exec, exec, s[16:17]
	s_mov_b64 s[38:39], -1
                                        ; implicit-def: $sgpr16_sgpr17
                                        ; implicit-def: $sgpr28_sgpr29
                                        ; implicit-def: $sgpr40_sgpr41
	s_and_saveexec_b64 s[10:11], s[18:19]
	s_xor_b64 s[18:19], exec, s[10:11]
	s_cbranch_execz .LBB10_383
; %bb.269:                              ;   in Loop: Header=BB10_6 Depth=1
	s_cmp_eq_u32 s56, 1
	s_cselect_b64 s[10:11], -1, 0
	v_cmp_eq_u32_e32 vcc, 1, v5
	s_and_b64 s[42:43], s[10:11], vcc
	s_mov_b64 s[46:47], -1
                                        ; implicit-def: $sgpr28_sgpr29
                                        ; implicit-def: $sgpr36_sgpr37
                                        ; implicit-def: $sgpr38_sgpr39
	s_and_saveexec_b64 s[16:17], s[42:43]
	s_cbranch_execz .LBB10_293
; %bb.270:                              ;   in Loop: Header=BB10_6 Depth=1
	ds_read_b32 v2, v24 offset:4096
	s_waitcnt lgkmcnt(0)
	s_barrier
	v_readfirstlane_b32 s10, v2
	s_and_saveexec_b64 s[28:29], s[4:5]
	s_cbranch_execz .LBB10_272
; %bb.271:                              ;   in Loop: Header=BB10_6 Depth=1
	ds_write_b8 v0, v1 offset:3072
.LBB10_272:                             ;   in Loop: Header=BB10_6 Depth=1
	s_or_b64 exec, exec, s[28:29]
	v_and_b32_e32 v2, s13, v27
	v_lshl_or_b32 v27, 2, s82, v2
	v_or_b32_e32 v26, s12, v26
	s_cmp_eq_u32 s10, 0
	s_waitcnt lgkmcnt(0)
	s_barrier
	s_cbranch_scc1 .LBB10_280
; %bb.273:                              ;   in Loop: Header=BB10_6 Depth=1
	v_readlane_b32 s11, v47, 33
	s_add_i32 s11, s10, s11
	v_readlane_b32 s28, v47, 53
	s_mul_hi_u32 s28, s11, s28
	s_mul_i32 s28, s28, s33
	s_sub_i32 s28, s11, s28
	s_sub_i32 s29, s28, s33
	s_cmp_ge_u32 s28, s33
	s_cselect_b32 s28, s29, s28
	s_sub_i32 s29, s28, s33
	s_cmp_ge_u32 s28, s33
	s_cselect_b32 s28, s29, s28
	s_sub_i32 s11, s11, s28
	v_cmp_gt_u32_e32 vcc, s11, v0
	s_mov_b64 s[40:41], 0
                                        ; implicit-def: $vgpr28
	s_and_saveexec_b64 s[28:29], vcc
	s_cbranch_execz .LBB10_282
; %bb.274:                              ;   in Loop: Header=BB10_6 Depth=1
	s_mov_b64 s[36:37], 0
	v_mov_b32_e32 v2, v0
                                        ; implicit-def: $sgpr38_sgpr39
	s_branch .LBB10_276
.LBB10_275:                             ;   in Loop: Header=BB10_276 Depth=2
	s_or_b64 exec, exec, s[40:41]
	s_waitcnt lgkmcnt(0)
	s_barrier
	ds_read_u16 v3, v24 offset:3072
	v_add_u32_e32 v2, s33, v2
	v_cmp_le_u32_e32 vcc, s11, v2
	s_waitcnt lgkmcnt(0)
	s_barrier
	v_cmp_ne_u16_sdwa s[40:41], v3, v1 src0_sel:BYTE_0 src1_sel:DWORD
	s_or_b64 s[44:45], vcc, s[40:41]
	s_and_b64 s[44:45], exec, s[44:45]
	s_or_b64 s[36:37], s[44:45], s[36:37]
	s_andn2_b64 s[38:39], s[38:39], exec
	s_and_b64 s[40:41], s[40:41], exec
	s_or_b64 s[38:39], s[38:39], s[40:41]
	s_andn2_b64 exec, exec, s[36:37]
	s_cbranch_execz .LBB10_281
.LBB10_276:                             ;   Parent Loop BB10_6 Depth=1
                                        ; =>  This Inner Loop Header: Depth=2
	v_cmp_gt_u32_e32 vcc, s10, v2
	v_mov_b32_e32 v3, 0
	s_and_saveexec_b64 s[40:41], vcc
	s_cbranch_execz .LBB10_278
; %bb.277:                              ;   in Loop: Header=BB10_276 Depth=2
	ds_read_u8 v3, v2
.LBB10_278:                             ;   in Loop: Header=BB10_276 Depth=2
	s_or_b64 exec, exec, s[40:41]
	s_waitcnt lgkmcnt(0)
	v_and_b32_e32 v4, v3, v26
	v_cmp_eq_u32_sdwa s[40:41], v4, v27 src0_sel:BYTE_0 src1_sel:DWORD
	s_and_b64 s[44:45], vcc, s[40:41]
	s_and_saveexec_b64 s[40:41], s[44:45]
	s_cbranch_execz .LBB10_275
; %bb.279:                              ;   in Loop: Header=BB10_276 Depth=2
	v_lshlrev_b16_e32 v3, 8, v3
	v_or_b32_e32 v3, 1, v3
	ds_write_b16 v24, v3 offset:3072
	s_branch .LBB10_275
.LBB10_280:                             ;   in Loop: Header=BB10_6 Depth=1
	s_mov_b64 s[28:29], -1
	s_mov_b64 s[40:41], 0
                                        ; implicit-def: $sgpr36_sgpr37
                                        ; implicit-def: $vgpr28
	s_mov_b64 s[38:39], s[28:29]
	s_cbranch_execnz .LBB10_283
	s_branch .LBB10_292
.LBB10_281:                             ;   in Loop: Header=BB10_6 Depth=1
	s_or_b64 exec, exec, s[36:37]
	v_lshrrev_b16_e32 v28, 8, v3
	s_and_b64 s[40:41], s[38:39], exec
.LBB10_282:                             ;   in Loop: Header=BB10_6 Depth=1
	s_or_b64 exec, exec, s[28:29]
	s_mov_b64 s[28:29], 0
	s_mov_b64 s[36:37], -1
	s_mov_b64 s[38:39], s[28:29]
	s_branch .LBB10_292
.LBB10_283:                             ;   in Loop: Header=BB10_6 Depth=1
	s_mov_b64 s[40:41], 0
                                        ; implicit-def: $vgpr28
	s_mov_b64 s[28:29], exec
	v_readlane_b32 s10, v47, 54
	v_readlane_b32 s11, v47, 55
	s_and_b64 s[10:11], s[28:29], s[10:11]
	s_mov_b64 exec, s[10:11]
	s_cbranch_execz .LBB10_291
; %bb.284:                              ;   in Loop: Header=BB10_6 Depth=1
	s_mov_b64 s[36:37], 0
	v_mov_b32_e32 v2, v15
	v_mov_b32_e32 v3, v0
                                        ; implicit-def: $sgpr38_sgpr39
	s_branch .LBB10_286
.LBB10_285:                             ;   in Loop: Header=BB10_286 Depth=2
	s_or_b64 exec, exec, s[40:41]
	s_waitcnt lgkmcnt(0)
	s_barrier
	ds_read_u16 v4, v24 offset:3072
	v_add_u32_e32 v3, s33, v3
	v_cmp_le_u32_e32 vcc, s7, v3
	v_add_u32_e32 v2, s8, v2
	s_waitcnt lgkmcnt(0)
	v_cmp_ne_u16_sdwa s[10:11], v4, v1 src0_sel:BYTE_0 src1_sel:DWORD
	s_or_b64 s[40:41], vcc, s[10:11]
	s_and_b64 s[40:41], exec, s[40:41]
	s_or_b64 s[36:37], s[40:41], s[36:37]
	s_andn2_b64 s[38:39], s[38:39], exec
	s_and_b64 s[10:11], s[10:11], exec
	s_or_b64 s[38:39], s[38:39], s[10:11]
	s_barrier
	s_andn2_b64 exec, exec, s[36:37]
	s_cbranch_execz .LBB10_290
.LBB10_286:                             ;   Parent Loop BB10_6 Depth=1
                                        ; =>  This Inner Loop Header: Depth=2
	v_cmp_gt_u32_e32 vcc, s60, v3
	v_mov_b32_e32 v4, 0
	s_and_saveexec_b64 s[40:41], vcc
	s_cbranch_execz .LBB10_288
; %bb.287:                              ;   in Loop: Header=BB10_286 Depth=2
	global_load_ubyte v4, v2, s[72:73]
.LBB10_288:                             ;   in Loop: Header=BB10_286 Depth=2
	s_or_b64 exec, exec, s[40:41]
	s_waitcnt vmcnt(0)
	v_and_b32_e32 v28, v4, v26
	v_cmp_eq_u32_sdwa s[10:11], v28, v27 src0_sel:BYTE_0 src1_sel:DWORD
	s_and_b64 s[10:11], vcc, s[10:11]
	s_and_saveexec_b64 s[40:41], s[10:11]
	s_cbranch_execz .LBB10_285
; %bb.289:                              ;   in Loop: Header=BB10_286 Depth=2
	v_lshlrev_b16_e32 v4, 8, v4
	v_or_b32_e32 v4, 1, v4
	ds_write_b16 v24, v4 offset:3072
	s_branch .LBB10_285
.LBB10_290:                             ;   in Loop: Header=BB10_6 Depth=1
	s_or_b64 exec, exec, s[36:37]
	v_lshrrev_b16_e32 v28, 8, v4
	s_and_b64 s[40:41], s[38:39], exec
.LBB10_291:                             ;   in Loop: Header=BB10_6 Depth=1
	s_or_b64 exec, exec, s[28:29]
	s_mov_b64 s[36:37], 0
	s_mov_b64 s[28:29], -1
	s_mov_b64 s[38:39], 0
.LBB10_292:                             ;   in Loop: Header=BB10_6 Depth=1
	s_orn2_b64 s[46:47], s[40:41], exec
.LBB10_293:                             ;   in Loop: Header=BB10_6 Depth=1
	s_or_b64 exec, exec, s[16:17]
	s_mov_b64 s[44:45], 0
                                        ; implicit-def: $vgpr30
	s_and_saveexec_b64 s[40:41], s[46:47]
	s_cbranch_execz .LBB10_382
; %bb.294:                              ;   in Loop: Header=BB10_6 Depth=1
	s_xor_b64 s[10:11], s[42:43], -1
	s_mov_b64 s[48:49], 0
	v_mov_b32_e32 v2, 1
	v_mov_b32_e32 v30, 1
	s_and_saveexec_b64 s[16:17], s[10:11]
	s_cbranch_execz .LBB10_304
; %bb.295:                              ;   in Loop: Header=BB10_6 Depth=1
	v_cmp_ge_u32_e32 vcc, s56, v5
                                        ; implicit-def: $sgpr10
                                        ; implicit-def: $sgpr42_sgpr43
	s_and_saveexec_b64 s[44:45], vcc
	s_xor_b64 s[44:45], exec, s[44:45]
	s_cbranch_execz .LBB10_301
; %bb.296:                              ;   in Loop: Header=BB10_6 Depth=1
	ds_read_b32 v2, v24 offset:4096
	s_waitcnt lgkmcnt(0)
	v_cmp_ne_u32_e32 vcc, 0, v2
	s_cbranch_vccnz .LBB10_300
; %bb.297:                              ;   in Loop: Header=BB10_6 Depth=1
	s_mov_b64 s[42:43], exec
	v_readlane_b32 s10, v47, 24
	v_readlane_b32 s11, v47, 25
	s_and_b64 s[10:11], s[42:43], s[10:11]
	s_mov_b64 exec, s[10:11]
	s_cbranch_execz .LBB10_299
; %bb.298:                              ;   in Loop: Header=BB10_6 Depth=1
	v_mov_b32_e32 v2, s56
	ds_write_b32 v24, v2 offset:4100
.LBB10_299:                             ;   in Loop: Header=BB10_6 Depth=1
	s_or_b64 exec, exec, s[42:43]
	s_waitcnt lgkmcnt(0)
	s_barrier
.LBB10_300:                             ;   in Loop: Header=BB10_6 Depth=1
	v_and_b32_e32 v2, s13, v27
	v_lshl_or_b32 v27, 2, s82, v2
	v_or_b32_e32 v26, s12, v26
	s_mov_b64 s[42:43], 0
	s_mov_b32 s10, 5
.LBB10_301:                             ;   in Loop: Header=BB10_6 Depth=1
	s_or_saveexec_b64 s[44:45], s[44:45]
	v_mov_b32_e32 v30, s10
	s_xor_b64 exec, exec, s[44:45]
; %bb.302:                              ;   in Loop: Header=BB10_6 Depth=1
	v_subrev_u32_e32 v5, s56, v5
	v_mov_b32_e32 v30, 0
	s_or_b64 s[42:43], s[42:43], exec
; %bb.303:                              ;   in Loop: Header=BB10_6 Depth=1
	s_or_b64 exec, exec, s[44:45]
	s_and_b64 s[48:49], s[42:43], exec
	v_mov_b32_e32 v2, v5
.LBB10_304:                             ;   in Loop: Header=BB10_6 Depth=1
	s_or_b64 exec, exec, s[16:17]
	s_mov_b64 s[16:17], -1
                                        ; implicit-def: $sgpr44_sgpr45
                                        ; implicit-def: $sgpr46_sgpr47
                                        ; implicit-def: $sgpr50_sgpr51
	s_and_saveexec_b64 s[42:43], s[48:49]
	s_cbranch_execz .LBB10_381
; %bb.305:                              ;   in Loop: Header=BB10_6 Depth=1
	s_cmp_eq_u32 s6, 1
	s_cselect_b64 s[10:11], -1, 0
	v_cmp_eq_u32_e32 vcc, 1, v2
	s_and_b64 s[52:53], s[10:11], vcc
	s_mov_b64 s[54:55], -1
                                        ; implicit-def: $sgpr44_sgpr45
                                        ; implicit-def: $sgpr46_sgpr47
                                        ; implicit-def: $sgpr48_sgpr49
	s_and_saveexec_b64 s[16:17], s[52:53]
	s_cbranch_execz .LBB10_329
; %bb.306:                              ;   in Loop: Header=BB10_6 Depth=1
	ds_read_b32 v3, v24 offset:4096
	s_waitcnt lgkmcnt(0)
	s_barrier
	v_readfirstlane_b32 s10, v3
	s_and_saveexec_b64 s[44:45], s[4:5]
	s_cbranch_execz .LBB10_308
; %bb.307:                              ;   in Loop: Header=BB10_6 Depth=1
	ds_write_b8 v0, v1 offset:3072
.LBB10_308:                             ;   in Loop: Header=BB10_6 Depth=1
	s_or_b64 exec, exec, s[44:45]
	v_and_b32_e32 v3, s13, v27
	v_lshl_or_b32 v27, 1, s82, v3
	v_or_b32_e32 v26, s12, v26
	s_cmp_eq_u32 s10, 0
	s_waitcnt lgkmcnt(0)
	s_barrier
	s_cbranch_scc1 .LBB10_316
; %bb.309:                              ;   in Loop: Header=BB10_6 Depth=1
	v_readlane_b32 s11, v47, 33
	s_add_i32 s11, s10, s11
	v_readlane_b32 s44, v47, 53
	s_mul_hi_u32 s44, s11, s44
	s_mul_i32 s44, s44, s33
	s_sub_i32 s44, s11, s44
	s_sub_i32 s45, s44, s33
	s_cmp_ge_u32 s44, s33
	s_cselect_b32 s44, s45, s44
	s_sub_i32 s45, s44, s33
	s_cmp_ge_u32 s44, s33
	s_cselect_b32 s44, s45, s44
	s_sub_i32 s11, s11, s44
	v_cmp_gt_u32_e32 vcc, s11, v0
	s_mov_b64 s[50:51], 0
                                        ; implicit-def: $vgpr28
	s_and_saveexec_b64 s[44:45], vcc
	s_cbranch_execz .LBB10_318
; %bb.310:                              ;   in Loop: Header=BB10_6 Depth=1
	s_mov_b64 s[46:47], 0
	v_mov_b32_e32 v3, v0
                                        ; implicit-def: $sgpr48_sgpr49
	s_branch .LBB10_312
.LBB10_311:                             ;   in Loop: Header=BB10_312 Depth=2
	s_or_b64 exec, exec, s[50:51]
	s_waitcnt lgkmcnt(0)
	s_barrier
	ds_read_u16 v4, v24 offset:3072
	v_add_u32_e32 v3, s33, v3
	v_cmp_le_u32_e32 vcc, s11, v3
	s_waitcnt lgkmcnt(0)
	s_barrier
	v_cmp_ne_u16_sdwa s[50:51], v4, v1 src0_sel:BYTE_0 src1_sel:DWORD
	s_or_b64 s[54:55], vcc, s[50:51]
	s_and_b64 s[54:55], exec, s[54:55]
	s_or_b64 s[46:47], s[54:55], s[46:47]
	s_andn2_b64 s[48:49], s[48:49], exec
	s_and_b64 s[50:51], s[50:51], exec
	s_or_b64 s[48:49], s[48:49], s[50:51]
	s_andn2_b64 exec, exec, s[46:47]
	s_cbranch_execz .LBB10_317
.LBB10_312:                             ;   Parent Loop BB10_6 Depth=1
                                        ; =>  This Inner Loop Header: Depth=2
	v_cmp_gt_u32_e32 vcc, s10, v3
	v_mov_b32_e32 v4, 0
	s_and_saveexec_b64 s[50:51], vcc
	s_cbranch_execz .LBB10_314
; %bb.313:                              ;   in Loop: Header=BB10_312 Depth=2
	ds_read_u8 v4, v3
.LBB10_314:                             ;   in Loop: Header=BB10_312 Depth=2
	s_or_b64 exec, exec, s[50:51]
	s_waitcnt lgkmcnt(0)
	v_and_b32_e32 v5, v4, v26
	v_cmp_eq_u32_sdwa s[50:51], v5, v27 src0_sel:BYTE_0 src1_sel:DWORD
	s_and_b64 s[54:55], vcc, s[50:51]
	s_and_saveexec_b64 s[50:51], s[54:55]
	s_cbranch_execz .LBB10_311
; %bb.315:                              ;   in Loop: Header=BB10_312 Depth=2
	v_lshlrev_b16_e32 v4, 8, v4
	v_or_b32_e32 v4, 1, v4
	ds_write_b16 v24, v4 offset:3072
	s_branch .LBB10_311
.LBB10_316:                             ;   in Loop: Header=BB10_6 Depth=1
	s_mov_b64 s[44:45], -1
	s_mov_b64 s[50:51], 0
                                        ; implicit-def: $sgpr46_sgpr47
                                        ; implicit-def: $vgpr28
	s_mov_b64 s[48:49], s[44:45]
	s_cbranch_execnz .LBB10_319
	s_branch .LBB10_328
.LBB10_317:                             ;   in Loop: Header=BB10_6 Depth=1
	s_or_b64 exec, exec, s[46:47]
	v_lshrrev_b16_e32 v28, 8, v4
	s_and_b64 s[50:51], s[48:49], exec
.LBB10_318:                             ;   in Loop: Header=BB10_6 Depth=1
	s_or_b64 exec, exec, s[44:45]
	s_mov_b64 s[44:45], 0
	s_mov_b64 s[46:47], -1
	s_mov_b64 s[48:49], s[44:45]
	s_branch .LBB10_328
.LBB10_319:                             ;   in Loop: Header=BB10_6 Depth=1
	s_mov_b64 s[50:51], 0
                                        ; implicit-def: $vgpr28
	s_mov_b64 s[44:45], exec
	v_readlane_b32 s10, v47, 54
	v_readlane_b32 s11, v47, 55
	s_and_b64 s[10:11], s[44:45], s[10:11]
	s_mov_b64 exec, s[10:11]
	s_cbranch_execz .LBB10_327
; %bb.320:                              ;   in Loop: Header=BB10_6 Depth=1
	s_mov_b64 s[46:47], 0
	v_mov_b32_e32 v3, v15
	v_mov_b32_e32 v4, v0
                                        ; implicit-def: $sgpr48_sgpr49
	s_branch .LBB10_322
.LBB10_321:                             ;   in Loop: Header=BB10_322 Depth=2
	s_or_b64 exec, exec, s[50:51]
	s_waitcnt lgkmcnt(0)
	s_barrier
	ds_read_u16 v5, v24 offset:3072
	v_add_u32_e32 v4, s33, v4
	v_cmp_le_u32_e32 vcc, s7, v4
	v_add_u32_e32 v3, s8, v3
	s_waitcnt lgkmcnt(0)
	v_cmp_ne_u16_sdwa s[10:11], v5, v1 src0_sel:BYTE_0 src1_sel:DWORD
	s_or_b64 s[50:51], vcc, s[10:11]
	s_and_b64 s[50:51], exec, s[50:51]
	s_or_b64 s[46:47], s[50:51], s[46:47]
	s_andn2_b64 s[48:49], s[48:49], exec
	s_and_b64 s[10:11], s[10:11], exec
	s_or_b64 s[48:49], s[48:49], s[10:11]
	s_barrier
	s_andn2_b64 exec, exec, s[46:47]
	s_cbranch_execz .LBB10_326
.LBB10_322:                             ;   Parent Loop BB10_6 Depth=1
                                        ; =>  This Inner Loop Header: Depth=2
	v_cmp_gt_u32_e32 vcc, s60, v4
	v_mov_b32_e32 v5, 0
	s_and_saveexec_b64 s[50:51], vcc
	s_cbranch_execz .LBB10_324
; %bb.323:                              ;   in Loop: Header=BB10_322 Depth=2
	global_load_ubyte v5, v3, s[72:73]
.LBB10_324:                             ;   in Loop: Header=BB10_322 Depth=2
	s_or_b64 exec, exec, s[50:51]
	s_waitcnt vmcnt(0)
	v_and_b32_e32 v28, v5, v26
	v_cmp_eq_u32_sdwa s[10:11], v28, v27 src0_sel:BYTE_0 src1_sel:DWORD
	s_and_b64 s[10:11], vcc, s[10:11]
	s_and_saveexec_b64 s[50:51], s[10:11]
	s_cbranch_execz .LBB10_321
; %bb.325:                              ;   in Loop: Header=BB10_322 Depth=2
	v_lshlrev_b16_e32 v5, 8, v5
	v_or_b32_e32 v5, 1, v5
	ds_write_b16 v24, v5 offset:3072
	s_branch .LBB10_321
.LBB10_326:                             ;   in Loop: Header=BB10_6 Depth=1
	s_or_b64 exec, exec, s[46:47]
	v_lshrrev_b16_e32 v28, 8, v5
	s_and_b64 s[50:51], s[48:49], exec
.LBB10_327:                             ;   in Loop: Header=BB10_6 Depth=1
	s_or_b64 exec, exec, s[44:45]
	s_mov_b64 s[46:47], 0
	s_mov_b64 s[44:45], -1
	s_mov_b64 s[48:49], 0
.LBB10_328:                             ;   in Loop: Header=BB10_6 Depth=1
	s_orn2_b64 s[54:55], s[50:51], exec
.LBB10_329:                             ;   in Loop: Header=BB10_6 Depth=1
	s_or_b64 exec, exec, s[16:17]
	s_mov_b64 s[16:17], 0
                                        ; implicit-def: $vgpr30
	s_and_saveexec_b64 s[50:51], s[54:55]
	s_cbranch_execz .LBB10_380
; %bb.330:                              ;   in Loop: Header=BB10_6 Depth=1
	s_xor_b64 s[10:11], s[52:53], -1
	s_mov_b64 s[54:55], 0
	v_mov_b32_e32 v3, 1
	v_mov_b32_e32 v30, 1
	s_and_saveexec_b64 s[16:17], s[10:11]
	s_cbranch_execz .LBB10_340
; %bb.331:                              ;   in Loop: Header=BB10_6 Depth=1
	v_cmp_ge_u32_e32 vcc, s6, v2
                                        ; implicit-def: $sgpr10
                                        ; implicit-def: $sgpr52_sgpr53
	s_and_saveexec_b64 s[54:55], vcc
	s_xor_b64 s[54:55], exec, s[54:55]
	s_cbranch_execz .LBB10_337
; %bb.332:                              ;   in Loop: Header=BB10_6 Depth=1
	ds_read_b32 v3, v24 offset:4096
	s_waitcnt lgkmcnt(0)
	v_cmp_ne_u32_e32 vcc, 0, v3
	s_cbranch_vccnz .LBB10_336
; %bb.333:                              ;   in Loop: Header=BB10_6 Depth=1
	s_mov_b64 s[52:53], exec
	v_readlane_b32 s10, v47, 24
	v_readlane_b32 s11, v47, 25
	s_and_b64 s[10:11], s[52:53], s[10:11]
	s_mov_b64 exec, s[10:11]
	s_cbranch_execz .LBB10_335
; %bb.334:                              ;   in Loop: Header=BB10_6 Depth=1
	v_mov_b32_e32 v3, s6
	ds_write_b32 v24, v3 offset:4100
.LBB10_335:                             ;   in Loop: Header=BB10_6 Depth=1
	s_or_b64 exec, exec, s[52:53]
	s_waitcnt lgkmcnt(0)
	s_barrier
.LBB10_336:                             ;   in Loop: Header=BB10_6 Depth=1
	v_and_b32_e32 v3, s13, v27
	v_lshl_or_b32 v27, 1, s82, v3
	v_or_b32_e32 v26, s12, v26
	s_mov_b64 s[52:53], 0
	s_mov_b32 s10, 5
.LBB10_337:                             ;   in Loop: Header=BB10_6 Depth=1
	s_or_saveexec_b64 s[54:55], s[54:55]
	v_mov_b32_e32 v30, s10
	s_xor_b64 exec, exec, s[54:55]
; %bb.338:                              ;   in Loop: Header=BB10_6 Depth=1
	v_subrev_u32_e32 v2, s6, v2
	v_mov_b32_e32 v30, 0
	s_or_b64 s[52:53], s[52:53], exec
; %bb.339:                              ;   in Loop: Header=BB10_6 Depth=1
	s_or_b64 exec, exec, s[54:55]
	s_and_b64 s[54:55], s[52:53], exec
	v_mov_b32_e32 v3, v2
.LBB10_340:                             ;   in Loop: Header=BB10_6 Depth=1
	s_or_b64 exec, exec, s[16:17]
	s_mov_b64 s[16:17], -1
                                        ; implicit-def: $sgpr56_sgpr57
                                        ; implicit-def: $sgpr58_sgpr59
                                        ; implicit-def: $sgpr92_sgpr93
	s_and_saveexec_b64 s[52:53], s[54:55]
	s_cbranch_execz .LBB10_379
; %bb.341:                              ;   in Loop: Header=BB10_6 Depth=1
	s_cmp_eq_u32 s83, 1
	s_cselect_b64 s[10:11], -1, 0
	v_cmp_eq_u32_e32 vcc, 1, v3
	s_mov_b64 s[54:55], -1
	s_and_b64 s[10:11], s[10:11], vcc
                                        ; implicit-def: $sgpr56_sgpr57
                                        ; implicit-def: $sgpr58_sgpr59
                                        ; implicit-def: $sgpr92_sgpr93
	s_mov_b64 s[16:17], exec
	v_writelane_b32 v47, s10, 57
	v_writelane_b32 v47, s11, 58
	s_and_b64 s[10:11], s[16:17], s[10:11]
	s_mov_b64 exec, s[10:11]
	s_cbranch_execz .LBB10_366
; %bb.342:                              ;   in Loop: Header=BB10_6 Depth=1
	ds_read_b32 v2, v24 offset:4096
	s_waitcnt lgkmcnt(0)
	s_barrier
	v_readfirstlane_b32 s6, v2
	s_and_saveexec_b64 s[54:55], s[4:5]
	s_cbranch_execz .LBB10_344
; %bb.343:                              ;   in Loop: Header=BB10_6 Depth=1
	ds_write_b8 v0, v1 offset:3072
.LBB10_344:                             ;   in Loop: Header=BB10_6 Depth=1
	s_or_b64 exec, exec, s[54:55]
	v_and_b32_e32 v27, s13, v27
	v_or_b32_e32 v26, s12, v26
	s_cmp_eq_u32 s6, 0
	s_waitcnt lgkmcnt(0)
	s_barrier
	s_cbranch_scc1 .LBB10_352
; %bb.345:                              ;   in Loop: Header=BB10_6 Depth=1
	v_readlane_b32 s10, v47, 33
	s_add_i32 s10, s6, s10
	v_readlane_b32 s11, v47, 53
	s_mul_hi_u32 s11, s10, s11
	s_mul_i32 s11, s11, s33
	s_sub_i32 s11, s10, s11
	s_sub_i32 s54, s11, s33
	s_cmp_ge_u32 s11, s33
	s_cselect_b32 s11, s54, s11
	s_sub_i32 s54, s11, s33
	s_cmp_ge_u32 s11, s33
	s_cselect_b32 s11, s54, s11
	s_sub_i32 s10, s10, s11
	s_mov_b64 s[54:55], 0
	v_cmp_gt_u32_e32 vcc, s10, v0
                                        ; implicit-def: $vgpr28
	s_mov_b64 s[56:57], exec
	v_writelane_b32 v47, s56, 59
	s_and_b64 s[58:59], s[56:57], vcc
	v_writelane_b32 v47, s57, 60
	s_mov_b64 exec, s[58:59]
	s_cbranch_execz .LBB10_354
; %bb.346:                              ;   in Loop: Header=BB10_6 Depth=1
	v_mov_b32_e32 v2, v0
                                        ; implicit-def: $sgpr58_sgpr59
	s_branch .LBB10_348
.LBB10_347:                             ;   in Loop: Header=BB10_348 Depth=2
	s_or_b64 exec, exec, s[92:93]
	s_waitcnt lgkmcnt(0)
	s_barrier
	ds_read_u16 v4, v24 offset:3072
	v_add_u32_e32 v2, s33, v2
	v_cmp_le_u32_e32 vcc, s10, v2
	s_waitcnt lgkmcnt(0)
	s_barrier
	v_cmp_ne_u16_sdwa s[56:57], v4, v1 src0_sel:BYTE_0 src1_sel:DWORD
	s_or_b64 s[92:93], vcc, s[56:57]
	s_and_b64 s[92:93], exec, s[92:93]
	s_or_b64 s[54:55], s[92:93], s[54:55]
	s_andn2_b64 s[58:59], s[58:59], exec
	s_and_b64 s[56:57], s[56:57], exec
	s_or_b64 s[58:59], s[58:59], s[56:57]
	s_andn2_b64 exec, exec, s[54:55]
	s_cbranch_execz .LBB10_353
.LBB10_348:                             ;   Parent Loop BB10_6 Depth=1
                                        ; =>  This Inner Loop Header: Depth=2
	v_cmp_gt_u32_e32 vcc, s6, v2
	v_mov_b32_e32 v4, 0
	s_and_saveexec_b64 s[92:93], vcc
	s_cbranch_execz .LBB10_350
; %bb.349:                              ;   in Loop: Header=BB10_348 Depth=2
	ds_read_u8 v4, v2
.LBB10_350:                             ;   in Loop: Header=BB10_348 Depth=2
	s_or_b64 exec, exec, s[92:93]
	s_waitcnt lgkmcnt(0)
	v_and_b32_e32 v5, v4, v26
	v_cmp_eq_u32_sdwa s[56:57], v5, v27 src0_sel:BYTE_0 src1_sel:DWORD
	s_and_b64 s[56:57], vcc, s[56:57]
	s_and_saveexec_b64 s[92:93], s[56:57]
	s_cbranch_execz .LBB10_347
; %bb.351:                              ;   in Loop: Header=BB10_348 Depth=2
	v_lshlrev_b16_e32 v4, 8, v4
	v_or_b32_e32 v4, 1, v4
	ds_write_b16 v24, v4 offset:3072
	s_branch .LBB10_347
.LBB10_352:                             ;   in Loop: Header=BB10_6 Depth=1
	s_mov_b64 s[56:57], -1
	s_mov_b64 s[54:55], 0
                                        ; implicit-def: $sgpr58_sgpr59
                                        ; implicit-def: $vgpr28
	s_branch .LBB10_355
.LBB10_353:                             ;   in Loop: Header=BB10_6 Depth=1
	s_or_b64 exec, exec, s[54:55]
	v_lshrrev_b16_e32 v28, 8, v4
	s_and_b64 s[54:55], s[58:59], exec
.LBB10_354:                             ;   in Loop: Header=BB10_6 Depth=1
	v_readlane_b32 s10, v47, 59
	v_readlane_b32 s11, v47, 60
	s_or_b64 exec, exec, s[10:11]
	s_mov_b64 s[56:57], 0
	s_mov_b64 s[58:59], -1
.LBB10_355:                             ;   in Loop: Header=BB10_6 Depth=1
	s_and_b64 vcc, exec, s[56:57]
	s_mov_b64 s[92:93], s[56:57]
	s_cbranch_vccz .LBB10_365
; %bb.356:                              ;   in Loop: Header=BB10_6 Depth=1
	s_mov_b64 s[54:55], 0
                                        ; implicit-def: $vgpr28
	s_mov_b64 s[56:57], exec
	v_readlane_b32 s10, v47, 54
	v_readlane_b32 s11, v47, 55
	s_and_b64 s[10:11], s[56:57], s[10:11]
	s_mov_b64 exec, s[10:11]
	s_cbranch_execz .LBB10_364
; %bb.357:                              ;   in Loop: Header=BB10_6 Depth=1
	v_mov_b32_e32 v2, v15
	v_mov_b32_e32 v4, v0
                                        ; implicit-def: $sgpr58_sgpr59
	s_branch .LBB10_359
.LBB10_358:                             ;   in Loop: Header=BB10_359 Depth=2
	s_or_b64 exec, exec, s[92:93]
	s_waitcnt lgkmcnt(0)
	s_barrier
	ds_read_u16 v5, v24 offset:3072
	v_add_u32_e32 v4, s33, v4
	v_cmp_le_u32_e32 vcc, s7, v4
	v_add_u32_e32 v2, s8, v2
	s_waitcnt lgkmcnt(0)
	v_cmp_ne_u16_sdwa s[10:11], v5, v1 src0_sel:BYTE_0 src1_sel:DWORD
	s_or_b64 s[92:93], vcc, s[10:11]
	s_and_b64 s[92:93], exec, s[92:93]
	s_or_b64 s[54:55], s[92:93], s[54:55]
	s_andn2_b64 s[58:59], s[58:59], exec
	s_and_b64 s[10:11], s[10:11], exec
	s_or_b64 s[58:59], s[58:59], s[10:11]
	s_barrier
	s_andn2_b64 exec, exec, s[54:55]
	s_cbranch_execz .LBB10_363
.LBB10_359:                             ;   Parent Loop BB10_6 Depth=1
                                        ; =>  This Inner Loop Header: Depth=2
	v_cmp_gt_u32_e32 vcc, s60, v4
	v_mov_b32_e32 v5, 0
	s_and_saveexec_b64 s[92:93], vcc
	s_cbranch_execz .LBB10_361
; %bb.360:                              ;   in Loop: Header=BB10_359 Depth=2
	global_load_ubyte v5, v2, s[72:73]
.LBB10_361:                             ;   in Loop: Header=BB10_359 Depth=2
	s_or_b64 exec, exec, s[92:93]
	s_waitcnt vmcnt(0)
	v_and_b32_e32 v28, v5, v26
	v_cmp_eq_u32_sdwa s[10:11], v28, v27 src0_sel:BYTE_0 src1_sel:DWORD
	s_and_b64 s[10:11], vcc, s[10:11]
	s_and_saveexec_b64 s[92:93], s[10:11]
	s_cbranch_execz .LBB10_358
; %bb.362:                              ;   in Loop: Header=BB10_359 Depth=2
	v_lshlrev_b16_e32 v5, 8, v5
	v_or_b32_e32 v5, 1, v5
	ds_write_b16 v24, v5 offset:3072
	s_branch .LBB10_358
.LBB10_363:                             ;   in Loop: Header=BB10_6 Depth=1
	s_or_b64 exec, exec, s[54:55]
	v_lshrrev_b16_e32 v28, 8, v5
	s_and_b64 s[54:55], s[58:59], exec
.LBB10_364:                             ;   in Loop: Header=BB10_6 Depth=1
	s_or_b64 exec, exec, s[56:57]
	s_mov_b64 s[58:59], 0
	s_mov_b64 s[56:57], -1
	s_mov_b64 s[92:93], 0
.LBB10_365:                             ;   in Loop: Header=BB10_6 Depth=1
	s_orn2_b64 s[54:55], s[54:55], exec
.LBB10_366:                             ;   in Loop: Header=BB10_6 Depth=1
	s_or_b64 exec, exec, s[16:17]
	s_mov_b64 vcc, 0
                                        ; implicit-def: $vgpr30
                                        ; implicit-def: $vgpr2
	s_and_saveexec_b64 s[16:17], s[54:55]
	s_cbranch_execz .LBB10_378
; %bb.367:                              ;   in Loop: Header=BB10_6 Depth=1
	v_readlane_b32 s10, v47, 57
	v_readlane_b32 s11, v47, 58
	s_xor_b64 s[10:11], s[10:11], -1
	v_mov_b32_e32 v30, 1
	v_mov_b32_e32 v2, 1
	s_and_saveexec_b64 s[54:55], s[10:11]
	s_cbranch_execz .LBB10_377
; %bb.368:                              ;   in Loop: Header=BB10_6 Depth=1
	v_cmp_ge_u32_e32 vcc, s83, v3
                                        ; implicit-def: $sgpr6
	s_and_saveexec_b64 s[10:11], vcc
	s_xor_b64 s[10:11], exec, s[10:11]
	s_cbranch_execz .LBB10_374
; %bb.369:                              ;   in Loop: Header=BB10_6 Depth=1
	ds_read_b32 v2, v24 offset:4096
	s_waitcnt lgkmcnt(0)
	v_cmp_ne_u32_e32 vcc, 0, v2
	s_cbranch_vccnz .LBB10_373
; %bb.370:                              ;   in Loop: Header=BB10_6 Depth=1
	v_writelane_b32 v47, s10, 61
	v_writelane_b32 v47, s11, 62
	s_mov_b64 vcc, exec
	v_readlane_b32 s10, v47, 24
	v_readlane_b32 s11, v47, 25
	s_and_b64 s[10:11], vcc, s[10:11]
	s_mov_b64 exec, s[10:11]
	s_cbranch_execz .LBB10_372
; %bb.371:                              ;   in Loop: Header=BB10_6 Depth=1
	v_mov_b32_e32 v2, s83
	ds_write_b32 v24, v2 offset:4100
.LBB10_372:                             ;   in Loop: Header=BB10_6 Depth=1
	s_or_b64 exec, exec, vcc
	v_readlane_b32 s10, v47, 61
	v_readlane_b32 s11, v47, 62
	s_waitcnt lgkmcnt(0)
	s_barrier
.LBB10_373:                             ;   in Loop: Header=BB10_6 Depth=1
	v_and_b32_e32 v27, s13, v27
	v_or_b32_e32 v26, s12, v26
	s_mov_b32 s6, 5
.LBB10_374:                             ;   in Loop: Header=BB10_6 Depth=1
	s_or_saveexec_b64 vcc, s[10:11]
	v_mov_b32_e32 v30, s6
	s_xor_b64 exec, exec, vcc
; %bb.375:                              ;   in Loop: Header=BB10_6 Depth=1
	v_subrev_u32_e32 v3, s83, v3
	v_mov_b32_e32 v30, 5
; %bb.376:                              ;   in Loop: Header=BB10_6 Depth=1
	s_or_b64 exec, exec, vcc
	v_mov_b32_e32 v2, v3
.LBB10_377:                             ;   in Loop: Header=BB10_6 Depth=1
	s_or_b64 exec, exec, s[54:55]
	s_mov_b64 vcc, exec
.LBB10_378:                             ;   in Loop: Header=BB10_6 Depth=1
	s_or_b64 exec, exec, s[16:17]
	s_orn2_b64 s[16:17], vcc, exec
	v_mov_b32_e32 v3, v2
.LBB10_379:                             ;   in Loop: Header=BB10_6 Depth=1
	s_or_b64 exec, exec, s[52:53]
	s_andn2_b64 s[10:11], s[44:45], exec
	s_and_b64 s[12:13], s[56:57], exec
	s_or_b64 s[44:45], s[10:11], s[12:13]
	s_andn2_b64 s[10:11], s[46:47], exec
	s_and_b64 s[12:13], s[58:59], exec
	s_or_b64 s[46:47], s[10:11], s[12:13]
	;; [unrolled: 3-line block ×3, first 2 shown]
	s_and_b64 s[16:17], s[16:17], exec
	v_mov_b32_e32 v2, v3
.LBB10_380:                             ;   in Loop: Header=BB10_6 Depth=1
	s_or_b64 exec, exec, s[50:51]
	s_and_b64 s[50:51], s[44:45], exec
	s_and_b64 s[46:47], s[46:47], exec
	;; [unrolled: 1-line block ×3, first 2 shown]
	s_orn2_b64 s[16:17], s[16:17], exec
.LBB10_381:                             ;   in Loop: Header=BB10_6 Depth=1
	s_or_b64 exec, exec, s[42:43]
	s_andn2_b64 s[10:11], s[28:29], exec
	s_and_b64 s[12:13], s[50:51], exec
	s_or_b64 s[28:29], s[10:11], s[12:13]
	s_andn2_b64 s[10:11], s[36:37], exec
	s_and_b64 s[12:13], s[46:47], exec
	s_or_b64 s[36:37], s[10:11], s[12:13]
	;; [unrolled: 3-line block ×3, first 2 shown]
	s_and_b64 s[44:45], s[16:17], exec
	v_mov_b32_e32 v5, v2
.LBB10_382:                             ;   in Loop: Header=BB10_6 Depth=1
	s_or_b64 exec, exec, s[40:41]
	s_and_b64 s[40:41], s[28:29], exec
	s_and_b64 s[28:29], s[36:37], exec
	;; [unrolled: 1-line block ×3, first 2 shown]
	s_orn2_b64 s[38:39], s[44:45], exec
.LBB10_383:                             ;   in Loop: Header=BB10_6 Depth=1
	s_or_b64 exec, exec, s[18:19]
	s_mov_b64 s[18:19], s[24:25]
	s_mov_b64 s[36:37], s[20:21]
	s_and_saveexec_b64 s[42:43], s[38:39]
; %bb.384:                              ;   in Loop: Header=BB10_6 Depth=1
	v_cmp_ne_u32_e64 s[18:19], 5, v30
	v_cmp_eq_u32_e32 vcc, 5, v30
	s_andn2_b64 s[10:11], s[20:21], exec
	s_and_b64 s[12:13], s[18:19], exec
	s_or_b64 s[36:37], s[10:11], s[12:13]
	s_andn2_b64 s[10:11], s[24:25], exec
	s_and_b64 s[12:13], vcc, exec
	s_andn2_b64 s[40:41], s[40:41], exec
	s_andn2_b64 s[28:29], s[28:29], exec
	;; [unrolled: 1-line block ×3, first 2 shown]
	s_or_b64 s[18:19], s[10:11], s[12:13]
; %bb.385:                              ;   in Loop: Header=BB10_6 Depth=1
	s_or_b64 exec, exec, s[42:43]
	s_andn2_b64 s[10:11], s[30:31], exec
	s_and_b64 s[12:13], s[40:41], exec
	s_or_b64 s[30:31], s[10:11], s[12:13]
	s_andn2_b64 s[10:11], s[34:35], exec
	s_and_b64 s[12:13], s[28:29], exec
	s_or_b64 s[34:35], s[10:11], s[12:13]
	;; [unrolled: 3-line block ×5, first 2 shown]
	v_mov_b32_e32 v2, v27
	v_mov_b32_e32 v3, v26
	;; [unrolled: 1-line block ×3, first 2 shown]
.LBB10_386:                             ;   in Loop: Header=BB10_6 Depth=1
	s_or_b64 exec, exec, s[26:27]
	s_mov_b64 s[28:29], s[22:23]
	s_mov_b64 s[26:27], s[22:23]
	s_and_saveexec_b64 s[16:17], s[24:25]
.LBB10_387:                             ;   in Loop: Header=BB10_6 Depth=1
	v_mov_b32_e32 v30, 0
	s_andn2_b64 s[22:23], s[22:23], exec
	s_andn2_b64 s[30:31], s[30:31], exec
	;; [unrolled: 1-line block ×5, first 2 shown]
	s_or_b64 s[20:21], s[20:21], exec
.LBB10_388:                             ;   in Loop: Header=BB10_6 Depth=1
	s_or_b64 exec, exec, s[16:17]
	s_andn2_b64 s[10:11], s[90:91], exec
	s_and_b64 s[12:13], s[22:23], exec
	s_or_b64 s[90:91], s[10:11], s[12:13]
	s_andn2_b64 s[10:11], s[76:77], exec
	s_and_b64 s[12:13], s[30:31], exec
	s_or_b64 s[76:77], s[10:11], s[12:13]
	;; [unrolled: 3-line block ×4, first 2 shown]
	s_andn2_b64 s[10:11], s[80:81], exec
	s_and_b64 s[12:13], s[26:27], exec
	s_mov_b64 s[18:19], -1
	s_or_b64 s[80:81], s[10:11], s[12:13]
                                        ; implicit-def: $vgpr26
                                        ; implicit-def: $vgpr27
                                        ; implicit-def: $vgpr29
                                        ; implicit-def: $vgpr28
	s_and_saveexec_b64 s[10:11], s[20:21]
	s_xor_b64 s[16:17], exec, s[10:11]
	s_cbranch_execz .LBB10_5
; %bb.389:                              ;   in Loop: Header=BB10_6 Depth=1
	v_cmp_eq_u32_e32 vcc, 0, v30
	s_mov_b64 s[20:21], -1
	s_and_saveexec_b64 s[22:23], vcc
	s_cbranch_execz .LBB10_4
; %bb.390:                              ;   in Loop: Header=BB10_6 Depth=1
	s_xor_b32 s89, s89, 1
	s_add_i32 s6, s88, -2
	s_cmp_eq_u32 s88, 0
	s_cselect_b64 s[10:11], -1, 0
	s_xor_b64 s[20:21], exec, -1
	s_orn2_b64 s[18:19], s[10:11], exec
	s_mov_b32 s88, s6
	s_branch .LBB10_4
.LBB10_391:
	s_or_b64 exec, exec, s[64:65]
	s_xor_b64 s[16:17], s[78:79], -1
	s_xor_b64 s[20:21], s[2:3], -1
	;; [unrolled: 1-line block ×5, first 2 shown]
	s_mov_b64 s[12:13], 0
	s_and_saveexec_b64 s[6:7], s[4:5]
	s_xor_b64 s[10:11], exec, s[6:7]
	s_cbranch_execnz .LBB10_396
; %bb.392:
	s_andn2_saveexec_b64 s[0:1], s[10:11]
	s_cbranch_execnz .LBB10_415
.LBB10_393:
	s_or_b64 exec, exec, s[0:1]
	s_and_saveexec_b64 s[0:1], s[12:13]
.LBB10_394:
	; divergent unreachable
.LBB10_395:
	s_endpgm
.LBB10_396:
	s_mov_b64 s[14:15], 0
	s_and_saveexec_b64 s[4:5], s[18:19]
	s_xor_b64 s[12:13], exec, s[4:5]
	s_cbranch_execz .LBB10_413
; %bb.397:
	s_mov_b64 s[18:19], 0
	s_and_saveexec_b64 s[4:5], s[20:21]
	s_xor_b64 s[14:15], exec, s[4:5]
	s_cbranch_execz .LBB10_411
; %bb.398:
	s_and_saveexec_b64 s[4:5], s[16:17]
	s_xor_b64 s[16:17], exec, s[4:5]
	s_cbranch_execz .LBB10_409
; %bb.399:
	s_and_saveexec_b64 s[4:5], s[2:3]
	s_xor_b64 s[2:3], exec, s[4:5]
; %bb.400:
	v_mov_b32_e32 v4, v2
; %bb.401:
	s_or_b64 exec, exec, s[2:3]
	s_mov_b64 s[2:3], exec
	v_readlane_b32 s4, v47, 24
	v_readlane_b32 s5, v47, 25
	;; [unrolled: 1-line block ×3, first 2 shown]
	s_and_b64 s[4:5], s[2:3], s[4:5]
	v_readlane_b32 s35, v47, 28
	v_readlane_b32 s22, v47, 56
	s_mov_b64 exec, s[4:5]
	s_cbranch_execz .LBB10_403
; %bb.402:
	v_mov_b32_e32 v1, 0
	ds_write_b32 v1, v1 offset:4108
.LBB10_403:
	s_or_b64 exec, exec, s[2:3]
	v_mov_b32_e32 v1, 0
	s_waitcnt lgkmcnt(0)
	s_barrier
	s_mov_b64 s[2:3], exec
	v_readlane_b32 s4, v47, 38
	v_readlane_b32 s5, v47, 39
	s_and_b64 s[4:5], s[2:3], s[4:5]
	s_mov_b64 exec, s[4:5]
	s_cbranch_execz .LBB10_405
; %bb.404:
	global_load_ubyte v1, v[8:9], off
.LBB10_405:
	s_or_b64 exec, exec, s[2:3]
	v_readlane_b32 s18, v47, 16
	v_readlane_b32 s19, v47, 17
	;; [unrolled: 1-line block ×3, first 2 shown]
	s_mul_i32 s2, s7, s19
	v_readlane_b32 s19, v47, 19
	s_mul_i32 s3, s19, s18
	s_add_i32 s9, s60, 63
	v_readlane_b32 s6, v47, 26
	s_sub_i32 s3, s7, s3
	s_andn2_b32 s9, s9, 63
	s_sub_i32 s2, s6, s2
	s_add_i32 s4, s19, 1
	s_sub_i32 s5, s3, s18
	s_cmp_ge_u32 s3, s18
	s_cselect_b32 s4, s4, s19
	s_cselect_b32 s3, s5, s3
	s_add_i32 s5, s4, 1
	s_cmp_ge_u32 s3, s18
	s_cselect_b32 s3, s5, s4
	v_readlane_b32 s24, v47, 6
	s_mul_i32 s4, s3, s18
	v_readlane_b32 s25, v47, 7
	v_readlane_b32 s26, v47, 8
	s_sub_i32 s4, s7, s4
	s_mul_i32 s2, s2, s26
	s_mul_i32 s4, s4, s25
	v_readlane_b32 s18, v47, 20
	s_add_i32 s2, s4, s2
	s_mul_i32 s3, s3, s24
	v_readlane_b32 s19, v47, 21
	v_readlane_b32 s7, v47, 22
	s_add_i32 s4, s2, s3
	s_mul_i32 s2, s7, s19
	v_readlane_b32 s19, v47, 23
	s_mul_i32 s3, s19, s18
	s_sub_i32 s3, s7, s3
	s_sub_i32 s2, s6, s2
	s_add_i32 s5, s19, 1
	s_sub_i32 s6, s3, s18
	s_cmp_ge_u32 s3, s18
	s_cselect_b32 s5, s5, s19
	s_cselect_b32 s3, s6, s3
	s_add_i32 s6, s5, 1
	s_cmp_ge_u32 s3, s18
	v_readlane_b32 s27, v47, 9
	s_cselect_b32 s3, s6, s5
	v_readlane_b32 s24, v47, 0
	s_mul_i32 s5, s3, s18
	v_readlane_b32 s25, v47, 1
	v_readlane_b32 s26, v47, 2
	s_sub_i32 s5, s7, s5
	s_mul_i32 s2, s2, s26
	s_mul_i32 s5, s5, s25
	s_add_i32 s2, s5, s2
	s_mul_i32 s3, s3, s24
	s_add_i32 s2, s2, s3
	v_readlane_b32 s6, v47, 10
	s_mov_b32 s3, 0
	v_readlane_b32 s7, v47, 11
	s_add_u32 s42, s6, s4
	s_addc_u32 s43, s7, 0
	s_lshl_b64 s[2:3], s[2:3], 3
	v_readlane_b32 s4, v47, 4
	v_readlane_b32 s5, v47, 5
	s_add_u32 s44, s4, s2
	s_addc_u32 s45, s5, s3
	v_readlane_b32 s2, v47, 12
	v_readlane_b32 s3, v47, 13
	s_load_dword s46, s[2:3], 0x1c8
	s_load_dword s47, s[2:3], 0x2a8
	v_add_u32_e32 v2, s33, v0
	v_cmp_gt_u32_e32 vcc, s9, v0
	s_mov_b64 s[20:21], -1
	s_mov_b64 s[2:3], 0
	v_mul_lo_u32 v5, s22, v2
	s_mov_b64 s[4:5], 0
	v_readlane_b32 s27, v47, 3
	s_and_saveexec_b64 s[18:19], vcc
	s_cbranch_execnz .LBB10_416
; %bb.406:
	s_or_b64 exec, exec, s[18:19]
	s_and_saveexec_b64 s[18:19], s[20:21]
	s_cbranch_execnz .LBB10_431
.LBB10_407:
	s_or_b64 exec, exec, s[18:19]
	s_and_saveexec_b64 s[0:1], s[4:5]
	s_xor_b64 s[0:1], exec, s[0:1]
	s_cbranch_execnz .LBB10_453
.LBB10_408:
	s_or_b64 exec, exec, s[0:1]
	s_and_b64 s[18:19], s[2:3], exec
.LBB10_409:
	s_andn2_saveexec_b64 s[0:1], s[16:17]
	s_cbranch_execnz .LBB10_456
.LBB10_410:
	s_or_b64 exec, exec, s[0:1]
	s_and_b64 s[18:19], s[18:19], exec
.LBB10_411:
	s_andn2_saveexec_b64 s[0:1], s[14:15]
	s_cbranch_execnz .LBB10_455
.LBB10_412:
	s_or_b64 exec, exec, s[0:1]
	s_and_b64 s[14:15], s[18:19], exec
.LBB10_413:
	s_andn2_saveexec_b64 s[0:1], s[12:13]
	s_cbranch_execnz .LBB10_454
.LBB10_414:
	s_or_b64 exec, exec, s[0:1]
	s_and_b64 s[12:13], s[14:15], exec
	s_andn2_saveexec_b64 s[0:1], s[10:11]
	s_cbranch_execz .LBB10_393
.LBB10_415:
	s_or_b64 s[12:13], s[12:13], exec
	s_trap 2
	s_or_b64 exec, exec, s[0:1]
	s_and_saveexec_b64 s[0:1], s[12:13]
	s_cbranch_execnz .LBB10_394
	s_branch .LBB10_395
.LBB10_416:
	v_mul_lo_u32 v10, s22, v2
	s_mov_b64 s[20:21], 0
	v_mov_b32_e32 v3, 0
	v_mov_b32_e32 v2, v0
                                        ; implicit-def: $sgpr22_sgpr23
                                        ; implicit-def: $vgpr14
	s_branch .LBB10_418
.LBB10_417:                             ;   in Loop: Header=BB10_418 Depth=1
	s_or_b64 exec, exec, s[24:25]
	s_xor_b64 s[6:7], s[28:29], -1
	s_and_b64 s[4:5], exec, s[4:5]
	s_or_b64 s[20:21], s[4:5], s[20:21]
	s_andn2_b64 s[4:5], s[22:23], exec
	s_and_b64 s[6:7], s[6:7], exec
	s_or_b64 s[22:23], s[4:5], s[6:7]
	v_mov_b32_e32 v1, v13
	v_mov_b32_e32 v2, v11
	s_andn2_b64 exec, exec, s[20:21]
	s_cbranch_execz .LBB10_430
.LBB10_418:                             ; =>This Inner Loop Header: Depth=1
	v_add_u32_e32 v11, s33, v2
	v_cmp_gt_u32_e32 vcc, s60, v11
	v_mov_b32_e32 v13, 0
	s_and_saveexec_b64 s[4:5], vcc
	s_cbranch_execz .LBB10_420
; %bb.419:                              ;   in Loop: Header=BB10_418 Depth=1
	global_load_ubyte v13, v10, s[72:73]
.LBB10_420:                             ;   in Loop: Header=BB10_418 Depth=1
	s_or_b64 exec, exec, s[4:5]
	s_waitcnt vmcnt(0)
	v_and_b32_e32 v15, 0xff, v1
	v_cmp_gt_u16_sdwa s[4:5], v15, v4 src0_sel:DWORD src1_sel:BYTE_0
	v_cndmask_b32_e64 v16, 0, 1, s[4:5]
	v_cmp_lt_u16_sdwa s[4:5], v15, v4 src0_sel:DWORD src1_sel:BYTE_0
	v_cndmask_b32_e64 v15, 0, 1, s[4:5]
	v_cndmask_b32_e64 v15, v15, v16, s[34:35]
	v_and_b32_e32 v15, 1, v15
	v_cmp_gt_u32_e32 vcc, s60, v2
	v_cmp_eq_u32_e64 s[4:5], 1, v15
	s_and_b64 s[24:25], vcc, s[4:5]
	v_cndmask_b32_e64 v15, 0, 1, s[24:25]
	v_cmp_ne_u32_e32 vcc, 0, v15
	s_cmp_lg_u64 vcc, 0
	s_cselect_b64 s[4:5], -1, 0
	s_and_b64 s[4:5], s[0:1], s[4:5]
	s_and_saveexec_b64 s[26:27], s[4:5]
	s_cbranch_execz .LBB10_424
; %bb.421:                              ;   in Loop: Header=BB10_418 Depth=1
	s_mov_b64 s[30:31], exec
	s_waitcnt lgkmcnt(0)
	v_mbcnt_lo_u32_b32 v14, s30, 0
	v_mbcnt_hi_u32_b32 v14, s31, v14
	s_bcnt1_i32_b64 s6, vcc
	v_cmp_eq_u32_e64 s[4:5], 0, v14
                                        ; implicit-def: $vgpr15
	s_and_saveexec_b64 s[28:29], s[4:5]
	s_cbranch_execz .LBB10_423
; %bb.422:                              ;   in Loop: Header=BB10_418 Depth=1
	s_bcnt1_i32_b64 s4, s[30:31]
	s_mul_i32 s4, s6, s4
	v_mov_b32_e32 v15, s4
	ds_add_rtn_u32 v15, v3, v15 offset:4108
.LBB10_423:                             ;   in Loop: Header=BB10_418 Depth=1
	s_or_b64 exec, exec, s[28:29]
	s_waitcnt lgkmcnt(0)
	v_readfirstlane_b32 s4, v15
	v_mov_b32_e32 v15, s4
	v_mad_u32_u24 v14, s6, v14, v15
.LBB10_424:                             ;   in Loop: Header=BB10_418 Depth=1
	s_or_b64 exec, exec, s[26:27]
	s_waitcnt lgkmcnt(0)
	ds_bpermute_b32 v14, v12, v14
	s_mov_b64 s[4:5], -1
	s_mov_b64 s[30:31], -1
                                        ; implicit-def: $sgpr28_sgpr29
	s_and_saveexec_b64 s[26:27], s[24:25]
	s_cbranch_execz .LBB10_428
; %bb.425:                              ;   in Loop: Header=BB10_418 Depth=1
	v_and_b32_e32 v16, vcc_lo, v6
	v_and_b32_e32 v15, vcc_hi, v7
	v_bcnt_u32_b32 v16, v16, 0
	v_bcnt_u32_b32 v15, v15, v16
	s_waitcnt lgkmcnt(0)
	v_add_u32_e32 v15, v14, v15
	v_cmp_gt_u32_e32 vcc, s61, v15
	s_mov_b64 s[24:25], 0
	s_and_saveexec_b64 s[28:29], vcc
	s_cbranch_execz .LBB10_427
; %bb.426:                              ;   in Loop: Header=BB10_418 Depth=1
	v_mul_lo_u32 v17, v15, s46
	v_mul_lo_u32 v16, v15, s47
	global_store_byte v17, v1, s[42:43]
	v_mov_b32_e32 v17, v3
	v_lshlrev_b64 v[16:17], 3, v[16:17]
	v_mov_b32_e32 v1, s45
	v_add_co_u32_e32 v16, vcc, s44, v16
	s_mov_b64 s[24:25], exec
	v_addc_co_u32_e32 v17, vcc, v1, v17, vcc
	global_store_dwordx2 v[16:17], v[2:3], off
.LBB10_427:                             ;   in Loop: Header=BB10_418 Depth=1
	s_or_b64 exec, exec, s[28:29]
	s_mov_b64 s[28:29], -1
	s_orn2_b64 s[30:31], s[24:25], exec
.LBB10_428:                             ;   in Loop: Header=BB10_418 Depth=1
	s_or_b64 exec, exec, s[26:27]
	s_and_saveexec_b64 s[24:25], s[30:31]
	s_cbranch_execz .LBB10_417
; %bb.429:                              ;   in Loop: Header=BB10_418 Depth=1
	v_cmp_le_u32_e32 vcc, s9, v11
	v_add_u32_e32 v10, s8, v10
	s_andn2_b64 s[28:29], s[28:29], exec
	s_orn2_b64 s[4:5], vcc, exec
	s_branch .LBB10_417
.LBB10_430:
	s_or_b64 exec, exec, s[20:21]
	s_mov_b64 s[4:5], exec
	s_orn2_b64 s[20:21], s[22:23], exec
	s_or_b64 exec, exec, s[18:19]
	s_and_saveexec_b64 s[18:19], s[20:21]
	s_cbranch_execz .LBB10_407
.LBB10_431:
	s_waitcnt vmcnt(0)
	v_mov_b32_e32 v1, 0
	v_mov_b32_e32 v3, 0
	s_waitcnt lgkmcnt(0)
	s_barrier
	s_mov_b64 s[2:3], exec
	v_readlane_b32 s6, v47, 38
	v_readlane_b32 s7, v47, 39
	s_and_b64 s[6:7], s[2:3], s[6:7]
	s_mov_b64 exec, s[6:7]
	s_cbranch_execz .LBB10_433
; %bb.432:
	global_load_ubyte v3, v[8:9], off
.LBB10_433:
	s_or_b64 exec, exec, s[2:3]
	s_mov_b64 s[20:21], 0
                                        ; implicit-def: $sgpr6_sgpr7
                                        ; implicit-def: $sgpr22_sgpr23
                                        ; implicit-def: $sgpr24_sgpr25
                                        ; implicit-def: $vgpr2
	s_branch .LBB10_436
.LBB10_434:                             ;   in Loop: Header=BB10_436 Depth=1
	s_or_b64 exec, exec, s[30:31]
	s_andn2_b64 s[2:3], s[24:25], exec
	s_and_b64 s[24:25], s[36:37], exec
	s_or_b64 s[24:25], s[2:3], s[24:25]
	s_andn2_b64 s[2:3], s[22:23], exec
	s_and_b64 s[22:23], s[28:29], exec
	s_or_b64 s[22:23], s[2:3], s[22:23]
	v_mov_b32_e32 v0, v8
.LBB10_435:                             ;   in Loop: Header=BB10_436 Depth=1
	s_or_b64 exec, exec, s[26:27]
	s_xor_b64 s[2:3], s[24:25], -1
	s_and_b64 s[26:27], exec, s[22:23]
	s_or_b64 s[20:21], s[26:27], s[20:21]
	s_andn2_b64 s[6:7], s[6:7], exec
	s_and_b64 s[2:3], s[2:3], exec
	s_or_b64 s[6:7], s[6:7], s[2:3]
	s_andn2_b64 exec, exec, s[20:21]
	s_cbranch_execz .LBB10_451
.LBB10_436:                             ; =>This Inner Loop Header: Depth=1
	v_cmp_gt_u32_e32 vcc, s9, v0
	s_or_b64 s[24:25], s[24:25], exec
	s_or_b64 s[22:23], s[22:23], exec
	s_and_saveexec_b64 s[26:27], vcc
	s_cbranch_execz .LBB10_435
; %bb.437:                              ;   in Loop: Header=BB10_436 Depth=1
	v_add_u32_e32 v8, s33, v0
	v_cmp_gt_u32_e32 vcc, s60, v8
	v_mov_b32_e32 v9, 0
	s_and_saveexec_b64 s[2:3], vcc
	s_cbranch_execz .LBB10_439
; %bb.438:                              ;   in Loop: Header=BB10_436 Depth=1
	global_load_ubyte v9, v5, s[72:73]
.LBB10_439:                             ;   in Loop: Header=BB10_436 Depth=1
	s_or_b64 exec, exec, s[2:3]
	s_waitcnt vmcnt(0)
	v_and_b32_e32 v10, 0xff, v3
	v_cmp_gt_u32_e32 vcc, s60, v0
	v_cmp_eq_u16_sdwa s[2:3], v10, v4 src0_sel:DWORD src1_sel:BYTE_0
	s_and_b64 s[30:31], vcc, s[2:3]
	v_cndmask_b32_e64 v10, 0, 1, s[30:31]
	v_cmp_ne_u32_e32 vcc, 0, v10
	s_cmp_lg_u64 vcc, 0
	s_cselect_b64 s[2:3], -1, 0
	s_and_b64 s[2:3], s[0:1], s[2:3]
	s_and_saveexec_b64 s[28:29], s[2:3]
	s_cbranch_execz .LBB10_443
; %bb.440:                              ;   in Loop: Header=BB10_436 Depth=1
	s_mov_b64 s[36:37], exec
	v_mbcnt_lo_u32_b32 v2, s36, 0
	v_mbcnt_hi_u32_b32 v2, s37, v2
	s_bcnt1_i32_b64 s38, vcc
	v_cmp_eq_u32_e64 s[2:3], 0, v2
                                        ; implicit-def: $vgpr10
	s_and_saveexec_b64 s[34:35], s[2:3]
	s_cbranch_execz .LBB10_442
; %bb.441:                              ;   in Loop: Header=BB10_436 Depth=1
	s_bcnt1_i32_b64 s2, s[36:37]
	s_mul_i32 s2, s38, s2
	v_mov_b32_e32 v10, s2
	ds_add_rtn_u32 v10, v1, v10 offset:4108
.LBB10_442:                             ;   in Loop: Header=BB10_436 Depth=1
	s_or_b64 exec, exec, s[34:35]
	s_waitcnt lgkmcnt(0)
	v_readfirstlane_b32 s2, v10
	v_mov_b32_e32 v10, s2
	v_mad_u32_u24 v2, s38, v2, v10
.LBB10_443:                             ;   in Loop: Header=BB10_436 Depth=1
	s_or_b64 exec, exec, s[28:29]
	ds_bpermute_b32 v2, v12, v2
	s_cmp_eq_u64 vcc, 0
	s_cselect_b64 s[34:35], -1, 0
	s_mov_b64 s[28:29], -1
	s_mov_b64 s[36:37], -1
	s_waitcnt lgkmcnt(0)
	v_cmp_gt_u32_e64 s[2:3], s61, v2
	s_or_b64 s[2:3], s[34:35], s[2:3]
	v_cndmask_b32_e64 v3, v3, v9, s[2:3]
	s_and_b64 s[38:39], s[30:31], s[2:3]
	s_mov_b64 s[34:35], -1
	s_and_saveexec_b64 s[30:31], s[38:39]
	s_cbranch_execz .LBB10_449
; %bb.444:                              ;   in Loop: Header=BB10_436 Depth=1
	v_and_b32_e32 v10, vcc_lo, v6
	v_and_b32_e32 v3, vcc_hi, v7
	v_bcnt_u32_b32 v10, v10, 0
	v_bcnt_u32_b32 v3, v3, v10
	v_sub_u32_e32 v10, s61, v2
	v_cmp_le_u32_e64 s[34:35], v10, v3
	v_cmp_gt_u32_e32 vcc, v10, v3
	s_mov_b64 s[38:39], -1
	s_and_saveexec_b64 s[36:37], vcc
	s_cbranch_execz .LBB10_448
; %bb.445:                              ;   in Loop: Header=BB10_436 Depth=1
	v_add_u32_e32 v3, v2, v3
	v_cmp_gt_u32_e32 vcc, s61, v3
	s_mov_b64 s[40:41], s[34:35]
	s_and_saveexec_b64 s[38:39], vcc
	s_cbranch_execz .LBB10_447
; %bb.446:                              ;   in Loop: Header=BB10_436 Depth=1
	v_mul_lo_u32 v11, v3, s46
	v_mul_lo_u32 v10, v3, s47
	global_store_byte v11, v4, s[42:43]
	v_mov_b32_e32 v11, v1
	v_lshlrev_b64 v[10:11], 3, v[10:11]
	v_mov_b32_e32 v3, s45
	v_add_co_u32_e32 v10, vcc, s44, v10
	v_addc_co_u32_e32 v11, vcc, v3, v11, vcc
	s_or_b64 s[40:41], s[34:35], exec
	global_store_dwordx2 v[10:11], v[0:1], off
.LBB10_447:                             ;   in Loop: Header=BB10_436 Depth=1
	s_or_b64 exec, exec, s[38:39]
	s_andn2_b64 s[34:35], s[34:35], exec
	s_and_b64 s[40:41], s[40:41], exec
	s_xor_b64 s[38:39], exec, -1
	s_or_b64 s[34:35], s[34:35], s[40:41]
.LBB10_448:                             ;   in Loop: Header=BB10_436 Depth=1
	s_or_b64 exec, exec, s[36:37]
	s_orn2_b64 s[36:37], s[38:39], exec
	s_or_b64 s[2:3], s[2:3], exec
	s_orn2_b64 s[34:35], s[34:35], exec
	v_mov_b32_e32 v3, v9
.LBB10_449:                             ;   in Loop: Header=BB10_436 Depth=1
	s_or_b64 exec, exec, s[30:31]
	s_and_saveexec_b64 s[30:31], s[34:35]
	s_cbranch_execz .LBB10_434
; %bb.450:                              ;   in Loop: Header=BB10_436 Depth=1
	s_xor_b64 s[2:3], s[2:3], -1
	v_add_u32_e32 v5, s8, v5
	s_or_b64 s[36:37], s[36:37], exec
	s_orn2_b64 s[28:29], s[2:3], exec
	s_branch .LBB10_434
.LBB10_451:
	s_or_b64 exec, exec, s[20:21]
	s_mov_b64 s[0:1], 0
	s_and_saveexec_b64 s[2:3], s[6:7]
	s_xor_b64 s[2:3], exec, s[2:3]
	s_cbranch_execnz .LBB10_457
.LBB10_452:
	s_or_b64 exec, exec, s[2:3]
	s_and_b64 s[2:3], s[0:1], exec
	s_andn2_b64 s[4:5], s[4:5], exec
	s_or_b64 exec, exec, s[18:19]
	s_and_saveexec_b64 s[0:1], s[4:5]
	s_xor_b64 s[0:1], exec, s[0:1]
	s_cbranch_execz .LBB10_408
.LBB10_453:
	s_or_b64 s[2:3], s[2:3], exec
	s_trap 2
	s_branch .LBB10_408
.LBB10_454:
	s_or_b64 s[14:15], s[14:15], exec
	s_trap 2
	s_branch .LBB10_414
.LBB10_455:
	s_or_b64 s[18:19], s[18:19], exec
	s_trap 2
	s_branch .LBB10_412
.LBB10_456:
	s_trap 2
	s_or_b64 s[18:19], s[18:19], exec
	s_branch .LBB10_410
.LBB10_457:
	s_mov_b64 s[0:1], exec
	s_trap 2
	s_branch .LBB10_452
	.section	.rodata,"a",@progbits
	.p2align	6, 0x0
	.amdhsa_kernel _ZN2at6native6sbtopk10gatherTopKIhjLi3ELb0EEEvNS_4cuda6detail10TensorInfoIKT_T0_EES8_S8_bS8_S8_NS5_IS6_S8_EES8_NS5_IlS8_EES8_PS6_
		.amdhsa_group_segment_fixed_size 4112
		.amdhsa_private_segment_fixed_size 0
		.amdhsa_kernarg_size 952
		.amdhsa_user_sgpr_count 6
		.amdhsa_user_sgpr_private_segment_buffer 1
		.amdhsa_user_sgpr_dispatch_ptr 0
		.amdhsa_user_sgpr_queue_ptr 0
		.amdhsa_user_sgpr_kernarg_segment_ptr 1
		.amdhsa_user_sgpr_dispatch_id 0
		.amdhsa_user_sgpr_flat_scratch_init 0
		.amdhsa_user_sgpr_kernarg_preload_length 0
		.amdhsa_user_sgpr_kernarg_preload_offset 0
		.amdhsa_user_sgpr_private_segment_size 0
		.amdhsa_uses_dynamic_stack 0
		.amdhsa_system_sgpr_private_segment_wavefront_offset 0
		.amdhsa_system_sgpr_workgroup_id_x 1
		.amdhsa_system_sgpr_workgroup_id_y 1
		.amdhsa_system_sgpr_workgroup_id_z 1
		.amdhsa_system_sgpr_workgroup_info 0
		.amdhsa_system_vgpr_workitem_id 0
		.amdhsa_next_free_vgpr 48
		.amdhsa_next_free_sgpr 96
		.amdhsa_accum_offset 48
		.amdhsa_reserve_vcc 1
		.amdhsa_reserve_flat_scratch 0
		.amdhsa_float_round_mode_32 0
		.amdhsa_float_round_mode_16_64 0
		.amdhsa_float_denorm_mode_32 3
		.amdhsa_float_denorm_mode_16_64 3
		.amdhsa_dx10_clamp 1
		.amdhsa_ieee_mode 1
		.amdhsa_fp16_overflow 0
		.amdhsa_tg_split 0
		.amdhsa_exception_fp_ieee_invalid_op 0
		.amdhsa_exception_fp_denorm_src 0
		.amdhsa_exception_fp_ieee_div_zero 0
		.amdhsa_exception_fp_ieee_overflow 0
		.amdhsa_exception_fp_ieee_underflow 0
		.amdhsa_exception_fp_ieee_inexact 0
		.amdhsa_exception_int_div_zero 0
	.end_amdhsa_kernel
	.section	.text._ZN2at6native6sbtopk10gatherTopKIhjLi3ELb0EEEvNS_4cuda6detail10TensorInfoIKT_T0_EES8_S8_bS8_S8_NS5_IS6_S8_EES8_NS5_IlS8_EES8_PS6_,"axG",@progbits,_ZN2at6native6sbtopk10gatherTopKIhjLi3ELb0EEEvNS_4cuda6detail10TensorInfoIKT_T0_EES8_S8_bS8_S8_NS5_IS6_S8_EES8_NS5_IlS8_EES8_PS6_,comdat
.Lfunc_end10:
	.size	_ZN2at6native6sbtopk10gatherTopKIhjLi3ELb0EEEvNS_4cuda6detail10TensorInfoIKT_T0_EES8_S8_bS8_S8_NS5_IS6_S8_EES8_NS5_IlS8_EES8_PS6_, .Lfunc_end10-_ZN2at6native6sbtopk10gatherTopKIhjLi3ELb0EEEvNS_4cuda6detail10TensorInfoIKT_T0_EES8_S8_bS8_S8_NS5_IS6_S8_EES8_NS5_IlS8_EES8_PS6_
                                        ; -- End function
	.section	.AMDGPU.csdata,"",@progbits
; Kernel info:
; codeLenInByte = 15440
; NumSgprs: 100
; NumVgprs: 48
; NumAgprs: 0
; TotalNumVgprs: 48
; ScratchSize: 0
; MemoryBound: 0
; FloatMode: 240
; IeeeMode: 1
; LDSByteSize: 4112 bytes/workgroup (compile time only)
; SGPRBlocks: 12
; VGPRBlocks: 5
; NumSGPRsForWavesPerEU: 100
; NumVGPRsForWavesPerEU: 48
; AccumOffset: 48
; Occupancy: 8
; WaveLimiterHint : 1
; COMPUTE_PGM_RSRC2:SCRATCH_EN: 0
; COMPUTE_PGM_RSRC2:USER_SGPR: 6
; COMPUTE_PGM_RSRC2:TRAP_HANDLER: 0
; COMPUTE_PGM_RSRC2:TGID_X_EN: 1
; COMPUTE_PGM_RSRC2:TGID_Y_EN: 1
; COMPUTE_PGM_RSRC2:TGID_Z_EN: 1
; COMPUTE_PGM_RSRC2:TIDIG_COMP_CNT: 0
; COMPUTE_PGM_RSRC3_GFX90A:ACCUM_OFFSET: 11
; COMPUTE_PGM_RSRC3_GFX90A:TG_SPLIT: 0
	.section	.text._ZN2at6native6mbtopk23computeBlockDigitCountsIhjjLin1EEEvNS_4cuda6detail10TensorInfoIKT_T0_EEjPjjS8_iijT1_PSB_Ps,"axG",@progbits,_ZN2at6native6mbtopk23computeBlockDigitCountsIhjjLin1EEEvNS_4cuda6detail10TensorInfoIKT_T0_EEjPjjS8_iijT1_PSB_Ps,comdat
	.protected	_ZN2at6native6mbtopk23computeBlockDigitCountsIhjjLin1EEEvNS_4cuda6detail10TensorInfoIKT_T0_EEjPjjS8_iijT1_PSB_Ps ; -- Begin function _ZN2at6native6mbtopk23computeBlockDigitCountsIhjjLin1EEEvNS_4cuda6detail10TensorInfoIKT_T0_EEjPjjS8_iijT1_PSB_Ps
	.globl	_ZN2at6native6mbtopk23computeBlockDigitCountsIhjjLin1EEEvNS_4cuda6detail10TensorInfoIKT_T0_EEjPjjS8_iijT1_PSB_Ps
	.p2align	8
	.type	_ZN2at6native6mbtopk23computeBlockDigitCountsIhjjLin1EEEvNS_4cuda6detail10TensorInfoIKT_T0_EEjPjjS8_iijT1_PSB_Ps,@function
_ZN2at6native6mbtopk23computeBlockDigitCountsIhjjLin1EEEvNS_4cuda6detail10TensorInfoIKT_T0_EEjPjjS8_iijT1_PSB_Ps: ; @_ZN2at6native6mbtopk23computeBlockDigitCountsIhjjLin1EEEvNS_4cuda6detail10TensorInfoIKT_T0_EEjPjjS8_iijT1_PSB_Ps
; %bb.0:
	s_load_dwordx2 s[10:11], s[4:5], 0xf8
	s_load_dwordx4 s[12:15], s[4:5], 0xe8
	s_load_dwordx2 s[0:1], s[4:5], 0x110
	s_waitcnt lgkmcnt(0)
	v_cvt_f32_u32_e32 v1, s10
	s_sub_i32 s2, 0, s10
	s_mul_i32 s1, s1, s8
	s_add_i32 s1, s1, s7
	v_rcp_iflag_f32_e32 v1, v1
	s_mul_i32 s16, s1, s0
	s_add_i32 s16, s16, s6
	s_mov_b32 s7, 0
	v_mul_f32_e32 v1, 0x4f7ffffe, v1
	v_cvt_u32_f32_e32 v1, v1
	v_readfirstlane_b32 s0, v1
	s_mul_i32 s2, s2, s0
	s_mul_hi_u32 s1, s0, s2
	s_add_i32 s0, s0, s1
	s_mul_hi_u32 s0, s16, s0
	s_mul_i32 s1, s0, s10
	s_sub_i32 s1, s16, s1
	s_add_i32 s2, s0, 1
	s_sub_i32 s3, s1, s10
	s_cmp_ge_u32 s1, s10
	s_cselect_b32 s0, s2, s0
	s_cselect_b32 s1, s3, s1
	s_add_i32 s2, s0, 1
	s_cmp_ge_u32 s1, s10
	s_cselect_b32 s6, s2, s0
	s_cmp_ge_u32 s6, s12
	s_cbranch_scc1 .LBB11_32
; %bb.1:
	s_load_dwordx4 s[0:3], s[4:5], 0x100
	s_load_dword s8, s[4:5], 0xd0
	s_lshl_b64 s[18:19], s[6:7], 2
	s_waitcnt lgkmcnt(0)
	s_add_u32 s0, s0, s18
	s_addc_u32 s1, s1, s19
	s_cmp_lt_i32 s8, 2
	s_mov_b32 s18, s6
	s_cbranch_scc1 .LBB11_4
; %bb.2:
	s_add_i32 s18, s8, -1
	s_mov_b32 s19, 0
	s_add_i32 s12, s8, 1
	s_lshl_b64 s[8:9], s[18:19], 2
	s_add_u32 s7, s8, s4
	s_addc_u32 s9, s9, s5
	s_add_u32 s8, s7, 8
	s_addc_u32 s9, s9, 0
	s_mov_b32 s18, s6
	s_mov_b32 s7, s19
.LBB11_3:                               ; =>This Inner Loop Header: Depth=1
	s_load_dword s17, s[8:9], 0x0
	s_load_dword s20, s[8:9], 0x64
	s_mov_b32 s19, s18
	s_waitcnt lgkmcnt(0)
	v_cvt_f32_u32_e32 v1, s17
	s_sub_i32 s18, 0, s17
	v_rcp_iflag_f32_e32 v1, v1
	v_mul_f32_e32 v1, 0x4f7ffffe, v1
	v_cvt_u32_f32_e32 v1, v1
	v_readfirstlane_b32 s21, v1
	s_mul_i32 s18, s18, s21
	s_mul_hi_u32 s18, s21, s18
	s_add_i32 s21, s21, s18
	s_mul_hi_u32 s18, s19, s21
	s_mul_i32 s21, s18, s17
	s_sub_i32 s21, s19, s21
	s_add_i32 s22, s18, 1
	s_sub_i32 s23, s21, s17
	s_cmp_ge_u32 s21, s17
	s_cselect_b32 s18, s22, s18
	s_cselect_b32 s21, s23, s21
	s_add_i32 s22, s18, 1
	s_cmp_ge_u32 s21, s17
	s_cselect_b32 s18, s22, s18
	s_mul_i32 s17, s18, s17
	s_sub_i32 s17, s19, s17
	s_mul_i32 s17, s20, s17
	s_add_i32 s12, s12, -1
	s_add_i32 s7, s17, s7
	s_add_u32 s8, s8, -4
	s_addc_u32 s9, s9, -1
	s_cmp_gt_u32 s12, 2
	s_cbranch_scc1 .LBB11_3
.LBB11_4:
	s_load_dword s8, s[0:1], 0x0
	s_movk_i32 s0, 0x100
	v_cmp_gt_u32_e32 vcc, s0, v0
	v_lshlrev_b32_e32 v1, 2, v0
	s_and_saveexec_b64 s[0:1], vcc
	s_cbranch_execz .LBB11_6
; %bb.5:
	v_mov_b32_e32 v2, 0
	ds_write_b32 v1, v2
.LBB11_6:
	s_or_b64 exec, exec, s[0:1]
	s_load_dword s9, s[4:5], 0xd8
	s_mul_i32 s0, s6, s10
	s_sub_i32 s0, s16, s0
	s_add_i32 s1, s0, 1
	s_mul_i32 s0, s15, s0
	s_lshl_b32 s12, s0, 8
	s_waitcnt lgkmcnt(0)
	s_sub_i32 s0, s9, s12
	s_add_u32 s0, s0, 0xff
	s_addc_u32 s6, 0, 0
	v_mov_b32_e32 v2, s0
	v_alignbit_b32 v2, s6, v2, 8
	s_cmp_lt_u32 s1, s10
	v_readfirstlane_b32 s0, v2
	s_cselect_b32 s17, s15, s0
	s_cmp_lt_i32 s17, 1
	s_mov_b32 s15, 0
	s_barrier
	s_cbranch_scc1 .LBB11_28
; %bb.7:
	s_load_dword s6, s[4:5], 0x6c
	s_load_dwordx2 s[0:1], s[4:5], 0x0
	s_waitcnt lgkmcnt(0)
	s_mul_i32 s4, s6, s18
	s_add_i32 s4, s4, s7
	s_add_u32 s4, s0, s4
	s_addc_u32 s5, s1, 0
	s_and_b32 s10, s14, 0xff
	s_cmp_lt_u32 s17, 4
	s_cbranch_scc1 .LBB11_22
; %bb.8:
	v_add_u32_e32 v6, s12, v0
	v_add_u32_e32 v2, 0x300, v6
	;; [unrolled: 1-line block ×4, first 2 shown]
	s_and_b32 s15, s17, 0x7ffffffc
	v_mul_lo_u32 v3, s13, v2
	s_lshl_b32 s14, s13, 10
	v_mul_lo_u32 v4, s13, v4
	v_mul_lo_u32 v5, s13, v5
	;; [unrolled: 1-line block ×3, first 2 shown]
	s_mov_b32 s18, 0
	v_mov_b32_e32 v7, 1
	s_mov_b32 s19, 0
	s_branch .LBB11_10
.LBB11_9:                               ;   in Loop: Header=BB11_10 Depth=1
	s_or_b64 exec, exec, s[6:7]
	s_add_i32 s19, s19, 4
	s_add_i32 s18, s18, s14
	s_cmp_eq_u32 s15, s19
	v_add_u32_e32 v2, 0x400, v2
	s_cbranch_scc1 .LBB11_22
.LBB11_10:                              ; =>This Inner Loop Header: Depth=1
	v_add_u32_e32 v8, 0xfffffd00, v2
	v_cmp_gt_u32_e64 s[0:1], s9, v8
	s_and_saveexec_b64 s[6:7], s[0:1]
	s_cbranch_execz .LBB11_13
; %bb.11:                               ;   in Loop: Header=BB11_10 Depth=1
	v_add_u32_e32 v8, s18, v6
	global_load_ubyte v8, v8, s[4:5]
	s_waitcnt vmcnt(0)
	v_xor_b32_e32 v9, s8, v8
	v_and_b32_e32 v9, s11, v9
	v_cmp_eq_u32_e64 s[0:1], 0, v9
	s_and_b64 exec, exec, s[0:1]
	s_cbranch_execz .LBB11_13
; %bb.12:                               ;   in Loop: Header=BB11_10 Depth=1
	v_lshrrev_b32_e32 v8, s10, v8
	v_lshlrev_b32_e32 v8, 2, v8
	ds_add_u32 v8, v7
.LBB11_13:                              ;   in Loop: Header=BB11_10 Depth=1
	s_or_b64 exec, exec, s[6:7]
	v_add_u32_e32 v8, 0xfffffe00, v2
	v_cmp_gt_u32_e64 s[0:1], s9, v8
	s_and_saveexec_b64 s[6:7], s[0:1]
	s_cbranch_execz .LBB11_16
; %bb.14:                               ;   in Loop: Header=BB11_10 Depth=1
	v_add_u32_e32 v8, s18, v5
	global_load_ubyte v8, v8, s[4:5]
	s_waitcnt vmcnt(0)
	v_xor_b32_e32 v9, s8, v8
	v_and_b32_e32 v9, s11, v9
	v_cmp_eq_u32_e64 s[0:1], 0, v9
	s_and_b64 exec, exec, s[0:1]
	s_cbranch_execz .LBB11_16
; %bb.15:                               ;   in Loop: Header=BB11_10 Depth=1
	v_lshrrev_b32_e32 v8, s10, v8
	v_lshlrev_b32_e32 v8, 2, v8
	ds_add_u32 v8, v7
.LBB11_16:                              ;   in Loop: Header=BB11_10 Depth=1
	s_or_b64 exec, exec, s[6:7]
	;; [unrolled: 19-line block ×3, first 2 shown]
	v_cmp_gt_u32_e64 s[0:1], s9, v2
	s_and_saveexec_b64 s[6:7], s[0:1]
	s_cbranch_execz .LBB11_9
; %bb.20:                               ;   in Loop: Header=BB11_10 Depth=1
	v_add_u32_e32 v8, s18, v3
	global_load_ubyte v8, v8, s[4:5]
	s_waitcnt vmcnt(0)
	v_xor_b32_e32 v9, s8, v8
	v_and_b32_e32 v9, s11, v9
	v_cmp_eq_u32_e64 s[0:1], 0, v9
	s_and_b64 exec, exec, s[0:1]
	s_cbranch_execz .LBB11_9
; %bb.21:                               ;   in Loop: Header=BB11_10 Depth=1
	v_lshrrev_b32_e32 v8, s10, v8
	v_lshlrev_b32_e32 v8, 2, v8
	ds_add_u32 v8, v7
	s_branch .LBB11_9
.LBB11_22:
	s_and_b32 s14, s17, 3
	s_cmp_eq_u32 s14, 0
	s_cbranch_scc1 .LBB11_28
; %bb.23:
	s_lshl_b32 s0, s15, 8
	s_add_i32 s0, s0, s12
	v_add_u32_e32 v2, s0, v0
	v_mul_lo_u32 v3, s13, v2
	s_lshl_b32 s12, s13, 8
	v_mov_b32_e32 v4, 1
	s_branch .LBB11_25
.LBB11_24:                              ;   in Loop: Header=BB11_25 Depth=1
	s_or_b64 exec, exec, s[6:7]
	s_add_i32 s14, s14, -1
	v_add_u32_e32 v3, s12, v3
	s_cmp_lg_u32 s14, 0
	v_add_u32_e32 v2, 0x100, v2
	s_cbranch_scc0 .LBB11_28
.LBB11_25:                              ; =>This Inner Loop Header: Depth=1
	v_cmp_gt_u32_e64 s[0:1], s9, v2
	s_and_saveexec_b64 s[6:7], s[0:1]
	s_cbranch_execz .LBB11_24
; %bb.26:                               ;   in Loop: Header=BB11_25 Depth=1
	global_load_ubyte v5, v3, s[4:5]
	s_waitcnt vmcnt(0)
	v_xor_b32_e32 v6, s8, v5
	v_and_b32_e32 v6, s11, v6
	v_cmp_eq_u32_e64 s[0:1], 0, v6
	s_and_b64 exec, exec, s[0:1]
	s_cbranch_execz .LBB11_24
; %bb.27:                               ;   in Loop: Header=BB11_25 Depth=1
	v_lshrrev_b32_e32 v5, s10, v5
	v_lshlrev_b32_e32 v5, 2, v5
	ds_add_u32 v5, v4
	s_branch .LBB11_24
.LBB11_28:
	v_mov_b32_e32 v2, 0
	s_waitcnt lgkmcnt(0)
	s_barrier
	s_and_saveexec_b64 s[0:1], vcc
	s_cbranch_execz .LBB11_30
; %bb.29:
	ds_read_b32 v2, v1
.LBB11_30:
	s_or_b64 exec, exec, s[0:1]
	s_and_saveexec_b64 s[0:1], vcc
	s_cbranch_execz .LBB11_32
; %bb.31:
	v_lshl_or_b32 v0, s16, 8, v0
	v_mov_b32_e32 v1, 0
	v_lshlrev_b64 v[0:1], 1, v[0:1]
	v_mov_b32_e32 v3, s3
	v_add_co_u32_e32 v0, vcc, s2, v0
	v_addc_co_u32_e32 v1, vcc, v3, v1, vcc
	s_waitcnt lgkmcnt(0)
	global_store_short v[0:1], v2, off
.LBB11_32:
	s_endpgm
	.section	.rodata,"a",@progbits
	.p2align	6, 0x0
	.amdhsa_kernel _ZN2at6native6mbtopk23computeBlockDigitCountsIhjjLin1EEEvNS_4cuda6detail10TensorInfoIKT_T0_EEjPjjS8_iijT1_PSB_Ps
		.amdhsa_group_segment_fixed_size 1024
		.amdhsa_private_segment_fixed_size 0
		.amdhsa_kernarg_size 528
		.amdhsa_user_sgpr_count 6
		.amdhsa_user_sgpr_private_segment_buffer 1
		.amdhsa_user_sgpr_dispatch_ptr 0
		.amdhsa_user_sgpr_queue_ptr 0
		.amdhsa_user_sgpr_kernarg_segment_ptr 1
		.amdhsa_user_sgpr_dispatch_id 0
		.amdhsa_user_sgpr_flat_scratch_init 0
		.amdhsa_user_sgpr_kernarg_preload_length 0
		.amdhsa_user_sgpr_kernarg_preload_offset 0
		.amdhsa_user_sgpr_private_segment_size 0
		.amdhsa_uses_dynamic_stack 0
		.amdhsa_system_sgpr_private_segment_wavefront_offset 0
		.amdhsa_system_sgpr_workgroup_id_x 1
		.amdhsa_system_sgpr_workgroup_id_y 1
		.amdhsa_system_sgpr_workgroup_id_z 1
		.amdhsa_system_sgpr_workgroup_info 0
		.amdhsa_system_vgpr_workitem_id 0
		.amdhsa_next_free_vgpr 10
		.amdhsa_next_free_sgpr 24
		.amdhsa_accum_offset 12
		.amdhsa_reserve_vcc 1
		.amdhsa_reserve_flat_scratch 0
		.amdhsa_float_round_mode_32 0
		.amdhsa_float_round_mode_16_64 0
		.amdhsa_float_denorm_mode_32 3
		.amdhsa_float_denorm_mode_16_64 3
		.amdhsa_dx10_clamp 1
		.amdhsa_ieee_mode 1
		.amdhsa_fp16_overflow 0
		.amdhsa_tg_split 0
		.amdhsa_exception_fp_ieee_invalid_op 0
		.amdhsa_exception_fp_denorm_src 0
		.amdhsa_exception_fp_ieee_div_zero 0
		.amdhsa_exception_fp_ieee_overflow 0
		.amdhsa_exception_fp_ieee_underflow 0
		.amdhsa_exception_fp_ieee_inexact 0
		.amdhsa_exception_int_div_zero 0
	.end_amdhsa_kernel
	.section	.text._ZN2at6native6mbtopk23computeBlockDigitCountsIhjjLin1EEEvNS_4cuda6detail10TensorInfoIKT_T0_EEjPjjS8_iijT1_PSB_Ps,"axG",@progbits,_ZN2at6native6mbtopk23computeBlockDigitCountsIhjjLin1EEEvNS_4cuda6detail10TensorInfoIKT_T0_EEjPjjS8_iijT1_PSB_Ps,comdat
.Lfunc_end11:
	.size	_ZN2at6native6mbtopk23computeBlockDigitCountsIhjjLin1EEEvNS_4cuda6detail10TensorInfoIKT_T0_EEjPjjS8_iijT1_PSB_Ps, .Lfunc_end11-_ZN2at6native6mbtopk23computeBlockDigitCountsIhjjLin1EEEvNS_4cuda6detail10TensorInfoIKT_T0_EEjPjjS8_iijT1_PSB_Ps
                                        ; -- End function
	.section	.AMDGPU.csdata,"",@progbits
; Kernel info:
; codeLenInByte = 1228
; NumSgprs: 28
; NumVgprs: 10
; NumAgprs: 0
; TotalNumVgprs: 10
; ScratchSize: 0
; MemoryBound: 0
; FloatMode: 240
; IeeeMode: 1
; LDSByteSize: 1024 bytes/workgroup (compile time only)
; SGPRBlocks: 3
; VGPRBlocks: 1
; NumSGPRsForWavesPerEU: 28
; NumVGPRsForWavesPerEU: 10
; AccumOffset: 12
; Occupancy: 8
; WaveLimiterHint : 1
; COMPUTE_PGM_RSRC2:SCRATCH_EN: 0
; COMPUTE_PGM_RSRC2:USER_SGPR: 6
; COMPUTE_PGM_RSRC2:TRAP_HANDLER: 0
; COMPUTE_PGM_RSRC2:TGID_X_EN: 1
; COMPUTE_PGM_RSRC2:TGID_Y_EN: 1
; COMPUTE_PGM_RSRC2:TGID_Z_EN: 1
; COMPUTE_PGM_RSRC2:TIDIG_COMP_CNT: 0
; COMPUTE_PGM_RSRC3_GFX90A:ACCUM_OFFSET: 2
; COMPUTE_PGM_RSRC3_GFX90A:TG_SPLIT: 0
	.section	.text._ZN2at6native6mbtopk10gatherTopKIhjLin1EEEvNS_4cuda6detail10TensorInfoIKT_T0_EES8_S8_bjS8_NS5_IS6_S8_EES8_NS5_IlS8_EES8_jjPS6_PjSD_j,"axG",@progbits,_ZN2at6native6mbtopk10gatherTopKIhjLin1EEEvNS_4cuda6detail10TensorInfoIKT_T0_EES8_S8_bjS8_NS5_IS6_S8_EES8_NS5_IlS8_EES8_jjPS6_PjSD_j,comdat
	.protected	_ZN2at6native6mbtopk10gatherTopKIhjLin1EEEvNS_4cuda6detail10TensorInfoIKT_T0_EES8_S8_bjS8_NS5_IS6_S8_EES8_NS5_IlS8_EES8_jjPS6_PjSD_j ; -- Begin function _ZN2at6native6mbtopk10gatherTopKIhjLin1EEEvNS_4cuda6detail10TensorInfoIKT_T0_EES8_S8_bjS8_NS5_IS6_S8_EES8_NS5_IlS8_EES8_jjPS6_PjSD_j
	.globl	_ZN2at6native6mbtopk10gatherTopKIhjLin1EEEvNS_4cuda6detail10TensorInfoIKT_T0_EES8_S8_bjS8_NS5_IS6_S8_EES8_NS5_IlS8_EES8_jjPS6_PjSD_j
	.p2align	8
	.type	_ZN2at6native6mbtopk10gatherTopKIhjLin1EEEvNS_4cuda6detail10TensorInfoIKT_T0_EES8_S8_bjS8_NS5_IS6_S8_EES8_NS5_IlS8_EES8_jjPS6_PjSD_j,@function
_ZN2at6native6mbtopk10gatherTopKIhjLin1EEEvNS_4cuda6detail10TensorInfoIKT_T0_EES8_S8_bjS8_NS5_IS6_S8_EES8_NS5_IlS8_EES8_jjPS6_PjSD_j: ; @_ZN2at6native6mbtopk10gatherTopKIhjLin1EEEvNS_4cuda6detail10TensorInfoIKT_T0_EES8_S8_bjS8_NS5_IS6_S8_EES8_NS5_IlS8_EES8_jjPS6_PjSD_j
; %bb.0:
	s_load_dwordx2 s[0:1], s[4:5], 0x2d8
	s_load_dword s2, s[4:5], 0x2d0
	s_waitcnt lgkmcnt(0)
	s_mul_i32 s1, s1, s8
	s_add_i32 s1, s1, s7
	s_mul_i32 s16, s1, s0
	s_add_i32 s16, s16, s6
	s_cmp_ge_u32 s16, s2
	s_cbranch_scc1 .LBB12_49
; %bb.1:
	s_load_dwordx4 s[8:11], s[4:5], 0x2a8
	s_load_dword s0, s[4:5], 0xd0
	s_mov_b32 s7, 0
	s_waitcnt lgkmcnt(0)
	v_cvt_f32_u32_e32 v1, s10
	s_sub_i32 s1, 0, s10
	v_rcp_iflag_f32_e32 v1, v1
	v_mul_f32_e32 v1, 0x4f7ffffe, v1
	v_cvt_u32_f32_e32 v1, v1
	v_readfirstlane_b32 s2, v1
	s_mul_i32 s1, s1, s2
	s_mul_hi_u32 s1, s2, s1
	s_add_i32 s2, s2, s1
	s_mul_hi_u32 s1, s16, s2
	s_mul_i32 s2, s1, s10
	s_sub_i32 s2, s16, s2
	s_add_i32 s3, s1, 1
	s_sub_i32 s6, s2, s10
	s_cmp_ge_u32 s2, s10
	s_cselect_b32 s1, s3, s1
	s_cselect_b32 s2, s6, s2
	s_add_i32 s3, s1, 1
	s_cmp_ge_u32 s2, s10
	s_cselect_b32 s17, s3, s1
	s_cmp_lt_i32 s0, 2
	s_mov_b32 s6, s17
	s_cbranch_scc1 .LBB12_4
; %bb.2:
	s_add_i32 s6, s0, -1
	s_add_i32 s2, s0, 1
	s_lshl_b64 s[0:1], s[6:7], 2
	s_add_u32 s0, s0, s4
	s_addc_u32 s1, s1, s5
	s_add_u32 s0, s0, 8
	s_addc_u32 s1, s1, 0
	s_mov_b32 s6, s17
.LBB12_3:                               ; =>This Inner Loop Header: Depth=1
	s_load_dword s3, s[0:1], 0x0
	s_load_dword s12, s[0:1], 0x64
	s_mov_b32 s11, s6
	s_waitcnt lgkmcnt(0)
	v_cvt_f32_u32_e32 v1, s3
	s_sub_i32 s6, 0, s3
	v_rcp_iflag_f32_e32 v1, v1
	v_mul_f32_e32 v1, 0x4f7ffffe, v1
	v_cvt_u32_f32_e32 v1, v1
	v_readfirstlane_b32 s13, v1
	s_mul_i32 s6, s6, s13
	s_mul_hi_u32 s6, s13, s6
	s_add_i32 s13, s13, s6
	s_mul_hi_u32 s6, s11, s13
	s_mul_i32 s13, s6, s3
	s_sub_i32 s13, s11, s13
	s_add_i32 s14, s6, 1
	s_sub_i32 s15, s13, s3
	s_cmp_ge_u32 s13, s3
	s_cselect_b32 s6, s14, s6
	s_cselect_b32 s13, s15, s13
	s_add_i32 s14, s6, 1
	s_cmp_ge_u32 s13, s3
	s_cselect_b32 s6, s14, s6
	s_mul_i32 s3, s6, s3
	s_sub_i32 s3, s11, s3
	s_mul_i32 s3, s12, s3
	s_add_i32 s2, s2, -1
	s_add_i32 s7, s3, s7
	s_add_u32 s0, s0, -4
	s_addc_u32 s1, s1, -1
	s_cmp_gt_u32 s2, 2
	s_cbranch_scc1 .LBB12_3
.LBB12_4:
	s_load_dword s2, s[4:5], 0x1c0
	s_add_u32 s0, s4, 0xf0
	s_addc_u32 s1, s5, 0
	s_mov_b32 s21, 0
	s_mov_b32 s11, s17
	s_waitcnt lgkmcnt(0)
	s_cmp_lt_i32 s2, 2
	s_cbranch_scc1 .LBB12_7
; %bb.5:
	s_add_i32 s20, s2, -1
	s_add_i32 s12, s2, 1
	s_lshl_b64 s[2:3], s[20:21], 2
	s_add_u32 s2, s2, s0
	s_addc_u32 s3, s3, s1
	s_add_u32 s2, s2, 8
	s_addc_u32 s3, s3, 0
	s_mov_b32 s11, s17
.LBB12_6:                               ; =>This Inner Loop Header: Depth=1
	s_load_dword s13, s[2:3], 0x0
	s_load_dword s15, s[2:3], 0x64
	s_mov_b32 s14, s11
	s_waitcnt lgkmcnt(0)
	v_cvt_f32_u32_e32 v1, s13
	s_sub_i32 s11, 0, s13
	v_rcp_iflag_f32_e32 v1, v1
	v_mul_f32_e32 v1, 0x4f7ffffe, v1
	v_cvt_u32_f32_e32 v1, v1
	v_readfirstlane_b32 s18, v1
	s_mul_i32 s11, s11, s18
	s_mul_hi_u32 s11, s18, s11
	s_add_i32 s18, s18, s11
	s_mul_hi_u32 s11, s14, s18
	s_mul_i32 s18, s11, s13
	s_sub_i32 s18, s14, s18
	s_add_i32 s19, s11, 1
	s_sub_i32 s20, s18, s13
	s_cmp_ge_u32 s18, s13
	s_cselect_b32 s11, s19, s11
	s_cselect_b32 s18, s20, s18
	s_add_i32 s19, s11, 1
	s_cmp_ge_u32 s18, s13
	s_cselect_b32 s11, s19, s11
	s_mul_i32 s13, s11, s13
	s_sub_i32 s13, s14, s13
	s_mul_i32 s13, s15, s13
	s_add_i32 s12, s12, -1
	s_add_i32 s21, s13, s21
	s_add_u32 s2, s2, -4
	s_addc_u32 s3, s3, -1
	s_cmp_gt_u32 s12, 2
	s_cbranch_scc1 .LBB12_6
.LBB12_7:
	s_load_dword s20, s[4:5], 0x6c
	s_load_dword s13, s[4:5], 0x2a0
	s_add_u32 s2, s4, 0x1d0
	s_addc_u32 s3, s5, 0
	s_mov_b32 s23, 0
	s_mov_b32 s22, s17
	s_waitcnt lgkmcnt(0)
	s_cmp_lt_i32 s13, 2
	s_cbranch_scc1 .LBB12_10
; %bb.8:
	s_add_i32 s22, s13, -1
	s_add_i32 s12, s13, 1
	s_lshl_b64 s[14:15], s[22:23], 2
	s_add_u32 s2, s14, s2
	s_addc_u32 s3, s15, s3
	s_add_u32 s2, s2, 8
	s_addc_u32 s3, s3, 0
	s_mov_b32 s22, s17
.LBB12_9:                               ; =>This Inner Loop Header: Depth=1
	s_load_dword s13, s[2:3], 0x0
	s_load_dword s15, s[2:3], 0x64
	s_mov_b32 s14, s22
	s_waitcnt lgkmcnt(0)
	v_cvt_f32_u32_e32 v1, s13
	s_sub_i32 s18, 0, s13
	v_rcp_iflag_f32_e32 v1, v1
	v_mul_f32_e32 v1, 0x4f7ffffe, v1
	v_cvt_u32_f32_e32 v1, v1
	v_readfirstlane_b32 s19, v1
	s_mul_i32 s18, s18, s19
	s_mul_hi_u32 s18, s19, s18
	s_add_i32 s19, s19, s18
	s_mul_hi_u32 s18, s22, s19
	s_mul_i32 s19, s18, s13
	s_sub_i32 s19, s14, s19
	s_add_i32 s22, s18, 1
	s_sub_i32 s24, s19, s13
	s_cmp_ge_u32 s19, s13
	s_cselect_b32 s18, s22, s18
	s_cselect_b32 s19, s24, s19
	s_add_i32 s22, s18, 1
	s_cmp_ge_u32 s19, s13
	s_cselect_b32 s22, s22, s18
	s_mul_i32 s13, s22, s13
	s_sub_i32 s13, s14, s13
	s_mul_i32 s13, s15, s13
	s_add_i32 s12, s12, -1
	s_add_i32 s23, s13, s23
	s_add_u32 s2, s2, -4
	s_addc_u32 s3, s3, -1
	s_cmp_gt_u32 s12, 2
	s_cbranch_scc1 .LBB12_9
.LBB12_10:
	s_load_dword s33, s[0:1], 0x6c
	s_load_dwordx4 s[12:15], s[4:5], 0x2b8
	v_mov_b32_e32 v1, s17
	s_mul_i32 s30, s17, s10
	s_sub_i32 s40, s16, s30
	s_mov_b32 s31, 0
	s_waitcnt lgkmcnt(0)
	global_load_ubyte v5, v1, s[12:13]
	s_load_dwordx2 s[28:29], s[4:5], 0x0
	s_load_dwordx2 s[26:27], s[4:5], 0xf0
	;; [unrolled: 1-line block ×3, first 2 shown]
	v_cmp_ne_u32_e64 s[0:1], 0, v0
	v_cmp_eq_u32_e64 s[2:3], 0, v0
	s_and_saveexec_b64 s[12:13], s[2:3]
	s_cbranch_execz .LBB12_26
; %bb.11:
	s_load_dwordx2 s[34:35], s[4:5], 0x2c8
	s_lshl_b64 s[36:37], s[30:31], 2
	s_add_u32 s16, s14, s36
	s_addc_u32 s17, s15, s37
	s_mov_b32 s30, 0
	s_waitcnt lgkmcnt(0)
	s_add_u32 s18, s34, s36
	s_addc_u32 s19, s35, s37
	s_mov_b32 s41, 0
	s_cmp_lt_u32 s10, 4
	s_cbranch_scc1 .LBB12_23
; %bb.12:
	s_mov_b32 s42, 0
.LBB12_13:                              ; =>This Inner Loop Header: Depth=1
	s_add_u32 s16, s14, s36
	s_addc_u32 s17, s15, s37
	s_load_dwordx4 s[16:19], s[16:17], 0x0
	s_add_u32 s38, s34, s36
	s_addc_u32 s39, s35, s37
	s_cmp_ge_u32 s42, s40
	s_cbranch_scc0 .LBB12_20
; %bb.14:                               ;   in Loop: Header=BB12_13 Depth=1
	s_add_i32 s43, s42, 1
	s_cmp_ge_u32 s43, s40
	s_cbranch_scc0 .LBB12_21
.LBB12_15:                              ;   in Loop: Header=BB12_13 Depth=1
	s_add_i32 s43, s43, 1
	s_cmp_ge_u32 s43, s40
	s_cbranch_scc0 .LBB12_22
.LBB12_16:                              ;   in Loop: Header=BB12_13 Depth=1
	s_add_i32 s43, s43, 1
	s_cmp_ge_u32 s43, s40
	s_cbranch_scc1 .LBB12_18
.LBB12_17:                              ;   in Loop: Header=BB12_13 Depth=1
	s_load_dword s38, s[38:39], 0xc
	s_waitcnt lgkmcnt(0)
	s_add_i32 s31, s31, s19
	s_add_i32 s30, s38, s30
.LBB12_18:                              ;   in Loop: Header=BB12_13 Depth=1
	s_waitcnt lgkmcnt(0)
	s_add_i32 s16, s16, s41
	s_add_i32 s16, s16, s17
	;; [unrolled: 1-line block ×4, first 2 shown]
	s_add_u32 s14, s14, 16
	s_addc_u32 s15, s15, 0
	s_add_u32 s34, s34, 16
	s_addc_u32 s35, s35, 0
	s_add_i32 s39, s43, 4
	s_add_u32 s18, s34, s36
	s_addc_u32 s19, s35, s37
	s_add_u32 s16, s14, s36
	s_addc_u32 s17, s15, s37
	s_add_i32 s38, s43, 1
	s_cmp_ge_u32 s39, s10
	s_cbranch_scc1 .LBB12_24
; %bb.19:                               ;   in Loop: Header=BB12_13 Depth=1
	s_mov_b32 s42, s38
	s_branch .LBB12_13
.LBB12_20:                              ;   in Loop: Header=BB12_13 Depth=1
	s_load_dword s43, s[38:39], 0x0
	s_waitcnt lgkmcnt(0)
	s_add_i32 s31, s16, s31
	s_add_i32 s30, s43, s30
	;; [unrolled: 1-line block ×3, first 2 shown]
	s_cmp_ge_u32 s43, s40
	s_cbranch_scc1 .LBB12_15
.LBB12_21:                              ;   in Loop: Header=BB12_13 Depth=1
	s_load_dword s44, s[38:39], 0x4
	s_waitcnt lgkmcnt(0)
	s_add_i32 s31, s31, s17
	s_add_i32 s30, s44, s30
	;; [unrolled: 1-line block ×3, first 2 shown]
	s_cmp_ge_u32 s43, s40
	s_cbranch_scc1 .LBB12_16
.LBB12_22:                              ;   in Loop: Header=BB12_13 Depth=1
	s_load_dword s44, s[38:39], 0x8
	s_waitcnt lgkmcnt(0)
	s_add_i32 s31, s31, s18
	s_add_i32 s30, s44, s30
	;; [unrolled: 1-line block ×3, first 2 shown]
	s_cmp_ge_u32 s43, s40
	s_cbranch_scc0 .LBB12_17
	s_branch .LBB12_18
.LBB12_23:
	s_mov_b32 s14, 0
	s_cmp_ge_u32 s14, s10
	s_cbranch_scc0 .LBB12_47
	s_branch .LBB12_25
.LBB12_24:
	s_add_i32 s14, s42, 4
	s_cmp_ge_u32 s14, s10
	s_cbranch_scc0 .LBB12_47
.LBB12_25:
	v_mov_b32_e32 v2, s30
	v_mov_b32_e32 v3, s41
	;; [unrolled: 1-line block ×4, first 2 shown]
	ds_write_b96 v1, v[2:4] offset:1056
.LBB12_26:
	s_or_b64 exec, exec, s[12:13]
	s_load_dword s16, s[4:5], 0x23c
	s_load_dwordx4 s[12:15], s[4:5], 0xd8
	s_waitcnt lgkmcnt(0)
	s_mul_i32 s15, s9, s40
	s_lshl_b32 s15, s15, 8
	s_add_i32 s17, s40, 1
	s_mov_b32 s19, 0
	s_sub_i32 s18, s12, s15
	s_add_u32 s18, s18, 0xff
	s_addc_u32 s30, 0, 0
	v_mov_b32_e32 v1, s18
	v_alignbit_b32 v1, s30, v1, 8
	s_cmp_lt_u32 s17, s10
	v_readfirstlane_b32 s10, v1
	s_cselect_b32 s9, s9, s10
	s_cmp_eq_u32 s9, 0
	s_barrier
	s_cbranch_scc1 .LBB12_49
; %bb.27:
	s_mul_i32 s6, s20, s6
	s_mul_i32 s10, s33, s11
	s_add_i32 s6, s6, s7
	s_mul_i32 s7, s16, s22
	s_add_i32 s17, s10, s21
	s_add_i32 s18, s7, s23
	s_add_u32 s10, s28, s6
	s_addc_u32 s11, s29, 0
	s_add_u32 s16, s26, s17
	v_mov_b32_e32 v1, 0
	s_addc_u32 s17, s27, 0
	s_lshl_b64 s[6:7], s[18:19], 3
	ds_read_b96 v[2:4], v1 offset:1056
	s_add_u32 s18, s24, s6
	s_addc_u32 s19, s25, s7
	s_bitcmp1_b32 s14, 0
	s_load_dword s14, s[4:5], 0xe8
	s_load_dword s20, s[4:5], 0x1c8
	v_lshlrev_b32_e32 v6, 2, v0
	v_lshrrev_b32_e32 v7, 3, v0
	s_waitcnt lgkmcnt(0)
	v_add_u32_e32 v2, v2, v3
	v_lshrrev_b32_e32 v3, 5, v0
	v_add_lshl_u32 v6, v7, v6, 2
	v_add_u32_e32 v7, -1, v0
	v_mbcnt_lo_u32_b32 v9, -1, 0
	v_add_lshl_u32 v3, v3, v0, 2
	v_cmp_gt_u32_e64 s[4:5], 64, v0
	v_lshrrev_b32_e32 v8, 5, v7
	v_add_u32_e32 v0, s15, v0
	v_mbcnt_hi_u32_b32 v9, -1, v9
	s_cselect_b64 s[6:7], -1, 0
	v_add_lshl_u32 v7, v8, v7, 2
	v_mul_lo_u32 v8, s14, v0
	s_lshl_b32 s21, s14, 8
	v_and_b32_e32 v10, 15, v9
	v_bfe_i32 v11, v9, 4, 1
	v_add_u32_e32 v12, -1, v9
	v_and_b32_e32 v13, 64, v9
                                        ; implicit-def: $vgpr14
	s_branch .LBB12_30
.LBB12_28:                              ;   in Loop: Header=BB12_30 Depth=1
	s_or_b64 exec, exec, s[14:15]
	v_add_u32_e32 v2, v17, v2
.LBB12_29:                              ;   in Loop: Header=BB12_30 Depth=1
	s_add_i32 s9, s9, -1
	v_add_u32_e32 v4, v16, v4
	v_add_u32_e32 v8, s21, v8
	s_cmp_lg_u32 s9, 0
	v_add_u32_e32 v0, 0x100, v0
	s_cbranch_scc0 .LBB12_49
.LBB12_30:                              ; =>This Inner Loop Header: Depth=1
	v_cmp_gt_u32_e32 vcc, s12, v0
	v_mov_b32_e32 v17, 0
	v_mov_b32_e32 v15, 0
	s_and_saveexec_b64 s[14:15], vcc
	s_cbranch_execz .LBB12_32
; %bb.31:                               ;   in Loop: Header=BB12_30 Depth=1
	global_load_ubyte v14, v8, s[10:11]
	s_waitcnt vmcnt(0)
	v_cmp_gt_u16_sdwa s[22:23], v14, v5 src0_sel:DWORD src1_sel:BYTE_0
	v_cndmask_b32_e64 v15, 0, 1, s[22:23]
	v_cmp_lt_u16_sdwa s[22:23], v14, v5 src0_sel:DWORD src1_sel:BYTE_0
	v_cndmask_b32_e64 v16, 0, 1, s[22:23]
	v_cndmask_b32_e64 v15, v16, v15, s[6:7]
	v_cmp_eq_u16_sdwa s[22:23], v14, v5 src0_sel:DWORD src1_sel:BYTE_0
	v_and_b32_e32 v17, 1, v15
	v_cndmask_b32_e64 v15, 0, 1, s[22:23]
.LBB12_32:                              ;   in Loop: Header=BB12_30 Depth=1
	s_or_b64 exec, exec, s[14:15]
	ds_write_b32 v3, v17
	s_waitcnt lgkmcnt(0)
	s_barrier
	s_and_saveexec_b64 s[14:15], s[4:5]
	s_cbranch_execz .LBB12_34
; %bb.33:                               ;   in Loop: Header=BB12_30 Depth=1
	ds_read2_b32 v[18:19], v6 offset1:1
	ds_read2_b32 v[20:21], v6 offset0:2 offset1:3
	v_cmp_ne_u32_e32 vcc, 0, v10
	; wave barrier
	s_waitcnt lgkmcnt(1)
	v_add_u32_e32 v16, v19, v18
	s_waitcnt lgkmcnt(0)
	v_add3_u32 v16, v16, v20, v21
	s_nop 1
	v_mov_b32_dpp v19, v16 row_shr:1 row_mask:0xf bank_mask:0xf
	v_cndmask_b32_e32 v19, 0, v19, vcc
	v_add_u32_e32 v16, v19, v16
	v_cmp_lt_u32_e32 vcc, 1, v10
	s_nop 0
	v_mov_b32_dpp v19, v16 row_shr:2 row_mask:0xf bank_mask:0xf
	v_cndmask_b32_e32 v19, 0, v19, vcc
	v_add_u32_e32 v16, v16, v19
	v_cmp_lt_u32_e32 vcc, 3, v10
	;; [unrolled: 5-line block ×4, first 2 shown]
	s_nop 0
	v_mov_b32_dpp v19, v16 row_bcast:15 row_mask:0xf bank_mask:0xf
	v_and_b32_e32 v19, v11, v19
	v_add_u32_e32 v16, v16, v19
	s_nop 1
	v_mov_b32_dpp v19, v16 row_bcast:31 row_mask:0xf bank_mask:0xf
	v_cndmask_b32_e32 v19, 0, v19, vcc
	v_cmp_lt_i32_e32 vcc, v12, v13
	v_add_u32_e32 v16, v16, v19
	v_cndmask_b32_e32 v19, v12, v9, vcc
	v_lshlrev_b32_e32 v19, 2, v19
	ds_bpermute_b32 v16, v19, v16
	s_waitcnt lgkmcnt(0)
	v_add_u32_e32 v16, v16, v18
	v_cndmask_b32_e64 v16, v16, v17, s[2:3]
	ds_write_b32 v6, v16
	; wave barrier
	ds_read2_b32 v[18:19], v6 offset0:1 offset1:2
	ds_read_b32 v20, v6 offset:12
	s_waitcnt lgkmcnt(1)
	v_add_u32_e32 v16, v18, v16
	v_add_u32_e32 v18, v19, v16
	ds_write2_b32 v6, v16, v18 offset0:1 offset1:2
	s_waitcnt lgkmcnt(1)
	v_add_u32_e32 v16, v20, v18
	ds_write_b32 v6, v16 offset:12
.LBB12_34:                              ;   in Loop: Header=BB12_30 Depth=1
	s_or_b64 exec, exec, s[14:15]
	v_mov_b32_e32 v18, 0
	s_waitcnt lgkmcnt(0)
	s_barrier
	s_and_saveexec_b64 s[14:15], s[0:1]
	s_cbranch_execz .LBB12_36
; %bb.35:                               ;   in Loop: Header=BB12_30 Depth=1
	ds_read_b32 v18, v7
.LBB12_36:                              ;   in Loop: Header=BB12_30 Depth=1
	s_or_b64 exec, exec, s[14:15]
	ds_read_b32 v16, v1 offset:1048
	v_cmp_ne_u32_e32 vcc, 0, v17
	s_waitcnt lgkmcnt(0)
	s_barrier
	s_and_saveexec_b64 s[14:15], vcc
	s_cbranch_execz .LBB12_38
; %bb.37:                               ;   in Loop: Header=BB12_30 Depth=1
	v_add_u32_e32 v17, v18, v4
	v_mul_lo_u32 v18, v17, s20
	global_store_byte v18, v14, s[16:17]
	v_mul_lo_u32 v18, v17, s8
	v_mov_b32_e32 v19, v1
	v_lshlrev_b64 v[18:19], 3, v[18:19]
	v_mov_b32_e32 v17, s19
	v_add_co_u32_e32 v18, vcc, s18, v18
	v_addc_co_u32_e32 v19, vcc, v17, v19, vcc
	global_store_dwordx2 v[18:19], v[0:1], off
.LBB12_38:                              ;   in Loop: Header=BB12_30 Depth=1
	s_or_b64 exec, exec, s[14:15]
	v_cmp_le_u32_e32 vcc, s13, v2
	s_cbranch_vccnz .LBB12_29
; %bb.39:                               ;   in Loop: Header=BB12_30 Depth=1
	ds_write_b32 v3, v15
	s_waitcnt lgkmcnt(0)
	s_barrier
	s_and_saveexec_b64 s[14:15], s[4:5]
	s_cbranch_execz .LBB12_41
; %bb.40:                               ;   in Loop: Header=BB12_30 Depth=1
	ds_read2_b32 v[18:19], v6 offset1:1
	ds_read2_b32 v[20:21], v6 offset0:2 offset1:3
	v_cmp_ne_u32_e32 vcc, 0, v10
	; wave barrier
	s_waitcnt lgkmcnt(1)
	v_add_u32_e32 v17, v19, v18
	s_waitcnt lgkmcnt(0)
	v_add3_u32 v17, v17, v20, v21
	s_nop 1
	v_mov_b32_dpp v19, v17 row_shr:1 row_mask:0xf bank_mask:0xf
	v_cndmask_b32_e32 v19, 0, v19, vcc
	v_add_u32_e32 v17, v19, v17
	v_cmp_lt_u32_e32 vcc, 1, v10
	s_nop 0
	v_mov_b32_dpp v19, v17 row_shr:2 row_mask:0xf bank_mask:0xf
	v_cndmask_b32_e32 v19, 0, v19, vcc
	v_add_u32_e32 v17, v17, v19
	v_cmp_lt_u32_e32 vcc, 3, v10
	;; [unrolled: 5-line block ×4, first 2 shown]
	s_nop 0
	v_mov_b32_dpp v19, v17 row_bcast:15 row_mask:0xf bank_mask:0xf
	v_and_b32_e32 v19, v11, v19
	v_add_u32_e32 v17, v17, v19
	s_nop 1
	v_mov_b32_dpp v19, v17 row_bcast:31 row_mask:0xf bank_mask:0xf
	v_cndmask_b32_e32 v19, 0, v19, vcc
	v_cmp_lt_i32_e32 vcc, v12, v13
	v_add_u32_e32 v17, v17, v19
	v_cndmask_b32_e32 v19, v12, v9, vcc
	v_lshlrev_b32_e32 v19, 2, v19
	ds_bpermute_b32 v17, v19, v17
	s_waitcnt lgkmcnt(0)
	v_add_u32_e32 v17, v17, v18
	v_cndmask_b32_e64 v17, v17, v15, s[2:3]
	ds_write_b32 v6, v17
	; wave barrier
	ds_read2_b32 v[18:19], v6 offset0:1 offset1:2
	ds_read_b32 v20, v6 offset:12
	s_waitcnt lgkmcnt(1)
	v_add_u32_e32 v17, v18, v17
	v_add_u32_e32 v18, v19, v17
	ds_write2_b32 v6, v17, v18 offset0:1 offset1:2
	s_waitcnt lgkmcnt(1)
	v_add_u32_e32 v17, v20, v18
	ds_write_b32 v6, v17 offset:12
.LBB12_41:                              ;   in Loop: Header=BB12_30 Depth=1
	s_or_b64 exec, exec, s[14:15]
	v_mov_b32_e32 v18, 0
	s_waitcnt lgkmcnt(0)
	s_barrier
	s_and_saveexec_b64 s[14:15], s[0:1]
	s_cbranch_execz .LBB12_43
; %bb.42:                               ;   in Loop: Header=BB12_30 Depth=1
	ds_read_b32 v18, v7
.LBB12_43:                              ;   in Loop: Header=BB12_30 Depth=1
	s_or_b64 exec, exec, s[14:15]
	ds_read_b32 v17, v1 offset:1048
	v_cmp_ne_u32_e32 vcc, 0, v15
	s_waitcnt lgkmcnt(0)
	s_barrier
	s_and_saveexec_b64 s[14:15], vcc
	s_cbranch_execz .LBB12_28
; %bb.44:                               ;   in Loop: Header=BB12_30 Depth=1
	v_add_u32_e32 v15, v18, v2
	v_cmp_gt_u32_e32 vcc, s13, v15
	s_and_b64 exec, exec, vcc
	s_cbranch_execz .LBB12_28
; %bb.45:                               ;   in Loop: Header=BB12_30 Depth=1
	v_mul_lo_u32 v18, v15, s20
	global_store_byte v18, v14, s[16:17]
	v_mul_lo_u32 v18, v15, s8
	v_mov_b32_e32 v19, v1
	v_lshlrev_b64 v[18:19], 3, v[18:19]
	v_mov_b32_e32 v15, s19
	v_add_co_u32_e32 v18, vcc, s18, v18
	v_addc_co_u32_e32 v19, vcc, v15, v19, vcc
	global_store_dwordx2 v[18:19], v[0:1], off
	s_branch .LBB12_28
.LBB12_46:                              ;   in Loop: Header=BB12_47 Depth=1
	s_add_u32 s16, s16, 4
	s_addc_u32 s17, s17, 0
	s_waitcnt lgkmcnt(0)
	s_add_i32 s41, s15, s41
	s_add_u32 s18, s18, 4
	s_addc_u32 s19, s19, 0
	s_add_i32 s14, s14, 1
	s_cmp_lt_u32 s14, s10
	s_cbranch_scc0 .LBB12_25
.LBB12_47:                              ; =>This Inner Loop Header: Depth=1
	s_load_dword s15, s[16:17], 0x0
	s_cmp_ge_u32 s14, s40
	s_cbranch_scc1 .LBB12_46
; %bb.48:                               ;   in Loop: Header=BB12_47 Depth=1
	s_load_dword s34, s[18:19], 0x0
	s_waitcnt lgkmcnt(0)
	s_add_i32 s31, s15, s31
	s_add_i32 s30, s34, s30
	s_branch .LBB12_46
.LBB12_49:
	s_endpgm
	.section	.rodata,"a",@progbits
	.p2align	6, 0x0
	.amdhsa_kernel _ZN2at6native6mbtopk10gatherTopKIhjLin1EEEvNS_4cuda6detail10TensorInfoIKT_T0_EES8_S8_bjS8_NS5_IS6_S8_EES8_NS5_IlS8_EES8_jjPS6_PjSD_j
		.amdhsa_group_segment_fixed_size 1068
		.amdhsa_private_segment_fixed_size 0
		.amdhsa_kernarg_size 984
		.amdhsa_user_sgpr_count 6
		.amdhsa_user_sgpr_private_segment_buffer 1
		.amdhsa_user_sgpr_dispatch_ptr 0
		.amdhsa_user_sgpr_queue_ptr 0
		.amdhsa_user_sgpr_kernarg_segment_ptr 1
		.amdhsa_user_sgpr_dispatch_id 0
		.amdhsa_user_sgpr_flat_scratch_init 0
		.amdhsa_user_sgpr_kernarg_preload_length 0
		.amdhsa_user_sgpr_kernarg_preload_offset 0
		.amdhsa_user_sgpr_private_segment_size 0
		.amdhsa_uses_dynamic_stack 0
		.amdhsa_system_sgpr_private_segment_wavefront_offset 0
		.amdhsa_system_sgpr_workgroup_id_x 1
		.amdhsa_system_sgpr_workgroup_id_y 1
		.amdhsa_system_sgpr_workgroup_id_z 1
		.amdhsa_system_sgpr_workgroup_info 0
		.amdhsa_system_vgpr_workitem_id 0
		.amdhsa_next_free_vgpr 22
		.amdhsa_next_free_sgpr 45
		.amdhsa_accum_offset 24
		.amdhsa_reserve_vcc 1
		.amdhsa_reserve_flat_scratch 0
		.amdhsa_float_round_mode_32 0
		.amdhsa_float_round_mode_16_64 0
		.amdhsa_float_denorm_mode_32 3
		.amdhsa_float_denorm_mode_16_64 3
		.amdhsa_dx10_clamp 1
		.amdhsa_ieee_mode 1
		.amdhsa_fp16_overflow 0
		.amdhsa_tg_split 0
		.amdhsa_exception_fp_ieee_invalid_op 0
		.amdhsa_exception_fp_denorm_src 0
		.amdhsa_exception_fp_ieee_div_zero 0
		.amdhsa_exception_fp_ieee_overflow 0
		.amdhsa_exception_fp_ieee_underflow 0
		.amdhsa_exception_fp_ieee_inexact 0
		.amdhsa_exception_int_div_zero 0
	.end_amdhsa_kernel
	.section	.text._ZN2at6native6mbtopk10gatherTopKIhjLin1EEEvNS_4cuda6detail10TensorInfoIKT_T0_EES8_S8_bjS8_NS5_IS6_S8_EES8_NS5_IlS8_EES8_jjPS6_PjSD_j,"axG",@progbits,_ZN2at6native6mbtopk10gatherTopKIhjLin1EEEvNS_4cuda6detail10TensorInfoIKT_T0_EES8_S8_bjS8_NS5_IS6_S8_EES8_NS5_IlS8_EES8_jjPS6_PjSD_j,comdat
.Lfunc_end12:
	.size	_ZN2at6native6mbtopk10gatherTopKIhjLin1EEEvNS_4cuda6detail10TensorInfoIKT_T0_EES8_S8_bjS8_NS5_IS6_S8_EES8_NS5_IlS8_EES8_jjPS6_PjSD_j, .Lfunc_end12-_ZN2at6native6mbtopk10gatherTopKIhjLin1EEEvNS_4cuda6detail10TensorInfoIKT_T0_EES8_S8_bjS8_NS5_IS6_S8_EES8_NS5_IlS8_EES8_jjPS6_PjSD_j
                                        ; -- End function
	.section	.AMDGPU.csdata,"",@progbits
; Kernel info:
; codeLenInByte = 2616
; NumSgprs: 49
; NumVgprs: 22
; NumAgprs: 0
; TotalNumVgprs: 22
; ScratchSize: 0
; MemoryBound: 0
; FloatMode: 240
; IeeeMode: 1
; LDSByteSize: 1068 bytes/workgroup (compile time only)
; SGPRBlocks: 6
; VGPRBlocks: 2
; NumSGPRsForWavesPerEU: 49
; NumVGPRsForWavesPerEU: 22
; AccumOffset: 24
; Occupancy: 8
; WaveLimiterHint : 1
; COMPUTE_PGM_RSRC2:SCRATCH_EN: 0
; COMPUTE_PGM_RSRC2:USER_SGPR: 6
; COMPUTE_PGM_RSRC2:TRAP_HANDLER: 0
; COMPUTE_PGM_RSRC2:TGID_X_EN: 1
; COMPUTE_PGM_RSRC2:TGID_Y_EN: 1
; COMPUTE_PGM_RSRC2:TGID_Z_EN: 1
; COMPUTE_PGM_RSRC2:TIDIG_COMP_CNT: 0
; COMPUTE_PGM_RSRC3_GFX90A:ACCUM_OFFSET: 5
; COMPUTE_PGM_RSRC3_GFX90A:TG_SPLIT: 0
	.section	.text._ZN2at6native6sbtopk10gatherTopKIhjLin1ELb0EEEvNS_4cuda6detail10TensorInfoIKT_T0_EES8_S8_bS8_S8_NS5_IS6_S8_EES8_NS5_IlS8_EES8_PS6_,"axG",@progbits,_ZN2at6native6sbtopk10gatherTopKIhjLin1ELb0EEEvNS_4cuda6detail10TensorInfoIKT_T0_EES8_S8_bS8_S8_NS5_IS6_S8_EES8_NS5_IlS8_EES8_PS6_,comdat
	.protected	_ZN2at6native6sbtopk10gatherTopKIhjLin1ELb0EEEvNS_4cuda6detail10TensorInfoIKT_T0_EES8_S8_bS8_S8_NS5_IS6_S8_EES8_NS5_IlS8_EES8_PS6_ ; -- Begin function _ZN2at6native6sbtopk10gatherTopKIhjLin1ELb0EEEvNS_4cuda6detail10TensorInfoIKT_T0_EES8_S8_bS8_S8_NS5_IS6_S8_EES8_NS5_IlS8_EES8_PS6_
	.globl	_ZN2at6native6sbtopk10gatherTopKIhjLin1ELb0EEEvNS_4cuda6detail10TensorInfoIKT_T0_EES8_S8_bS8_S8_NS5_IS6_S8_EES8_NS5_IlS8_EES8_PS6_
	.p2align	8
	.type	_ZN2at6native6sbtopk10gatherTopKIhjLin1ELb0EEEvNS_4cuda6detail10TensorInfoIKT_T0_EES8_S8_bS8_S8_NS5_IS6_S8_EES8_NS5_IlS8_EES8_PS6_,@function
_ZN2at6native6sbtopk10gatherTopKIhjLin1ELb0EEEvNS_4cuda6detail10TensorInfoIKT_T0_EES8_S8_bS8_S8_NS5_IS6_S8_EES8_NS5_IlS8_EES8_PS6_: ; @_ZN2at6native6sbtopk10gatherTopKIhjLin1ELb0EEEvNS_4cuda6detail10TensorInfoIKT_T0_EES8_S8_bS8_S8_NS5_IS6_S8_EES8_NS5_IlS8_EES8_PS6_
; %bb.0:
	s_load_dwordx2 s[10:11], s[4:5], 0x2b8
	s_load_dwordx4 s[60:63], s[4:5], 0xd8
	s_mov_b64 s[20:21], s[4:5]
	s_add_u32 s2, s20, 0x2b8
	s_addc_u32 s3, s21, 0
	s_waitcnt lgkmcnt(0)
	s_mul_i32 s0, s11, s8
	s_add_i32 s0, s0, s7
	s_mul_i32 s0, s0, s10
	s_add_i32 s78, s0, s6
	s_cmp_ge_u32 s78, s63
	s_cbranch_scc1 .LBB13_404
; %bb.1:
	s_load_dword s5, s[20:21], 0xd0
	s_load_dword s19, s[20:21], 0xe8
	s_mov_b32 s1, 0
	s_mov_b32 s0, s78
	s_waitcnt lgkmcnt(0)
	s_cmp_lt_i32 s5, 2
	s_cbranch_scc1 .LBB13_4
; %bb.2:
	s_add_i32 s0, s5, -1
	s_add_i32 s4, s5, 1
	s_lshl_b64 s[8:9], s[0:1], 2
	s_add_u32 s0, s8, s20
	s_addc_u32 s5, s9, s21
	s_add_u32 s8, s0, 8
	s_addc_u32 s9, s5, 0
	s_mov_b32 s0, s78
.LBB13_3:                               ; =>This Inner Loop Header: Depth=1
	s_load_dword s5, s[8:9], 0x0
	s_load_dword s11, s[8:9], 0x64
	s_mov_b32 s7, s0
	s_waitcnt lgkmcnt(0)
	v_cvt_f32_u32_e32 v1, s5
	s_sub_i32 s0, 0, s5
	v_rcp_iflag_f32_e32 v1, v1
	v_mul_f32_e32 v1, 0x4f7ffffe, v1
	v_cvt_u32_f32_e32 v1, v1
	v_readfirstlane_b32 s12, v1
	s_mul_i32 s0, s0, s12
	s_mul_hi_u32 s0, s12, s0
	s_add_i32 s12, s12, s0
	s_mul_hi_u32 s0, s7, s12
	s_mul_i32 s12, s0, s5
	s_sub_i32 s12, s7, s12
	s_add_i32 s13, s0, 1
	s_sub_i32 s14, s12, s5
	s_cmp_ge_u32 s12, s5
	s_cselect_b32 s0, s13, s0
	s_cselect_b32 s12, s14, s12
	s_add_i32 s13, s0, 1
	s_cmp_ge_u32 s12, s5
	s_cselect_b32 s0, s13, s0
	s_mul_i32 s5, s0, s5
	s_sub_i32 s5, s7, s5
	s_mul_i32 s5, s11, s5
	s_add_i32 s4, s4, -1
	s_add_i32 s1, s5, s1
	s_add_u32 s8, s8, -4
	s_addc_u32 s9, s9, -1
	s_cmp_gt_u32 s4, 2
	s_cbranch_scc1 .LBB13_3
.LBB13_4:
	s_load_dword s5, s[20:21], 0x1c0
	s_add_u32 s8, s20, 0xf0
	s_addc_u32 s9, s21, 0
	s_mov_b32 s67, 0
	s_mov_b32 s79, s78
	s_waitcnt lgkmcnt(0)
	s_cmp_lt_i32 s5, 2
	s_cbranch_scc1 .LBB13_7
; %bb.5:
	s_add_i32 s66, s5, -1
	s_add_i32 s4, s5, 1
	s_lshl_b64 s[12:13], s[66:67], 2
	s_add_u32 s5, s12, s8
	s_addc_u32 s7, s13, s9
	s_add_u32 s12, s5, 8
	s_addc_u32 s13, s7, 0
	s_mov_b32 s79, s78
.LBB13_6:                               ; =>This Inner Loop Header: Depth=1
	s_load_dword s5, s[12:13], 0x0
	s_load_dword s11, s[12:13], 0x64
	s_mov_b32 s7, s79
	s_waitcnt lgkmcnt(0)
	v_cvt_f32_u32_e32 v1, s5
	s_sub_i32 s14, 0, s5
	v_rcp_iflag_f32_e32 v1, v1
	v_mul_f32_e32 v1, 0x4f7ffffe, v1
	v_cvt_u32_f32_e32 v1, v1
	v_readfirstlane_b32 s15, v1
	s_mul_i32 s14, s14, s15
	s_mul_hi_u32 s14, s15, s14
	s_add_i32 s15, s15, s14
	s_mul_hi_u32 s14, s79, s15
	s_mul_i32 s15, s14, s5
	s_sub_i32 s15, s79, s15
	s_add_i32 s16, s14, 1
	s_sub_i32 s17, s15, s5
	s_cmp_ge_u32 s15, s5
	s_cselect_b32 s14, s16, s14
	s_cselect_b32 s15, s17, s15
	s_add_i32 s16, s14, 1
	s_cmp_ge_u32 s15, s5
	s_cselect_b32 s79, s16, s14
	s_mul_i32 s5, s79, s5
	s_sub_i32 s5, s7, s5
	s_mul_i32 s5, s11, s5
	s_add_i32 s4, s4, -1
	s_add_i32 s67, s5, s67
	s_add_u32 s12, s12, -4
	s_addc_u32 s13, s13, -1
	s_cmp_gt_u32 s4, 2
	s_cbranch_scc1 .LBB13_6
.LBB13_7:
	s_load_dword s4, s[20:21], 0x6c
	s_load_dword s12, s[20:21], 0x2a0
	s_add_u32 s7, s20, 0x1d0
	s_addc_u32 s11, s21, 0
	s_mov_b32 s69, 0
	s_waitcnt lgkmcnt(0)
	s_cmp_lt_i32 s12, 2
	s_cbranch_scc1 .LBB13_10
; %bb.8:
	s_add_i32 s68, s12, -1
	s_add_i32 s5, s12, 1
	s_lshl_b64 s[12:13], s[68:69], 2
	s_add_u32 s7, s12, s7
	s_addc_u32 s11, s13, s11
	s_add_u32 s12, s7, 8
	s_addc_u32 s13, s11, 0
.LBB13_9:                               ; =>This Inner Loop Header: Depth=1
	s_load_dword s7, s[12:13], 0x0
	s_load_dword s14, s[12:13], 0x64
	s_mov_b32 s11, s78
	s_waitcnt lgkmcnt(0)
	v_cvt_f32_u32_e32 v1, s7
	s_sub_i32 s15, 0, s7
	v_rcp_iflag_f32_e32 v1, v1
	v_mul_f32_e32 v1, 0x4f7ffffe, v1
	v_cvt_u32_f32_e32 v1, v1
	v_readfirstlane_b32 s16, v1
	s_mul_i32 s15, s15, s16
	s_mul_hi_u32 s15, s16, s15
	s_add_i32 s16, s16, s15
	s_mul_hi_u32 s15, s78, s16
	s_mul_i32 s16, s15, s7
	s_sub_i32 s16, s78, s16
	s_add_i32 s17, s15, 1
	s_sub_i32 s18, s16, s7
	s_cmp_ge_u32 s16, s7
	s_cselect_b32 s15, s17, s15
	s_cselect_b32 s16, s18, s16
	s_add_i32 s17, s15, 1
	s_cmp_ge_u32 s16, s7
	s_cselect_b32 s78, s17, s15
	s_mul_i32 s7, s78, s7
	s_sub_i32 s7, s11, s7
	s_mul_i32 s7, s14, s7
	s_add_i32 s5, s5, -1
	s_add_i32 s69, s7, s69
	s_add_u32 s12, s12, -4
	s_addc_u32 s13, s13, -1
	s_cmp_gt_u32 s5, 2
	s_cbranch_scc1 .LBB13_9
.LBB13_10:
	s_load_dword s5, s[8:9], 0x6c
	s_nop 0
	s_load_dwordx2 s[8:9], s[20:21], 0x0
	s_load_dwordx2 s[12:13], s[20:21], 0xf0
                                        ; implicit-def: $vgpr46 : SGPR spill to VGPR lane
	v_cmp_eq_u32_e64 s[14:15], 0, v0
	s_waitcnt lgkmcnt(0)
	v_writelane_b32 v46, s5, 0
	v_writelane_b32 v46, s12, 1
	;; [unrolled: 1-line block ×3, first 2 shown]
	s_load_dwordx2 s[12:13], s[20:21], 0x1d0
	s_waitcnt lgkmcnt(0)
	v_writelane_b32 v46, s12, 3
	v_writelane_b32 v46, s13, 4
	s_mov_b32 s12, 0
	v_writelane_b32 v46, s12, 5
	v_writelane_b32 v46, s13, 6
	s_mov_b64 s[12:13], exec
	v_writelane_b32 v46, s14, 7
	v_writelane_b32 v46, s15, 8
	s_and_b64 s[14:15], s[12:13], s[14:15]
	s_mov_b64 exec, s[14:15]
	s_cbranch_execz .LBB13_12
; %bb.11:
	v_mov_b32_e32 v2, 0
	v_mov_b32_e32 v3, s60
	;; [unrolled: 1-line block ×3, first 2 shown]
	ds_write_b96 v2, v[2:4] offset:4096
.LBB13_12:
	s_or_b64 exec, exec, s[12:13]
	v_writelane_b32 v46, s20, 9
	s_load_dword s5, s[20:21], 0x23c
	s_mul_i32 s0, s4, s0
	s_add_i32 s0, s0, s1
	s_add_u32 s64, s8, s0
	s_addc_u32 s65, s9, 0
	v_writelane_b32 v46, s21, 10
	s_waitcnt lgkmcnt(0)
	s_barrier
	s_load_dword s0, s[2:3], 0xc
	s_bitcmp1_b32 s62, 0
	v_writelane_b32 v46, s5, 11
	s_cselect_b64 s[4:5], -1, 0
	v_writelane_b32 v46, s4, 12
	v_writelane_b32 v46, s5, 13
	s_xor_b64 s[4:5], s[4:5], -1
	v_mbcnt_lo_u32_b32 v2, -1, 0
	v_writelane_b32 v46, s4, 14
	v_mbcnt_hi_u32_b32 v13, -1, v2
	v_writelane_b32 v46, s5, 15
	s_waitcnt lgkmcnt(0)
	s_and_b32 s33, s0, 0xffff
	s_bfe_u32 s5, s0, 0xa0006
	v_cmp_gt_u32_e32 vcc, 64, v0
	v_cmp_gt_i32_e64 s[0:1], 4, v13
	s_lshl_b32 s68, s33, 2
	s_and_b64 s[76:77], vcc, s[0:1]
	s_cmpk_gt_u32 s60, 0xc00
	s_cselect_b64 s[0:1], -1, 0
	v_writelane_b32 v46, s0, 16
	s_cmp_gt_u32 s33, 63
	v_writelane_b32 v46, s1, 17
	s_cselect_b64 s[0:1], -1, 0
	v_writelane_b32 v46, s0, 18
	v_writelane_b32 v46, s1, 19
	s_add_i32 s0, s33, -1
	s_add_i32 s4, s0, s60
	s_cmp_lt_u32 s6, s10
	v_writelane_b32 v46, s0, 20
	s_cselect_b32 s0, 12, 18
	s_add_u32 s0, s2, s0
	s_addc_u32 s1, s3, 0
	v_writelane_b32 v46, s0, 21
	s_add_i32 s2, s5, -2
	v_writelane_b32 v46, s1, 22
	s_lshr_b32 s0, s2, 1
	s_add_i32 s3, s0, 1
	s_cmpk_gt_u32 s33, 0x7f
	s_cselect_b64 s[0:1], -1, 0
	v_writelane_b32 v46, s0, 23
	v_mul_lo_u32 v15, v0, s19
	v_writelane_b32 v46, s1, 24
	v_mov_b32_e32 v2, s65
	v_add_co_u32_e32 v8, vcc, s64, v15
	v_cmp_gt_u32_e64 s[6:7], s60, v0
	v_addc_co_u32_e32 v9, vcc, 0, v2, vcc
	v_writelane_b32 v46, s6, 25
	v_lshrrev_b32_e32 v2, 4, v0
	v_writelane_b32 v46, s7, 26
	v_and_b32_e32 v16, 60, v2
	v_cmp_gt_u32_e64 s[6:7], 2, v0
	v_lshlrev_b64 v[2:3], v13, -1
	v_writelane_b32 v46, s6, 27
	v_not_b32_e32 v6, v2
	v_cvt_f32_u32_e32 v2, s68
	v_writelane_b32 v46, s7, 28
	s_and_b32 s6, s5, 0x3fe
	s_and_b32 s7, s3, 7
	s_cmp_gt_u32 s2, 13
	s_cselect_b64 s[8:9], -1, 0
	v_writelane_b32 v46, s8, 29
	v_rcp_iflag_f32_e32 v2, v2
	v_writelane_b32 v46, s9, 30
	s_and_b32 s2, s3, -8
	v_writelane_b32 v46, s2, 31
	s_cmp_lg_u32 s7, 0
	v_writelane_b32 v46, s7, 32
	s_cselect_b64 s[2:3], -1, 0
	v_writelane_b32 v46, s2, 33
	v_mul_f32_e32 v2, 0x4f7ffffe, v2
	v_writelane_b32 v46, s3, 34
	v_cvt_u32_f32_e32 v2, v2
	v_writelane_b32 v46, s5, 35
	s_cmp_lg_u32 s6, s5
	v_writelane_b32 v46, s6, 36
	s_cselect_b64 s[2:3], -1, 0
	v_writelane_b32 v46, s2, 37
	v_writelane_b32 v46, s3, 38
	s_sub_i32 s2, 0, s68
	v_readfirstlane_b32 s3, v2
	v_cvt_f32_u32_e32 v2, s33
	s_mul_i32 s2, s2, s3
	s_mul_hi_u32 s2, s3, s2
	s_add_i32 s2, s3, s2
	v_writelane_b32 v46, s2, 39
	s_mul_hi_u32 s2, s60, s2
	v_rcp_iflag_f32_e32 v2, v2
	s_mul_i32 s2, s2, s68
	s_sub_i32 s2, s60, s2
	s_sub_i32 s3, s2, s68
	s_cmp_ge_u32 s2, s68
	v_mul_f32_e32 v2, 0x4f7ffffe, v2
	s_cselect_b32 s2, s3, s2
	v_cvt_u32_f32_e32 v2, v2
	s_sub_i32 s3, s2, s68
	s_cmp_ge_u32 s2, s68
	s_cselect_b32 s2, s3, s2
	v_lshlrev_b32_e32 v14, 2, v0
	s_sub_i32 s81, s60, s2
	s_sub_i32 s3, 0, s33
	v_readfirstlane_b32 s5, v2
	v_cmp_gt_u32_e64 s[6:7], s81, v14
	s_mul_i32 s3, s3, s5
	v_writelane_b32 v46, s6, 40
	s_mul_hi_u32 s3, s5, s3
	v_writelane_b32 v46, s7, 41
	s_add_i32 s3, s5, s3
	v_writelane_b32 v46, s3, 42
	s_mul_hi_u32 s3, s4, s3
	s_mul_i32 s3, s3, s33
	s_sub_i32 s3, s4, s3
	s_sub_i32 s5, s3, s33
	s_cmp_ge_u32 s3, s33
	s_cselect_b32 s3, s5, s3
	s_sub_i32 s5, s3, s33
	s_cmp_ge_u32 s3, s33
	v_mul_lo_u32 v2, s19, v14
	s_cselect_b32 s3, s5, s3
	v_add_u32_e32 v18, s19, v2
	v_or_b32_e32 v2, 2, v14
	v_add_u32_e32 v17, s81, v0
	s_sub_i32 s12, s4, s3
	v_mul_lo_u32 v19, s19, v2
	v_or_b32_e32 v2, 3, v14
	s_add_i32 s3, s33, s60
	v_not_b32_e32 v7, v3
	v_mul_lo_u32 v3, v17, s19
	v_cmp_gt_u32_e64 s[4:5], s12, v0
	v_mul_lo_u32 v20, s19, v2
	v_add_u32_e32 v2, s3, v0
	v_lshlrev_b32_e32 v4, 2, v13
	v_mov_b32_e32 v5, s65
	v_add_co_u32_e32 v10, vcc, s64, v3
	v_writelane_b32 v46, s4, 43
	s_mul_i32 s66, s19, s33
	v_subrev_u32_e32 v2, s2, v2
	v_mov_b32_e32 v1, 0
	v_cmp_eq_u32_e64 s[0:1], 0, v13
	v_and_b32_e32 v12, 0x100, v4
	v_cmp_gt_u32_e64 s[14:15], s60, v17
	v_addc_co_u32_e32 v11, vcc, 0, v5, vcc
	v_writelane_b32 v46, s5, 44
	s_lshl_b32 s13, s66, 2
	v_lshlrev_b32_e32 v21, 2, v15
	v_mul_lo_u32 v22, s19, v2
	v_or_b32_e32 v23, 0xc00, v4
	s_mov_b32 s80, 6
	s_mov_b64 s[92:93], 0
	v_mov_b32_e32 v24, 0
	v_mov_b32_e32 v29, s61
	;; [unrolled: 1-line block ×6, first 2 shown]
	s_mov_b32 s74, 0
	v_writelane_b32 v46, s19, 45
                                        ; implicit-def: $sgpr94_sgpr95
                                        ; implicit-def: $sgpr70_sgpr71
                                        ; implicit-def: $sgpr2_sgpr3
                                        ; implicit-def: $sgpr86_sgpr87
                                        ; implicit-def: $sgpr72_sgpr73
                                        ; implicit-def: $sgpr88_sgpr89
                                        ; implicit-def: $sgpr90_sgpr91
                                        ; implicit-def: $sgpr82_sgpr83
                                        ; implicit-def: $sgpr84_sgpr85
                                        ; implicit-def: $sgpr16_sgpr17
	s_branch .LBB13_15
.LBB13_13:                              ;   in Loop: Header=BB13_15 Depth=1
	s_or_b64 exec, exec, s[20:21]
	s_andn2_b64 s[4:5], s[16:17], exec
	s_and_b64 s[10:11], s[18:19], exec
	s_or_b64 s[16:17], s[4:5], s[10:11]
	s_andn2_b64 s[84:85], s[84:85], exec
	s_andn2_b64 s[82:83], s[82:83], exec
	;; [unrolled: 1-line block ×4, first 2 shown]
	s_orn2_b64 s[8:9], s[8:9], exec
	v_mov_b32_e32 v26, v3
	v_mov_b32_e32 v27, v2
	v_mov_b32_e32 v29, v5
	v_mov_b32_e32 v28, v4
.LBB13_14:                              ;   in Loop: Header=BB13_15 Depth=1
	s_or_b64 exec, exec, s[6:7]
	s_and_b64 s[4:5], exec, s[8:9]
	s_or_b64 s[92:93], s[4:5], s[92:93]
	s_andn2_b64 s[4:5], s[72:73], exec
	s_and_b64 s[6:7], s[16:17], exec
	s_or_b64 s[72:73], s[4:5], s[6:7]
	s_andn2_b64 s[4:5], s[86:87], exec
	s_and_b64 s[6:7], s[84:85], exec
	;; [unrolled: 3-line block ×5, first 2 shown]
	s_or_b64 s[94:95], s[4:5], s[6:7]
	s_andn2_b64 exec, exec, s[92:93]
	s_cbranch_execz .LBB13_400
.LBB13_15:                              ; =>This Loop Header: Depth=1
                                        ;     Child Loop BB13_20 Depth 2
                                        ;     Child Loop BB13_38 Depth 2
                                        ;     Child Loop BB13_62 Depth 2
                                        ;     Child Loop BB13_66 Depth 2
                                        ;     Child Loop BB13_51 Depth 2
                                        ;     Child Loop BB13_56 Depth 2
                                        ;     Child Loop BB13_76 Depth 2
                                        ;     Child Loop BB13_80 Depth 2
                                        ;     Child Loop BB13_83 Depth 2
                                        ;     Child Loop BB13_105 Depth 2
                                        ;     Child Loop BB13_93 Depth 2
                                        ;     Child Loop BB13_141 Depth 2
                                        ;     Child Loop BB13_131 Depth 2
                                        ;     Child Loop BB13_177 Depth 2
                                        ;     Child Loop BB13_167 Depth 2
                                        ;     Child Loop BB13_203 Depth 2
                                        ;     Child Loop BB13_214 Depth 2
                                        ;     Child Loop BB13_259 Depth 2
                                        ;     Child Loop BB13_249 Depth 2
                                        ;     Child Loop BB13_295 Depth 2
                                        ;     Child Loop BB13_285 Depth 2
                                        ;     Child Loop BB13_331 Depth 2
                                        ;     Child Loop BB13_321 Depth 2
                                        ;     Child Loop BB13_357 Depth 2
                                        ;     Child Loop BB13_368 Depth 2
	ds_read_b64 v[2:3], v24 offset:4096
	s_waitcnt lgkmcnt(0)
	v_readfirstlane_b32 s4, v2
	s_cmp_lg_u32 s4, 0
	s_cbranch_scc1 .LBB13_45
; %bb.16:                               ;   in Loop: Header=BB13_15 Depth=1
	v_readlane_b32 s4, v46, 16
	v_readlane_b32 s5, v46, 17
	s_and_b64 vcc, exec, s[4:5]
	s_cbranch_vccz .LBB13_28
; %bb.17:                               ;   in Loop: Header=BB13_15 Depth=1
	s_movk_i32 s4, 0xc01
	v_cmp_gt_u32_e32 vcc, s4, v3
	s_mov_b64 s[6:7], 0
	s_mov_b64 s[8:9], 0
	s_cbranch_vccz .LBB13_29
; %bb.18:                               ;   in Loop: Header=BB13_15 Depth=1
	v_readlane_b32 s4, v46, 21
	v_readlane_b32 s5, v46, 22
	s_nop 4
	global_load_ushort v2, v24, s[4:5]
	global_load_ubyte v3, v[8:9], off
	v_readlane_b32 s4, v46, 45
	v_mov_b32_e32 v30, v0
	s_waitcnt vmcnt(1)
	v_add_u32_e32 v5, v0, v2
	v_mul_lo_u32 v4, s4, v2
	v_mul_lo_u32 v5, s4, v5
	s_branch .LBB13_20
.LBB13_19:                              ;   in Loop: Header=BB13_20 Depth=2
	s_or_b64 exec, exec, s[18:19]
	v_add_u32_e32 v5, v5, v4
	v_mov_b32_e32 v3, v31
	s_andn2_b64 exec, exec, s[8:9]
	s_cbranch_execz .LBB13_30
.LBB13_20:                              ;   Parent Loop BB13_15 Depth=1
                                        ; =>  This Inner Loop Header: Depth=2
	v_add_u32_e32 v30, v30, v2
	v_cmp_gt_u32_e64 s[18:19], s60, v30
	v_cmp_le_u32_e32 vcc, s60, v30
	s_waitcnt lgkmcnt(0)
	v_mov_b32_e32 v32, 0
	v_mov_b32_e32 v31, 0
	s_and_saveexec_b64 s[20:21], s[18:19]
	s_cbranch_execz .LBB13_22
; %bb.21:                               ;   in Loop: Header=BB13_20 Depth=2
	global_load_ubyte v31, v5, s[64:65]
.LBB13_22:                              ;   in Loop: Header=BB13_20 Depth=2
	s_or_b64 exec, exec, s[20:21]
	s_waitcnt vmcnt(0)
	v_and_b32_e32 v33, v3, v26
	v_cmp_eq_u32_sdwa s[20:21], v33, v27 src0_sel:BYTE_0 src1_sel:DWORD
	s_cmp_lg_u64 s[20:21], 0
	s_cselect_b64 s[4:5], -1, 0
	s_and_b64 s[4:5], s[0:1], s[4:5]
	s_and_saveexec_b64 s[22:23], s[4:5]
	s_cbranch_execz .LBB13_26
; %bb.23:                               ;   in Loop: Header=BB13_20 Depth=2
	s_mov_b64 s[26:27], exec
	v_mbcnt_lo_u32_b32 v32, s26, 0
	v_mbcnt_hi_u32_b32 v32, s27, v32
	s_bcnt1_i32_b64 s4, s[20:21]
	v_cmp_eq_u32_e64 s[18:19], 0, v32
                                        ; implicit-def: $vgpr33
	s_and_saveexec_b64 s[24:25], s[18:19]
	s_cbranch_execz .LBB13_25
; %bb.24:                               ;   in Loop: Header=BB13_20 Depth=2
	s_bcnt1_i32_b64 s5, s[26:27]
	s_mul_i32 s5, s4, s5
	v_mov_b32_e32 v33, s5
	ds_add_rtn_u32 v33, v24, v33 offset:4104
.LBB13_25:                              ;   in Loop: Header=BB13_20 Depth=2
	s_or_b64 exec, exec, s[24:25]
	s_waitcnt lgkmcnt(0)
	v_readfirstlane_b32 s5, v33
	v_mov_b32_e32 v33, s5
	v_mad_u32_u24 v32, s4, v32, v33
.LBB13_26:                              ;   in Loop: Header=BB13_20 Depth=2
	s_or_b64 exec, exec, s[22:23]
	ds_bpermute_b32 v32, v12, v32
	s_and_b64 s[4:5], exec, vcc
	s_or_b64 s[8:9], s[4:5], s[8:9]
	s_and_saveexec_b64 s[18:19], s[20:21]
	s_cbranch_execz .LBB13_19
; %bb.27:                               ;   in Loop: Header=BB13_20 Depth=2
	v_and_b32_e32 v34, s20, v6
	v_and_b32_e32 v33, s21, v7
	v_bcnt_u32_b32 v34, v34, 0
	v_bcnt_u32_b32 v33, v33, v34
	s_waitcnt lgkmcnt(0)
	v_add_u32_e32 v32, v32, v33
	ds_write_b8 v32, v3
	s_branch .LBB13_19
.LBB13_28:                              ;   in Loop: Header=BB13_15 Depth=1
	s_mov_b64 s[8:9], 0
                                        ; implicit-def: $sgpr4
	s_cbranch_execnz .LBB13_33
	s_branch .LBB13_43
.LBB13_29:                              ;   in Loop: Header=BB13_15 Depth=1
	s_mov_b32 s4, 0
	s_and_b64 vcc, exec, s[6:7]
	s_cbranch_vccnz .LBB13_33
	s_branch .LBB13_43
.LBB13_30:                              ;   in Loop: Header=BB13_15 Depth=1
	s_or_b64 exec, exec, s[8:9]
	s_waitcnt lgkmcnt(0)
	s_barrier
	s_mov_b64 s[8:9], exec
	v_readlane_b32 s4, v46, 7
	v_readlane_b32 s5, v46, 8
	s_and_b64 s[4:5], s[8:9], s[4:5]
	s_mov_b64 exec, s[4:5]
	s_cbranch_execz .LBB13_32
; %bb.31:                               ;   in Loop: Header=BB13_15 Depth=1
	ds_read_b32 v2, v24 offset:4104
	s_waitcnt lgkmcnt(0)
	ds_write_b32 v24, v2 offset:4096
.LBB13_32:                              ;   in Loop: Header=BB13_15 Depth=1
	s_or_b64 exec, exec, s[8:9]
	s_waitcnt lgkmcnt(0)
	s_barrier
	s_mov_b64 s[8:9], -1
	s_mov_b32 s4, 0
	s_and_b64 vcc, exec, s[6:7]
	s_cbranch_vccz .LBB13_43
.LBB13_33:                              ;   in Loop: Header=BB13_15 Depth=1
	v_mov_b32_e32 v2, 0
	s_mov_b64 s[6:7], exec
	v_readlane_b32 s4, v46, 25
	v_readlane_b32 s5, v46, 26
	s_and_b64 s[4:5], s[6:7], s[4:5]
	s_mov_b64 exec, s[4:5]
	s_cbranch_execz .LBB13_35
; %bb.34:                               ;   in Loop: Header=BB13_15 Depth=1
	global_load_ubyte v2, v[8:9], off
.LBB13_35:                              ;   in Loop: Header=BB13_15 Depth=1
	s_or_b64 exec, exec, s[6:7]
	s_mov_b64 s[6:7], exec
	v_readlane_b32 s4, v46, 25
	v_readlane_b32 s5, v46, 26
	s_and_b64 s[4:5], s[6:7], s[4:5]
	s_mov_b64 exec, s[4:5]
	s_cbranch_execz .LBB13_40
; %bb.36:                               ;   in Loop: Header=BB13_15 Depth=1
	v_readlane_b32 s4, v46, 21
	v_readlane_b32 s5, v46, 22
	s_mov_b64 s[8:9], 0
	v_mov_b32_e32 v30, v0
	s_nop 2
	global_load_ushort v3, v24, s[4:5]
	v_readlane_b32 s4, v46, 45
	s_waitcnt vmcnt(0)
	v_add_u32_e32 v5, v0, v3
	v_mul_lo_u32 v4, s4, v3
	v_mul_lo_u32 v5, s4, v5
	s_branch .LBB13_38
.LBB13_37:                              ;   in Loop: Header=BB13_38 Depth=2
	s_or_b64 exec, exec, s[20:21]
	s_and_b64 s[4:5], exec, vcc
	s_or_b64 s[8:9], s[4:5], s[8:9]
	ds_write_b8 v30, v2
	v_add_u32_e32 v5, v5, v4
	s_waitcnt vmcnt(0)
	v_mov_b32_e32 v2, v32
	v_mov_b32_e32 v30, v31
	s_andn2_b64 exec, exec, s[8:9]
	s_cbranch_execz .LBB13_40
.LBB13_38:                              ;   Parent Loop BB13_15 Depth=1
                                        ; =>  This Inner Loop Header: Depth=2
	v_add_u32_e32 v31, v30, v3
	v_cmp_gt_u32_e64 s[18:19], s60, v31
	v_cmp_le_u32_e32 vcc, s60, v31
	v_mov_b32_e32 v32, 0
	s_and_saveexec_b64 s[20:21], s[18:19]
	s_cbranch_execz .LBB13_37
; %bb.39:                               ;   in Loop: Header=BB13_38 Depth=2
	global_load_ubyte v32, v5, s[64:65]
	s_branch .LBB13_37
.LBB13_40:                              ;   in Loop: Header=BB13_15 Depth=1
	s_or_b64 exec, exec, s[6:7]
	s_waitcnt lgkmcnt(0)
	s_barrier
	s_mov_b64 s[6:7], exec
	v_readlane_b32 s4, v46, 7
	v_readlane_b32 s5, v46, 8
	s_and_b64 s[4:5], s[6:7], s[4:5]
	s_mov_b64 exec, s[4:5]
	s_cbranch_execz .LBB13_42
; %bb.41:                               ;   in Loop: Header=BB13_15 Depth=1
	s_waitcnt vmcnt(0)
	v_mov_b32_e32 v2, s60
	ds_write_b32 v24, v2 offset:4096
.LBB13_42:                              ;   in Loop: Header=BB13_15 Depth=1
	s_or_b64 exec, exec, s[6:7]
	s_mov_b64 s[8:9], -1
	s_waitcnt lgkmcnt(0)
	s_barrier
                                        ; implicit-def: $sgpr4
.LBB13_43:                              ;   in Loop: Header=BB13_15 Depth=1
	s_and_b64 vcc, exec, s[8:9]
	s_cbranch_vccz .LBB13_45
; %bb.44:                               ;   in Loop: Header=BB13_15 Depth=1
	s_waitcnt vmcnt(0)
	ds_read_b32 v2, v24 offset:4096
	s_waitcnt lgkmcnt(0)
	v_readfirstlane_b32 s4, v2
.LBB13_45:                              ;   in Loop: Header=BB13_15 Depth=1
	s_cmp_lt_i32 s4, 1
	s_cbranch_scc0 .LBB13_49
; %bb.46:                               ;   in Loop: Header=BB13_15 Depth=1
	s_waitcnt vmcnt(0)
	v_mov_b32_e32 v2, 0
	s_mov_b32 s5, 0
	v_mov_b32_e32 v3, 0
	v_mov_b32_e32 v4, v2
	;; [unrolled: 1-line block ×3, first 2 shown]
	s_mov_b64 s[6:7], exec
	v_readlane_b32 s8, v46, 40
	v_readlane_b32 s9, v46, 41
	s_and_b64 s[8:9], s[6:7], s[8:9]
	s_mov_b64 exec, s[8:9]
	s_cbranch_execnz .LBB13_50
; %bb.47:                               ;   in Loop: Header=BB13_15 Depth=1
	s_or_b64 exec, exec, s[6:7]
	v_mov_b32_e32 v32, 0
	s_and_saveexec_b64 s[6:7], s[14:15]
	s_cbranch_execnz .LBB13_53
.LBB13_48:                              ;   in Loop: Header=BB13_15 Depth=1
	s_or_b64 exec, exec, s[6:7]
	s_and_saveexec_b64 s[6:7], s[14:15]
	s_cbranch_execnz .LBB13_54
	s_branch .LBB13_59
.LBB13_49:                              ;   in Loop: Header=BB13_15 Depth=1
                                        ; implicit-def: $vgpr5
	s_cbranch_execnz .LBB13_60
	s_branch .LBB13_69
.LBB13_50:                              ;   in Loop: Header=BB13_15 Depth=1
	s_and_b32 s10, s80, 0xfe
	s_mov_b64 s[8:9], 0
	s_mov_b32 s11, 0
	s_mov_b32 s62, 0
	;; [unrolled: 1-line block ×4, first 2 shown]
	v_mov_b32_e32 v30, v14
.LBB13_51:                              ;   Parent Loop BB13_15 Depth=1
                                        ; =>  This Inner Loop Header: Depth=2
	v_add_u32_e32 v2, s5, v21
	v_add_u32_e32 v3, s5, v18
	;; [unrolled: 1-line block ×4, first 2 shown]
	global_load_ubyte v2, v2, s[64:65]
	s_nop 0
	global_load_ubyte v3, v3, s[64:65]
	s_nop 0
	;; [unrolled: 2-line block ×3, first 2 shown]
	global_load_ubyte v5, v5, s[64:65]
	v_add_u32_e32 v30, s68, v30
	s_add_i32 s5, s5, s13
	v_cmp_le_u32_e32 vcc, s81, v30
	s_waitcnt vmcnt(3)
	v_and_b32_e32 v31, v26, v2
	v_bfe_u32 v2, v2, s10, 2
	s_waitcnt vmcnt(2)
	v_and_b32_e32 v32, v26, v3
	v_bfe_u32 v3, v3, s10, 2
	v_cmp_eq_u32_e64 s[18:19], v31, v27
	v_cmp_eq_u32_e64 s[26:27], 0, v2
	s_waitcnt vmcnt(1)
	v_and_b32_e32 v33, v26, v4
	v_bfe_u32 v4, v4, s10, 2
	v_cmp_eq_u32_e64 s[20:21], v32, v27
	v_cmp_eq_u32_e64 s[28:29], 0, v3
	s_and_b64 s[26:27], s[18:19], s[26:27]
	s_waitcnt vmcnt(0)
	v_and_b32_e32 v34, v26, v5
	v_bfe_u32 v5, v5, s10, 2
	v_cmp_eq_u32_e64 s[22:23], v33, v27
	v_cmp_eq_u32_e64 s[30:31], 0, v4
	;; [unrolled: 1-line block ×5, first 2 shown]
	v_cndmask_b32_e64 v2, 0, 1, s[26:27]
	s_and_b64 s[26:27], s[20:21], s[28:29]
	v_cmp_eq_u32_e64 s[24:25], v34, v27
	v_cmp_eq_u32_e64 s[34:35], 0, v5
	;; [unrolled: 1-line block ×5, first 2 shown]
	v_cndmask_b32_e64 v3, 0, 1, s[26:27]
	s_and_b64 s[26:27], s[22:23], s[30:31]
	v_cmp_eq_u32_e64 s[40:41], 1, v4
	v_cmp_eq_u32_e64 s[48:49], 2, v4
	;; [unrolled: 1-line block ×3, first 2 shown]
	v_cndmask_b32_e64 v4, 0, 1, s[26:27]
	s_and_b64 s[26:27], s[24:25], s[34:35]
	v_cmp_eq_u32_e64 s[42:43], 1, v5
	v_cmp_eq_u32_e64 s[50:51], 2, v5
	;; [unrolled: 1-line block ×3, first 2 shown]
	v_cndmask_b32_e64 v5, 0, 1, s[26:27]
	s_and_b64 s[26:27], s[18:19], s[36:37]
	v_cndmask_b32_e64 v31, 0, 1, s[26:27]
	s_and_b64 s[26:27], s[20:21], s[38:39]
	;; [unrolled: 2-line block ×5, first 2 shown]
	s_and_b64 s[18:19], s[18:19], s[52:53]
	v_cndmask_b32_e64 v35, 0, 1, s[26:27]
	s_and_b64 s[26:27], s[20:21], s[46:47]
	v_cndmask_b32_e64 v39, 0, 1, s[18:19]
	;; [unrolled: 2-line block ×7, first 2 shown]
	v_cndmask_b32_e64 v42, 0, 1, s[18:19]
	v_cmp_ne_u32_e64 s[18:19], 0, v2
	v_cmp_ne_u32_e64 s[20:21], 0, v3
	;; [unrolled: 1-line block ×11, first 2 shown]
	s_bcnt1_i32_b64 s18, s[18:19]
	s_bcnt1_i32_b64 s19, s[20:21]
	;; [unrolled: 1-line block ×8, first 2 shown]
	v_cmp_ne_u32_e64 s[34:35], 0, v34
	v_cmp_ne_u32_e64 s[40:41], 0, v37
	;; [unrolled: 1-line block ×3, first 2 shown]
	s_bcnt1_i32_b64 s23, s[28:29]
	s_bcnt1_i32_b64 s27, s[38:39]
	;; [unrolled: 1-line block ×3, first 2 shown]
	s_add_i32 s18, s75, s18
	s_add_i32 s22, s63, s22
	;; [unrolled: 1-line block ×4, first 2 shown]
	v_cmp_ne_u32_e64 s[42:43], 0, v38
	v_cmp_ne_u32_e64 s[50:51], 0, v42
	s_bcnt1_i32_b64 s25, s[34:35]
	s_bcnt1_i32_b64 s28, s[40:41]
	;; [unrolled: 1-line block ×3, first 2 shown]
	s_add_i32 s18, s18, s19
	s_add_i32 s19, s22, s23
	;; [unrolled: 1-line block ×4, first 2 shown]
	s_bcnt1_i32_b64 s29, s[42:43]
	s_bcnt1_i32_b64 s35, s[50:51]
	s_add_i32 s18, s18, s20
	s_add_i32 s19, s19, s24
	;; [unrolled: 1-line block ×8, first 2 shown]
	s_or_b64 s[8:9], vcc, s[8:9]
	v_mov_b32_e32 v2, s75
	v_mov_b32_e32 v3, s63
	;; [unrolled: 1-line block ×4, first 2 shown]
	s_andn2_b64 exec, exec, s[8:9]
	s_cbranch_execnz .LBB13_51
; %bb.52:                               ;   in Loop: Header=BB13_15 Depth=1
	s_or_b64 exec, exec, s[8:9]
	s_or_b64 exec, exec, s[6:7]
	v_mov_b32_e32 v32, 0
	s_and_saveexec_b64 s[6:7], s[14:15]
	s_cbranch_execz .LBB13_48
.LBB13_53:                              ;   in Loop: Header=BB13_15 Depth=1
	global_load_ubyte v32, v[10:11], off
	s_or_b64 exec, exec, s[6:7]
	s_and_saveexec_b64 s[6:7], s[14:15]
	s_cbranch_execz .LBB13_59
.LBB13_54:                              ;   in Loop: Header=BB13_15 Depth=1
	s_and_b32 s5, s80, 0xfe
	s_mov_b64 s[8:9], 0
	v_mov_b32_e32 v30, v22
	v_mov_b32_e32 v31, v17
	s_branch .LBB13_56
.LBB13_55:                              ;   in Loop: Header=BB13_56 Depth=2
	s_or_b64 exec, exec, s[20:21]
	s_waitcnt vmcnt(0)
	v_and_b32_e32 v32, 0xff, v32
	s_and_b64 s[10:11], exec, vcc
	v_and_b32_e32 v34, v26, v32
	v_bfe_u32 v32, v32, s5, 2
	s_or_b64 s[8:9], s[10:11], s[8:9]
	v_cmp_eq_u32_e32 vcc, v34, v27
	v_cmp_eq_u32_e64 s[18:19], 0, v32
	s_and_b64 s[10:11], vcc, s[18:19]
	v_cndmask_b32_e64 v34, 0, 1, s[10:11]
	v_cmp_ne_u32_e64 s[18:19], 0, v34
	s_bcnt1_i32_b64 s10, s[18:19]
	v_cmp_eq_u32_e64 s[18:19], 1, v32
	v_add_u32_e32 v2, s10, v2
	s_and_b64 s[10:11], vcc, s[18:19]
	v_cndmask_b32_e64 v34, 0, 1, s[10:11]
	v_cmp_ne_u32_e64 s[18:19], 0, v34
	s_bcnt1_i32_b64 s10, s[18:19]
	v_cmp_eq_u32_e64 s[18:19], 2, v32
	v_add_u32_e32 v3, s10, v3
	;; [unrolled: 6-line block ×3, first 2 shown]
	s_and_b64 s[10:11], vcc, s[18:19]
	v_cndmask_b32_e64 v32, 0, 1, s[10:11]
	v_cmp_ne_u32_e32 vcc, 0, v32
	s_bcnt1_i32_b64 s10, vcc
	v_add_u32_e32 v5, s10, v5
	v_add_u32_e32 v30, s66, v30
	v_mov_b32_e32 v32, v33
	s_andn2_b64 exec, exec, s[8:9]
	s_cbranch_execz .LBB13_58
.LBB13_56:                              ;   Parent Loop BB13_15 Depth=1
                                        ; =>  This Inner Loop Header: Depth=2
	v_add_u32_e32 v31, s33, v31
	v_cmp_gt_u32_e64 s[18:19], s60, v31
	v_cmp_le_u32_e32 vcc, s60, v31
	v_mov_b32_e32 v33, 0
	s_and_saveexec_b64 s[20:21], s[18:19]
	s_cbranch_execz .LBB13_55
; %bb.57:                               ;   in Loop: Header=BB13_56 Depth=2
	global_load_ubyte v33, v30, s[64:65]
	s_branch .LBB13_55
.LBB13_58:                              ;   in Loop: Header=BB13_15 Depth=1
	s_or_b64 exec, exec, s[8:9]
.LBB13_59:                              ;   in Loop: Header=BB13_15 Depth=1
	s_or_b64 exec, exec, s[6:7]
	s_branch .LBB13_69
.LBB13_60:                              ;   in Loop: Header=BB13_15 Depth=1
	v_readlane_b32 s5, v46, 39
	s_mul_hi_u32 s5, s4, s5
	s_mul_i32 s5, s5, s68
	s_sub_i32 s5, s4, s5
	s_sub_i32 s6, s5, s68
	s_cmp_ge_u32 s5, s68
	s_cselect_b32 s5, s6, s5
	s_sub_i32 s6, s5, s68
	s_cmp_ge_u32 s5, s68
	s_cselect_b32 s5, s6, s5
	s_sub_i32 s5, s4, s5
	v_cmp_gt_u32_e32 vcc, s5, v14
	s_mov_b32 s11, 0
	s_waitcnt vmcnt(0)
	v_mov_b32_e32 v2, 0
	v_mov_b32_e32 v3, 0
	;; [unrolled: 1-line block ×4, first 2 shown]
	s_and_saveexec_b64 s[6:7], vcc
	s_cbranch_execz .LBB13_64
; %bb.61:                               ;   in Loop: Header=BB13_15 Depth=1
	s_and_b32 s10, s80, 0xfe
	s_mov_b64 s[8:9], 0
	s_mov_b32 s62, 0
	s_mov_b32 s63, 0
	;; [unrolled: 1-line block ×3, first 2 shown]
	v_mov_b32_e32 v30, v14
.LBB13_62:                              ;   Parent Loop BB13_15 Depth=1
                                        ; =>  This Inner Loop Header: Depth=2
	ds_read_b32 v2, v30
	v_add_u32_e32 v30, s68, v30
	v_cmp_le_u32_e32 vcc, s5, v30
	s_waitcnt lgkmcnt(0)
	v_and_b32_e32 v4, 0xff, v2
	v_bfe_u32 v5, v2, 8, 8
	v_and_b32_e32 v31, v26, v4
	v_bfe_u32 v4, v4, s10, 2
	v_lshrrev_b32_e32 v3, 24, v2
	v_bfe_u32 v2, v2, 16, 8
	v_and_b32_e32 v32, v26, v5
	v_bfe_u32 v5, v5, s10, 2
	v_cmp_eq_u32_e64 s[18:19], v31, v27
	v_cmp_eq_u32_e64 s[26:27], 0, v4
	v_and_b32_e32 v33, v26, v2
	v_bfe_u32 v2, v2, s10, 2
	v_cmp_eq_u32_e64 s[20:21], v32, v27
	v_cmp_eq_u32_e64 s[28:29], 0, v5
	s_and_b64 s[26:27], s[18:19], s[26:27]
	v_and_b32_e32 v34, v26, v3
	v_bfe_u32 v3, v3, s10, 2
	v_cmp_eq_u32_e64 s[22:23], v33, v27
	v_cmp_eq_u32_e64 s[30:31], 0, v2
	;; [unrolled: 1-line block ×5, first 2 shown]
	v_cndmask_b32_e64 v2, 0, 1, s[26:27]
	s_and_b64 s[26:27], s[20:21], s[28:29]
	v_cmp_eq_u32_e64 s[24:25], v34, v27
	v_cmp_eq_u32_e64 s[34:35], 0, v3
	;; [unrolled: 1-line block ×5, first 2 shown]
	v_cndmask_b32_e64 v3, 0, 1, s[26:27]
	s_and_b64 s[26:27], s[22:23], s[30:31]
	v_cmp_eq_u32_e64 s[36:37], 1, v4
	v_cmp_eq_u32_e64 s[44:45], 2, v4
	;; [unrolled: 1-line block ×3, first 2 shown]
	v_cndmask_b32_e64 v4, 0, 1, s[26:27]
	s_and_b64 s[26:27], s[24:25], s[34:35]
	v_cmp_eq_u32_e64 s[38:39], 1, v5
	v_cmp_eq_u32_e64 s[46:47], 2, v5
	;; [unrolled: 1-line block ×3, first 2 shown]
	v_cndmask_b32_e64 v5, 0, 1, s[26:27]
	s_and_b64 s[26:27], s[18:19], s[36:37]
	v_cndmask_b32_e64 v31, 0, 1, s[26:27]
	s_and_b64 s[26:27], s[20:21], s[38:39]
	;; [unrolled: 2-line block ×5, first 2 shown]
	s_and_b64 s[18:19], s[18:19], s[52:53]
	v_cndmask_b32_e64 v35, 0, 1, s[26:27]
	s_and_b64 s[26:27], s[20:21], s[46:47]
	v_cndmask_b32_e64 v39, 0, 1, s[18:19]
	;; [unrolled: 2-line block ×7, first 2 shown]
	v_cndmask_b32_e64 v42, 0, 1, s[18:19]
	v_cmp_ne_u32_e64 s[18:19], 0, v2
	v_cmp_ne_u32_e64 s[20:21], 0, v3
	;; [unrolled: 1-line block ×11, first 2 shown]
	s_bcnt1_i32_b64 s18, s[18:19]
	s_bcnt1_i32_b64 s19, s[20:21]
	;; [unrolled: 1-line block ×8, first 2 shown]
	v_cmp_ne_u32_e64 s[34:35], 0, v34
	v_cmp_ne_u32_e64 s[40:41], 0, v37
	;; [unrolled: 1-line block ×3, first 2 shown]
	s_bcnt1_i32_b64 s23, s[28:29]
	s_bcnt1_i32_b64 s27, s[38:39]
	s_bcnt1_i32_b64 s31, s[46:47]
	s_add_i32 s18, s75, s18
	s_add_i32 s22, s63, s22
	;; [unrolled: 1-line block ×4, first 2 shown]
	v_cmp_ne_u32_e64 s[42:43], 0, v38
	v_cmp_ne_u32_e64 s[50:51], 0, v42
	s_bcnt1_i32_b64 s25, s[34:35]
	s_bcnt1_i32_b64 s28, s[40:41]
	;; [unrolled: 1-line block ×3, first 2 shown]
	s_add_i32 s18, s18, s19
	s_add_i32 s19, s22, s23
	;; [unrolled: 1-line block ×4, first 2 shown]
	s_bcnt1_i32_b64 s29, s[42:43]
	s_bcnt1_i32_b64 s35, s[50:51]
	s_add_i32 s18, s18, s20
	s_add_i32 s19, s19, s24
	;; [unrolled: 1-line block ×8, first 2 shown]
	s_or_b64 s[8:9], vcc, s[8:9]
	v_mov_b32_e32 v2, s75
	v_mov_b32_e32 v3, s63
	v_mov_b32_e32 v4, s62
	v_mov_b32_e32 v5, s11
	s_andn2_b64 exec, exec, s[8:9]
	s_cbranch_execnz .LBB13_62
; %bb.63:                               ;   in Loop: Header=BB13_15 Depth=1
	s_or_b64 exec, exec, s[8:9]
.LBB13_64:                              ;   in Loop: Header=BB13_15 Depth=1
	s_or_b64 exec, exec, s[6:7]
	v_add_u32_e32 v30, s5, v0
	v_cmp_gt_u32_e32 vcc, s4, v30
	s_and_saveexec_b64 s[6:7], vcc
	s_cbranch_execz .LBB13_68
; %bb.65:                               ;   in Loop: Header=BB13_15 Depth=1
	s_and_b32 s5, s80, 0xfe
	s_mov_b64 s[8:9], 0
.LBB13_66:                              ;   Parent Loop BB13_15 Depth=1
                                        ; =>  This Inner Loop Header: Depth=2
	ds_read_u8 v31, v30
	v_add_u32_e32 v30, s33, v30
	v_cmp_le_u32_e32 vcc, s4, v30
	s_waitcnt lgkmcnt(0)
	v_and_b32_e32 v32, v26, v31
	v_bfe_u32 v31, v31, s5, 2
	v_cmp_eq_u32_e64 s[18:19], v32, v27
	v_cmp_eq_u32_e64 s[20:21], 0, v31
	;; [unrolled: 1-line block ×3, first 2 shown]
	s_and_b64 s[10:11], s[18:19], s[20:21]
	v_cmp_eq_u32_e64 s[24:25], 2, v31
	v_cmp_eq_u32_e64 s[26:27], 3, v31
	v_cndmask_b32_e64 v31, 0, 1, s[10:11]
	s_and_b64 s[10:11], s[18:19], s[22:23]
	v_cndmask_b32_e64 v32, 0, 1, s[10:11]
	s_and_b64 s[10:11], s[18:19], s[24:25]
	;; [unrolled: 2-line block ×3, first 2 shown]
	v_cndmask_b32_e64 v34, 0, 1, s[10:11]
	v_cmp_ne_u32_e64 s[18:19], 0, v31
	v_cmp_ne_u32_e64 s[20:21], 0, v32
	;; [unrolled: 1-line block ×4, first 2 shown]
	s_bcnt1_i32_b64 s10, s[18:19]
	s_bcnt1_i32_b64 s11, s[20:21]
	;; [unrolled: 1-line block ×4, first 2 shown]
	v_add_u32_e32 v2, s10, v2
	v_add_u32_e32 v3, s11, v3
	v_add_u32_e32 v4, s18, v4
	s_or_b64 s[8:9], vcc, s[8:9]
	v_add_u32_e32 v5, s19, v5
	s_andn2_b64 exec, exec, s[8:9]
	s_cbranch_execnz .LBB13_66
; %bb.67:                               ;   in Loop: Header=BB13_15 Depth=1
	s_or_b64 exec, exec, s[8:9]
.LBB13_68:                              ;   in Loop: Header=BB13_15 Depth=1
	s_or_b64 exec, exec, s[6:7]
.LBB13_69:                              ;   in Loop: Header=BB13_15 Depth=1
	s_lshl_b32 s4, s74, 6
	s_and_saveexec_b64 s[6:7], s[0:1]
	s_cbranch_execz .LBB13_71
; %bb.70:                               ;   in Loop: Header=BB13_15 Depth=1
	v_or_b32_e32 v30, s4, v16
	v_lshlrev_b32_e32 v30, 2, v30
	s_waitcnt vmcnt(0)
	ds_write_b128 v30, v[2:5] offset:3072
.LBB13_71:                              ;   in Loop: Header=BB13_15 Depth=1
	s_or_b64 exec, exec, s[6:7]
	s_waitcnt lgkmcnt(0)
	s_barrier
	s_and_saveexec_b64 s[6:7], s[76:77]
	s_cbranch_execz .LBB13_85
; %bb.72:                               ;   in Loop: Header=BB13_15 Depth=1
	v_readlane_b32 s8, v46, 18
	v_readlane_b32 s9, v46, 19
	v_add_u32_e32 v4, s4, v13
	s_andn2_b64 vcc, exec, s[8:9]
	s_waitcnt vmcnt(0)
	v_mov_b32_e32 v2, 0
	s_cbranch_vccnz .LBB13_84
; %bb.73:                               ;   in Loop: Header=BB13_15 Depth=1
	v_readlane_b32 s8, v46, 23
	v_readlane_b32 s9, v46, 24
	s_mov_b32 s5, 0
	s_and_b64 vcc, exec, s[8:9]
	v_mov_b32_e32 v2, 0
	s_cbranch_vccz .LBB13_77
; %bb.74:                               ;   in Loop: Header=BB13_15 Depth=1
	v_readlane_b32 s10, v46, 29
	v_readlane_b32 s8, v46, 5
	;; [unrolled: 1-line block ×3, first 2 shown]
	v_lshl_add_u32 v5, v4, 2, v25
	v_readlane_b32 s9, v46, 6
	s_andn2_b64 vcc, exec, s[10:11]
	s_cbranch_vccnz .LBB13_78
; %bb.75:                               ;   in Loop: Header=BB13_15 Depth=1
	v_writelane_b32 v46, s8, 5
	v_writelane_b32 v46, s9, 6
	s_mov_b32 s9, 1
	s_mov_b32 s8, 0
	v_mov_b32_e32 v2, 0
	v_readlane_b32 s5, v46, 31
	v_mov_b32_e32 v3, 0
.LBB13_76:                              ;   Parent Loop BB13_15 Depth=1
                                        ; =>  This Inner Loop Header: Depth=2
	v_lshl_add_u32 v42, s8, 4, v5
	v_lshl_add_u32 v44, s9, 4, v5
	ds_read2_b32 v[30:31], v42 offset1:8
	ds_read2_b32 v[32:33], v44 offset1:8
	ds_read2_b32 v[34:35], v42 offset0:16 offset1:24
	ds_read2_b32 v[36:37], v44 offset0:16 offset1:24
	;; [unrolled: 1-line block ×6, first 2 shown]
	s_waitcnt lgkmcnt(7)
	v_add3_u32 v2, v30, v2, v31
	s_waitcnt lgkmcnt(6)
	v_add3_u32 v3, v32, v3, v33
	;; [unrolled: 2-line block ×3, first 2 shown]
	v_add3_u32 v2, v34, v2, v35
	s_add_i32 s9, s9, 16
	s_add_i32 s8, s8, 16
	s_add_i32 s5, s5, -8
	s_waitcnt lgkmcnt(3)
	v_add3_u32 v2, v38, v2, v39
	s_waitcnt lgkmcnt(2)
	v_add3_u32 v3, v40, v3, v41
	s_cmp_lg_u32 s5, 0
	s_waitcnt lgkmcnt(0)
	v_add3_u32 v3, v44, v3, v45
	v_add3_u32 v2, v42, v2, v43
	s_cbranch_scc1 .LBB13_76
	s_branch .LBB13_79
.LBB13_77:                              ;   in Loop: Header=BB13_15 Depth=1
	s_cbranch_execnz .LBB13_82
	s_branch .LBB13_84
.LBB13_78:                              ;   in Loop: Header=BB13_15 Depth=1
	s_mov_b32 s10, s8
	s_mov_b32 s9, s8
	v_writelane_b32 v46, s10, 5
	v_pk_mov_b32 v[2:3], s[8:9], s[8:9] op_sel:[0,1]
	s_mov_b32 s9, 1
	v_writelane_b32 v46, s11, 6
.LBB13_79:                              ;   in Loop: Header=BB13_15 Depth=1
	v_readlane_b32 s10, v46, 33
	v_readlane_b32 s11, v46, 34
	s_andn2_b64 vcc, exec, s[10:11]
	v_readlane_b32 s5, v46, 32
	s_cbranch_vccnz .LBB13_81
.LBB13_80:                              ;   Parent Loop BB13_15 Depth=1
                                        ; =>  This Inner Loop Header: Depth=2
	v_lshl_add_u32 v30, s8, 4, v5
	v_lshl_add_u32 v31, s9, 4, v5
	ds_read_b32 v31, v31
	ds_read_b32 v30, v30
	s_add_i32 s9, s9, 2
	s_add_i32 s8, s8, 2
	s_add_i32 s5, s5, -1
	s_cmp_lg_u32 s5, 0
	s_waitcnt lgkmcnt(1)
	v_add_u32_e32 v3, v31, v3
	s_waitcnt lgkmcnt(0)
	v_add_u32_e32 v2, v30, v2
	s_cbranch_scc1 .LBB13_80
.LBB13_81:                              ;   in Loop: Header=BB13_15 Depth=1
	v_readlane_b32 s8, v46, 37
	v_add_u32_e32 v2, v2, v3
	v_readlane_b32 s5, v46, 36
	v_readlane_b32 s9, v46, 38
	s_and_b64 vcc, exec, s[8:9]
	s_cbranch_vccz .LBB13_84
.LBB13_82:                              ;   in Loop: Header=BB13_15 Depth=1
	s_lshl_b32 s8, s74, 8
	s_lshl_b32 s9, s5, 4
	s_add_i32 s8, s8, s9
	v_add_u32_e32 v3, s8, v23
	v_readlane_b32 s8, v46, 35
	s_sub_i32 s5, s8, s5
.LBB13_83:                              ;   Parent Loop BB13_15 Depth=1
                                        ; =>  This Inner Loop Header: Depth=2
	ds_read_b32 v5, v3
	s_add_i32 s5, s5, -1
	v_add_u32_e32 v3, 16, v3
	s_cmp_eq_u32 s5, 0
	s_waitcnt lgkmcnt(0)
	v_add_u32_e32 v2, v5, v2
	s_cbranch_scc0 .LBB13_83
.LBB13_84:                              ;   in Loop: Header=BB13_15 Depth=1
	v_lshlrev_b32_e32 v3, 2, v4
	ds_write_b32 v3, v2 offset:3072
.LBB13_85:                              ;   in Loop: Header=BB13_15 Depth=1
	s_or_b64 exec, exec, s[6:7]
	s_lshl_b32 s4, s4, 2
	s_waitcnt vmcnt(0)
	v_mov_b32_e32 v2, s4
	s_waitcnt lgkmcnt(0)
	s_barrier
	ds_read_b128 v[2:5], v2 offset:3072
	s_and_b32 s63, s80, 0xfe
	v_readlane_b32 s6, v46, 14
	s_lshl_b32 s10, 3, s63
	v_readlane_b32 s7, v46, 15
	s_waitcnt lgkmcnt(0)
	v_readfirstlane_b32 s75, v2
	v_readfirstlane_b32 s62, v3
	v_readfirstlane_b32 s4, v4
	v_readfirstlane_b32 s5, v5
	s_not_b32 s11, s10
	s_andn2_b64 vcc, exec, s[6:7]
	v_cmp_eq_u32_e64 s[18:19], 1, v29
	s_cbranch_vccnz .LBB13_97
; %bb.86:                               ;   in Loop: Header=BB13_15 Depth=1
	s_cmp_eq_u32 s75, 1
	s_cselect_b64 s[6:7], -1, 0
	s_and_b64 s[36:37], s[6:7], s[18:19]
	s_mov_b64 s[8:9], -1
	v_mov_b32_e32 v2, v27
	v_mov_b32_e32 v3, v26
	;; [unrolled: 1-line block ×3, first 2 shown]
                                        ; implicit-def: $sgpr22_sgpr23
                                        ; implicit-def: $sgpr28_sgpr29
                                        ; implicit-def: $sgpr26_sgpr27
	s_and_saveexec_b64 s[6:7], s[36:37]
	s_cbranch_execz .LBB13_112
; %bb.87:                               ;   in Loop: Header=BB13_15 Depth=1
	ds_read_b32 v2, v24 offset:4096
	s_waitcnt lgkmcnt(0)
	s_barrier
	v_readfirstlane_b32 s26, v2
	s_mov_b64 s[8:9], exec
	v_readlane_b32 s20, v46, 27
	v_readlane_b32 s21, v46, 28
	s_and_b64 s[20:21], s[8:9], s[20:21]
	s_mov_b64 exec, s[20:21]
	s_cbranch_execz .LBB13_89
; %bb.88:                               ;   in Loop: Header=BB13_15 Depth=1
	ds_write_b8 v0, v1 offset:3072
.LBB13_89:                              ;   in Loop: Header=BB13_15 Depth=1
	s_or_b64 exec, exec, s[8:9]
	v_and_b32_e32 v2, s11, v27
	v_or_b32_e32 v3, s10, v26
	s_cmp_eq_u32 s26, 0
	s_waitcnt lgkmcnt(0)
	s_barrier
	s_cbranch_scc1 .LBB13_99
; %bb.90:                               ;   in Loop: Header=BB13_15 Depth=1
	v_readlane_b32 s8, v46, 20
	s_add_i32 s8, s26, s8
	v_readlane_b32 s9, v46, 42
	s_mul_hi_u32 s9, s8, s9
	s_mul_i32 s9, s9, s33
	s_sub_i32 s9, s8, s9
	s_sub_i32 s20, s9, s33
	s_cmp_ge_u32 s9, s33
	s_cselect_b32 s9, s20, s9
	s_sub_i32 s20, s9, s33
	s_cmp_ge_u32 s9, s33
	s_cselect_b32 s9, s20, s9
	s_sub_i32 s27, s8, s9
	v_cmp_gt_u32_e32 vcc, s27, v0
	s_mov_b64 s[8:9], 0
                                        ; implicit-def: $vgpr4
	s_and_saveexec_b64 s[20:21], vcc
	s_cbranch_execz .LBB13_101
; %bb.91:                               ;   in Loop: Header=BB13_15 Depth=1
	v_mov_b32_e32 v4, v0
                                        ; implicit-def: $sgpr22_sgpr23
	s_branch .LBB13_93
.LBB13_92:                              ;   in Loop: Header=BB13_93 Depth=2
	s_or_b64 exec, exec, s[24:25]
	s_waitcnt lgkmcnt(0)
	s_barrier
	ds_read_u16 v5, v24 offset:3072
	v_add_u32_e32 v4, s33, v4
	v_cmp_le_u32_e32 vcc, s27, v4
	s_waitcnt lgkmcnt(0)
	s_barrier
	v_cmp_ne_u16_sdwa s[24:25], v5, v1 src0_sel:BYTE_0 src1_sel:DWORD
	s_or_b64 s[28:29], vcc, s[24:25]
	s_and_b64 s[28:29], exec, s[28:29]
	s_or_b64 s[8:9], s[28:29], s[8:9]
	s_andn2_b64 s[22:23], s[22:23], exec
	s_and_b64 s[24:25], s[24:25], exec
	s_or_b64 s[22:23], s[22:23], s[24:25]
	s_andn2_b64 exec, exec, s[8:9]
	s_cbranch_execz .LBB13_100
.LBB13_93:                              ;   Parent Loop BB13_15 Depth=1
                                        ; =>  This Inner Loop Header: Depth=2
	v_cmp_gt_u32_e32 vcc, s26, v4
	v_mov_b32_e32 v5, 0
	s_and_saveexec_b64 s[24:25], vcc
	s_cbranch_execz .LBB13_95
; %bb.94:                               ;   in Loop: Header=BB13_93 Depth=2
	ds_read_u8 v5, v4
.LBB13_95:                              ;   in Loop: Header=BB13_93 Depth=2
	s_or_b64 exec, exec, s[24:25]
	s_waitcnt lgkmcnt(0)
	v_and_b32_e32 v30, v5, v3
	v_cmp_eq_u32_sdwa s[24:25], v30, v2 src0_sel:BYTE_0 src1_sel:DWORD
	s_and_b64 s[28:29], vcc, s[24:25]
	s_and_saveexec_b64 s[24:25], s[28:29]
	s_cbranch_execz .LBB13_92
; %bb.96:                               ;   in Loop: Header=BB13_93 Depth=2
	v_lshlrev_b16_e32 v5, 8, v5
	v_or_b32_e32 v5, 1, v5
	ds_write_b16 v24, v5 offset:3072
	s_branch .LBB13_92
.LBB13_97:                              ;   in Loop: Header=BB13_15 Depth=1
	s_mov_b64 s[24:25], 0
	s_mov_b64 s[20:21], 0
                                        ; implicit-def: $sgpr26_sgpr27
                                        ; implicit-def: $sgpr28_sgpr29
                                        ; implicit-def: $sgpr22_sgpr23
                                        ; implicit-def: $vgpr30
                                        ; implicit-def: $vgpr5
                                        ; implicit-def: $vgpr2
                                        ; implicit-def: $vgpr3
                                        ; implicit-def: $vgpr4
	s_cbranch_execnz .LBB13_242
.LBB13_98:                              ;   in Loop: Header=BB13_15 Depth=1
	s_mov_b64 s[30:31], s[22:23]
	s_mov_b64 s[34:35], s[22:23]
	s_and_saveexec_b64 s[6:7], s[24:25]
	s_cbranch_execnz .LBB13_396
	s_branch .LBB13_397
.LBB13_99:                              ;   in Loop: Header=BB13_15 Depth=1
	s_mov_b64 s[22:23], -1
	s_mov_b64 s[8:9], 0
                                        ; implicit-def: $sgpr26_sgpr27
                                        ; implicit-def: $vgpr4
	s_mov_b64 s[28:29], s[22:23]
	s_cbranch_execnz .LBB13_102
	s_branch .LBB13_111
.LBB13_100:                             ;   in Loop: Header=BB13_15 Depth=1
	s_or_b64 exec, exec, s[8:9]
	v_lshrrev_b16_e32 v4, 8, v5
	s_and_b64 s[8:9], s[22:23], exec
.LBB13_101:                             ;   in Loop: Header=BB13_15 Depth=1
	s_or_b64 exec, exec, s[20:21]
	s_mov_b64 s[26:27], -1
	s_mov_b64 s[22:23], 0
	s_mov_b64 s[28:29], s[22:23]
	s_branch .LBB13_111
.LBB13_102:                             ;   in Loop: Header=BB13_15 Depth=1
	s_mov_b64 s[8:9], 0
                                        ; implicit-def: $vgpr4
	s_mov_b64 s[20:21], exec
	v_readlane_b32 s22, v46, 43
	v_readlane_b32 s23, v46, 44
	s_and_b64 s[22:23], s[20:21], s[22:23]
	s_mov_b64 exec, s[22:23]
	s_cbranch_execz .LBB13_110
; %bb.103:                              ;   in Loop: Header=BB13_15 Depth=1
	v_mov_b32_e32 v4, v15
	v_mov_b32_e32 v5, v0
                                        ; implicit-def: $sgpr22_sgpr23
	s_branch .LBB13_105
.LBB13_104:                             ;   in Loop: Header=BB13_105 Depth=2
	s_or_b64 exec, exec, s[24:25]
	s_waitcnt lgkmcnt(0)
	s_barrier
	ds_read_u16 v30, v24 offset:3072
	v_add_u32_e32 v5, s33, v5
	v_cmp_le_u32_e32 vcc, s12, v5
	v_add_u32_e32 v4, s66, v4
	s_waitcnt lgkmcnt(0)
	v_cmp_ne_u16_sdwa s[24:25], v30, v1 src0_sel:BYTE_0 src1_sel:DWORD
	s_or_b64 s[26:27], vcc, s[24:25]
	s_and_b64 s[26:27], exec, s[26:27]
	s_or_b64 s[8:9], s[26:27], s[8:9]
	s_andn2_b64 s[22:23], s[22:23], exec
	s_and_b64 s[24:25], s[24:25], exec
	s_or_b64 s[22:23], s[22:23], s[24:25]
	s_barrier
	s_andn2_b64 exec, exec, s[8:9]
	s_cbranch_execz .LBB13_109
.LBB13_105:                             ;   Parent Loop BB13_15 Depth=1
                                        ; =>  This Inner Loop Header: Depth=2
	v_cmp_gt_u32_e32 vcc, s60, v5
	v_mov_b32_e32 v30, 0
	s_and_saveexec_b64 s[24:25], vcc
	s_cbranch_execz .LBB13_107
; %bb.106:                              ;   in Loop: Header=BB13_105 Depth=2
	global_load_ubyte v30, v4, s[64:65]
.LBB13_107:                             ;   in Loop: Header=BB13_105 Depth=2
	s_or_b64 exec, exec, s[24:25]
	s_waitcnt vmcnt(0)
	v_and_b32_e32 v31, v30, v3
	v_cmp_eq_u32_sdwa s[24:25], v31, v2 src0_sel:BYTE_0 src1_sel:DWORD
	s_and_b64 s[26:27], vcc, s[24:25]
	s_and_saveexec_b64 s[24:25], s[26:27]
	s_cbranch_execz .LBB13_104
; %bb.108:                              ;   in Loop: Header=BB13_105 Depth=2
	v_lshlrev_b16_e32 v30, 8, v30
	v_or_b32_e32 v30, 1, v30
	ds_write_b16 v24, v30 offset:3072
	s_branch .LBB13_104
.LBB13_109:                             ;   in Loop: Header=BB13_15 Depth=1
	s_or_b64 exec, exec, s[8:9]
	v_lshrrev_b16_e32 v4, 8, v30
	s_and_b64 s[8:9], s[22:23], exec
.LBB13_110:                             ;   in Loop: Header=BB13_15 Depth=1
	s_or_b64 exec, exec, s[20:21]
	s_mov_b64 s[28:29], -1
	s_mov_b64 s[22:23], 0
	s_mov_b64 s[26:27], 0
.LBB13_111:                             ;   in Loop: Header=BB13_15 Depth=1
	s_orn2_b64 s[8:9], s[8:9], exec
.LBB13_112:                             ;   in Loop: Header=BB13_15 Depth=1
	s_or_b64 exec, exec, s[6:7]
	s_mov_b64 s[30:31], 0
	s_mov_b64 s[24:25], 0
	;; [unrolled: 1-line block ×3, first 2 shown]
                                        ; implicit-def: $vgpr30
                                        ; implicit-def: $vgpr5
	s_and_saveexec_b64 s[34:35], s[8:9]
	s_cbranch_execz .LBB13_241
; %bb.113:                              ;   in Loop: Header=BB13_15 Depth=1
	s_xor_b64 s[8:9], s[36:37], -1
	v_mov_b32_e32 v5, 1
	v_mov_b32_e32 v30, 1
	s_and_saveexec_b64 s[6:7], s[8:9]
	s_cbranch_execz .LBB13_123
; %bb.114:                              ;   in Loop: Header=BB13_15 Depth=1
	v_cmp_ge_u32_e32 vcc, s75, v29
                                        ; implicit-def: $sgpr24
                                        ; implicit-def: $sgpr8_sgpr9
	s_and_saveexec_b64 s[20:21], vcc
	s_xor_b64 s[20:21], exec, s[20:21]
	s_cbranch_execz .LBB13_120
; %bb.115:                              ;   in Loop: Header=BB13_15 Depth=1
	ds_read_b32 v5, v24 offset:4096
	s_waitcnt lgkmcnt(0)
	v_cmp_ne_u32_e32 vcc, 0, v5
	s_cbranch_vccnz .LBB13_119
; %bb.116:                              ;   in Loop: Header=BB13_15 Depth=1
	s_mov_b64 s[8:9], exec
	v_readlane_b32 s24, v46, 7
	v_readlane_b32 s25, v46, 8
	s_and_b64 s[24:25], s[8:9], s[24:25]
	s_mov_b64 exec, s[24:25]
	s_cbranch_execz .LBB13_118
; %bb.117:                              ;   in Loop: Header=BB13_15 Depth=1
	v_mov_b32_e32 v5, s75
	ds_write_b32 v24, v5 offset:4100
.LBB13_118:                             ;   in Loop: Header=BB13_15 Depth=1
	s_or_b64 exec, exec, s[8:9]
	s_waitcnt lgkmcnt(0)
	s_barrier
.LBB13_119:                             ;   in Loop: Header=BB13_15 Depth=1
	v_and_b32_e32 v2, s11, v2
	v_or_b32_e32 v3, s10, v3
	s_mov_b64 s[8:9], 0
	s_mov_b32 s24, 8
.LBB13_120:                             ;   in Loop: Header=BB13_15 Depth=1
	s_or_saveexec_b64 s[20:21], s[20:21]
	v_mov_b32_e32 v30, s24
	v_mov_b32_e32 v5, v29
	s_xor_b64 exec, exec, s[20:21]
; %bb.121:                              ;   in Loop: Header=BB13_15 Depth=1
	v_subrev_u32_e32 v5, s75, v29
	v_mov_b32_e32 v30, 0
	s_or_b64 s[8:9], s[8:9], exec
; %bb.122:                              ;   in Loop: Header=BB13_15 Depth=1
	s_or_b64 exec, exec, s[20:21]
	s_and_b64 s[20:21], s[8:9], exec
.LBB13_123:                             ;   in Loop: Header=BB13_15 Depth=1
	s_or_b64 exec, exec, s[6:7]
	s_mov_b64 s[38:39], -1
                                        ; implicit-def: $sgpr6_sgpr7
                                        ; implicit-def: $sgpr8_sgpr9
                                        ; implicit-def: $sgpr24_sgpr25
	s_and_saveexec_b64 s[36:37], s[20:21]
	s_xor_b64 s[20:21], exec, s[36:37]
	s_cbranch_execz .LBB13_238
; %bb.124:                              ;   in Loop: Header=BB13_15 Depth=1
	s_cmp_eq_u32 s62, 1
	s_cselect_b64 s[6:7], -1, 0
	v_cmp_eq_u32_e32 vcc, 1, v5
	s_and_b64 s[42:43], s[6:7], vcc
	s_mov_b64 s[8:9], -1
                                        ; implicit-def: $sgpr24_sgpr25
                                        ; implicit-def: $sgpr38_sgpr39
                                        ; implicit-def: $sgpr36_sgpr37
	s_and_saveexec_b64 s[6:7], s[42:43]
	s_cbranch_execz .LBB13_148
; %bb.125:                              ;   in Loop: Header=BB13_15 Depth=1
	ds_read_b32 v4, v24 offset:4096
	s_waitcnt lgkmcnt(0)
	s_barrier
	v_readfirstlane_b32 s40, v4
	s_mov_b64 s[8:9], exec
	v_readlane_b32 s24, v46, 27
	v_readlane_b32 s25, v46, 28
	s_and_b64 s[24:25], s[8:9], s[24:25]
	s_mov_b64 exec, s[24:25]
	s_cbranch_execz .LBB13_127
; %bb.126:                              ;   in Loop: Header=BB13_15 Depth=1
	ds_write_b8 v0, v1 offset:3072
.LBB13_127:                             ;   in Loop: Header=BB13_15 Depth=1
	s_or_b64 exec, exec, s[8:9]
	v_and_b32_e32 v2, s11, v2
	v_lshl_or_b32 v2, 1, s63, v2
	v_or_b32_e32 v3, s10, v3
	s_cmp_eq_u32 s40, 0
	s_waitcnt lgkmcnt(0)
	s_barrier
	s_cbranch_scc1 .LBB13_135
; %bb.128:                              ;   in Loop: Header=BB13_15 Depth=1
	v_readlane_b32 s8, v46, 20
	s_add_i32 s8, s40, s8
	v_readlane_b32 s9, v46, 42
	s_mul_hi_u32 s9, s8, s9
	s_mul_i32 s9, s9, s33
	s_sub_i32 s9, s8, s9
	s_sub_i32 s24, s9, s33
	s_cmp_ge_u32 s9, s33
	s_cselect_b32 s9, s24, s9
	s_sub_i32 s24, s9, s33
	s_cmp_ge_u32 s9, s33
	s_cselect_b32 s9, s24, s9
	s_sub_i32 s41, s8, s9
	v_cmp_gt_u32_e32 vcc, s41, v0
	s_mov_b64 s[8:9], 0
                                        ; implicit-def: $vgpr4
	s_and_saveexec_b64 s[24:25], vcc
	s_cbranch_execz .LBB13_137
; %bb.129:                              ;   in Loop: Header=BB13_15 Depth=1
	v_mov_b32_e32 v4, v0
                                        ; implicit-def: $sgpr36_sgpr37
	s_branch .LBB13_131
.LBB13_130:                             ;   in Loop: Header=BB13_131 Depth=2
	s_or_b64 exec, exec, s[38:39]
	s_waitcnt lgkmcnt(0)
	s_barrier
	ds_read_u16 v30, v24 offset:3072
	v_add_u32_e32 v4, s33, v4
	v_cmp_le_u32_e32 vcc, s41, v4
	s_waitcnt lgkmcnt(0)
	s_barrier
	v_cmp_ne_u16_sdwa s[38:39], v30, v1 src0_sel:BYTE_0 src1_sel:DWORD
	s_or_b64 s[44:45], vcc, s[38:39]
	s_and_b64 s[44:45], exec, s[44:45]
	s_or_b64 s[8:9], s[44:45], s[8:9]
	s_andn2_b64 s[36:37], s[36:37], exec
	s_and_b64 s[38:39], s[38:39], exec
	s_or_b64 s[36:37], s[36:37], s[38:39]
	s_andn2_b64 exec, exec, s[8:9]
	s_cbranch_execz .LBB13_136
.LBB13_131:                             ;   Parent Loop BB13_15 Depth=1
                                        ; =>  This Inner Loop Header: Depth=2
	v_cmp_gt_u32_e32 vcc, s40, v4
	v_mov_b32_e32 v30, 0
	s_and_saveexec_b64 s[38:39], vcc
	s_cbranch_execz .LBB13_133
; %bb.132:                              ;   in Loop: Header=BB13_131 Depth=2
	ds_read_u8 v30, v4
.LBB13_133:                             ;   in Loop: Header=BB13_131 Depth=2
	s_or_b64 exec, exec, s[38:39]
	s_waitcnt lgkmcnt(0)
	v_and_b32_e32 v31, v30, v3
	v_cmp_eq_u32_sdwa s[38:39], v31, v2 src0_sel:BYTE_0 src1_sel:DWORD
	s_and_b64 s[44:45], vcc, s[38:39]
	s_and_saveexec_b64 s[38:39], s[44:45]
	s_cbranch_execz .LBB13_130
; %bb.134:                              ;   in Loop: Header=BB13_131 Depth=2
	v_lshlrev_b16_e32 v30, 8, v30
	v_or_b32_e32 v30, 1, v30
	ds_write_b16 v24, v30 offset:3072
	s_branch .LBB13_130
.LBB13_135:                             ;   in Loop: Header=BB13_15 Depth=1
	s_mov_b64 s[24:25], -1
	s_mov_b64 s[8:9], 0
                                        ; implicit-def: $sgpr36_sgpr37
                                        ; implicit-def: $vgpr4
	s_mov_b64 s[38:39], s[24:25]
	s_cbranch_execnz .LBB13_138
	s_branch .LBB13_147
.LBB13_136:                             ;   in Loop: Header=BB13_15 Depth=1
	s_or_b64 exec, exec, s[8:9]
	v_lshrrev_b16_e32 v4, 8, v30
	s_and_b64 s[8:9], s[36:37], exec
.LBB13_137:                             ;   in Loop: Header=BB13_15 Depth=1
	s_or_b64 exec, exec, s[24:25]
	s_mov_b64 s[36:37], -1
	s_mov_b64 s[24:25], 0
	s_mov_b64 s[38:39], s[24:25]
	s_branch .LBB13_147
.LBB13_138:                             ;   in Loop: Header=BB13_15 Depth=1
	s_mov_b64 s[8:9], 0
                                        ; implicit-def: $vgpr4
	s_mov_b64 s[24:25], exec
	v_readlane_b32 s36, v46, 43
	v_readlane_b32 s37, v46, 44
	s_and_b64 s[36:37], s[24:25], s[36:37]
	s_mov_b64 exec, s[36:37]
	s_cbranch_execz .LBB13_146
; %bb.139:                              ;   in Loop: Header=BB13_15 Depth=1
	v_mov_b32_e32 v4, v15
	v_mov_b32_e32 v30, v0
                                        ; implicit-def: $sgpr36_sgpr37
	s_branch .LBB13_141
.LBB13_140:                             ;   in Loop: Header=BB13_141 Depth=2
	s_or_b64 exec, exec, s[38:39]
	s_waitcnt lgkmcnt(0)
	s_barrier
	ds_read_u16 v31, v24 offset:3072
	v_add_u32_e32 v30, s33, v30
	v_cmp_le_u32_e32 vcc, s12, v30
	v_add_u32_e32 v4, s66, v4
	s_waitcnt lgkmcnt(0)
	v_cmp_ne_u16_sdwa s[38:39], v31, v1 src0_sel:BYTE_0 src1_sel:DWORD
	s_or_b64 s[40:41], vcc, s[38:39]
	s_and_b64 s[40:41], exec, s[40:41]
	s_or_b64 s[8:9], s[40:41], s[8:9]
	s_andn2_b64 s[36:37], s[36:37], exec
	s_and_b64 s[38:39], s[38:39], exec
	s_or_b64 s[36:37], s[36:37], s[38:39]
	s_barrier
	s_andn2_b64 exec, exec, s[8:9]
	s_cbranch_execz .LBB13_145
.LBB13_141:                             ;   Parent Loop BB13_15 Depth=1
                                        ; =>  This Inner Loop Header: Depth=2
	v_cmp_gt_u32_e32 vcc, s60, v30
	v_mov_b32_e32 v31, 0
	s_and_saveexec_b64 s[38:39], vcc
	s_cbranch_execz .LBB13_143
; %bb.142:                              ;   in Loop: Header=BB13_141 Depth=2
	global_load_ubyte v31, v4, s[64:65]
.LBB13_143:                             ;   in Loop: Header=BB13_141 Depth=2
	s_or_b64 exec, exec, s[38:39]
	s_waitcnt vmcnt(0)
	v_and_b32_e32 v32, v31, v3
	v_cmp_eq_u32_sdwa s[38:39], v32, v2 src0_sel:BYTE_0 src1_sel:DWORD
	s_and_b64 s[40:41], vcc, s[38:39]
	s_and_saveexec_b64 s[38:39], s[40:41]
	s_cbranch_execz .LBB13_140
; %bb.144:                              ;   in Loop: Header=BB13_141 Depth=2
	v_lshlrev_b16_e32 v31, 8, v31
	v_or_b32_e32 v31, 1, v31
	ds_write_b16 v24, v31 offset:3072
	s_branch .LBB13_140
.LBB13_145:                             ;   in Loop: Header=BB13_15 Depth=1
	s_or_b64 exec, exec, s[8:9]
	v_lshrrev_b16_e32 v4, 8, v31
	s_and_b64 s[8:9], s[36:37], exec
.LBB13_146:                             ;   in Loop: Header=BB13_15 Depth=1
	s_or_b64 exec, exec, s[24:25]
	s_mov_b64 s[38:39], -1
	s_mov_b64 s[24:25], 0
	s_mov_b64 s[36:37], 0
.LBB13_147:                             ;   in Loop: Header=BB13_15 Depth=1
	s_orn2_b64 s[8:9], s[8:9], exec
.LBB13_148:                             ;   in Loop: Header=BB13_15 Depth=1
	s_or_b64 exec, exec, s[6:7]
	s_mov_b64 s[44:45], 0
                                        ; implicit-def: $vgpr30
	s_and_saveexec_b64 s[40:41], s[8:9]
	s_cbranch_execz .LBB13_237
; %bb.149:                              ;   in Loop: Header=BB13_15 Depth=1
	s_xor_b64 s[8:9], s[42:43], -1
	s_mov_b64 s[46:47], 0
	v_mov_b32_e32 v31, 1
	v_mov_b32_e32 v30, 1
	s_and_saveexec_b64 s[6:7], s[8:9]
	s_cbranch_execz .LBB13_159
; %bb.150:                              ;   in Loop: Header=BB13_15 Depth=1
	v_cmp_ge_u32_e32 vcc, s62, v5
                                        ; implicit-def: $sgpr44
                                        ; implicit-def: $sgpr8_sgpr9
	s_and_saveexec_b64 s[42:43], vcc
	s_xor_b64 s[42:43], exec, s[42:43]
	s_cbranch_execz .LBB13_156
; %bb.151:                              ;   in Loop: Header=BB13_15 Depth=1
	ds_read_b32 v30, v24 offset:4096
	s_waitcnt lgkmcnt(0)
	v_cmp_ne_u32_e32 vcc, 0, v30
	s_cbranch_vccnz .LBB13_155
; %bb.152:                              ;   in Loop: Header=BB13_15 Depth=1
	s_mov_b64 s[8:9], exec
	v_readlane_b32 s44, v46, 7
	v_readlane_b32 s45, v46, 8
	s_and_b64 s[44:45], s[8:9], s[44:45]
	s_mov_b64 exec, s[44:45]
	s_cbranch_execz .LBB13_154
; %bb.153:                              ;   in Loop: Header=BB13_15 Depth=1
	v_mov_b32_e32 v30, s62
	ds_write_b32 v24, v30 offset:4100
.LBB13_154:                             ;   in Loop: Header=BB13_15 Depth=1
	s_or_b64 exec, exec, s[8:9]
	s_waitcnt lgkmcnt(0)
	s_barrier
.LBB13_155:                             ;   in Loop: Header=BB13_15 Depth=1
	v_and_b32_e32 v2, s11, v2
	v_lshl_or_b32 v2, 1, s63, v2
	v_or_b32_e32 v3, s10, v3
	s_mov_b64 s[8:9], 0
	s_mov_b32 s44, 8
.LBB13_156:                             ;   in Loop: Header=BB13_15 Depth=1
	s_or_saveexec_b64 s[42:43], s[42:43]
	v_mov_b32_e32 v30, s44
	s_xor_b64 exec, exec, s[42:43]
; %bb.157:                              ;   in Loop: Header=BB13_15 Depth=1
	v_subrev_u32_e32 v5, s62, v5
	v_mov_b32_e32 v30, 0
	s_or_b64 s[8:9], s[8:9], exec
; %bb.158:                              ;   in Loop: Header=BB13_15 Depth=1
	s_or_b64 exec, exec, s[42:43]
	s_and_b64 s[46:47], s[8:9], exec
	v_mov_b32_e32 v31, v5
.LBB13_159:                             ;   in Loop: Header=BB13_15 Depth=1
	s_or_b64 exec, exec, s[6:7]
	s_mov_b64 s[6:7], -1
                                        ; implicit-def: $sgpr8_sgpr9
                                        ; implicit-def: $sgpr44_sgpr45
                                        ; implicit-def: $sgpr50_sgpr51
	s_and_saveexec_b64 s[42:43], s[46:47]
	s_cbranch_execz .LBB13_236
; %bb.160:                              ;   in Loop: Header=BB13_15 Depth=1
	s_cmp_eq_u32 s4, 1
	s_cselect_b64 s[6:7], -1, 0
	v_cmp_eq_u32_e32 vcc, 1, v31
	s_and_b64 s[52:53], s[6:7], vcc
	s_mov_b64 s[8:9], -1
                                        ; implicit-def: $sgpr44_sgpr45
                                        ; implicit-def: $sgpr48_sgpr49
                                        ; implicit-def: $sgpr46_sgpr47
	s_and_saveexec_b64 s[6:7], s[52:53]
	s_cbranch_execz .LBB13_184
; %bb.161:                              ;   in Loop: Header=BB13_15 Depth=1
	ds_read_b32 v4, v24 offset:4096
	s_waitcnt lgkmcnt(0)
	s_barrier
	v_readfirstlane_b32 s50, v4
	s_mov_b64 s[8:9], exec
	v_readlane_b32 s44, v46, 27
	v_readlane_b32 s45, v46, 28
	s_and_b64 s[44:45], s[8:9], s[44:45]
	s_mov_b64 exec, s[44:45]
	s_cbranch_execz .LBB13_163
; %bb.162:                              ;   in Loop: Header=BB13_15 Depth=1
	ds_write_b8 v0, v1 offset:3072
.LBB13_163:                             ;   in Loop: Header=BB13_15 Depth=1
	s_or_b64 exec, exec, s[8:9]
	v_and_b32_e32 v2, s11, v2
	v_lshl_or_b32 v2, 2, s63, v2
	v_or_b32_e32 v3, s10, v3
	s_cmp_eq_u32 s50, 0
	s_waitcnt lgkmcnt(0)
	s_barrier
	s_cbranch_scc1 .LBB13_171
; %bb.164:                              ;   in Loop: Header=BB13_15 Depth=1
	v_readlane_b32 s8, v46, 20
	s_add_i32 s8, s50, s8
	v_readlane_b32 s9, v46, 42
	s_mul_hi_u32 s9, s8, s9
	s_mul_i32 s9, s9, s33
	s_sub_i32 s9, s8, s9
	s_sub_i32 s44, s9, s33
	s_cmp_ge_u32 s9, s33
	s_cselect_b32 s9, s44, s9
	s_sub_i32 s44, s9, s33
	s_cmp_ge_u32 s9, s33
	s_cselect_b32 s9, s44, s9
	s_sub_i32 s51, s8, s9
	v_cmp_gt_u32_e32 vcc, s51, v0
	s_mov_b64 s[8:9], 0
                                        ; implicit-def: $vgpr4
	s_and_saveexec_b64 s[44:45], vcc
	s_cbranch_execz .LBB13_173
; %bb.165:                              ;   in Loop: Header=BB13_15 Depth=1
	v_mov_b32_e32 v4, v0
                                        ; implicit-def: $sgpr46_sgpr47
	s_branch .LBB13_167
.LBB13_166:                             ;   in Loop: Header=BB13_167 Depth=2
	s_or_b64 exec, exec, s[48:49]
	s_waitcnt lgkmcnt(0)
	s_barrier
	ds_read_u16 v5, v24 offset:3072
	v_add_u32_e32 v4, s33, v4
	v_cmp_le_u32_e32 vcc, s51, v4
	s_waitcnt lgkmcnt(0)
	s_barrier
	v_cmp_ne_u16_sdwa s[48:49], v5, v1 src0_sel:BYTE_0 src1_sel:DWORD
	s_or_b64 s[54:55], vcc, s[48:49]
	s_and_b64 s[54:55], exec, s[54:55]
	s_or_b64 s[8:9], s[54:55], s[8:9]
	s_andn2_b64 s[46:47], s[46:47], exec
	s_and_b64 s[48:49], s[48:49], exec
	s_or_b64 s[46:47], s[46:47], s[48:49]
	s_andn2_b64 exec, exec, s[8:9]
	s_cbranch_execz .LBB13_172
.LBB13_167:                             ;   Parent Loop BB13_15 Depth=1
                                        ; =>  This Inner Loop Header: Depth=2
	v_cmp_gt_u32_e32 vcc, s50, v4
	v_mov_b32_e32 v5, 0
	s_and_saveexec_b64 s[48:49], vcc
	s_cbranch_execz .LBB13_169
; %bb.168:                              ;   in Loop: Header=BB13_167 Depth=2
	ds_read_u8 v5, v4
.LBB13_169:                             ;   in Loop: Header=BB13_167 Depth=2
	s_or_b64 exec, exec, s[48:49]
	s_waitcnt lgkmcnt(0)
	v_and_b32_e32 v30, v5, v3
	v_cmp_eq_u32_sdwa s[48:49], v30, v2 src0_sel:BYTE_0 src1_sel:DWORD
	s_and_b64 s[54:55], vcc, s[48:49]
	s_and_saveexec_b64 s[48:49], s[54:55]
	s_cbranch_execz .LBB13_166
; %bb.170:                              ;   in Loop: Header=BB13_167 Depth=2
	v_lshlrev_b16_e32 v5, 8, v5
	v_or_b32_e32 v5, 1, v5
	ds_write_b16 v24, v5 offset:3072
	s_branch .LBB13_166
.LBB13_171:                             ;   in Loop: Header=BB13_15 Depth=1
	s_mov_b64 s[44:45], -1
	s_mov_b64 s[8:9], 0
                                        ; implicit-def: $sgpr46_sgpr47
                                        ; implicit-def: $vgpr4
	s_mov_b64 s[48:49], s[44:45]
	s_cbranch_execnz .LBB13_174
	s_branch .LBB13_183
.LBB13_172:                             ;   in Loop: Header=BB13_15 Depth=1
	s_or_b64 exec, exec, s[8:9]
	v_lshrrev_b16_e32 v4, 8, v5
	s_and_b64 s[8:9], s[46:47], exec
.LBB13_173:                             ;   in Loop: Header=BB13_15 Depth=1
	s_or_b64 exec, exec, s[44:45]
	s_mov_b64 s[46:47], -1
	s_mov_b64 s[44:45], 0
	s_mov_b64 s[48:49], s[44:45]
	s_branch .LBB13_183
.LBB13_174:                             ;   in Loop: Header=BB13_15 Depth=1
	s_mov_b64 s[8:9], 0
                                        ; implicit-def: $vgpr4
	s_mov_b64 s[44:45], exec
	v_readlane_b32 s46, v46, 43
	v_readlane_b32 s47, v46, 44
	s_and_b64 s[46:47], s[44:45], s[46:47]
	s_mov_b64 exec, s[46:47]
	s_cbranch_execz .LBB13_182
; %bb.175:                              ;   in Loop: Header=BB13_15 Depth=1
	v_mov_b32_e32 v4, v15
	v_mov_b32_e32 v5, v0
                                        ; implicit-def: $sgpr46_sgpr47
	s_branch .LBB13_177
.LBB13_176:                             ;   in Loop: Header=BB13_177 Depth=2
	s_or_b64 exec, exec, s[48:49]
	s_waitcnt lgkmcnt(0)
	s_barrier
	ds_read_u16 v30, v24 offset:3072
	v_add_u32_e32 v5, s33, v5
	v_cmp_le_u32_e32 vcc, s12, v5
	v_add_u32_e32 v4, s66, v4
	s_waitcnt lgkmcnt(0)
	v_cmp_ne_u16_sdwa s[48:49], v30, v1 src0_sel:BYTE_0 src1_sel:DWORD
	s_or_b64 s[50:51], vcc, s[48:49]
	s_and_b64 s[50:51], exec, s[50:51]
	s_or_b64 s[8:9], s[50:51], s[8:9]
	s_andn2_b64 s[46:47], s[46:47], exec
	s_and_b64 s[48:49], s[48:49], exec
	s_or_b64 s[46:47], s[46:47], s[48:49]
	s_barrier
	s_andn2_b64 exec, exec, s[8:9]
	s_cbranch_execz .LBB13_181
.LBB13_177:                             ;   Parent Loop BB13_15 Depth=1
                                        ; =>  This Inner Loop Header: Depth=2
	v_cmp_gt_u32_e32 vcc, s60, v5
	v_mov_b32_e32 v30, 0
	s_and_saveexec_b64 s[48:49], vcc
	s_cbranch_execz .LBB13_179
; %bb.178:                              ;   in Loop: Header=BB13_177 Depth=2
	global_load_ubyte v30, v4, s[64:65]
.LBB13_179:                             ;   in Loop: Header=BB13_177 Depth=2
	s_or_b64 exec, exec, s[48:49]
	s_waitcnt vmcnt(0)
	v_and_b32_e32 v32, v30, v3
	v_cmp_eq_u32_sdwa s[48:49], v32, v2 src0_sel:BYTE_0 src1_sel:DWORD
	s_and_b64 s[50:51], vcc, s[48:49]
	s_and_saveexec_b64 s[48:49], s[50:51]
	s_cbranch_execz .LBB13_176
; %bb.180:                              ;   in Loop: Header=BB13_177 Depth=2
	v_lshlrev_b16_e32 v30, 8, v30
	v_or_b32_e32 v30, 1, v30
	ds_write_b16 v24, v30 offset:3072
	s_branch .LBB13_176
.LBB13_181:                             ;   in Loop: Header=BB13_15 Depth=1
	s_or_b64 exec, exec, s[8:9]
	v_lshrrev_b16_e32 v4, 8, v30
	s_and_b64 s[8:9], s[46:47], exec
.LBB13_182:                             ;   in Loop: Header=BB13_15 Depth=1
	s_or_b64 exec, exec, s[44:45]
	s_mov_b64 s[48:49], -1
	s_mov_b64 s[44:45], 0
	s_mov_b64 s[46:47], 0
.LBB13_183:                             ;   in Loop: Header=BB13_15 Depth=1
	s_orn2_b64 s[8:9], s[8:9], exec
.LBB13_184:                             ;   in Loop: Header=BB13_15 Depth=1
	s_or_b64 exec, exec, s[6:7]
	s_mov_b64 s[6:7], 0
                                        ; implicit-def: $vgpr30
	s_and_saveexec_b64 s[50:51], s[8:9]
	s_cbranch_execz .LBB13_235
; %bb.185:                              ;   in Loop: Header=BB13_15 Depth=1
	s_xor_b64 s[8:9], s[52:53], -1
	s_mov_b64 s[54:55], 0
	v_mov_b32_e32 v5, 1
	v_mov_b32_e32 v30, 1
	s_and_saveexec_b64 s[6:7], s[8:9]
	s_cbranch_execz .LBB13_195
; %bb.186:                              ;   in Loop: Header=BB13_15 Depth=1
	v_cmp_ge_u32_e32 vcc, s4, v31
                                        ; implicit-def: $sgpr54
                                        ; implicit-def: $sgpr8_sgpr9
	s_and_saveexec_b64 s[52:53], vcc
	s_xor_b64 s[52:53], exec, s[52:53]
	s_cbranch_execz .LBB13_192
; %bb.187:                              ;   in Loop: Header=BB13_15 Depth=1
	ds_read_b32 v5, v24 offset:4096
	s_waitcnt lgkmcnt(0)
	v_cmp_ne_u32_e32 vcc, 0, v5
	s_cbranch_vccnz .LBB13_191
; %bb.188:                              ;   in Loop: Header=BB13_15 Depth=1
	s_mov_b64 s[8:9], exec
	v_readlane_b32 s54, v46, 7
	v_readlane_b32 s55, v46, 8
	s_and_b64 s[54:55], s[8:9], s[54:55]
	s_mov_b64 exec, s[54:55]
	s_cbranch_execz .LBB13_190
; %bb.189:                              ;   in Loop: Header=BB13_15 Depth=1
	v_mov_b32_e32 v5, s4
	ds_write_b32 v24, v5 offset:4100
.LBB13_190:                             ;   in Loop: Header=BB13_15 Depth=1
	s_or_b64 exec, exec, s[8:9]
	s_waitcnt lgkmcnt(0)
	s_barrier
.LBB13_191:                             ;   in Loop: Header=BB13_15 Depth=1
	v_and_b32_e32 v2, s11, v2
	v_lshl_or_b32 v2, 2, s63, v2
	v_or_b32_e32 v3, s10, v3
	s_mov_b64 s[8:9], 0
	s_mov_b32 s54, 8
.LBB13_192:                             ;   in Loop: Header=BB13_15 Depth=1
	s_or_saveexec_b64 s[52:53], s[52:53]
	v_mov_b32_e32 v30, s54
	s_xor_b64 exec, exec, s[52:53]
; %bb.193:                              ;   in Loop: Header=BB13_15 Depth=1
	v_subrev_u32_e32 v31, s4, v31
	v_mov_b32_e32 v30, 0
	s_or_b64 s[8:9], s[8:9], exec
; %bb.194:                              ;   in Loop: Header=BB13_15 Depth=1
	s_or_b64 exec, exec, s[52:53]
	s_and_b64 s[54:55], s[8:9], exec
	v_mov_b32_e32 v5, v31
.LBB13_195:                             ;   in Loop: Header=BB13_15 Depth=1
	s_or_b64 exec, exec, s[6:7]
	s_mov_b64 s[6:7], -1
                                        ; implicit-def: $sgpr8_sgpr9
                                        ; implicit-def: $sgpr58_sgpr59
                                        ; implicit-def: $sgpr56_sgpr57
	s_and_saveexec_b64 s[52:53], s[54:55]
	s_cbranch_execz .LBB13_234
; %bb.196:                              ;   in Loop: Header=BB13_15 Depth=1
	s_cmp_eq_u32 s5, 1
	s_cselect_b64 s[6:7], -1, 0
	v_cmp_eq_u32_e32 vcc, 1, v5
	s_mov_b64 s[54:55], -1
	s_and_b64 s[6:7], s[6:7], vcc
                                        ; implicit-def: $sgpr8_sgpr9
                                        ; implicit-def: $sgpr58_sgpr59
	s_mov_b64 s[56:57], exec
	v_writelane_b32 v46, s6, 48
	v_writelane_b32 v46, s7, 49
	;; [unrolled: 1-line block ×3, first 2 shown]
	s_and_b64 s[6:7], s[56:57], s[6:7]
	v_writelane_b32 v46, s57, 51
                                        ; implicit-def: $sgpr56_sgpr57
	s_mov_b64 exec, s[6:7]
	s_cbranch_execz .LBB13_221
; %bb.197:                              ;   in Loop: Header=BB13_15 Depth=1
	ds_read_b32 v4, v24 offset:4096
	s_waitcnt lgkmcnt(0)
	s_barrier
	v_readfirstlane_b32 s6, v4
	s_mov_b64 s[8:9], exec
	v_readlane_b32 s54, v46, 27
	v_readlane_b32 s55, v46, 28
	s_and_b64 s[54:55], s[8:9], s[54:55]
	s_mov_b64 exec, s[54:55]
	s_cbranch_execz .LBB13_199
; %bb.198:                              ;   in Loop: Header=BB13_15 Depth=1
	ds_write_b8 v0, v1 offset:3072
.LBB13_199:                             ;   in Loop: Header=BB13_15 Depth=1
	s_or_b64 exec, exec, s[8:9]
	v_or_b32_e32 v2, s10, v2
	v_or_b32_e32 v3, s10, v3
	s_cmp_eq_u32 s6, 0
	s_waitcnt lgkmcnt(0)
	s_barrier
	s_cbranch_scc1 .LBB13_207
; %bb.200:                              ;   in Loop: Header=BB13_15 Depth=1
	v_readlane_b32 s7, v46, 20
	s_add_i32 s7, s6, s7
	v_readlane_b32 s8, v46, 42
	s_mul_hi_u32 s8, s7, s8
	s_mul_i32 s8, s8, s33
	s_sub_i32 s8, s7, s8
	s_sub_i32 s9, s8, s33
	s_cmp_ge_u32 s8, s33
	s_cselect_b32 s8, s9, s8
	s_sub_i32 s9, s8, s33
	s_cmp_ge_u32 s8, s33
	s_cselect_b32 s8, s9, s8
	s_sub_i32 s7, s7, s8
	s_mov_b64 s[54:55], 0
	v_cmp_gt_u32_e32 vcc, s7, v0
                                        ; implicit-def: $vgpr4
	s_mov_b64 s[8:9], exec
	v_writelane_b32 v46, s8, 52
	s_and_b64 s[56:57], s[8:9], vcc
	v_writelane_b32 v46, s9, 53
	s_mov_b64 exec, s[56:57]
	s_cbranch_execz .LBB13_209
; %bb.201:                              ;   in Loop: Header=BB13_15 Depth=1
	v_mov_b32_e32 v4, v0
                                        ; implicit-def: $sgpr56_sgpr57
	s_branch .LBB13_203
.LBB13_202:                             ;   in Loop: Header=BB13_203 Depth=2
	s_or_b64 exec, exec, s[58:59]
	s_waitcnt lgkmcnt(0)
	s_barrier
	ds_read_u16 v30, v24 offset:3072
	v_add_u32_e32 v4, s33, v4
	v_cmp_le_u32_e32 vcc, s7, v4
	s_waitcnt lgkmcnt(0)
	s_barrier
	v_cmp_ne_u16_sdwa s[8:9], v30, v1 src0_sel:BYTE_0 src1_sel:DWORD
	s_or_b64 s[58:59], vcc, s[8:9]
	s_and_b64 s[58:59], exec, s[58:59]
	s_or_b64 s[54:55], s[58:59], s[54:55]
	s_andn2_b64 s[56:57], s[56:57], exec
	s_and_b64 s[8:9], s[8:9], exec
	s_or_b64 s[56:57], s[56:57], s[8:9]
	s_andn2_b64 exec, exec, s[54:55]
	s_cbranch_execz .LBB13_208
.LBB13_203:                             ;   Parent Loop BB13_15 Depth=1
                                        ; =>  This Inner Loop Header: Depth=2
	v_cmp_gt_u32_e32 vcc, s6, v4
	v_mov_b32_e32 v30, 0
	s_and_saveexec_b64 s[58:59], vcc
	s_cbranch_execz .LBB13_205
; %bb.204:                              ;   in Loop: Header=BB13_203 Depth=2
	ds_read_u8 v30, v4
.LBB13_205:                             ;   in Loop: Header=BB13_203 Depth=2
	s_or_b64 exec, exec, s[58:59]
	s_waitcnt lgkmcnt(0)
	v_and_b32_e32 v31, v30, v3
	v_cmp_eq_u32_sdwa s[8:9], v31, v2 src0_sel:BYTE_0 src1_sel:DWORD
	s_and_b64 s[8:9], vcc, s[8:9]
	s_and_saveexec_b64 s[58:59], s[8:9]
	s_cbranch_execz .LBB13_202
; %bb.206:                              ;   in Loop: Header=BB13_203 Depth=2
	v_lshlrev_b16_e32 v30, 8, v30
	v_or_b32_e32 v30, 1, v30
	ds_write_b16 v24, v30 offset:3072
	s_branch .LBB13_202
.LBB13_207:                             ;   in Loop: Header=BB13_15 Depth=1
	s_mov_b64 s[8:9], -1
	s_mov_b64 s[54:55], 0
                                        ; implicit-def: $sgpr56_sgpr57
                                        ; implicit-def: $vgpr4
	s_branch .LBB13_210
.LBB13_208:                             ;   in Loop: Header=BB13_15 Depth=1
	s_or_b64 exec, exec, s[54:55]
	v_lshrrev_b16_e32 v4, 8, v30
	s_and_b64 s[54:55], s[56:57], exec
.LBB13_209:                             ;   in Loop: Header=BB13_15 Depth=1
	v_readlane_b32 s6, v46, 52
	v_readlane_b32 s7, v46, 53
	s_or_b64 exec, exec, s[6:7]
	s_mov_b64 s[56:57], -1
	s_mov_b64 s[8:9], 0
.LBB13_210:                             ;   in Loop: Header=BB13_15 Depth=1
	s_and_b64 vcc, exec, s[8:9]
	s_mov_b64 s[58:59], s[8:9]
	s_cbranch_vccz .LBB13_220
; %bb.211:                              ;   in Loop: Header=BB13_15 Depth=1
	s_mov_b64 s[54:55], 0
                                        ; implicit-def: $vgpr4
	s_mov_b64 s[8:9], exec
	v_readlane_b32 s6, v46, 43
	v_readlane_b32 s7, v46, 44
	s_and_b64 s[6:7], s[8:9], s[6:7]
	s_mov_b64 exec, s[6:7]
	s_cbranch_execz .LBB13_219
; %bb.212:                              ;   in Loop: Header=BB13_15 Depth=1
	v_mov_b32_e32 v4, v15
	v_mov_b32_e32 v30, v0
                                        ; implicit-def: $sgpr56_sgpr57
	s_branch .LBB13_214
.LBB13_213:                             ;   in Loop: Header=BB13_214 Depth=2
	s_or_b64 exec, exec, s[58:59]
	s_waitcnt lgkmcnt(0)
	s_barrier
	ds_read_u16 v31, v24 offset:3072
	v_add_u32_e32 v30, s33, v30
	v_cmp_le_u32_e32 vcc, s12, v30
	v_add_u32_e32 v4, s66, v4
	s_waitcnt lgkmcnt(0)
	v_cmp_ne_u16_sdwa s[6:7], v31, v1 src0_sel:BYTE_0 src1_sel:DWORD
	s_or_b64 s[58:59], vcc, s[6:7]
	s_and_b64 s[58:59], exec, s[58:59]
	s_or_b64 s[54:55], s[58:59], s[54:55]
	s_andn2_b64 s[56:57], s[56:57], exec
	s_and_b64 s[6:7], s[6:7], exec
	s_or_b64 s[56:57], s[56:57], s[6:7]
	s_barrier
	s_andn2_b64 exec, exec, s[54:55]
	s_cbranch_execz .LBB13_218
.LBB13_214:                             ;   Parent Loop BB13_15 Depth=1
                                        ; =>  This Inner Loop Header: Depth=2
	v_cmp_gt_u32_e32 vcc, s60, v30
	v_mov_b32_e32 v31, 0
	s_and_saveexec_b64 s[58:59], vcc
	s_cbranch_execz .LBB13_216
; %bb.215:                              ;   in Loop: Header=BB13_214 Depth=2
	global_load_ubyte v31, v4, s[64:65]
.LBB13_216:                             ;   in Loop: Header=BB13_214 Depth=2
	s_or_b64 exec, exec, s[58:59]
	s_waitcnt vmcnt(0)
	v_and_b32_e32 v32, v31, v3
	v_cmp_eq_u32_sdwa s[6:7], v32, v2 src0_sel:BYTE_0 src1_sel:DWORD
	s_and_b64 s[6:7], vcc, s[6:7]
	s_and_saveexec_b64 s[58:59], s[6:7]
	s_cbranch_execz .LBB13_213
; %bb.217:                              ;   in Loop: Header=BB13_214 Depth=2
	v_lshlrev_b16_e32 v31, 8, v31
	v_or_b32_e32 v31, 1, v31
	ds_write_b16 v24, v31 offset:3072
	s_branch .LBB13_213
.LBB13_218:                             ;   in Loop: Header=BB13_15 Depth=1
	s_or_b64 exec, exec, s[54:55]
	v_lshrrev_b16_e32 v4, 8, v31
	s_and_b64 s[54:55], s[56:57], exec
.LBB13_219:                             ;   in Loop: Header=BB13_15 Depth=1
	s_or_b64 exec, exec, s[8:9]
	s_mov_b64 s[58:59], -1
	s_mov_b64 s[8:9], 0
	s_mov_b64 s[56:57], 0
.LBB13_220:                             ;   in Loop: Header=BB13_15 Depth=1
	s_orn2_b64 s[54:55], s[54:55], exec
.LBB13_221:                             ;   in Loop: Header=BB13_15 Depth=1
	v_readlane_b32 s6, v46, 50
	v_readlane_b32 s7, v46, 51
	s_or_b64 exec, exec, s[6:7]
	s_mov_b64 vcc, 0
                                        ; implicit-def: $vgpr30
                                        ; implicit-def: $vgpr31
	s_and_saveexec_b64 s[6:7], s[54:55]
	s_cbranch_execz .LBB13_233
; %bb.222:                              ;   in Loop: Header=BB13_15 Depth=1
	v_readlane_b32 s54, v46, 48
	v_readlane_b32 s55, v46, 49
	s_xor_b64 vcc, s[54:55], -1
	v_mov_b32_e32 v30, 1
	v_mov_b32_e32 v31, 1
	s_and_saveexec_b64 s[54:55], vcc
	s_cbranch_execz .LBB13_232
; %bb.223:                              ;   in Loop: Header=BB13_15 Depth=1
	v_writelane_b32 v46, s56, 54
	v_cmp_ge_u32_e32 vcc, s5, v5
	v_writelane_b32 v46, s57, 55
                                        ; implicit-def: $sgpr56
                                        ; kill: killed $sgpr56
	s_and_saveexec_b64 s[56:57], vcc
	s_xor_b64 s[56:57], exec, s[56:57]
	s_cbranch_execz .LBB13_229
; %bb.224:                              ;   in Loop: Header=BB13_15 Depth=1
	ds_read_b32 v30, v24 offset:4096
	s_waitcnt lgkmcnt(0)
	v_cmp_ne_u32_e32 vcc, 0, v30
	s_cbranch_vccnz .LBB13_228
; %bb.225:                              ;   in Loop: Header=BB13_15 Depth=1
	v_writelane_b32 v46, s56, 56
	v_writelane_b32 v46, s57, 57
	s_mov_b64 vcc, exec
	v_readlane_b32 s56, v46, 7
	v_readlane_b32 s57, v46, 8
	s_and_b64 s[56:57], vcc, s[56:57]
	s_mov_b64 exec, s[56:57]
	s_cbranch_execz .LBB13_227
; %bb.226:                              ;   in Loop: Header=BB13_15 Depth=1
	v_mov_b32_e32 v30, s5
	ds_write_b32 v24, v30 offset:4100
.LBB13_227:                             ;   in Loop: Header=BB13_15 Depth=1
	s_or_b64 exec, exec, vcc
	v_readlane_b32 s56, v46, 56
	v_readlane_b32 s57, v46, 57
	s_waitcnt lgkmcnt(0)
	s_barrier
.LBB13_228:                             ;   in Loop: Header=BB13_15 Depth=1
	v_or_b32_e32 v2, s10, v2
	v_or_b32_e32 v3, s10, v3
	s_mov_b32 vcc_lo, 8
	v_writelane_b32 v46, vcc_lo, 58
.LBB13_229:                             ;   in Loop: Header=BB13_15 Depth=1
	s_or_saveexec_b64 vcc, s[56:57]
	v_readlane_b32 s56, v46, 58
	v_mov_b32_e32 v30, s56
	s_xor_b64 exec, exec, vcc
; %bb.230:                              ;   in Loop: Header=BB13_15 Depth=1
	v_subrev_u32_e32 v5, s5, v5
	v_mov_b32_e32 v30, 8
; %bb.231:                              ;   in Loop: Header=BB13_15 Depth=1
	s_or_b64 exec, exec, vcc
	v_readlane_b32 s56, v46, 54
	v_mov_b32_e32 v31, v5
	v_readlane_b32 s57, v46, 55
.LBB13_232:                             ;   in Loop: Header=BB13_15 Depth=1
	s_or_b64 exec, exec, s[54:55]
	s_mov_b64 vcc, exec
.LBB13_233:                             ;   in Loop: Header=BB13_15 Depth=1
	s_or_b64 exec, exec, s[6:7]
	s_orn2_b64 s[6:7], vcc, exec
	v_mov_b32_e32 v5, v31
.LBB13_234:                             ;   in Loop: Header=BB13_15 Depth=1
	s_or_b64 exec, exec, s[52:53]
	s_andn2_b64 s[44:45], s[44:45], exec
	s_and_b64 s[8:9], s[8:9], exec
	s_or_b64 s[44:45], s[44:45], s[8:9]
	s_andn2_b64 s[8:9], s[48:49], exec
	s_and_b64 s[48:49], s[58:59], exec
	s_or_b64 s[48:49], s[8:9], s[48:49]
	;; [unrolled: 3-line block ×3, first 2 shown]
	s_and_b64 s[6:7], s[6:7], exec
	v_mov_b32_e32 v31, v5
.LBB13_235:                             ;   in Loop: Header=BB13_15 Depth=1
	s_or_b64 exec, exec, s[50:51]
	s_and_b64 s[50:51], s[44:45], exec
	s_and_b64 s[44:45], s[48:49], exec
	;; [unrolled: 1-line block ×3, first 2 shown]
	s_orn2_b64 s[6:7], s[6:7], exec
.LBB13_236:                             ;   in Loop: Header=BB13_15 Depth=1
	s_or_b64 exec, exec, s[42:43]
	s_andn2_b64 s[24:25], s[24:25], exec
	s_and_b64 s[42:43], s[50:51], exec
	s_or_b64 s[24:25], s[24:25], s[42:43]
	s_andn2_b64 s[38:39], s[38:39], exec
	s_and_b64 s[42:43], s[44:45], exec
	s_andn2_b64 s[36:37], s[36:37], exec
	s_and_b64 s[8:9], s[8:9], exec
	s_or_b64 s[38:39], s[38:39], s[42:43]
	s_or_b64 s[36:37], s[36:37], s[8:9]
	s_and_b64 s[44:45], s[6:7], exec
	v_mov_b32_e32 v5, v31
.LBB13_237:                             ;   in Loop: Header=BB13_15 Depth=1
	s_or_b64 exec, exec, s[40:41]
	s_and_b64 s[24:25], s[24:25], exec
	s_and_b64 s[8:9], s[38:39], exec
	;; [unrolled: 1-line block ×3, first 2 shown]
	s_orn2_b64 s[38:39], s[44:45], exec
.LBB13_238:                             ;   in Loop: Header=BB13_15 Depth=1
	s_or_b64 exec, exec, s[20:21]
	s_mov_b64 s[36:37], 0
	s_mov_b64 s[20:21], 0
	s_and_saveexec_b64 s[40:41], s[38:39]
	s_xor_b64 s[38:39], exec, s[40:41]
; %bb.239:                              ;   in Loop: Header=BB13_15 Depth=1
	v_cmp_eq_u32_e32 vcc, 8, v30
	v_cmp_ne_u32_e64 s[20:21], 8, v30
	s_andn2_b64 s[24:25], s[24:25], exec
	s_andn2_b64 s[8:9], s[8:9], exec
	;; [unrolled: 1-line block ×3, first 2 shown]
	s_and_b64 s[20:21], s[20:21], exec
	s_and_b64 s[36:37], vcc, exec
; %bb.240:                              ;   in Loop: Header=BB13_15 Depth=1
	s_or_b64 exec, exec, s[38:39]
	s_andn2_b64 s[22:23], s[22:23], exec
	s_and_b64 s[24:25], s[24:25], exec
	s_or_b64 s[22:23], s[22:23], s[24:25]
	s_andn2_b64 s[24:25], s[28:29], exec
	s_and_b64 s[8:9], s[8:9], exec
	s_or_b64 s[28:29], s[24:25], s[8:9]
	;; [unrolled: 3-line block ×3, first 2 shown]
	s_and_b64 s[20:21], s[20:21], exec
	s_and_b64 s[24:25], s[36:37], exec
.LBB13_241:                             ;   in Loop: Header=BB13_15 Depth=1
	s_or_b64 exec, exec, s[34:35]
	s_and_b64 vcc, exec, s[30:31]
	s_cbranch_vccz .LBB13_98
.LBB13_242:                             ;   in Loop: Header=BB13_15 Depth=1
	s_cmp_eq_u32 s5, 1
	s_cselect_b64 s[6:7], -1, 0
	s_and_b64 s[18:19], s[6:7], s[18:19]
	s_mov_b64 s[8:9], -1
                                        ; implicit-def: $sgpr30_sgpr31
                                        ; implicit-def: $sgpr34_sgpr35
                                        ; implicit-def: $sgpr22_sgpr23
	s_and_saveexec_b64 s[6:7], s[18:19]
	s_cbranch_execz .LBB13_266
; %bb.243:                              ;   in Loop: Header=BB13_15 Depth=1
	ds_read_b32 v2, v24 offset:4096
	s_waitcnt lgkmcnt(0)
	s_barrier
	v_readfirstlane_b32 s30, v2
	s_mov_b64 s[8:9], exec
	v_readlane_b32 s22, v46, 27
	v_readlane_b32 s23, v46, 28
	s_and_b64 s[22:23], s[8:9], s[22:23]
	s_mov_b64 exec, s[22:23]
	s_cbranch_execz .LBB13_245
; %bb.244:                              ;   in Loop: Header=BB13_15 Depth=1
	ds_write_b8 v0, v1 offset:3072
.LBB13_245:                             ;   in Loop: Header=BB13_15 Depth=1
	s_or_b64 exec, exec, s[8:9]
	v_or_b32_e32 v27, s10, v27
	v_or_b32_e32 v26, s10, v26
	s_cmp_eq_u32 s30, 0
	s_waitcnt lgkmcnt(0)
	s_barrier
	s_cbranch_scc1 .LBB13_253
; %bb.246:                              ;   in Loop: Header=BB13_15 Depth=1
	v_readlane_b32 s8, v46, 20
	s_add_i32 s8, s30, s8
	v_readlane_b32 s9, v46, 42
	s_mul_hi_u32 s9, s8, s9
	s_mul_i32 s9, s9, s33
	s_sub_i32 s9, s8, s9
	s_sub_i32 s22, s9, s33
	s_cmp_ge_u32 s9, s33
	s_cselect_b32 s9, s22, s9
	s_sub_i32 s22, s9, s33
	s_cmp_ge_u32 s9, s33
	s_cselect_b32 s9, s22, s9
	s_sub_i32 s31, s8, s9
	v_cmp_gt_u32_e32 vcc, s31, v0
	s_mov_b64 s[8:9], 0
                                        ; implicit-def: $vgpr28
	s_and_saveexec_b64 s[22:23], vcc
	s_cbranch_execz .LBB13_255
; %bb.247:                              ;   in Loop: Header=BB13_15 Depth=1
	v_mov_b32_e32 v2, v0
                                        ; implicit-def: $sgpr26_sgpr27
	s_branch .LBB13_249
.LBB13_248:                             ;   in Loop: Header=BB13_249 Depth=2
	s_or_b64 exec, exec, s[28:29]
	s_waitcnt lgkmcnt(0)
	s_barrier
	ds_read_u16 v3, v24 offset:3072
	v_add_u32_e32 v2, s33, v2
	v_cmp_le_u32_e32 vcc, s31, v2
	s_waitcnt lgkmcnt(0)
	s_barrier
	v_cmp_ne_u16_sdwa s[28:29], v3, v1 src0_sel:BYTE_0 src1_sel:DWORD
	s_or_b64 s[34:35], vcc, s[28:29]
	s_and_b64 s[34:35], exec, s[34:35]
	s_or_b64 s[8:9], s[34:35], s[8:9]
	s_andn2_b64 s[26:27], s[26:27], exec
	s_and_b64 s[28:29], s[28:29], exec
	s_or_b64 s[26:27], s[26:27], s[28:29]
	s_andn2_b64 exec, exec, s[8:9]
	s_cbranch_execz .LBB13_254
.LBB13_249:                             ;   Parent Loop BB13_15 Depth=1
                                        ; =>  This Inner Loop Header: Depth=2
	v_cmp_gt_u32_e32 vcc, s30, v2
	v_mov_b32_e32 v3, 0
	s_and_saveexec_b64 s[28:29], vcc
	s_cbranch_execz .LBB13_251
; %bb.250:                              ;   in Loop: Header=BB13_249 Depth=2
	ds_read_u8 v3, v2
.LBB13_251:                             ;   in Loop: Header=BB13_249 Depth=2
	s_or_b64 exec, exec, s[28:29]
	s_waitcnt lgkmcnt(0)
	v_and_b32_e32 v4, v3, v26
	v_cmp_eq_u32_sdwa s[28:29], v4, v27 src0_sel:BYTE_0 src1_sel:DWORD
	s_and_b64 s[34:35], vcc, s[28:29]
	s_and_saveexec_b64 s[28:29], s[34:35]
	s_cbranch_execz .LBB13_248
; %bb.252:                              ;   in Loop: Header=BB13_249 Depth=2
	v_lshlrev_b16_e32 v3, 8, v3
	v_or_b32_e32 v3, 1, v3
	ds_write_b16 v24, v3 offset:3072
	s_branch .LBB13_248
.LBB13_253:                             ;   in Loop: Header=BB13_15 Depth=1
	s_mov_b64 s[30:31], -1
	s_mov_b64 s[8:9], 0
                                        ; implicit-def: $sgpr34_sgpr35
                                        ; implicit-def: $vgpr28
	s_mov_b64 s[22:23], s[30:31]
	s_cbranch_execnz .LBB13_256
	s_branch .LBB13_265
.LBB13_254:                             ;   in Loop: Header=BB13_15 Depth=1
	s_or_b64 exec, exec, s[8:9]
	v_lshrrev_b16_e32 v28, 8, v3
	s_and_b64 s[8:9], s[26:27], exec
.LBB13_255:                             ;   in Loop: Header=BB13_15 Depth=1
	s_or_b64 exec, exec, s[22:23]
	s_mov_b64 s[30:31], 0
	s_mov_b64 s[34:35], -1
	s_mov_b64 s[22:23], s[30:31]
	s_branch .LBB13_265
.LBB13_256:                             ;   in Loop: Header=BB13_15 Depth=1
	s_mov_b64 s[8:9], 0
                                        ; implicit-def: $vgpr28
	s_mov_b64 s[22:23], exec
	v_readlane_b32 s26, v46, 43
	v_readlane_b32 s27, v46, 44
	s_and_b64 s[26:27], s[22:23], s[26:27]
	s_mov_b64 exec, s[26:27]
	s_cbranch_execz .LBB13_264
; %bb.257:                              ;   in Loop: Header=BB13_15 Depth=1
	v_mov_b32_e32 v2, v15
	v_mov_b32_e32 v3, v0
                                        ; implicit-def: $sgpr26_sgpr27
	s_branch .LBB13_259
.LBB13_258:                             ;   in Loop: Header=BB13_259 Depth=2
	s_or_b64 exec, exec, s[28:29]
	s_waitcnt lgkmcnt(0)
	s_barrier
	ds_read_u16 v4, v24 offset:3072
	v_add_u32_e32 v3, s33, v3
	v_cmp_le_u32_e32 vcc, s12, v3
	v_add_u32_e32 v2, s66, v2
	s_waitcnt lgkmcnt(0)
	v_cmp_ne_u16_sdwa s[28:29], v4, v1 src0_sel:BYTE_0 src1_sel:DWORD
	s_or_b64 s[30:31], vcc, s[28:29]
	s_and_b64 s[30:31], exec, s[30:31]
	s_or_b64 s[8:9], s[30:31], s[8:9]
	s_andn2_b64 s[26:27], s[26:27], exec
	s_and_b64 s[28:29], s[28:29], exec
	s_or_b64 s[26:27], s[26:27], s[28:29]
	s_barrier
	s_andn2_b64 exec, exec, s[8:9]
	s_cbranch_execz .LBB13_263
.LBB13_259:                             ;   Parent Loop BB13_15 Depth=1
                                        ; =>  This Inner Loop Header: Depth=2
	v_cmp_gt_u32_e32 vcc, s60, v3
	v_mov_b32_e32 v4, 0
	s_and_saveexec_b64 s[28:29], vcc
	s_cbranch_execz .LBB13_261
; %bb.260:                              ;   in Loop: Header=BB13_259 Depth=2
	global_load_ubyte v4, v2, s[64:65]
.LBB13_261:                             ;   in Loop: Header=BB13_259 Depth=2
	s_or_b64 exec, exec, s[28:29]
	s_waitcnt vmcnt(0)
	v_and_b32_e32 v5, v4, v26
	v_cmp_eq_u32_sdwa s[28:29], v5, v27 src0_sel:BYTE_0 src1_sel:DWORD
	s_and_b64 s[30:31], vcc, s[28:29]
	s_and_saveexec_b64 s[28:29], s[30:31]
	s_cbranch_execz .LBB13_258
; %bb.262:                              ;   in Loop: Header=BB13_259 Depth=2
	v_lshlrev_b16_e32 v4, 8, v4
	v_or_b32_e32 v4, 1, v4
	ds_write_b16 v24, v4 offset:3072
	s_branch .LBB13_258
.LBB13_263:                             ;   in Loop: Header=BB13_15 Depth=1
	s_or_b64 exec, exec, s[8:9]
	v_lshrrev_b16_e32 v28, 8, v4
	s_and_b64 s[8:9], s[26:27], exec
.LBB13_264:                             ;   in Loop: Header=BB13_15 Depth=1
	s_or_b64 exec, exec, s[22:23]
	s_mov_b64 s[34:35], 0
	s_mov_b64 s[30:31], -1
	s_mov_b64 s[22:23], 0
.LBB13_265:                             ;   in Loop: Header=BB13_15 Depth=1
	s_orn2_b64 s[8:9], s[8:9], exec
.LBB13_266:                             ;   in Loop: Header=BB13_15 Depth=1
	s_or_b64 exec, exec, s[6:7]
                                        ; implicit-def: $vgpr30
                                        ; implicit-def: $vgpr5
                                        ; implicit-def: $vgpr2
                                        ; implicit-def: $vgpr3
                                        ; implicit-def: $vgpr4
	s_and_saveexec_b64 s[26:27], s[8:9]
	s_cbranch_execz .LBB13_395
; %bb.267:                              ;   in Loop: Header=BB13_15 Depth=1
	s_xor_b64 s[8:9], s[18:19], -1
	s_mov_b64 s[18:19], 0
	v_mov_b32_e32 v5, 1
	v_mov_b32_e32 v30, 1
	s_and_saveexec_b64 s[6:7], s[8:9]
	s_cbranch_execz .LBB13_277
; %bb.268:                              ;   in Loop: Header=BB13_15 Depth=1
	v_cmp_ge_u32_e32 vcc, s5, v29
                                        ; implicit-def: $sgpr28
                                        ; implicit-def: $sgpr8_sgpr9
	s_and_saveexec_b64 s[18:19], vcc
	s_xor_b64 s[18:19], exec, s[18:19]
	s_cbranch_execz .LBB13_274
; %bb.269:                              ;   in Loop: Header=BB13_15 Depth=1
	ds_read_b32 v2, v24 offset:4096
	s_waitcnt lgkmcnt(0)
	v_cmp_ne_u32_e32 vcc, 0, v2
	s_cbranch_vccnz .LBB13_273
; %bb.270:                              ;   in Loop: Header=BB13_15 Depth=1
	s_mov_b64 s[8:9], exec
	v_readlane_b32 s28, v46, 7
	v_readlane_b32 s29, v46, 8
	s_and_b64 s[28:29], s[8:9], s[28:29]
	s_mov_b64 exec, s[28:29]
	s_cbranch_execz .LBB13_272
; %bb.271:                              ;   in Loop: Header=BB13_15 Depth=1
	v_mov_b32_e32 v2, s5
	ds_write_b32 v24, v2 offset:4100
.LBB13_272:                             ;   in Loop: Header=BB13_15 Depth=1
	s_or_b64 exec, exec, s[8:9]
	s_waitcnt lgkmcnt(0)
	s_barrier
.LBB13_273:                             ;   in Loop: Header=BB13_15 Depth=1
	v_or_b32_e32 v27, s10, v27
	v_or_b32_e32 v26, s10, v26
	s_mov_b64 s[8:9], 0
	s_mov_b32 s28, 5
.LBB13_274:                             ;   in Loop: Header=BB13_15 Depth=1
	s_or_saveexec_b64 s[18:19], s[18:19]
	v_mov_b32_e32 v30, s28
	s_xor_b64 exec, exec, s[18:19]
; %bb.275:                              ;   in Loop: Header=BB13_15 Depth=1
	v_subrev_u32_e32 v29, s5, v29
	v_mov_b32_e32 v30, 0
	s_or_b64 s[8:9], s[8:9], exec
; %bb.276:                              ;   in Loop: Header=BB13_15 Depth=1
	s_or_b64 exec, exec, s[18:19]
	s_and_b64 s[18:19], s[8:9], exec
	v_mov_b32_e32 v5, v29
.LBB13_277:                             ;   in Loop: Header=BB13_15 Depth=1
	s_or_b64 exec, exec, s[6:7]
	s_mov_b64 s[38:39], -1
                                        ; implicit-def: $sgpr6_sgpr7
                                        ; implicit-def: $sgpr8_sgpr9
                                        ; implicit-def: $sgpr28_sgpr29
	s_and_saveexec_b64 s[36:37], s[18:19]
	s_xor_b64 s[18:19], exec, s[36:37]
	s_cbranch_execz .LBB13_392
; %bb.278:                              ;   in Loop: Header=BB13_15 Depth=1
	s_cmp_eq_u32 s4, 1
	s_cselect_b64 s[6:7], -1, 0
	v_cmp_eq_u32_e32 vcc, 1, v5
	s_and_b64 s[42:43], s[6:7], vcc
	s_mov_b64 s[8:9], -1
                                        ; implicit-def: $sgpr28_sgpr29
                                        ; implicit-def: $sgpr36_sgpr37
                                        ; implicit-def: $sgpr38_sgpr39
	s_and_saveexec_b64 s[6:7], s[42:43]
	s_cbranch_execz .LBB13_302
; %bb.279:                              ;   in Loop: Header=BB13_15 Depth=1
	ds_read_b32 v2, v24 offset:4096
	s_waitcnt lgkmcnt(0)
	s_barrier
	v_readfirstlane_b32 s5, v2
	s_mov_b64 s[8:9], exec
	v_readlane_b32 s28, v46, 27
	v_readlane_b32 s29, v46, 28
	s_and_b64 s[28:29], s[8:9], s[28:29]
	s_mov_b64 exec, s[28:29]
	s_cbranch_execz .LBB13_281
; %bb.280:                              ;   in Loop: Header=BB13_15 Depth=1
	ds_write_b8 v0, v1 offset:3072
.LBB13_281:                             ;   in Loop: Header=BB13_15 Depth=1
	s_or_b64 exec, exec, s[8:9]
	v_and_b32_e32 v2, s11, v27
	v_lshl_or_b32 v27, 2, s63, v2
	v_or_b32_e32 v26, s10, v26
	s_cmp_eq_u32 s5, 0
	s_waitcnt lgkmcnt(0)
	s_barrier
	s_cbranch_scc1 .LBB13_289
; %bb.282:                              ;   in Loop: Header=BB13_15 Depth=1
	v_readlane_b32 s8, v46, 20
	s_add_i32 s8, s5, s8
	v_readlane_b32 s9, v46, 42
	s_mul_hi_u32 s9, s8, s9
	s_mul_i32 s9, s9, s33
	s_sub_i32 s9, s8, s9
	s_sub_i32 s28, s9, s33
	s_cmp_ge_u32 s9, s33
	s_cselect_b32 s9, s28, s9
	s_sub_i32 s28, s9, s33
	s_cmp_ge_u32 s9, s33
	s_cselect_b32 s9, s28, s9
	s_sub_i32 s40, s8, s9
	v_cmp_gt_u32_e32 vcc, s40, v0
	s_mov_b64 s[8:9], 0
                                        ; implicit-def: $vgpr28
	s_and_saveexec_b64 s[28:29], vcc
	s_cbranch_execz .LBB13_291
; %bb.283:                              ;   in Loop: Header=BB13_15 Depth=1
	v_mov_b32_e32 v2, v0
                                        ; implicit-def: $sgpr36_sgpr37
	s_branch .LBB13_285
.LBB13_284:                             ;   in Loop: Header=BB13_285 Depth=2
	s_or_b64 exec, exec, s[38:39]
	s_waitcnt lgkmcnt(0)
	s_barrier
	ds_read_u16 v3, v24 offset:3072
	v_add_u32_e32 v2, s33, v2
	v_cmp_le_u32_e32 vcc, s40, v2
	s_waitcnt lgkmcnt(0)
	s_barrier
	v_cmp_ne_u16_sdwa s[38:39], v3, v1 src0_sel:BYTE_0 src1_sel:DWORD
	s_or_b64 s[44:45], vcc, s[38:39]
	s_and_b64 s[44:45], exec, s[44:45]
	s_or_b64 s[8:9], s[44:45], s[8:9]
	s_andn2_b64 s[36:37], s[36:37], exec
	s_and_b64 s[38:39], s[38:39], exec
	s_or_b64 s[36:37], s[36:37], s[38:39]
	s_andn2_b64 exec, exec, s[8:9]
	s_cbranch_execz .LBB13_290
.LBB13_285:                             ;   Parent Loop BB13_15 Depth=1
                                        ; =>  This Inner Loop Header: Depth=2
	v_cmp_gt_u32_e32 vcc, s5, v2
	v_mov_b32_e32 v3, 0
	s_and_saveexec_b64 s[38:39], vcc
	s_cbranch_execz .LBB13_287
; %bb.286:                              ;   in Loop: Header=BB13_285 Depth=2
	ds_read_u8 v3, v2
.LBB13_287:                             ;   in Loop: Header=BB13_285 Depth=2
	s_or_b64 exec, exec, s[38:39]
	s_waitcnt lgkmcnt(0)
	v_and_b32_e32 v4, v3, v26
	v_cmp_eq_u32_sdwa s[38:39], v4, v27 src0_sel:BYTE_0 src1_sel:DWORD
	s_and_b64 s[44:45], vcc, s[38:39]
	s_and_saveexec_b64 s[38:39], s[44:45]
	s_cbranch_execz .LBB13_284
; %bb.288:                              ;   in Loop: Header=BB13_285 Depth=2
	v_lshlrev_b16_e32 v3, 8, v3
	v_or_b32_e32 v3, 1, v3
	ds_write_b16 v24, v3 offset:3072
	s_branch .LBB13_284
.LBB13_289:                             ;   in Loop: Header=BB13_15 Depth=1
	s_mov_b64 s[28:29], -1
	s_mov_b64 s[8:9], 0
                                        ; implicit-def: $sgpr36_sgpr37
                                        ; implicit-def: $vgpr28
	s_mov_b64 s[38:39], s[28:29]
	s_cbranch_execnz .LBB13_292
	s_branch .LBB13_301
.LBB13_290:                             ;   in Loop: Header=BB13_15 Depth=1
	s_or_b64 exec, exec, s[8:9]
	v_lshrrev_b16_e32 v28, 8, v3
	s_and_b64 s[8:9], s[36:37], exec
.LBB13_291:                             ;   in Loop: Header=BB13_15 Depth=1
	s_or_b64 exec, exec, s[28:29]
	s_mov_b64 s[28:29], 0
	s_mov_b64 s[36:37], -1
	s_mov_b64 s[38:39], s[28:29]
	s_branch .LBB13_301
.LBB13_292:                             ;   in Loop: Header=BB13_15 Depth=1
	s_mov_b64 s[8:9], 0
                                        ; implicit-def: $vgpr28
	s_mov_b64 s[28:29], exec
	v_readlane_b32 s36, v46, 43
	v_readlane_b32 s37, v46, 44
	s_and_b64 s[36:37], s[28:29], s[36:37]
	s_mov_b64 exec, s[36:37]
	s_cbranch_execz .LBB13_300
; %bb.293:                              ;   in Loop: Header=BB13_15 Depth=1
	v_mov_b32_e32 v2, v15
	v_mov_b32_e32 v3, v0
                                        ; implicit-def: $sgpr36_sgpr37
	s_branch .LBB13_295
.LBB13_294:                             ;   in Loop: Header=BB13_295 Depth=2
	s_or_b64 exec, exec, s[38:39]
	s_waitcnt lgkmcnt(0)
	s_barrier
	ds_read_u16 v4, v24 offset:3072
	v_add_u32_e32 v3, s33, v3
	v_cmp_le_u32_e32 vcc, s12, v3
	v_add_u32_e32 v2, s66, v2
	s_waitcnt lgkmcnt(0)
	v_cmp_ne_u16_sdwa s[38:39], v4, v1 src0_sel:BYTE_0 src1_sel:DWORD
	s_or_b64 s[40:41], vcc, s[38:39]
	s_and_b64 s[40:41], exec, s[40:41]
	s_or_b64 s[8:9], s[40:41], s[8:9]
	s_andn2_b64 s[36:37], s[36:37], exec
	s_and_b64 s[38:39], s[38:39], exec
	s_or_b64 s[36:37], s[36:37], s[38:39]
	s_barrier
	s_andn2_b64 exec, exec, s[8:9]
	s_cbranch_execz .LBB13_299
.LBB13_295:                             ;   Parent Loop BB13_15 Depth=1
                                        ; =>  This Inner Loop Header: Depth=2
	v_cmp_gt_u32_e32 vcc, s60, v3
	v_mov_b32_e32 v4, 0
	s_and_saveexec_b64 s[38:39], vcc
	s_cbranch_execz .LBB13_297
; %bb.296:                              ;   in Loop: Header=BB13_295 Depth=2
	global_load_ubyte v4, v2, s[64:65]
.LBB13_297:                             ;   in Loop: Header=BB13_295 Depth=2
	s_or_b64 exec, exec, s[38:39]
	s_waitcnt vmcnt(0)
	v_and_b32_e32 v28, v4, v26
	v_cmp_eq_u32_sdwa s[38:39], v28, v27 src0_sel:BYTE_0 src1_sel:DWORD
	s_and_b64 s[40:41], vcc, s[38:39]
	s_and_saveexec_b64 s[38:39], s[40:41]
	s_cbranch_execz .LBB13_294
; %bb.298:                              ;   in Loop: Header=BB13_295 Depth=2
	v_lshlrev_b16_e32 v4, 8, v4
	v_or_b32_e32 v4, 1, v4
	ds_write_b16 v24, v4 offset:3072
	s_branch .LBB13_294
.LBB13_299:                             ;   in Loop: Header=BB13_15 Depth=1
	s_or_b64 exec, exec, s[8:9]
	v_lshrrev_b16_e32 v28, 8, v4
	s_and_b64 s[8:9], s[36:37], exec
.LBB13_300:                             ;   in Loop: Header=BB13_15 Depth=1
	s_or_b64 exec, exec, s[28:29]
	s_mov_b64 s[36:37], 0
	s_mov_b64 s[28:29], -1
	s_mov_b64 s[38:39], 0
.LBB13_301:                             ;   in Loop: Header=BB13_15 Depth=1
	s_orn2_b64 s[8:9], s[8:9], exec
.LBB13_302:                             ;   in Loop: Header=BB13_15 Depth=1
	s_or_b64 exec, exec, s[6:7]
	s_mov_b64 s[44:45], 0
                                        ; implicit-def: $vgpr30
	s_and_saveexec_b64 s[40:41], s[8:9]
	s_cbranch_execz .LBB13_391
; %bb.303:                              ;   in Loop: Header=BB13_15 Depth=1
	s_xor_b64 s[8:9], s[42:43], -1
	s_mov_b64 s[46:47], 0
	v_mov_b32_e32 v2, 1
	v_mov_b32_e32 v30, 1
	s_and_saveexec_b64 s[6:7], s[8:9]
	s_cbranch_execz .LBB13_313
; %bb.304:                              ;   in Loop: Header=BB13_15 Depth=1
	v_cmp_ge_u32_e32 vcc, s4, v5
                                        ; implicit-def: $sgpr5
                                        ; implicit-def: $sgpr8_sgpr9
	s_and_saveexec_b64 s[42:43], vcc
	s_xor_b64 s[42:43], exec, s[42:43]
	s_cbranch_execz .LBB13_310
; %bb.305:                              ;   in Loop: Header=BB13_15 Depth=1
	ds_read_b32 v2, v24 offset:4096
	s_waitcnt lgkmcnt(0)
	v_cmp_ne_u32_e32 vcc, 0, v2
	s_cbranch_vccnz .LBB13_309
; %bb.306:                              ;   in Loop: Header=BB13_15 Depth=1
	s_mov_b64 s[8:9], exec
	v_readlane_b32 s44, v46, 7
	v_readlane_b32 s45, v46, 8
	s_and_b64 s[44:45], s[8:9], s[44:45]
	s_mov_b64 exec, s[44:45]
	s_cbranch_execz .LBB13_308
; %bb.307:                              ;   in Loop: Header=BB13_15 Depth=1
	v_mov_b32_e32 v2, s4
	ds_write_b32 v24, v2 offset:4100
.LBB13_308:                             ;   in Loop: Header=BB13_15 Depth=1
	s_or_b64 exec, exec, s[8:9]
	s_waitcnt lgkmcnt(0)
	s_barrier
.LBB13_309:                             ;   in Loop: Header=BB13_15 Depth=1
	v_and_b32_e32 v2, s11, v27
	v_lshl_or_b32 v27, 2, s63, v2
	v_or_b32_e32 v26, s10, v26
	s_mov_b64 s[8:9], 0
	s_mov_b32 s5, 5
.LBB13_310:                             ;   in Loop: Header=BB13_15 Depth=1
	s_or_saveexec_b64 s[42:43], s[42:43]
	v_mov_b32_e32 v30, s5
	s_xor_b64 exec, exec, s[42:43]
; %bb.311:                              ;   in Loop: Header=BB13_15 Depth=1
	v_subrev_u32_e32 v5, s4, v5
	v_mov_b32_e32 v30, 0
	s_or_b64 s[8:9], s[8:9], exec
; %bb.312:                              ;   in Loop: Header=BB13_15 Depth=1
	s_or_b64 exec, exec, s[42:43]
	s_and_b64 s[46:47], s[8:9], exec
	v_mov_b32_e32 v2, v5
.LBB13_313:                             ;   in Loop: Header=BB13_15 Depth=1
	s_or_b64 exec, exec, s[6:7]
	s_mov_b64 s[6:7], -1
                                        ; implicit-def: $sgpr8_sgpr9
                                        ; implicit-def: $sgpr44_sgpr45
                                        ; implicit-def: $sgpr50_sgpr51
	s_and_saveexec_b64 s[42:43], s[46:47]
	s_cbranch_execz .LBB13_390
; %bb.314:                              ;   in Loop: Header=BB13_15 Depth=1
	s_cmp_eq_u32 s62, 1
	s_cselect_b64 s[4:5], -1, 0
	v_cmp_eq_u32_e32 vcc, 1, v2
	s_and_b64 s[52:53], s[4:5], vcc
	s_mov_b64 s[8:9], -1
                                        ; implicit-def: $sgpr44_sgpr45
                                        ; implicit-def: $sgpr46_sgpr47
                                        ; implicit-def: $sgpr48_sgpr49
	s_and_saveexec_b64 s[6:7], s[52:53]
	s_cbranch_execz .LBB13_338
; %bb.315:                              ;   in Loop: Header=BB13_15 Depth=1
	ds_read_b32 v3, v24 offset:4096
	s_waitcnt lgkmcnt(0)
	s_barrier
	v_readfirstlane_b32 s4, v3
	s_mov_b64 s[8:9], exec
	v_readlane_b32 s44, v46, 27
	v_readlane_b32 s45, v46, 28
	s_and_b64 s[44:45], s[8:9], s[44:45]
	s_mov_b64 exec, s[44:45]
	s_cbranch_execz .LBB13_317
; %bb.316:                              ;   in Loop: Header=BB13_15 Depth=1
	ds_write_b8 v0, v1 offset:3072
.LBB13_317:                             ;   in Loop: Header=BB13_15 Depth=1
	s_or_b64 exec, exec, s[8:9]
	v_and_b32_e32 v3, s11, v27
	v_lshl_or_b32 v27, 1, s63, v3
	v_or_b32_e32 v26, s10, v26
	s_cmp_eq_u32 s4, 0
	s_waitcnt lgkmcnt(0)
	s_barrier
	s_cbranch_scc1 .LBB13_325
; %bb.318:                              ;   in Loop: Header=BB13_15 Depth=1
	v_readlane_b32 s5, v46, 20
	s_add_i32 s5, s4, s5
	v_readlane_b32 s8, v46, 42
	s_mul_hi_u32 s8, s5, s8
	s_mul_i32 s8, s8, s33
	s_sub_i32 s8, s5, s8
	s_sub_i32 s9, s8, s33
	s_cmp_ge_u32 s8, s33
	s_cselect_b32 s8, s9, s8
	s_sub_i32 s9, s8, s33
	s_cmp_ge_u32 s8, s33
	s_cselect_b32 s8, s9, s8
	s_sub_i32 s5, s5, s8
	v_cmp_gt_u32_e32 vcc, s5, v0
	s_mov_b64 s[8:9], 0
                                        ; implicit-def: $vgpr28
	s_and_saveexec_b64 s[44:45], vcc
	s_cbranch_execz .LBB13_327
; %bb.319:                              ;   in Loop: Header=BB13_15 Depth=1
	v_mov_b32_e32 v3, v0
                                        ; implicit-def: $sgpr46_sgpr47
	s_branch .LBB13_321
.LBB13_320:                             ;   in Loop: Header=BB13_321 Depth=2
	s_or_b64 exec, exec, s[48:49]
	s_waitcnt lgkmcnt(0)
	s_barrier
	ds_read_u16 v4, v24 offset:3072
	v_add_u32_e32 v3, s33, v3
	v_cmp_le_u32_e32 vcc, s5, v3
	s_waitcnt lgkmcnt(0)
	s_barrier
	v_cmp_ne_u16_sdwa s[48:49], v4, v1 src0_sel:BYTE_0 src1_sel:DWORD
	s_or_b64 s[50:51], vcc, s[48:49]
	s_and_b64 s[50:51], exec, s[50:51]
	s_or_b64 s[8:9], s[50:51], s[8:9]
	s_andn2_b64 s[46:47], s[46:47], exec
	s_and_b64 s[48:49], s[48:49], exec
	s_or_b64 s[46:47], s[46:47], s[48:49]
	s_andn2_b64 exec, exec, s[8:9]
	s_cbranch_execz .LBB13_326
.LBB13_321:                             ;   Parent Loop BB13_15 Depth=1
                                        ; =>  This Inner Loop Header: Depth=2
	v_cmp_gt_u32_e32 vcc, s4, v3
	v_mov_b32_e32 v4, 0
	s_and_saveexec_b64 s[48:49], vcc
	s_cbranch_execz .LBB13_323
; %bb.322:                              ;   in Loop: Header=BB13_321 Depth=2
	ds_read_u8 v4, v3
.LBB13_323:                             ;   in Loop: Header=BB13_321 Depth=2
	s_or_b64 exec, exec, s[48:49]
	s_waitcnt lgkmcnt(0)
	v_and_b32_e32 v5, v4, v26
	v_cmp_eq_u32_sdwa s[48:49], v5, v27 src0_sel:BYTE_0 src1_sel:DWORD
	s_and_b64 s[50:51], vcc, s[48:49]
	s_and_saveexec_b64 s[48:49], s[50:51]
	s_cbranch_execz .LBB13_320
; %bb.324:                              ;   in Loop: Header=BB13_321 Depth=2
	v_lshlrev_b16_e32 v4, 8, v4
	v_or_b32_e32 v4, 1, v4
	ds_write_b16 v24, v4 offset:3072
	s_branch .LBB13_320
.LBB13_325:                             ;   in Loop: Header=BB13_15 Depth=1
	s_mov_b64 s[44:45], -1
	s_mov_b64 s[8:9], 0
                                        ; implicit-def: $sgpr46_sgpr47
                                        ; implicit-def: $vgpr28
	s_mov_b64 s[48:49], s[44:45]
	s_cbranch_execnz .LBB13_328
	s_branch .LBB13_337
.LBB13_326:                             ;   in Loop: Header=BB13_15 Depth=1
	s_or_b64 exec, exec, s[8:9]
	v_lshrrev_b16_e32 v28, 8, v4
	s_and_b64 s[8:9], s[46:47], exec
.LBB13_327:                             ;   in Loop: Header=BB13_15 Depth=1
	s_or_b64 exec, exec, s[44:45]
	s_mov_b64 s[44:45], 0
	s_mov_b64 s[46:47], -1
	s_mov_b64 s[48:49], s[44:45]
	s_branch .LBB13_337
.LBB13_328:                             ;   in Loop: Header=BB13_15 Depth=1
	s_mov_b64 s[8:9], 0
                                        ; implicit-def: $vgpr28
	s_mov_b64 s[44:45], exec
	v_readlane_b32 s4, v46, 43
	v_readlane_b32 s5, v46, 44
	s_and_b64 s[4:5], s[44:45], s[4:5]
	s_mov_b64 exec, s[4:5]
	s_cbranch_execz .LBB13_336
; %bb.329:                              ;   in Loop: Header=BB13_15 Depth=1
	v_mov_b32_e32 v3, v15
	v_mov_b32_e32 v4, v0
                                        ; implicit-def: $sgpr46_sgpr47
	s_branch .LBB13_331
.LBB13_330:                             ;   in Loop: Header=BB13_331 Depth=2
	s_or_b64 exec, exec, s[48:49]
	s_waitcnt lgkmcnt(0)
	s_barrier
	ds_read_u16 v5, v24 offset:3072
	v_add_u32_e32 v4, s33, v4
	v_cmp_le_u32_e32 vcc, s12, v4
	v_add_u32_e32 v3, s66, v3
	s_waitcnt lgkmcnt(0)
	v_cmp_ne_u16_sdwa s[4:5], v5, v1 src0_sel:BYTE_0 src1_sel:DWORD
	s_or_b64 s[48:49], vcc, s[4:5]
	s_and_b64 s[48:49], exec, s[48:49]
	s_or_b64 s[8:9], s[48:49], s[8:9]
	s_andn2_b64 s[46:47], s[46:47], exec
	s_and_b64 s[4:5], s[4:5], exec
	s_or_b64 s[46:47], s[46:47], s[4:5]
	s_barrier
	s_andn2_b64 exec, exec, s[8:9]
	s_cbranch_execz .LBB13_335
.LBB13_331:                             ;   Parent Loop BB13_15 Depth=1
                                        ; =>  This Inner Loop Header: Depth=2
	v_cmp_gt_u32_e32 vcc, s60, v4
	v_mov_b32_e32 v5, 0
	s_and_saveexec_b64 s[48:49], vcc
	s_cbranch_execz .LBB13_333
; %bb.332:                              ;   in Loop: Header=BB13_331 Depth=2
	global_load_ubyte v5, v3, s[64:65]
.LBB13_333:                             ;   in Loop: Header=BB13_331 Depth=2
	s_or_b64 exec, exec, s[48:49]
	s_waitcnt vmcnt(0)
	v_and_b32_e32 v28, v5, v26
	v_cmp_eq_u32_sdwa s[4:5], v28, v27 src0_sel:BYTE_0 src1_sel:DWORD
	s_and_b64 s[4:5], vcc, s[4:5]
	s_and_saveexec_b64 s[48:49], s[4:5]
	s_cbranch_execz .LBB13_330
; %bb.334:                              ;   in Loop: Header=BB13_331 Depth=2
	v_lshlrev_b16_e32 v5, 8, v5
	v_or_b32_e32 v5, 1, v5
	ds_write_b16 v24, v5 offset:3072
	s_branch .LBB13_330
.LBB13_335:                             ;   in Loop: Header=BB13_15 Depth=1
	s_or_b64 exec, exec, s[8:9]
	v_lshrrev_b16_e32 v28, 8, v5
	s_and_b64 s[8:9], s[46:47], exec
.LBB13_336:                             ;   in Loop: Header=BB13_15 Depth=1
	s_or_b64 exec, exec, s[44:45]
	s_mov_b64 s[46:47], 0
	s_mov_b64 s[44:45], -1
	s_mov_b64 s[48:49], 0
.LBB13_337:                             ;   in Loop: Header=BB13_15 Depth=1
	s_orn2_b64 s[8:9], s[8:9], exec
.LBB13_338:                             ;   in Loop: Header=BB13_15 Depth=1
	s_or_b64 exec, exec, s[6:7]
	s_mov_b64 s[6:7], 0
                                        ; implicit-def: $vgpr30
	s_and_saveexec_b64 s[50:51], s[8:9]
	s_cbranch_execz .LBB13_389
; %bb.339:                              ;   in Loop: Header=BB13_15 Depth=1
	s_xor_b64 s[4:5], s[52:53], -1
	s_mov_b64 s[54:55], 0
	v_mov_b32_e32 v3, 1
	v_mov_b32_e32 v30, 1
	s_and_saveexec_b64 s[6:7], s[4:5]
	s_cbranch_execz .LBB13_349
; %bb.340:                              ;   in Loop: Header=BB13_15 Depth=1
	v_cmp_ge_u32_e32 vcc, s62, v2
                                        ; implicit-def: $sgpr4
                                        ; implicit-def: $sgpr8_sgpr9
	s_and_saveexec_b64 s[52:53], vcc
	s_xor_b64 s[52:53], exec, s[52:53]
	s_cbranch_execz .LBB13_346
; %bb.341:                              ;   in Loop: Header=BB13_15 Depth=1
	ds_read_b32 v3, v24 offset:4096
	s_waitcnt lgkmcnt(0)
	v_cmp_ne_u32_e32 vcc, 0, v3
	s_cbranch_vccnz .LBB13_345
; %bb.342:                              ;   in Loop: Header=BB13_15 Depth=1
	s_mov_b64 s[8:9], exec
	v_readlane_b32 s4, v46, 7
	v_readlane_b32 s5, v46, 8
	s_and_b64 s[4:5], s[8:9], s[4:5]
	s_mov_b64 exec, s[4:5]
	s_cbranch_execz .LBB13_344
; %bb.343:                              ;   in Loop: Header=BB13_15 Depth=1
	v_mov_b32_e32 v3, s62
	ds_write_b32 v24, v3 offset:4100
.LBB13_344:                             ;   in Loop: Header=BB13_15 Depth=1
	s_or_b64 exec, exec, s[8:9]
	s_waitcnt lgkmcnt(0)
	s_barrier
.LBB13_345:                             ;   in Loop: Header=BB13_15 Depth=1
	v_and_b32_e32 v3, s11, v27
	v_lshl_or_b32 v27, 1, s63, v3
	v_or_b32_e32 v26, s10, v26
	s_mov_b64 s[8:9], 0
	s_mov_b32 s4, 5
.LBB13_346:                             ;   in Loop: Header=BB13_15 Depth=1
	s_or_saveexec_b64 s[52:53], s[52:53]
	v_mov_b32_e32 v30, s4
	s_xor_b64 exec, exec, s[52:53]
; %bb.347:                              ;   in Loop: Header=BB13_15 Depth=1
	v_subrev_u32_e32 v2, s62, v2
	v_mov_b32_e32 v30, 0
	s_or_b64 s[8:9], s[8:9], exec
; %bb.348:                              ;   in Loop: Header=BB13_15 Depth=1
	s_or_b64 exec, exec, s[52:53]
	s_and_b64 s[54:55], s[8:9], exec
	v_mov_b32_e32 v3, v2
.LBB13_349:                             ;   in Loop: Header=BB13_15 Depth=1
	s_or_b64 exec, exec, s[6:7]
	s_mov_b64 s[6:7], -1
                                        ; implicit-def: $sgpr8_sgpr9
                                        ; implicit-def: $sgpr56_sgpr57
                                        ; implicit-def: $sgpr58_sgpr59
	s_and_saveexec_b64 s[52:53], s[54:55]
	s_cbranch_execz .LBB13_388
; %bb.350:                              ;   in Loop: Header=BB13_15 Depth=1
	s_cmp_eq_u32 s75, 1
	s_cselect_b64 s[4:5], -1, 0
	v_cmp_eq_u32_e32 vcc, 1, v3
	s_mov_b64 s[54:55], -1
	s_and_b64 s[4:5], s[4:5], vcc
                                        ; implicit-def: $sgpr8_sgpr9
                                        ; implicit-def: $sgpr56_sgpr57
                                        ; implicit-def: $sgpr58_sgpr59
	s_mov_b64 s[6:7], exec
	v_writelane_b32 v46, s4, 46
	v_writelane_b32 v46, s5, 47
	s_and_b64 s[4:5], s[6:7], s[4:5]
	s_mov_b64 exec, s[4:5]
	s_cbranch_execz .LBB13_375
; %bb.351:                              ;   in Loop: Header=BB13_15 Depth=1
	ds_read_b32 v2, v24 offset:4096
	s_waitcnt lgkmcnt(0)
	s_barrier
	v_readfirstlane_b32 s4, v2
	s_mov_b64 s[8:9], exec
	v_readlane_b32 s54, v46, 27
	v_readlane_b32 s55, v46, 28
	s_and_b64 s[54:55], s[8:9], s[54:55]
	s_mov_b64 exec, s[54:55]
	s_cbranch_execz .LBB13_353
; %bb.352:                              ;   in Loop: Header=BB13_15 Depth=1
	ds_write_b8 v0, v1 offset:3072
.LBB13_353:                             ;   in Loop: Header=BB13_15 Depth=1
	s_or_b64 exec, exec, s[8:9]
	v_and_b32_e32 v27, s11, v27
	v_or_b32_e32 v26, s10, v26
	s_cmp_eq_u32 s4, 0
	s_waitcnt lgkmcnt(0)
	s_barrier
	s_cbranch_scc1 .LBB13_361
; %bb.354:                              ;   in Loop: Header=BB13_15 Depth=1
	v_readlane_b32 s5, v46, 20
	s_add_i32 s5, s4, s5
	v_readlane_b32 s8, v46, 42
	s_mul_hi_u32 s8, s5, s8
	s_mul_i32 s8, s8, s33
	s_sub_i32 s8, s5, s8
	s_sub_i32 s9, s8, s33
	s_cmp_ge_u32 s8, s33
	s_cselect_b32 s8, s9, s8
	s_sub_i32 s9, s8, s33
	s_cmp_ge_u32 s8, s33
	s_cselect_b32 s8, s9, s8
	s_sub_i32 s5, s5, s8
	v_cmp_gt_u32_e32 vcc, s5, v0
	s_mov_b64 s[54:55], 0
                                        ; implicit-def: $vgpr28
	s_and_saveexec_b64 s[8:9], vcc
	s_cbranch_execz .LBB13_363
; %bb.355:                              ;   in Loop: Header=BB13_15 Depth=1
	v_mov_b32_e32 v2, v0
                                        ; implicit-def: $sgpr56_sgpr57
	s_branch .LBB13_357
.LBB13_356:                             ;   in Loop: Header=BB13_357 Depth=2
	s_or_b64 exec, exec, s[58:59]
	s_waitcnt lgkmcnt(0)
	s_barrier
	ds_read_u16 v4, v24 offset:3072
	v_add_u32_e32 v2, s33, v2
	v_cmp_le_u32_e32 vcc, s5, v2
	s_waitcnt lgkmcnt(0)
	s_barrier
	v_cmp_ne_u16_sdwa s[58:59], v4, v1 src0_sel:BYTE_0 src1_sel:DWORD
	s_or_b64 s[62:63], vcc, s[58:59]
	s_and_b64 s[62:63], exec, s[62:63]
	s_or_b64 s[54:55], s[62:63], s[54:55]
	s_andn2_b64 s[56:57], s[56:57], exec
	s_and_b64 s[58:59], s[58:59], exec
	s_or_b64 s[56:57], s[56:57], s[58:59]
	s_andn2_b64 exec, exec, s[54:55]
	s_cbranch_execz .LBB13_362
.LBB13_357:                             ;   Parent Loop BB13_15 Depth=1
                                        ; =>  This Inner Loop Header: Depth=2
	v_cmp_gt_u32_e32 vcc, s4, v2
	v_mov_b32_e32 v4, 0
	s_and_saveexec_b64 s[58:59], vcc
	s_cbranch_execz .LBB13_359
; %bb.358:                              ;   in Loop: Header=BB13_357 Depth=2
	ds_read_u8 v4, v2
.LBB13_359:                             ;   in Loop: Header=BB13_357 Depth=2
	s_or_b64 exec, exec, s[58:59]
	s_waitcnt lgkmcnt(0)
	v_and_b32_e32 v5, v4, v26
	v_cmp_eq_u32_sdwa s[58:59], v5, v27 src0_sel:BYTE_0 src1_sel:DWORD
	s_and_b64 s[62:63], vcc, s[58:59]
	s_and_saveexec_b64 s[58:59], s[62:63]
	s_cbranch_execz .LBB13_356
; %bb.360:                              ;   in Loop: Header=BB13_357 Depth=2
	v_lshlrev_b16_e32 v4, 8, v4
	v_or_b32_e32 v4, 1, v4
	ds_write_b16 v24, v4 offset:3072
	s_branch .LBB13_356
.LBB13_361:                             ;   in Loop: Header=BB13_15 Depth=1
	s_mov_b64 s[8:9], -1
	s_mov_b64 s[54:55], 0
                                        ; implicit-def: $sgpr56_sgpr57
                                        ; implicit-def: $vgpr28
	s_branch .LBB13_364
.LBB13_362:                             ;   in Loop: Header=BB13_15 Depth=1
	s_or_b64 exec, exec, s[54:55]
	v_lshrrev_b16_e32 v28, 8, v4
	s_and_b64 s[54:55], s[56:57], exec
.LBB13_363:                             ;   in Loop: Header=BB13_15 Depth=1
	s_or_b64 exec, exec, s[8:9]
	s_mov_b64 s[8:9], 0
	s_mov_b64 s[56:57], -1
.LBB13_364:                             ;   in Loop: Header=BB13_15 Depth=1
	s_and_b64 vcc, exec, s[8:9]
	s_mov_b64 s[58:59], s[8:9]
	s_cbranch_vccz .LBB13_374
; %bb.365:                              ;   in Loop: Header=BB13_15 Depth=1
	s_mov_b64 s[54:55], 0
                                        ; implicit-def: $vgpr28
	s_mov_b64 s[8:9], exec
	v_readlane_b32 s4, v46, 43
	v_readlane_b32 s5, v46, 44
	s_and_b64 s[4:5], s[8:9], s[4:5]
	s_mov_b64 exec, s[4:5]
	s_cbranch_execz .LBB13_373
; %bb.366:                              ;   in Loop: Header=BB13_15 Depth=1
	v_mov_b32_e32 v2, v15
	v_mov_b32_e32 v4, v0
                                        ; implicit-def: $sgpr56_sgpr57
	s_branch .LBB13_368
.LBB13_367:                             ;   in Loop: Header=BB13_368 Depth=2
	s_or_b64 exec, exec, s[58:59]
	s_waitcnt lgkmcnt(0)
	s_barrier
	ds_read_u16 v5, v24 offset:3072
	v_add_u32_e32 v4, s33, v4
	v_cmp_le_u32_e32 vcc, s12, v4
	v_add_u32_e32 v2, s66, v2
	s_waitcnt lgkmcnt(0)
	v_cmp_ne_u16_sdwa s[4:5], v5, v1 src0_sel:BYTE_0 src1_sel:DWORD
	s_or_b64 s[58:59], vcc, s[4:5]
	s_and_b64 s[58:59], exec, s[58:59]
	s_or_b64 s[54:55], s[58:59], s[54:55]
	s_andn2_b64 s[56:57], s[56:57], exec
	s_and_b64 s[4:5], s[4:5], exec
	s_or_b64 s[56:57], s[56:57], s[4:5]
	s_barrier
	s_andn2_b64 exec, exec, s[54:55]
	s_cbranch_execz .LBB13_372
.LBB13_368:                             ;   Parent Loop BB13_15 Depth=1
                                        ; =>  This Inner Loop Header: Depth=2
	v_cmp_gt_u32_e32 vcc, s60, v4
	v_mov_b32_e32 v5, 0
	s_and_saveexec_b64 s[58:59], vcc
	s_cbranch_execz .LBB13_370
; %bb.369:                              ;   in Loop: Header=BB13_368 Depth=2
	global_load_ubyte v5, v2, s[64:65]
.LBB13_370:                             ;   in Loop: Header=BB13_368 Depth=2
	s_or_b64 exec, exec, s[58:59]
	s_waitcnt vmcnt(0)
	v_and_b32_e32 v28, v5, v26
	v_cmp_eq_u32_sdwa s[4:5], v28, v27 src0_sel:BYTE_0 src1_sel:DWORD
	s_and_b64 s[4:5], vcc, s[4:5]
	s_and_saveexec_b64 s[58:59], s[4:5]
	s_cbranch_execz .LBB13_367
; %bb.371:                              ;   in Loop: Header=BB13_368 Depth=2
	v_lshlrev_b16_e32 v5, 8, v5
	v_or_b32_e32 v5, 1, v5
	ds_write_b16 v24, v5 offset:3072
	s_branch .LBB13_367
.LBB13_372:                             ;   in Loop: Header=BB13_15 Depth=1
	s_or_b64 exec, exec, s[54:55]
	v_lshrrev_b16_e32 v28, 8, v5
	s_and_b64 s[54:55], s[56:57], exec
.LBB13_373:                             ;   in Loop: Header=BB13_15 Depth=1
	s_or_b64 exec, exec, s[8:9]
	s_mov_b64 s[56:57], 0
	s_mov_b64 s[8:9], -1
	s_mov_b64 s[58:59], 0
.LBB13_374:                             ;   in Loop: Header=BB13_15 Depth=1
	s_orn2_b64 s[54:55], s[54:55], exec
.LBB13_375:                             ;   in Loop: Header=BB13_15 Depth=1
	s_or_b64 exec, exec, s[6:7]
	s_mov_b64 vcc, 0
                                        ; implicit-def: $vgpr30
                                        ; implicit-def: $vgpr2
	s_and_saveexec_b64 s[6:7], s[54:55]
	s_cbranch_execz .LBB13_387
; %bb.376:                              ;   in Loop: Header=BB13_15 Depth=1
	v_readlane_b32 s4, v46, 46
	v_readlane_b32 s5, v46, 47
	s_xor_b64 s[4:5], s[4:5], -1
	v_mov_b32_e32 v30, 1
	v_mov_b32_e32 v2, 1
	s_and_saveexec_b64 s[54:55], s[4:5]
	s_cbranch_execz .LBB13_386
; %bb.377:                              ;   in Loop: Header=BB13_15 Depth=1
	v_cmp_ge_u32_e32 vcc, s75, v3
                                        ; implicit-def: $sgpr4
	s_and_saveexec_b64 s[62:63], vcc
	s_xor_b64 s[62:63], exec, s[62:63]
	s_cbranch_execz .LBB13_383
; %bb.378:                              ;   in Loop: Header=BB13_15 Depth=1
	ds_read_b32 v2, v24 offset:4096
	s_waitcnt lgkmcnt(0)
	v_cmp_ne_u32_e32 vcc, 0, v2
	s_cbranch_vccnz .LBB13_382
; %bb.379:                              ;   in Loop: Header=BB13_15 Depth=1
	s_mov_b64 vcc, exec
	v_readlane_b32 s4, v46, 7
	v_readlane_b32 s5, v46, 8
	s_and_b64 s[4:5], vcc, s[4:5]
	s_mov_b64 exec, s[4:5]
	s_cbranch_execz .LBB13_381
; %bb.380:                              ;   in Loop: Header=BB13_15 Depth=1
	v_mov_b32_e32 v2, s75
	ds_write_b32 v24, v2 offset:4100
.LBB13_381:                             ;   in Loop: Header=BB13_15 Depth=1
	s_or_b64 exec, exec, vcc
	s_waitcnt lgkmcnt(0)
	s_barrier
.LBB13_382:                             ;   in Loop: Header=BB13_15 Depth=1
	v_and_b32_e32 v27, s11, v27
	v_or_b32_e32 v26, s10, v26
	s_mov_b32 s4, 5
.LBB13_383:                             ;   in Loop: Header=BB13_15 Depth=1
	s_or_saveexec_b64 vcc, s[62:63]
	v_mov_b32_e32 v30, s4
	s_xor_b64 exec, exec, vcc
; %bb.384:                              ;   in Loop: Header=BB13_15 Depth=1
	v_subrev_u32_e32 v3, s75, v3
	v_mov_b32_e32 v30, 5
; %bb.385:                              ;   in Loop: Header=BB13_15 Depth=1
	s_or_b64 exec, exec, vcc
	v_mov_b32_e32 v2, v3
.LBB13_386:                             ;   in Loop: Header=BB13_15 Depth=1
	s_or_b64 exec, exec, s[54:55]
	s_mov_b64 vcc, exec
.LBB13_387:                             ;   in Loop: Header=BB13_15 Depth=1
	s_or_b64 exec, exec, s[6:7]
	s_orn2_b64 s[6:7], vcc, exec
	v_mov_b32_e32 v3, v2
.LBB13_388:                             ;   in Loop: Header=BB13_15 Depth=1
	s_or_b64 exec, exec, s[52:53]
	s_andn2_b64 s[4:5], s[44:45], exec
	s_and_b64 s[8:9], s[8:9], exec
	s_or_b64 s[44:45], s[4:5], s[8:9]
	s_andn2_b64 s[4:5], s[46:47], exec
	s_and_b64 s[8:9], s[56:57], exec
	s_or_b64 s[46:47], s[4:5], s[8:9]
	;; [unrolled: 3-line block ×3, first 2 shown]
	s_and_b64 s[6:7], s[6:7], exec
	v_mov_b32_e32 v2, v3
.LBB13_389:                             ;   in Loop: Header=BB13_15 Depth=1
	s_or_b64 exec, exec, s[50:51]
	s_and_b64 s[50:51], s[44:45], exec
	s_and_b64 s[44:45], s[46:47], exec
	s_and_b64 s[8:9], s[48:49], exec
	s_orn2_b64 s[6:7], s[6:7], exec
.LBB13_390:                             ;   in Loop: Header=BB13_15 Depth=1
	s_or_b64 exec, exec, s[42:43]
	s_andn2_b64 s[4:5], s[28:29], exec
	s_and_b64 s[10:11], s[50:51], exec
	s_or_b64 s[28:29], s[4:5], s[10:11]
	s_andn2_b64 s[4:5], s[36:37], exec
	s_and_b64 s[10:11], s[44:45], exec
	s_or_b64 s[36:37], s[4:5], s[10:11]
	;; [unrolled: 3-line block ×3, first 2 shown]
	s_and_b64 s[44:45], s[6:7], exec
	v_mov_b32_e32 v5, v2
.LBB13_391:                             ;   in Loop: Header=BB13_15 Depth=1
	s_or_b64 exec, exec, s[40:41]
	s_and_b64 s[28:29], s[28:29], exec
	s_and_b64 s[8:9], s[36:37], exec
	;; [unrolled: 1-line block ×3, first 2 shown]
	s_orn2_b64 s[38:39], s[44:45], exec
.LBB13_392:                             ;   in Loop: Header=BB13_15 Depth=1
	s_or_b64 exec, exec, s[18:19]
	s_mov_b64 s[18:19], s[24:25]
	s_mov_b64 s[36:37], s[20:21]
	s_and_saveexec_b64 s[40:41], s[38:39]
; %bb.393:                              ;   in Loop: Header=BB13_15 Depth=1
	v_cmp_ne_u32_e64 s[18:19], 5, v30
	v_cmp_eq_u32_e32 vcc, 5, v30
	s_andn2_b64 s[4:5], s[20:21], exec
	s_and_b64 s[10:11], s[18:19], exec
	s_or_b64 s[36:37], s[4:5], s[10:11]
	s_andn2_b64 s[4:5], s[24:25], exec
	s_and_b64 s[10:11], vcc, exec
	s_andn2_b64 s[28:29], s[28:29], exec
	s_andn2_b64 s[8:9], s[8:9], exec
	;; [unrolled: 1-line block ×3, first 2 shown]
	s_or_b64 s[18:19], s[4:5], s[10:11]
; %bb.394:                              ;   in Loop: Header=BB13_15 Depth=1
	s_or_b64 exec, exec, s[40:41]
	s_andn2_b64 s[4:5], s[30:31], exec
	s_and_b64 s[10:11], s[28:29], exec
	s_or_b64 s[30:31], s[4:5], s[10:11]
	s_andn2_b64 s[4:5], s[34:35], exec
	s_and_b64 s[8:9], s[8:9], exec
	s_or_b64 s[34:35], s[4:5], s[8:9]
	;; [unrolled: 3-line block ×5, first 2 shown]
	v_mov_b32_e32 v2, v27
	v_mov_b32_e32 v3, v26
	;; [unrolled: 1-line block ×3, first 2 shown]
.LBB13_395:                             ;   in Loop: Header=BB13_15 Depth=1
	s_or_b64 exec, exec, s[26:27]
	s_mov_b64 s[28:29], s[22:23]
	s_mov_b64 s[26:27], s[22:23]
	s_and_saveexec_b64 s[6:7], s[24:25]
.LBB13_396:                             ;   in Loop: Header=BB13_15 Depth=1
	v_mov_b32_e32 v30, 0
	s_andn2_b64 s[22:23], s[22:23], exec
	s_andn2_b64 s[30:31], s[30:31], exec
	;; [unrolled: 1-line block ×5, first 2 shown]
	s_or_b64 s[20:21], s[20:21], exec
.LBB13_397:                             ;   in Loop: Header=BB13_15 Depth=1
	s_or_b64 exec, exec, s[6:7]
	s_andn2_b64 s[4:5], s[16:17], exec
	s_and_b64 s[6:7], s[22:23], exec
	s_or_b64 s[16:17], s[4:5], s[6:7]
	s_andn2_b64 s[4:5], s[84:85], exec
	s_and_b64 s[6:7], s[30:31], exec
	s_or_b64 s[84:85], s[4:5], s[6:7]
	;; [unrolled: 3-line block ×4, first 2 shown]
	s_andn2_b64 s[4:5], s[88:89], exec
	s_and_b64 s[6:7], s[26:27], exec
	s_mov_b64 s[8:9], -1
	s_or_b64 s[88:89], s[4:5], s[6:7]
                                        ; implicit-def: $vgpr26
                                        ; implicit-def: $vgpr27
                                        ; implicit-def: $vgpr29
                                        ; implicit-def: $vgpr28
	s_and_saveexec_b64 s[4:5], s[20:21]
	s_xor_b64 s[6:7], exec, s[4:5]
	s_cbranch_execz .LBB13_14
; %bb.398:                              ;   in Loop: Header=BB13_15 Depth=1
	v_cmp_eq_u32_e32 vcc, 0, v30
	s_mov_b64 s[18:19], -1
	s_and_saveexec_b64 s[20:21], vcc
	s_cbranch_execz .LBB13_13
; %bb.399:                              ;   in Loop: Header=BB13_15 Depth=1
	s_xor_b32 s74, s74, 1
	s_add_i32 s10, s80, -2
	s_cmp_eq_u32 s80, 0
	s_cselect_b64 s[4:5], -1, 0
	s_xor_b64 s[18:19], exec, -1
	s_orn2_b64 s[8:9], s[4:5], exec
	s_mov_b32 s80, s10
	s_branch .LBB13_13
.LBB13_400:
	s_or_b64 exec, exec, s[92:93]
	s_xor_b64 s[6:7], s[86:87], -1
	s_xor_b64 s[14:15], s[2:3], -1
	;; [unrolled: 1-line block ×5, first 2 shown]
	s_mov_b64 s[8:9], 0
	s_and_saveexec_b64 s[10:11], s[4:5]
	s_xor_b64 s[10:11], exec, s[10:11]
	s_cbranch_execnz .LBB13_405
; %bb.401:
	s_andn2_saveexec_b64 s[0:1], s[10:11]
	s_cbranch_execnz .LBB13_424
.LBB13_402:
	s_or_b64 exec, exec, s[0:1]
	s_and_saveexec_b64 s[0:1], s[8:9]
.LBB13_403:
	; divergent unreachable
.LBB13_404:
	s_endpgm
.LBB13_405:
	s_and_saveexec_b64 s[4:5], s[12:13]
	s_xor_b64 s[12:13], exec, s[4:5]
	s_cbranch_execz .LBB13_422
; %bb.406:
	s_and_saveexec_b64 s[4:5], s[14:15]
	s_xor_b64 s[14:15], exec, s[4:5]
	s_cbranch_execz .LBB13_420
; %bb.407:
	;; [unrolled: 4-line block ×3, first 2 shown]
	s_and_saveexec_b64 s[4:5], s[2:3]
	s_xor_b64 s[2:3], exec, s[4:5]
; %bb.409:
	v_mov_b32_e32 v4, v2
; %bb.410:
	s_or_b64 exec, exec, s[2:3]
	s_mov_b64 s[2:3], exec
	v_readlane_b32 s4, v46, 7
	v_readlane_b32 s5, v46, 8
	;; [unrolled: 1-line block ×3, first 2 shown]
	s_and_b64 s[4:5], s[2:3], s[4:5]
	v_readlane_b32 s22, v46, 45
	v_readlane_b32 s35, v46, 13
	s_mov_b64 exec, s[4:5]
	s_cbranch_execz .LBB13_412
; %bb.411:
	v_mov_b32_e32 v1, 0
	ds_write_b32 v1, v1 offset:4108
.LBB13_412:
	s_or_b64 exec, exec, s[2:3]
	v_mov_b32_e32 v10, 0
	s_waitcnt lgkmcnt(0)
	s_barrier
	s_mov_b64 s[2:3], exec
	v_readlane_b32 s4, v46, 25
	v_readlane_b32 s5, v46, 26
	s_and_b64 s[4:5], s[2:3], s[4:5]
	s_mov_b64 exec, s[4:5]
	s_cbranch_execz .LBB13_414
; %bb.413:
	global_load_ubyte v10, v[8:9], off
.LBB13_414:
	s_or_b64 exec, exec, s[2:3]
	v_readlane_b32 s2, v46, 0
	s_mul_i32 s2, s2, s79
	s_add_i32 s4, s2, s67
	v_readlane_b32 s2, v46, 11
	s_add_i32 s42, s60, 63
	s_mul_i32 s2, s2, s78
	s_andn2_b32 s42, s42, 63
	s_add_i32 s2, s2, s69
	v_readlane_b32 s6, v46, 1
	s_mov_b32 s3, 0
	v_readlane_b32 s7, v46, 2
	s_add_u32 s8, s6, s4
	s_addc_u32 s9, s7, 0
	s_lshl_b64 s[2:3], s[2:3], 3
	v_readlane_b32 s4, v46, 3
	v_readlane_b32 s5, v46, 4
	s_add_u32 s43, s4, s2
	s_addc_u32 s44, s5, s3
	v_readlane_b32 s2, v46, 9
	v_readlane_b32 s3, v46, 10
	s_load_dword s45, s[2:3], 0x1c8
	s_load_dword s46, s[2:3], 0x2a8
	v_add_u32_e32 v1, s33, v0
	v_cmp_gt_u32_e32 vcc, s42, v0
	s_mov_b64 s[20:21], -1
	s_mov_b64 s[2:3], 0
	v_mul_lo_u32 v5, s22, v1
	s_mov_b64 s[4:5], 0
	s_and_saveexec_b64 s[6:7], vcc
	s_cbranch_execnz .LBB13_425
; %bb.415:
	s_or_b64 exec, exec, s[6:7]
	s_and_saveexec_b64 s[18:19], s[20:21]
	s_cbranch_execnz .LBB13_440
.LBB13_416:
	s_or_b64 exec, exec, s[18:19]
	s_and_saveexec_b64 s[0:1], s[4:5]
	s_xor_b64 s[0:1], exec, s[0:1]
	s_cbranch_execnz .LBB13_462
.LBB13_417:
	s_or_b64 exec, exec, s[0:1]
	s_and_b64 s[8:9], s[2:3], exec
.LBB13_418:
	s_andn2_saveexec_b64 s[0:1], s[16:17]
	s_cbranch_execnz .LBB13_465
.LBB13_419:
	s_or_b64 exec, exec, s[0:1]
	s_and_b64 s[8:9], s[8:9], exec
.LBB13_420:
	s_andn2_saveexec_b64 s[0:1], s[14:15]
	s_cbranch_execnz .LBB13_464
.LBB13_421:
	s_or_b64 exec, exec, s[0:1]
	s_and_b64 s[8:9], s[8:9], exec
.LBB13_422:
	s_andn2_saveexec_b64 s[0:1], s[12:13]
	s_cbranch_execnz .LBB13_463
.LBB13_423:
	s_or_b64 exec, exec, s[0:1]
	s_and_b64 s[8:9], s[8:9], exec
	s_andn2_saveexec_b64 s[0:1], s[10:11]
	s_cbranch_execz .LBB13_402
.LBB13_424:
	s_or_b64 s[8:9], s[8:9], exec
	s_trap 2
	s_or_b64 exec, exec, s[0:1]
	s_and_saveexec_b64 s[0:1], s[8:9]
	s_cbranch_execnz .LBB13_403
	s_branch .LBB13_404
.LBB13_425:
	v_mul_lo_u32 v1, s22, v1
	s_mov_b64 s[18:19], 0
	v_mov_b32_e32 v3, 0
	v_mov_b32_e32 v2, v0
                                        ; implicit-def: $sgpr20_sgpr21
                                        ; implicit-def: $vgpr14
	s_branch .LBB13_427
.LBB13_426:                             ;   in Loop: Header=BB13_427 Depth=1
	s_or_b64 exec, exec, s[22:23]
	s_xor_b64 s[22:23], s[26:27], -1
	s_and_b64 s[4:5], exec, s[4:5]
	s_or_b64 s[18:19], s[4:5], s[18:19]
	s_andn2_b64 s[4:5], s[20:21], exec
	s_and_b64 s[20:21], s[22:23], exec
	s_or_b64 s[20:21], s[4:5], s[20:21]
	v_mov_b32_e32 v10, v13
	v_mov_b32_e32 v2, v11
	s_andn2_b64 exec, exec, s[18:19]
	s_cbranch_execz .LBB13_439
.LBB13_427:                             ; =>This Inner Loop Header: Depth=1
	v_add_u32_e32 v11, s33, v2
	v_cmp_gt_u32_e32 vcc, s60, v11
	v_mov_b32_e32 v13, 0
	s_and_saveexec_b64 s[4:5], vcc
	s_cbranch_execz .LBB13_429
; %bb.428:                              ;   in Loop: Header=BB13_427 Depth=1
	global_load_ubyte v13, v1, s[64:65]
.LBB13_429:                             ;   in Loop: Header=BB13_427 Depth=1
	s_or_b64 exec, exec, s[4:5]
	s_waitcnt vmcnt(0)
	v_and_b32_e32 v15, 0xff, v10
	v_cmp_gt_u16_sdwa s[4:5], v15, v4 src0_sel:DWORD src1_sel:BYTE_0
	v_cndmask_b32_e64 v16, 0, 1, s[4:5]
	v_cmp_lt_u16_sdwa s[4:5], v15, v4 src0_sel:DWORD src1_sel:BYTE_0
	v_cndmask_b32_e64 v15, 0, 1, s[4:5]
	v_cndmask_b32_e64 v15, v15, v16, s[34:35]
	v_and_b32_e32 v15, 1, v15
	v_cmp_gt_u32_e32 vcc, s60, v2
	v_cmp_eq_u32_e64 s[4:5], 1, v15
	s_and_b64 s[22:23], vcc, s[4:5]
	v_cndmask_b32_e64 v15, 0, 1, s[22:23]
	v_cmp_ne_u32_e32 vcc, 0, v15
	s_cmp_lg_u64 vcc, 0
	s_cselect_b64 s[4:5], -1, 0
	s_and_b64 s[4:5], s[0:1], s[4:5]
	s_and_saveexec_b64 s[24:25], s[4:5]
	s_cbranch_execz .LBB13_433
; %bb.430:                              ;   in Loop: Header=BB13_427 Depth=1
	s_mov_b64 s[28:29], exec
	s_waitcnt lgkmcnt(0)
	v_mbcnt_lo_u32_b32 v14, s28, 0
	v_mbcnt_hi_u32_b32 v14, s29, v14
	s_bcnt1_i32_b64 s30, vcc
	v_cmp_eq_u32_e64 s[4:5], 0, v14
                                        ; implicit-def: $vgpr15
	s_and_saveexec_b64 s[26:27], s[4:5]
	s_cbranch_execz .LBB13_432
; %bb.431:                              ;   in Loop: Header=BB13_427 Depth=1
	s_bcnt1_i32_b64 s4, s[28:29]
	s_mul_i32 s4, s30, s4
	v_mov_b32_e32 v15, s4
	ds_add_rtn_u32 v15, v3, v15 offset:4108
.LBB13_432:                             ;   in Loop: Header=BB13_427 Depth=1
	s_or_b64 exec, exec, s[26:27]
	s_waitcnt lgkmcnt(0)
	v_readfirstlane_b32 s4, v15
	v_mov_b32_e32 v15, s4
	v_mad_u32_u24 v14, s30, v14, v15
.LBB13_433:                             ;   in Loop: Header=BB13_427 Depth=1
	s_or_b64 exec, exec, s[24:25]
	s_waitcnt lgkmcnt(0)
	ds_bpermute_b32 v14, v12, v14
	s_mov_b64 s[4:5], -1
	s_mov_b64 s[28:29], -1
                                        ; implicit-def: $sgpr26_sgpr27
	s_and_saveexec_b64 s[24:25], s[22:23]
	s_cbranch_execz .LBB13_437
; %bb.434:                              ;   in Loop: Header=BB13_427 Depth=1
	v_and_b32_e32 v16, vcc_lo, v6
	v_and_b32_e32 v15, vcc_hi, v7
	v_bcnt_u32_b32 v16, v16, 0
	v_bcnt_u32_b32 v15, v15, v16
	s_waitcnt lgkmcnt(0)
	v_add_u32_e32 v15, v14, v15
	v_cmp_gt_u32_e32 vcc, s61, v15
	s_mov_b64 s[22:23], 0
	s_and_saveexec_b64 s[26:27], vcc
	s_cbranch_execz .LBB13_436
; %bb.435:                              ;   in Loop: Header=BB13_427 Depth=1
	v_mul_lo_u32 v17, v15, s45
	v_mul_lo_u32 v16, v15, s46
	global_store_byte v17, v10, s[8:9]
	v_mov_b32_e32 v17, v3
	v_lshlrev_b64 v[16:17], 3, v[16:17]
	v_mov_b32_e32 v10, s44
	v_add_co_u32_e32 v16, vcc, s43, v16
	s_mov_b64 s[22:23], exec
	v_addc_co_u32_e32 v17, vcc, v10, v17, vcc
	global_store_dwordx2 v[16:17], v[2:3], off
.LBB13_436:                             ;   in Loop: Header=BB13_427 Depth=1
	s_or_b64 exec, exec, s[26:27]
	s_mov_b64 s[26:27], -1
	s_orn2_b64 s[28:29], s[22:23], exec
.LBB13_437:                             ;   in Loop: Header=BB13_427 Depth=1
	s_or_b64 exec, exec, s[24:25]
	s_and_saveexec_b64 s[22:23], s[28:29]
	s_cbranch_execz .LBB13_426
; %bb.438:                              ;   in Loop: Header=BB13_427 Depth=1
	v_cmp_le_u32_e32 vcc, s42, v11
	v_add_u32_e32 v1, s66, v1
	s_andn2_b64 s[26:27], s[26:27], exec
	s_orn2_b64 s[4:5], vcc, exec
	s_branch .LBB13_426
.LBB13_439:
	s_or_b64 exec, exec, s[18:19]
	s_mov_b64 s[4:5], exec
	s_orn2_b64 s[20:21], s[20:21], exec
	s_or_b64 exec, exec, s[6:7]
	s_and_saveexec_b64 s[18:19], s[20:21]
	s_cbranch_execz .LBB13_416
.LBB13_440:
	v_mov_b32_e32 v1, 0
	v_mov_b32_e32 v3, 0
	s_waitcnt lgkmcnt(0)
	s_barrier
	s_mov_b64 s[2:3], exec
	v_readlane_b32 s6, v46, 25
	v_readlane_b32 s7, v46, 26
	s_and_b64 s[6:7], s[2:3], s[6:7]
	s_mov_b64 exec, s[6:7]
	s_cbranch_execz .LBB13_442
; %bb.441:
	global_load_ubyte v3, v[8:9], off
.LBB13_442:
	s_or_b64 exec, exec, s[2:3]
	s_mov_b64 s[20:21], 0
                                        ; implicit-def: $sgpr6_sgpr7
                                        ; implicit-def: $sgpr22_sgpr23
                                        ; implicit-def: $sgpr24_sgpr25
                                        ; implicit-def: $vgpr2
	s_branch .LBB13_445
.LBB13_443:                             ;   in Loop: Header=BB13_445 Depth=1
	s_or_b64 exec, exec, s[30:31]
	s_andn2_b64 s[2:3], s[24:25], exec
	s_and_b64 s[24:25], s[36:37], exec
	s_or_b64 s[24:25], s[2:3], s[24:25]
	s_andn2_b64 s[2:3], s[22:23], exec
	s_and_b64 s[22:23], s[28:29], exec
	s_or_b64 s[22:23], s[2:3], s[22:23]
	v_mov_b32_e32 v0, v8
.LBB13_444:                             ;   in Loop: Header=BB13_445 Depth=1
	s_or_b64 exec, exec, s[26:27]
	s_xor_b64 s[2:3], s[24:25], -1
	s_and_b64 s[26:27], exec, s[22:23]
	s_or_b64 s[20:21], s[26:27], s[20:21]
	s_andn2_b64 s[6:7], s[6:7], exec
	s_and_b64 s[2:3], s[2:3], exec
	s_or_b64 s[6:7], s[6:7], s[2:3]
	s_andn2_b64 exec, exec, s[20:21]
	s_cbranch_execz .LBB13_460
.LBB13_445:                             ; =>This Inner Loop Header: Depth=1
	v_cmp_gt_u32_e32 vcc, s42, v0
	s_or_b64 s[24:25], s[24:25], exec
	s_or_b64 s[22:23], s[22:23], exec
	s_and_saveexec_b64 s[26:27], vcc
	s_cbranch_execz .LBB13_444
; %bb.446:                              ;   in Loop: Header=BB13_445 Depth=1
	v_add_u32_e32 v8, s33, v0
	v_cmp_gt_u32_e32 vcc, s60, v8
	v_mov_b32_e32 v9, 0
	s_and_saveexec_b64 s[2:3], vcc
	s_cbranch_execz .LBB13_448
; %bb.447:                              ;   in Loop: Header=BB13_445 Depth=1
	global_load_ubyte v9, v5, s[64:65]
.LBB13_448:                             ;   in Loop: Header=BB13_445 Depth=1
	s_or_b64 exec, exec, s[2:3]
	s_waitcnt vmcnt(0)
	v_and_b32_e32 v10, 0xff, v3
	v_cmp_gt_u32_e32 vcc, s60, v0
	v_cmp_eq_u16_sdwa s[2:3], v10, v4 src0_sel:DWORD src1_sel:BYTE_0
	s_and_b64 s[30:31], vcc, s[2:3]
	v_cndmask_b32_e64 v10, 0, 1, s[30:31]
	v_cmp_ne_u32_e32 vcc, 0, v10
	s_cmp_lg_u64 vcc, 0
	s_cselect_b64 s[2:3], -1, 0
	s_and_b64 s[2:3], s[0:1], s[2:3]
	s_and_saveexec_b64 s[28:29], s[2:3]
	s_cbranch_execz .LBB13_452
; %bb.449:                              ;   in Loop: Header=BB13_445 Depth=1
	s_mov_b64 s[36:37], exec
	v_mbcnt_lo_u32_b32 v2, s36, 0
	v_mbcnt_hi_u32_b32 v2, s37, v2
	s_bcnt1_i32_b64 s38, vcc
	v_cmp_eq_u32_e64 s[2:3], 0, v2
                                        ; implicit-def: $vgpr10
	s_and_saveexec_b64 s[34:35], s[2:3]
	s_cbranch_execz .LBB13_451
; %bb.450:                              ;   in Loop: Header=BB13_445 Depth=1
	s_bcnt1_i32_b64 s2, s[36:37]
	s_mul_i32 s2, s38, s2
	v_mov_b32_e32 v10, s2
	ds_add_rtn_u32 v10, v1, v10 offset:4108
.LBB13_451:                             ;   in Loop: Header=BB13_445 Depth=1
	s_or_b64 exec, exec, s[34:35]
	s_waitcnt lgkmcnt(0)
	v_readfirstlane_b32 s2, v10
	v_mov_b32_e32 v10, s2
	v_mad_u32_u24 v2, s38, v2, v10
.LBB13_452:                             ;   in Loop: Header=BB13_445 Depth=1
	s_or_b64 exec, exec, s[28:29]
	ds_bpermute_b32 v2, v12, v2
	s_cmp_eq_u64 vcc, 0
	s_cselect_b64 s[34:35], -1, 0
	s_mov_b64 s[28:29], -1
	s_mov_b64 s[36:37], -1
	s_waitcnt lgkmcnt(0)
	v_cmp_gt_u32_e64 s[2:3], s61, v2
	s_or_b64 s[2:3], s[34:35], s[2:3]
	v_cndmask_b32_e64 v3, v3, v9, s[2:3]
	s_and_b64 s[38:39], s[30:31], s[2:3]
	s_mov_b64 s[34:35], -1
	s_and_saveexec_b64 s[30:31], s[38:39]
	s_cbranch_execz .LBB13_458
; %bb.453:                              ;   in Loop: Header=BB13_445 Depth=1
	v_and_b32_e32 v10, vcc_lo, v6
	v_and_b32_e32 v3, vcc_hi, v7
	v_bcnt_u32_b32 v10, v10, 0
	v_bcnt_u32_b32 v3, v3, v10
	v_sub_u32_e32 v10, s61, v2
	v_cmp_le_u32_e64 s[34:35], v10, v3
	v_cmp_gt_u32_e32 vcc, v10, v3
	s_mov_b64 s[38:39], -1
	s_and_saveexec_b64 s[36:37], vcc
	s_cbranch_execz .LBB13_457
; %bb.454:                              ;   in Loop: Header=BB13_445 Depth=1
	v_add_u32_e32 v3, v2, v3
	v_cmp_gt_u32_e32 vcc, s61, v3
	s_mov_b64 s[40:41], s[34:35]
	s_and_saveexec_b64 s[38:39], vcc
	s_cbranch_execz .LBB13_456
; %bb.455:                              ;   in Loop: Header=BB13_445 Depth=1
	v_mul_lo_u32 v11, v3, s45
	v_mul_lo_u32 v10, v3, s46
	global_store_byte v11, v4, s[8:9]
	v_mov_b32_e32 v11, v1
	v_lshlrev_b64 v[10:11], 3, v[10:11]
	v_mov_b32_e32 v3, s44
	v_add_co_u32_e32 v10, vcc, s43, v10
	v_addc_co_u32_e32 v11, vcc, v3, v11, vcc
	s_or_b64 s[40:41], s[34:35], exec
	global_store_dwordx2 v[10:11], v[0:1], off
.LBB13_456:                             ;   in Loop: Header=BB13_445 Depth=1
	s_or_b64 exec, exec, s[38:39]
	s_andn2_b64 s[34:35], s[34:35], exec
	s_and_b64 s[40:41], s[40:41], exec
	s_xor_b64 s[38:39], exec, -1
	s_or_b64 s[34:35], s[34:35], s[40:41]
.LBB13_457:                             ;   in Loop: Header=BB13_445 Depth=1
	s_or_b64 exec, exec, s[36:37]
	s_orn2_b64 s[36:37], s[38:39], exec
	s_or_b64 s[2:3], s[2:3], exec
	s_orn2_b64 s[34:35], s[34:35], exec
	v_mov_b32_e32 v3, v9
.LBB13_458:                             ;   in Loop: Header=BB13_445 Depth=1
	s_or_b64 exec, exec, s[30:31]
	s_and_saveexec_b64 s[30:31], s[34:35]
	s_cbranch_execz .LBB13_443
; %bb.459:                              ;   in Loop: Header=BB13_445 Depth=1
	s_xor_b64 s[2:3], s[2:3], -1
	v_add_u32_e32 v5, s66, v5
	s_or_b64 s[36:37], s[36:37], exec
	s_orn2_b64 s[28:29], s[2:3], exec
	s_branch .LBB13_443
.LBB13_460:
	s_or_b64 exec, exec, s[20:21]
	s_mov_b64 s[0:1], 0
	s_and_saveexec_b64 s[2:3], s[6:7]
	s_xor_b64 s[2:3], exec, s[2:3]
	s_cbranch_execnz .LBB13_466
.LBB13_461:
	s_or_b64 exec, exec, s[2:3]
	s_and_b64 s[2:3], s[0:1], exec
	s_andn2_b64 s[4:5], s[4:5], exec
	s_or_b64 exec, exec, s[18:19]
	s_and_saveexec_b64 s[0:1], s[4:5]
	s_xor_b64 s[0:1], exec, s[0:1]
	s_cbranch_execz .LBB13_417
.LBB13_462:
	s_or_b64 s[2:3], s[2:3], exec
	s_trap 2
	s_branch .LBB13_417
.LBB13_463:
	s_or_b64 s[8:9], s[8:9], exec
	s_trap 2
	s_branch .LBB13_423
.LBB13_464:
	s_or_b64 s[8:9], s[8:9], exec
	s_trap 2
	s_branch .LBB13_421
.LBB13_465:
	s_trap 2
	s_or_b64 s[8:9], s[8:9], exec
	s_branch .LBB13_419
.LBB13_466:
	s_mov_b64 s[0:1], exec
	s_trap 2
	s_branch .LBB13_461
	.section	.rodata,"a",@progbits
	.p2align	6, 0x0
	.amdhsa_kernel _ZN2at6native6sbtopk10gatherTopKIhjLin1ELb0EEEvNS_4cuda6detail10TensorInfoIKT_T0_EES8_S8_bS8_S8_NS5_IS6_S8_EES8_NS5_IlS8_EES8_PS6_
		.amdhsa_group_segment_fixed_size 4112
		.amdhsa_private_segment_fixed_size 0
		.amdhsa_kernarg_size 952
		.amdhsa_user_sgpr_count 6
		.amdhsa_user_sgpr_private_segment_buffer 1
		.amdhsa_user_sgpr_dispatch_ptr 0
		.amdhsa_user_sgpr_queue_ptr 0
		.amdhsa_user_sgpr_kernarg_segment_ptr 1
		.amdhsa_user_sgpr_dispatch_id 0
		.amdhsa_user_sgpr_flat_scratch_init 0
		.amdhsa_user_sgpr_kernarg_preload_length 0
		.amdhsa_user_sgpr_kernarg_preload_offset 0
		.amdhsa_user_sgpr_private_segment_size 0
		.amdhsa_uses_dynamic_stack 0
		.amdhsa_system_sgpr_private_segment_wavefront_offset 0
		.amdhsa_system_sgpr_workgroup_id_x 1
		.amdhsa_system_sgpr_workgroup_id_y 1
		.amdhsa_system_sgpr_workgroup_id_z 1
		.amdhsa_system_sgpr_workgroup_info 0
		.amdhsa_system_vgpr_workitem_id 0
		.amdhsa_next_free_vgpr 47
		.amdhsa_next_free_sgpr 96
		.amdhsa_accum_offset 48
		.amdhsa_reserve_vcc 1
		.amdhsa_reserve_flat_scratch 0
		.amdhsa_float_round_mode_32 0
		.amdhsa_float_round_mode_16_64 0
		.amdhsa_float_denorm_mode_32 3
		.amdhsa_float_denorm_mode_16_64 3
		.amdhsa_dx10_clamp 1
		.amdhsa_ieee_mode 1
		.amdhsa_fp16_overflow 0
		.amdhsa_tg_split 0
		.amdhsa_exception_fp_ieee_invalid_op 0
		.amdhsa_exception_fp_denorm_src 0
		.amdhsa_exception_fp_ieee_div_zero 0
		.amdhsa_exception_fp_ieee_overflow 0
		.amdhsa_exception_fp_ieee_underflow 0
		.amdhsa_exception_fp_ieee_inexact 0
		.amdhsa_exception_int_div_zero 0
	.end_amdhsa_kernel
	.section	.text._ZN2at6native6sbtopk10gatherTopKIhjLin1ELb0EEEvNS_4cuda6detail10TensorInfoIKT_T0_EES8_S8_bS8_S8_NS5_IS6_S8_EES8_NS5_IlS8_EES8_PS6_,"axG",@progbits,_ZN2at6native6sbtopk10gatherTopKIhjLin1ELb0EEEvNS_4cuda6detail10TensorInfoIKT_T0_EES8_S8_bS8_S8_NS5_IS6_S8_EES8_NS5_IlS8_EES8_PS6_,comdat
.Lfunc_end13:
	.size	_ZN2at6native6sbtopk10gatherTopKIhjLin1ELb0EEEvNS_4cuda6detail10TensorInfoIKT_T0_EES8_S8_bS8_S8_NS5_IS6_S8_EES8_NS5_IlS8_EES8_PS6_, .Lfunc_end13-_ZN2at6native6sbtopk10gatherTopKIhjLin1ELb0EEEvNS_4cuda6detail10TensorInfoIKT_T0_EES8_S8_bS8_S8_NS5_IS6_S8_EES8_NS5_IlS8_EES8_PS6_
                                        ; -- End function
	.section	.AMDGPU.csdata,"",@progbits
; Kernel info:
; codeLenInByte = 15300
; NumSgprs: 100
; NumVgprs: 47
; NumAgprs: 0
; TotalNumVgprs: 47
; ScratchSize: 0
; MemoryBound: 0
; FloatMode: 240
; IeeeMode: 1
; LDSByteSize: 4112 bytes/workgroup (compile time only)
; SGPRBlocks: 12
; VGPRBlocks: 5
; NumSGPRsForWavesPerEU: 100
; NumVGPRsForWavesPerEU: 47
; AccumOffset: 48
; Occupancy: 8
; WaveLimiterHint : 1
; COMPUTE_PGM_RSRC2:SCRATCH_EN: 0
; COMPUTE_PGM_RSRC2:USER_SGPR: 6
; COMPUTE_PGM_RSRC2:TRAP_HANDLER: 0
; COMPUTE_PGM_RSRC2:TGID_X_EN: 1
; COMPUTE_PGM_RSRC2:TGID_Y_EN: 1
; COMPUTE_PGM_RSRC2:TGID_Z_EN: 1
; COMPUTE_PGM_RSRC2:TIDIG_COMP_CNT: 0
; COMPUTE_PGM_RSRC3_GFX90A:ACCUM_OFFSET: 11
; COMPUTE_PGM_RSRC3_GFX90A:TG_SPLIT: 0
	.section	.text._ZN2at6native6mbtopk23computeBlockDigitCountsIajjLi1EEEvNS_4cuda6detail10TensorInfoIKT_T0_EEjPjjS8_iijT1_PSB_Ps,"axG",@progbits,_ZN2at6native6mbtopk23computeBlockDigitCountsIajjLi1EEEvNS_4cuda6detail10TensorInfoIKT_T0_EEjPjjS8_iijT1_PSB_Ps,comdat
	.protected	_ZN2at6native6mbtopk23computeBlockDigitCountsIajjLi1EEEvNS_4cuda6detail10TensorInfoIKT_T0_EEjPjjS8_iijT1_PSB_Ps ; -- Begin function _ZN2at6native6mbtopk23computeBlockDigitCountsIajjLi1EEEvNS_4cuda6detail10TensorInfoIKT_T0_EEjPjjS8_iijT1_PSB_Ps
	.globl	_ZN2at6native6mbtopk23computeBlockDigitCountsIajjLi1EEEvNS_4cuda6detail10TensorInfoIKT_T0_EEjPjjS8_iijT1_PSB_Ps
	.p2align	8
	.type	_ZN2at6native6mbtopk23computeBlockDigitCountsIajjLi1EEEvNS_4cuda6detail10TensorInfoIKT_T0_EEjPjjS8_iijT1_PSB_Ps,@function
_ZN2at6native6mbtopk23computeBlockDigitCountsIajjLi1EEEvNS_4cuda6detail10TensorInfoIKT_T0_EEjPjjS8_iijT1_PSB_Ps: ; @_ZN2at6native6mbtopk23computeBlockDigitCountsIajjLi1EEEvNS_4cuda6detail10TensorInfoIKT_T0_EEjPjjS8_iijT1_PSB_Ps
; %bb.0:
	s_load_dwordx2 s[10:11], s[4:5], 0xf8
	s_load_dwordx4 s[12:15], s[4:5], 0xe8
	s_load_dwordx2 s[0:1], s[4:5], 0x110
	s_waitcnt lgkmcnt(0)
	v_cvt_f32_u32_e32 v1, s10
	s_sub_i32 s2, 0, s10
	s_mul_i32 s1, s1, s8
	s_add_i32 s1, s1, s7
	v_rcp_iflag_f32_e32 v1, v1
	s_mul_i32 s16, s1, s0
	s_add_i32 s16, s16, s6
	s_mov_b32 s7, 0
	v_mul_f32_e32 v1, 0x4f7ffffe, v1
	v_cvt_u32_f32_e32 v1, v1
	v_readfirstlane_b32 s0, v1
	s_mul_i32 s2, s2, s0
	s_mul_hi_u32 s1, s0, s2
	s_add_i32 s0, s0, s1
	s_mul_hi_u32 s0, s16, s0
	s_mul_i32 s1, s0, s10
	s_sub_i32 s1, s16, s1
	s_add_i32 s2, s0, 1
	s_sub_i32 s3, s1, s10
	s_cmp_ge_u32 s1, s10
	s_cselect_b32 s0, s2, s0
	s_cselect_b32 s1, s3, s1
	s_add_i32 s2, s0, 1
	s_cmp_ge_u32 s1, s10
	s_cselect_b32 s6, s2, s0
	s_cmp_ge_u32 s6, s12
	s_cbranch_scc1 .LBB14_29
; %bb.1:
	s_load_dwordx4 s[0:3], s[4:5], 0x100
	s_lshl_b64 s[8:9], s[6:7], 2
	s_movk_i32 s7, 0x100
	v_cmp_gt_u32_e32 vcc, s7, v0
	v_lshlrev_b32_e32 v1, 2, v0
	s_waitcnt lgkmcnt(0)
	s_add_u32 s0, s0, s8
	s_addc_u32 s1, s1, s9
	s_and_saveexec_b64 s[8:9], vcc
	s_cbranch_execz .LBB14_3
; %bb.2:
	v_mov_b32_e32 v2, 0
	ds_write_b32 v1, v2
.LBB14_3:
	s_or_b64 exec, exec, s[8:9]
	s_load_dword s8, s[4:5], 0xd8
	s_mul_i32 s7, s6, s10
	s_sub_i32 s7, s16, s7
	s_add_i32 s9, s7, 1
	s_mul_i32 s7, s15, s7
	s_lshl_b32 s12, s7, 8
	s_waitcnt lgkmcnt(0)
	s_sub_i32 s7, s8, s12
	s_add_u32 s7, s7, 0xff
	s_addc_u32 s17, 0, 0
	v_mov_b32_e32 v2, s7
	v_alignbit_b32 v2, s17, v2, 8
	s_cmp_lt_u32 s9, s10
	v_readfirstlane_b32 s7, v2
	s_cselect_b32 s17, s15, s7
	s_cmp_lt_i32 s17, 1
	s_mov_b32 s15, 0
	s_barrier
	s_cbranch_scc1 .LBB14_25
; %bb.4:
	s_load_dword s7, s[4:5], 0x6c
	s_load_dwordx2 s[18:19], s[4:5], 0x0
	s_load_dword s9, s[0:1], 0x0
	s_waitcnt lgkmcnt(0)
	s_mul_i32 s7, s7, s6
	s_add_u32 s4, s18, s7
	s_addc_u32 s5, s19, 0
	s_and_b32 s10, s14, 0xff
	s_cmp_lt_u32 s17, 4
	s_cbranch_scc1 .LBB14_19
; %bb.5:
	v_add_u32_e32 v6, s12, v0
	v_add_u32_e32 v2, 0x300, v6
	;; [unrolled: 1-line block ×4, first 2 shown]
	s_and_b32 s15, s17, 0x7ffffffc
	v_mul_lo_u32 v3, s13, v2
	s_lshl_b32 s14, s13, 10
	v_mul_lo_u32 v4, s13, v4
	v_mul_lo_u32 v5, s13, v5
	;; [unrolled: 1-line block ×3, first 2 shown]
	s_mov_b32 s18, 0
	v_mov_b32_e32 v7, 1
	s_mov_b32 s19, 0
	s_branch .LBB14_7
.LBB14_6:                               ;   in Loop: Header=BB14_7 Depth=1
	s_or_b64 exec, exec, s[6:7]
	s_add_i32 s19, s19, 4
	s_add_i32 s18, s18, s14
	s_cmp_eq_u32 s15, s19
	v_add_u32_e32 v2, 0x400, v2
	s_cbranch_scc1 .LBB14_19
.LBB14_7:                               ; =>This Inner Loop Header: Depth=1
	v_add_u32_e32 v8, 0xfffffd00, v2
	v_cmp_gt_u32_e64 s[0:1], s8, v8
	s_and_saveexec_b64 s[6:7], s[0:1]
	s_cbranch_execz .LBB14_10
; %bb.8:                                ;   in Loop: Header=BB14_7 Depth=1
	v_add_u32_e32 v8, s18, v6
	global_load_sbyte v8, v8, s[4:5]
	s_waitcnt vmcnt(0)
	v_add_u32_e32 v8, 0x80, v8
	v_xor_b32_e32 v9, s9, v8
	v_and_b32_e32 v9, s11, v9
	v_cmp_eq_u32_e64 s[0:1], 0, v9
	s_and_b64 exec, exec, s[0:1]
	s_cbranch_execz .LBB14_10
; %bb.9:                                ;   in Loop: Header=BB14_7 Depth=1
	v_lshrrev_b32_e32 v8, s10, v8
	v_lshlrev_b32_e32 v8, 2, v8
	ds_add_u32 v8, v7
.LBB14_10:                              ;   in Loop: Header=BB14_7 Depth=1
	s_or_b64 exec, exec, s[6:7]
	v_add_u32_e32 v8, 0xfffffe00, v2
	v_cmp_gt_u32_e64 s[0:1], s8, v8
	s_and_saveexec_b64 s[6:7], s[0:1]
	s_cbranch_execz .LBB14_13
; %bb.11:                               ;   in Loop: Header=BB14_7 Depth=1
	v_add_u32_e32 v8, s18, v5
	global_load_sbyte v8, v8, s[4:5]
	s_waitcnt vmcnt(0)
	v_add_u32_e32 v8, 0x80, v8
	v_xor_b32_e32 v9, s9, v8
	v_and_b32_e32 v9, s11, v9
	v_cmp_eq_u32_e64 s[0:1], 0, v9
	s_and_b64 exec, exec, s[0:1]
	s_cbranch_execz .LBB14_13
; %bb.12:                               ;   in Loop: Header=BB14_7 Depth=1
	v_lshrrev_b32_e32 v8, s10, v8
	v_lshlrev_b32_e32 v8, 2, v8
	ds_add_u32 v8, v7
.LBB14_13:                              ;   in Loop: Header=BB14_7 Depth=1
	s_or_b64 exec, exec, s[6:7]
	v_add_u32_e32 v8, 0xffffff00, v2
	v_cmp_gt_u32_e64 s[0:1], s8, v8
	s_and_saveexec_b64 s[6:7], s[0:1]
	s_cbranch_execz .LBB14_16
; %bb.14:                               ;   in Loop: Header=BB14_7 Depth=1
	v_add_u32_e32 v8, s18, v4
	global_load_sbyte v8, v8, s[4:5]
	s_waitcnt vmcnt(0)
	v_add_u32_e32 v8, 0x80, v8
	v_xor_b32_e32 v9, s9, v8
	v_and_b32_e32 v9, s11, v9
	v_cmp_eq_u32_e64 s[0:1], 0, v9
	s_and_b64 exec, exec, s[0:1]
	s_cbranch_execz .LBB14_16
; %bb.15:                               ;   in Loop: Header=BB14_7 Depth=1
	v_lshrrev_b32_e32 v8, s10, v8
	v_lshlrev_b32_e32 v8, 2, v8
	ds_add_u32 v8, v7
.LBB14_16:                              ;   in Loop: Header=BB14_7 Depth=1
	s_or_b64 exec, exec, s[6:7]
	v_cmp_gt_u32_e64 s[0:1], s8, v2
	s_and_saveexec_b64 s[6:7], s[0:1]
	s_cbranch_execz .LBB14_6
; %bb.17:                               ;   in Loop: Header=BB14_7 Depth=1
	v_add_u32_e32 v8, s18, v3
	global_load_sbyte v8, v8, s[4:5]
	s_waitcnt vmcnt(0)
	v_add_u32_e32 v8, 0x80, v8
	v_xor_b32_e32 v9, s9, v8
	v_and_b32_e32 v9, s11, v9
	v_cmp_eq_u32_e64 s[0:1], 0, v9
	s_and_b64 exec, exec, s[0:1]
	s_cbranch_execz .LBB14_6
; %bb.18:                               ;   in Loop: Header=BB14_7 Depth=1
	v_lshrrev_b32_e32 v8, s10, v8
	v_lshlrev_b32_e32 v8, 2, v8
	ds_add_u32 v8, v7
	s_branch .LBB14_6
.LBB14_19:
	s_and_b32 s14, s17, 3
	s_cmp_eq_u32 s14, 0
	s_cbranch_scc1 .LBB14_25
; %bb.20:
	s_lshl_b32 s0, s15, 8
	s_add_i32 s0, s0, s12
	v_add_u32_e32 v2, s0, v0
	v_mul_lo_u32 v3, s13, v2
	s_lshl_b32 s12, s13, 8
	v_mov_b32_e32 v4, 1
	s_branch .LBB14_22
.LBB14_21:                              ;   in Loop: Header=BB14_22 Depth=1
	s_or_b64 exec, exec, s[6:7]
	s_add_i32 s14, s14, -1
	v_add_u32_e32 v3, s12, v3
	s_cmp_lg_u32 s14, 0
	v_add_u32_e32 v2, 0x100, v2
	s_cbranch_scc0 .LBB14_25
.LBB14_22:                              ; =>This Inner Loop Header: Depth=1
	v_cmp_gt_u32_e64 s[0:1], s8, v2
	s_and_saveexec_b64 s[6:7], s[0:1]
	s_cbranch_execz .LBB14_21
; %bb.23:                               ;   in Loop: Header=BB14_22 Depth=1
	global_load_sbyte v5, v3, s[4:5]
	s_waitcnt vmcnt(0)
	v_add_u32_e32 v5, 0x80, v5
	v_xor_b32_e32 v6, s9, v5
	v_and_b32_e32 v6, s11, v6
	v_cmp_eq_u32_e64 s[0:1], 0, v6
	s_and_b64 exec, exec, s[0:1]
	s_cbranch_execz .LBB14_21
; %bb.24:                               ;   in Loop: Header=BB14_22 Depth=1
	v_lshrrev_b32_e32 v5, s10, v5
	v_lshlrev_b32_e32 v5, 2, v5
	ds_add_u32 v5, v4
	s_branch .LBB14_21
.LBB14_25:
	v_mov_b32_e32 v2, 0
	s_waitcnt lgkmcnt(0)
	s_barrier
	s_and_saveexec_b64 s[0:1], vcc
	s_cbranch_execz .LBB14_27
; %bb.26:
	ds_read_b32 v2, v1
.LBB14_27:
	s_or_b64 exec, exec, s[0:1]
	s_and_saveexec_b64 s[0:1], vcc
	s_cbranch_execz .LBB14_29
; %bb.28:
	v_lshl_or_b32 v0, s16, 8, v0
	v_mov_b32_e32 v1, 0
	v_lshlrev_b64 v[0:1], 1, v[0:1]
	v_mov_b32_e32 v3, s3
	v_add_co_u32_e32 v0, vcc, s2, v0
	v_addc_co_u32_e32 v1, vcc, v3, v1, vcc
	s_waitcnt lgkmcnt(0)
	global_store_short v[0:1], v2, off
.LBB14_29:
	s_endpgm
	.section	.rodata,"a",@progbits
	.p2align	6, 0x0
	.amdhsa_kernel _ZN2at6native6mbtopk23computeBlockDigitCountsIajjLi1EEEvNS_4cuda6detail10TensorInfoIKT_T0_EEjPjjS8_iijT1_PSB_Ps
		.amdhsa_group_segment_fixed_size 1024
		.amdhsa_private_segment_fixed_size 0
		.amdhsa_kernarg_size 528
		.amdhsa_user_sgpr_count 6
		.amdhsa_user_sgpr_private_segment_buffer 1
		.amdhsa_user_sgpr_dispatch_ptr 0
		.amdhsa_user_sgpr_queue_ptr 0
		.amdhsa_user_sgpr_kernarg_segment_ptr 1
		.amdhsa_user_sgpr_dispatch_id 0
		.amdhsa_user_sgpr_flat_scratch_init 0
		.amdhsa_user_sgpr_kernarg_preload_length 0
		.amdhsa_user_sgpr_kernarg_preload_offset 0
		.amdhsa_user_sgpr_private_segment_size 0
		.amdhsa_uses_dynamic_stack 0
		.amdhsa_system_sgpr_private_segment_wavefront_offset 0
		.amdhsa_system_sgpr_workgroup_id_x 1
		.amdhsa_system_sgpr_workgroup_id_y 1
		.amdhsa_system_sgpr_workgroup_id_z 1
		.amdhsa_system_sgpr_workgroup_info 0
		.amdhsa_system_vgpr_workitem_id 0
		.amdhsa_next_free_vgpr 10
		.amdhsa_next_free_sgpr 20
		.amdhsa_accum_offset 12
		.amdhsa_reserve_vcc 1
		.amdhsa_reserve_flat_scratch 0
		.amdhsa_float_round_mode_32 0
		.amdhsa_float_round_mode_16_64 0
		.amdhsa_float_denorm_mode_32 3
		.amdhsa_float_denorm_mode_16_64 3
		.amdhsa_dx10_clamp 1
		.amdhsa_ieee_mode 1
		.amdhsa_fp16_overflow 0
		.amdhsa_tg_split 0
		.amdhsa_exception_fp_ieee_invalid_op 0
		.amdhsa_exception_fp_denorm_src 0
		.amdhsa_exception_fp_ieee_div_zero 0
		.amdhsa_exception_fp_ieee_overflow 0
		.amdhsa_exception_fp_ieee_underflow 0
		.amdhsa_exception_fp_ieee_inexact 0
		.amdhsa_exception_int_div_zero 0
	.end_amdhsa_kernel
	.section	.text._ZN2at6native6mbtopk23computeBlockDigitCountsIajjLi1EEEvNS_4cuda6detail10TensorInfoIKT_T0_EEjPjjS8_iijT1_PSB_Ps,"axG",@progbits,_ZN2at6native6mbtopk23computeBlockDigitCountsIajjLi1EEEvNS_4cuda6detail10TensorInfoIKT_T0_EEjPjjS8_iijT1_PSB_Ps,comdat
.Lfunc_end14:
	.size	_ZN2at6native6mbtopk23computeBlockDigitCountsIajjLi1EEEvNS_4cuda6detail10TensorInfoIKT_T0_EEjPjjS8_iijT1_PSB_Ps, .Lfunc_end14-_ZN2at6native6mbtopk23computeBlockDigitCountsIajjLi1EEEvNS_4cuda6detail10TensorInfoIKT_T0_EEjPjjS8_iijT1_PSB_Ps
                                        ; -- End function
	.section	.AMDGPU.csdata,"",@progbits
; Kernel info:
; codeLenInByte = 1060
; NumSgprs: 24
; NumVgprs: 10
; NumAgprs: 0
; TotalNumVgprs: 10
; ScratchSize: 0
; MemoryBound: 0
; FloatMode: 240
; IeeeMode: 1
; LDSByteSize: 1024 bytes/workgroup (compile time only)
; SGPRBlocks: 2
; VGPRBlocks: 1
; NumSGPRsForWavesPerEU: 24
; NumVGPRsForWavesPerEU: 10
; AccumOffset: 12
; Occupancy: 8
; WaveLimiterHint : 1
; COMPUTE_PGM_RSRC2:SCRATCH_EN: 0
; COMPUTE_PGM_RSRC2:USER_SGPR: 6
; COMPUTE_PGM_RSRC2:TRAP_HANDLER: 0
; COMPUTE_PGM_RSRC2:TGID_X_EN: 1
; COMPUTE_PGM_RSRC2:TGID_Y_EN: 1
; COMPUTE_PGM_RSRC2:TGID_Z_EN: 1
; COMPUTE_PGM_RSRC2:TIDIG_COMP_CNT: 0
; COMPUTE_PGM_RSRC3_GFX90A:ACCUM_OFFSET: 2
; COMPUTE_PGM_RSRC3_GFX90A:TG_SPLIT: 0
	.section	.text._ZN2at6native6mbtopk29computeBlockwiseWithinKCountsIjaEEvPT_PsPjjibS6_PT0_S6_S4_S6_j,"axG",@progbits,_ZN2at6native6mbtopk29computeBlockwiseWithinKCountsIjaEEvPT_PsPjjibS6_PT0_S6_S4_S6_j,comdat
	.protected	_ZN2at6native6mbtopk29computeBlockwiseWithinKCountsIjaEEvPT_PsPjjibS6_PT0_S6_S4_S6_j ; -- Begin function _ZN2at6native6mbtopk29computeBlockwiseWithinKCountsIjaEEvPT_PsPjjibS6_PT0_S6_S4_S6_j
	.globl	_ZN2at6native6mbtopk29computeBlockwiseWithinKCountsIjaEEvPT_PsPjjibS6_PT0_S6_S4_S6_j
	.p2align	8
	.type	_ZN2at6native6mbtopk29computeBlockwiseWithinKCountsIjaEEvPT_PsPjjibS6_PT0_S6_S4_S6_j,@function
_ZN2at6native6mbtopk29computeBlockwiseWithinKCountsIjaEEvPT_PsPjjibS6_PT0_S6_S4_S6_j: ; @_ZN2at6native6mbtopk29computeBlockwiseWithinKCountsIjaEEvPT_PsPjjibS6_PT0_S6_S4_S6_j
; %bb.0:
	s_load_dwordx4 s[16:19], s[4:5], 0x18
	s_load_dword s2, s[4:5], 0x50
	s_load_dwordx2 s[0:1], s[4:5], 0x58
	s_waitcnt lgkmcnt(0)
	v_cvt_f32_u32_e32 v1, s16
	s_mul_i32 s1, s1, s8
	s_add_i32 s1, s1, s7
	v_rcp_iflag_f32_e32 v1, v1
	s_mul_i32 s0, s1, s0
	s_add_i32 s6, s0, s6
	s_cmp_ge_u32 s6, s2
	v_mul_f32_e32 v1, 0x4f7ffffe, v1
	v_cvt_u32_f32_e32 v1, v1
	v_readfirstlane_b32 s0, v1
	s_cbranch_scc1 .LBB15_49
; %bb.1:
	s_sub_i32 s1, 0, s16
	s_mul_i32 s1, s1, s0
	s_mul_hi_u32 s1, s0, s1
	s_add_i32 s0, s0, s1
	s_mul_hi_u32 s2, s6, s0
	s_mul_i32 s3, s2, s16
	s_sub_i32 s3, s6, s3
	s_add_i32 s8, s2, 1
	s_sub_i32 s9, s3, s16
	s_cmp_ge_u32 s3, s16
	s_load_dwordx4 s[20:23], s[4:5], 0x0
	s_load_dwordx2 s[0:1], s[4:5], 0x10
	s_cselect_b32 s2, s8, s2
	s_cselect_b32 s3, s9, s3
	s_add_i32 s8, s2, 1
	s_mov_b32 s7, 0
	s_cmp_ge_u32 s3, s16
	s_cselect_b32 s26, s8, s2
	s_mov_b32 s27, s7
	s_lshl_b64 s[24:25], s[26:27], 2
	s_waitcnt lgkmcnt(0)
	s_add_u32 s0, s0, s24
	s_addc_u32 s1, s1, s25
	s_load_dword s19, s[0:1], 0x0
	s_movk_i32 s0, 0x100
	v_cmp_gt_u32_e64 s[0:1], s0, v0
	s_and_saveexec_b64 s[2:3], s[0:1]
	s_cbranch_execz .LBB15_17
; %bb.2:
	s_mul_i32 s8, s26, s16
	s_lshl_b32 s8, s8, 8
	s_mov_b32 s9, s7
	s_lshl_b64 s[12:13], s[8:9], 1
	s_add_u32 s8, s22, s12
	s_addc_u32 s9, s23, s13
	v_lshlrev_b32_e32 v4, 1, v0
	v_mov_b32_e32 v3, s9
	v_add_co_u32_e32 v2, vcc, s8, v4
	v_mov_b32_e32 v1, 0
	s_cmp_lt_u32 s16, 4
	v_addc_co_u32_e32 v3, vcc, 0, v3, vcc
	s_cbranch_scc1 .LBB15_7
; %bb.3:
	s_add_i32 s8, s16, -4
	s_mov_b32 s14, 0
	s_cmp_gt_u32 s8, 3
	v_mov_b32_e32 v1, 0
	s_cbranch_scc0 .LBB15_8
; %bb.4:
	s_lshr_b32 s8, s8, 2
	s_add_i32 s8, s8, 1
	s_and_b32 s10, s8, 0x7ffffffe
	s_add_u32 s12, s22, s12
	s_addc_u32 s13, s23, s13
	v_mov_b32_e32 v5, s13
	v_add_co_u32_e32 v4, vcc, s12, v4
	s_mov_b32 s9, 0
	v_addc_co_u32_e32 v5, vcc, 0, v5, vcc
	s_mov_b32 s11, s9
	v_add_co_u32_e32 v4, vcc, 0xe00, v4
	v_mov_b32_e32 v1, 0
	v_addc_co_u32_e32 v5, vcc, 0, v5, vcc
	s_mov_b64 s[12:13], s[10:11]
	v_mov_b32_e32 v6, 0
.LBB15_5:                               ; =>This Inner Loop Header: Depth=1
	global_load_sshort v7, v[4:5], off offset:-3584
	global_load_sshort v8, v[4:5], off offset:-3072
	;; [unrolled: 1-line block ×6, first 2 shown]
	global_load_sshort v13, v[4:5], off
	global_load_sshort v14, v[4:5], off offset:-2048
	s_add_u32 s12, s12, -2
	v_add_co_u32_e32 v4, vcc, 0x1000, v4
	s_addc_u32 s13, s13, -1
	v_addc_co_u32_e32 v5, vcc, 0, v5, vcc
	s_cmp_lg_u64 s[12:13], 0
	s_waitcnt vmcnt(6)
	v_add3_u32 v1, v1, v7, v8
	s_waitcnt vmcnt(3)
	v_add3_u32 v6, v6, v10, v11
	;; [unrolled: 2-line block ×4, first 2 shown]
	s_cbranch_scc1 .LBB15_5
; %bb.6:
	s_lshl_b64 s[12:13], s[10:11], 11
	s_lshl_b32 s14, s10, 2
	v_mov_b32_e32 v4, s13
	v_add_co_u32_e32 v2, vcc, s12, v2
	s_cmp_lg_u64 s[10:11], s[8:9]
	v_addc_co_u32_e32 v3, vcc, v3, v4, vcc
	v_add_u32_e32 v1, v1, v6
	s_cselect_b64 s[8:9], -1, 0
	s_and_b64 vcc, exec, s[8:9]
	s_cbranch_vccnz .LBB15_9
	s_branch .LBB15_10
.LBB15_7:
	s_mov_b32 s14, s7
	s_branch .LBB15_10
.LBB15_8:
	s_cbranch_execz .LBB15_10
.LBB15_9:                               ; =>This Inner Loop Header: Depth=1
	global_load_sshort v4, v[2:3], off
	global_load_sshort v5, v[2:3], off offset:512
	global_load_sshort v6, v[2:3], off offset:1024
	;; [unrolled: 1-line block ×3, first 2 shown]
	s_mov_b32 s8, s14
	v_add_co_u32_e32 v2, vcc, 0x800, v2
	s_add_i32 s14, s14, 4
	s_add_i32 s8, s8, 7
	v_addc_co_u32_e32 v3, vcc, 0, v3, vcc
	s_cmp_ge_u32 s8, s16
	s_waitcnt vmcnt(2)
	v_add3_u32 v1, v1, v4, v5
	s_waitcnt vmcnt(0)
	v_add3_u32 v1, v1, v6, v7
	s_cbranch_scc0 .LBB15_9
.LBB15_10:
	s_cmp_ge_u32 s14, s16
	s_cbranch_scc1 .LBB15_16
; %bb.11:
	s_not_b32 s8, s14
	s_add_i32 s8, s8, s16
	s_cmp_lg_u32 s8, 0
	s_cbranch_scc0 .LBB15_50
; %bb.12:
	s_add_u32 s8, s8, 1
	s_addc_u32 s9, 0, 0
	s_and_b32 s10, s8, -2
	s_mov_b32 s11, s9
	v_add_co_u32_e32 v4, vcc, 0x200, v2
	v_addc_co_u32_e32 v5, vcc, 0, v3, vcc
	v_mov_b32_e32 v6, 0
	s_mov_b64 s[12:13], s[10:11]
.LBB15_13:                              ; =>This Inner Loop Header: Depth=1
	global_load_sshort v7, v[4:5], off
	global_load_sshort v8, v[4:5], off offset:-512
	s_add_u32 s12, s12, -2
	v_add_co_u32_e32 v4, vcc, 0x400, v4
	s_addc_u32 s13, s13, -1
	v_addc_co_u32_e32 v5, vcc, 0, v5, vcc
	s_cmp_lg_u64 s[12:13], 0
	s_waitcnt vmcnt(1)
	v_add_u32_e32 v6, v6, v7
	s_waitcnt vmcnt(0)
	v_add_u32_e32 v1, v1, v8
	s_cbranch_scc1 .LBB15_13
; %bb.14:
	s_lshl_b64 s[12:13], s[10:11], 9
	s_add_i32 s14, s14, s10
	v_mov_b32_e32 v4, s13
	v_add_co_u32_e32 v2, vcc, s12, v2
	s_cmp_lg_u64 s[8:9], s[10:11]
	v_addc_co_u32_e32 v3, vcc, v3, v4, vcc
	v_add_u32_e32 v1, v1, v6
	s_cselect_b64 s[8:9], -1, 0
	s_and_b64 vcc, exec, s[8:9]
	s_cbranch_vccz .LBB15_16
.LBB15_15:                              ; =>This Inner Loop Header: Depth=1
	global_load_sshort v4, v[2:3], off
	v_add_co_u32_e32 v2, vcc, 0x200, v2
	s_add_i32 s14, s14, 1
	v_addc_co_u32_e32 v3, vcc, 0, v3, vcc
	s_cmp_lt_u32 s14, s16
	s_waitcnt vmcnt(0)
	v_add_u32_e32 v1, v1, v4
	s_cbranch_scc1 .LBB15_15
.LBB15_16:
	v_lshlrev_b32_e32 v2, 2, v0
	ds_write_b32 v2, v1 offset:1056
.LBB15_17:
	s_or_b64 exec, exec, s[2:3]
	v_mov_b32_e32 v3, 0
	s_waitcnt lgkmcnt(0)
	s_barrier
	s_and_saveexec_b64 s[2:3], s[0:1]
	s_cbranch_execz .LBB15_19
; %bb.18:
	v_lshlrev_b32_e32 v1, 2, v0
	ds_read_b32 v3, v1 offset:1056
.LBB15_19:
	s_or_b64 exec, exec, s[2:3]
	v_lshrrev_b32_e32 v1, 5, v0
	v_add_lshl_u32 v2, v1, v0, 2
	v_cmp_gt_u32_e64 s[2:3], 64, v0
	v_mbcnt_lo_u32_b32 v1, -1, 0
	s_waitcnt lgkmcnt(0)
	ds_write_b32 v2, v3
	s_waitcnt lgkmcnt(0)
	s_barrier
	s_and_saveexec_b64 s[8:9], s[2:3]
	s_cbranch_execz .LBB15_21
; %bb.20:
	v_lshlrev_b32_e32 v4, 2, v0
	v_lshrrev_b32_e32 v5, 3, v0
	v_add_lshl_u32 v8, v5, v4, 2
	ds_read2_b32 v[4:5], v8 offset1:1
	ds_read2_b32 v[6:7], v8 offset0:2 offset1:3
	v_mbcnt_hi_u32_b32 v9, -1, v1
	v_and_b32_e32 v10, 15, v9
	v_cmp_ne_u32_e32 vcc, 0, v10
	s_waitcnt lgkmcnt(1)
	v_add_u32_e32 v5, v5, v4
	s_waitcnt lgkmcnt(0)
	v_add3_u32 v5, v5, v6, v7
	v_bfe_i32 v7, v9, 4, 1
	s_nop 0
	v_mov_b32_dpp v6, v5 row_shr:1 row_mask:0xf bank_mask:0xf
	v_cndmask_b32_e32 v6, 0, v6, vcc
	v_add_u32_e32 v5, v6, v5
	v_cmp_lt_u32_e32 vcc, 1, v10
	; wave barrier
	s_nop 0
	v_mov_b32_dpp v6, v5 row_shr:2 row_mask:0xf bank_mask:0xf
	v_cndmask_b32_e32 v6, 0, v6, vcc
	v_add_u32_e32 v5, v5, v6
	v_cmp_lt_u32_e32 vcc, 3, v10
	s_nop 0
	v_mov_b32_dpp v6, v5 row_shr:4 row_mask:0xf bank_mask:0xf
	v_cndmask_b32_e32 v6, 0, v6, vcc
	v_add_u32_e32 v5, v5, v6
	v_cmp_lt_u32_e32 vcc, 7, v10
	s_nop 0
	v_mov_b32_dpp v6, v5 row_shr:8 row_mask:0xf bank_mask:0xf
	v_cndmask_b32_e32 v6, 0, v6, vcc
	v_add_u32_e32 v5, v5, v6
	v_cmp_lt_u32_e32 vcc, 31, v9
	s_nop 0
	v_mov_b32_dpp v6, v5 row_bcast:15 row_mask:0xf bank_mask:0xf
	v_and_b32_e32 v6, v7, v6
	v_add_u32_e32 v5, v5, v6
	v_and_b32_e32 v7, 64, v9
	s_nop 0
	v_mov_b32_dpp v6, v5 row_bcast:31 row_mask:0xf bank_mask:0xf
	v_cndmask_b32_e32 v6, 0, v6, vcc
	v_add_u32_e32 v5, v5, v6
	v_add_u32_e32 v6, -1, v9
	v_cmp_lt_i32_e32 vcc, v6, v7
	v_cndmask_b32_e32 v6, v6, v9, vcc
	v_lshlrev_b32_e32 v6, 2, v6
	ds_bpermute_b32 v5, v6, v5
	v_cmp_eq_u32_e32 vcc, 0, v0
	s_waitcnt lgkmcnt(0)
	v_add_u32_e32 v4, v5, v4
	v_cndmask_b32_e32 v3, v4, v3, vcc
	ds_write_b32 v8, v3
	; wave barrier
	ds_read2_b32 v[4:5], v8 offset0:1 offset1:2
	ds_read_b32 v6, v8 offset:12
	s_waitcnt lgkmcnt(1)
	v_add_u32_e32 v3, v4, v3
	v_add_u32_e32 v4, v5, v3
	ds_write2_b32 v8, v3, v4 offset0:1 offset1:2
	s_waitcnt lgkmcnt(1)
	v_add_u32_e32 v3, v6, v4
	ds_write_b32 v8, v3 offset:12
.LBB15_21:
	s_or_b64 exec, exec, s[8:9]
	s_waitcnt lgkmcnt(0)
	s_barrier
	ds_read_b32 v3, v2
	s_waitcnt lgkmcnt(0)
	s_barrier
	s_and_saveexec_b64 s[8:9], s[0:1]
	s_cbranch_execz .LBB15_23
; %bb.22:
	v_lshlrev_b32_e32 v2, 2, v0
	ds_write_b32 v2, v3 offset:1056
.LBB15_23:
	s_or_b64 exec, exec, s[8:9]
	s_load_dwordx8 s[8:15], s[4:5], 0x28
	s_load_dwordx2 s[28:29], s[4:5], 0x48
	s_waitcnt lgkmcnt(0)
	s_barrier
	s_and_saveexec_b64 s[4:5], s[0:1]
	s_cbranch_execz .LBB15_32
; %bb.24:
	v_cmp_ne_u32_e32 vcc, 0, v0
	v_mov_b32_e32 v2, 0
	s_and_saveexec_b64 s[0:1], vcc
	s_cbranch_execz .LBB15_26
; %bb.25:
	v_lshlrev_b32_e32 v2, 2, v0
	ds_read_b32 v2, v2 offset:1052
.LBB15_26:
	s_or_b64 exec, exec, s[0:1]
	s_waitcnt lgkmcnt(0)
	v_cmp_gt_u32_e32 vcc, s19, v2
	v_cmp_le_u32_e64 s[0:1], s19, v3
	s_and_b64 s[0:1], vcc, s[0:1]
	s_and_b64 exec, exec, s[0:1]
	s_cbranch_execz .LBB15_32
; %bb.27:
	s_add_u32 s0, s20, s24
	s_addc_u32 s1, s21, s25
	v_mov_b32_e32 v3, 0
	global_load_dword v4, v3, s[0:1]
	s_lshl_b32 s1, 0xff, s17
	v_not_b32_e32 v6, s1
	v_lshlrev_b32_e32 v5, s17, v0
	s_mul_i32 s0, s26, s16
	s_cmp_lg_u32 s6, s0
	s_waitcnt vmcnt(0)
	v_and_b32_e32 v4, v4, v6
	v_or_b32_e32 v4, v4, v5
	ds_write_b32 v3, v4 offset:2096
	s_cbranch_scc1 .LBB15_32
; %bb.28:
	s_add_u32 s0, s14, s24
	s_addc_u32 s1, s15, s25
	global_store_dword v3, v4, s[0:1]
	s_cmp_lt_i32 s17, 1
	s_mov_b64 s[0:1], -1
	s_cbranch_scc0 .LBB15_30
; %bb.29:
	s_add_u32 s0, s10, s26
	v_xor_b32_e32 v3, 0x80, v4
	s_addc_u32 s1, s11, 0
	v_mov_b32_e32 v4, 0
	global_store_byte v4, v3, s[0:1]
	s_mov_b64 s[0:1], 0
.LBB15_30:
	s_andn2_b64 vcc, exec, s[0:1]
	s_cbranch_vccnz .LBB15_32
; %bb.31:
	s_add_u32 s0, s12, s24
	v_sub_u32_e32 v2, s19, v2
	s_addc_u32 s1, s13, s25
	v_mov_b32_e32 v3, 0
	global_store_dword v3, v2, s[0:1]
.LBB15_32:
	s_or_b64 exec, exec, s[4:5]
	v_mov_b32_e32 v2, 0
	s_waitcnt lgkmcnt(0)
	s_barrier
	ds_read_b32 v2, v2 offset:2096
	s_bitcmp0_b32 s18, 0
	s_waitcnt lgkmcnt(0)
	v_lshrrev_b32_e32 v2, s17, v2
	s_cbranch_scc0 .LBB15_34
; %bb.33:
	v_and_b32_e32 v3, 0xc0, v0
	v_cmp_lt_u32_sdwa s[4:5], v3, v2 src0_sel:DWORD src1_sel:BYTE_0
	v_cmp_lt_u32_sdwa s[12:13], v0, v2 src0_sel:DWORD src1_sel:BYTE_0
	s_and_b64 s[10:11], s[4:5], exec
	s_and_b64 s[4:5], s[12:13], exec
	s_cbranch_execz .LBB15_35
	s_branch .LBB15_36
.LBB15_34:
                                        ; implicit-def: $sgpr4_sgpr5
                                        ; implicit-def: $sgpr10_sgpr11
.LBB15_35:
	v_or_b32_e32 v3, 63, v0
	v_cmp_gt_u32_sdwa s[0:1], v3, v2 src0_sel:DWORD src1_sel:BYTE_0
	v_cmp_gt_u32_sdwa s[12:13], v0, v2 src0_sel:DWORD src1_sel:BYTE_0
	s_andn2_b64 s[4:5], s[4:5], exec
	s_and_b64 s[12:13], s[12:13], exec
	s_andn2_b64 s[10:11], s[10:11], exec
	s_and_b64 s[0:1], s[0:1], exec
	s_or_b64 s[4:5], s[4:5], s[12:13]
	s_or_b64 s[10:11], s[10:11], s[0:1]
.LBB15_36:
	v_mov_b32_e32 v2, 0
	s_and_saveexec_b64 s[0:1], s[10:11]
	s_cbranch_execz .LBB15_40
; %bb.37:
	v_mov_b32_e32 v2, 0
	s_and_saveexec_b64 s[10:11], s[4:5]
	s_cbranch_execz .LBB15_39
; %bb.38:
	s_lshl_b32 s4, s6, 8
	s_mov_b32 s5, 0
	s_lshl_b64 s[4:5], s[4:5], 1
	s_add_u32 s4, s22, s4
	s_addc_u32 s5, s23, s5
	v_lshlrev_b32_e32 v2, 1, v0
	global_load_sshort v2, v2, s[4:5]
.LBB15_39:
	s_or_b64 exec, exec, s[10:11]
	v_mbcnt_hi_u32_b32 v3, -1, v1
	v_and_b32_e32 v4, 63, v3
	v_cmp_gt_u32_e32 vcc, 32, v4
	v_cndmask_b32_e64 v5, 0, 1, vcc
	v_lshlrev_b32_e32 v5, 5, v5
	v_add_lshl_u32 v5, v5, v3, 2
	s_waitcnt vmcnt(0)
	ds_bpermute_b32 v5, v5, v2
	v_cmp_gt_u32_e32 vcc, 48, v4
	v_cndmask_b32_e64 v6, 0, 1, vcc
	v_lshlrev_b32_e32 v6, 4, v6
	v_cmp_gt_u32_e32 vcc, 56, v4
	s_waitcnt lgkmcnt(0)
	v_add_u32_e32 v2, v5, v2
	v_add_lshl_u32 v5, v6, v3, 2
	ds_bpermute_b32 v5, v5, v2
	v_cndmask_b32_e64 v6, 0, 1, vcc
	v_lshlrev_b32_e32 v6, 3, v6
	v_cmp_gt_u32_e32 vcc, 60, v4
	s_waitcnt lgkmcnt(0)
	v_add_u32_e32 v2, v5, v2
	v_add_lshl_u32 v5, v6, v3, 2
	ds_bpermute_b32 v5, v5, v2
	;; [unrolled: 7-line block ×3, first 2 shown]
	v_cndmask_b32_e64 v6, 0, 1, vcc
	v_lshlrev_b32_e32 v6, 1, v6
	v_cmp_ne_u32_e32 vcc, 63, v4
	s_waitcnt lgkmcnt(0)
	v_add_u32_e32 v2, v5, v2
	v_add_lshl_u32 v5, v6, v3, 2
	ds_bpermute_b32 v5, v5, v2
	v_addc_co_u32_e32 v3, vcc, 0, v3, vcc
	v_lshlrev_b32_e32 v3, 2, v3
	s_waitcnt lgkmcnt(0)
	v_add_u32_e32 v2, v5, v2
	ds_bpermute_b32 v3, v3, v2
	s_waitcnt lgkmcnt(0)
	v_add_u32_e32 v2, v3, v2
.LBB15_40:
	s_or_b64 exec, exec, s[0:1]
	v_and_b32_e32 v3, 63, v0
	v_cmp_eq_u32_e32 vcc, 0, v3
	s_and_saveexec_b64 s[0:1], vcc
	s_cbranch_execz .LBB15_42
; %bb.41:
	v_lshrrev_b32_e32 v3, 4, v0
	v_and_b32_e32 v3, 12, v3
	ds_write_b32 v3, v2 offset:2080
.LBB15_42:
	s_or_b64 exec, exec, s[0:1]
	s_waitcnt lgkmcnt(0)
	s_barrier
	s_and_saveexec_b64 s[0:1], s[2:3]
	s_cbranch_execz .LBB15_49
; %bb.43:
	v_cmp_gt_u32_e32 vcc, 4, v0
	v_mov_b32_e32 v2, 0
	s_and_saveexec_b64 s[0:1], vcc
	s_cbranch_execz .LBB15_45
; %bb.44:
	v_lshlrev_b32_e32 v2, 2, v0
	ds_read_b32 v2, v2 offset:2080
.LBB15_45:
	s_or_b64 exec, exec, s[0:1]
	v_mbcnt_hi_u32_b32 v1, -1, v1
	v_and_b32_e32 v3, 63, v1
	v_cmp_gt_u32_e32 vcc, 62, v3
	v_cndmask_b32_e64 v4, 0, 1, vcc
	v_lshlrev_b32_e32 v4, 1, v4
	v_add_lshl_u32 v4, v4, v1, 2
	s_waitcnt lgkmcnt(0)
	ds_bpermute_b32 v4, v4, v2
	v_cmp_ne_u32_e32 vcc, 63, v3
	v_addc_co_u32_e32 v3, vcc, 0, v1, vcc
	v_cmp_eq_u32_e32 vcc, 0, v0
	s_waitcnt lgkmcnt(0)
	v_add_u32_e32 v1, v4, v2
	v_lshlrev_b32_e32 v2, 2, v3
	ds_bpermute_b32 v2, v2, v1
	s_and_saveexec_b64 s[0:1], vcc
	s_cbranch_execz .LBB15_47
; %bb.46:
	s_lshl_b64 s[2:3], s[6:7], 2
	s_add_u32 s2, s8, s2
	s_addc_u32 s3, s9, s3
	v_mov_b32_e32 v3, 0
	global_load_dword v4, v3, s[2:3]
	s_waitcnt vmcnt(0) lgkmcnt(0)
	v_add3_u32 v1, v2, v1, v4
	global_store_dword v3, v1, s[2:3]
.LBB15_47:
	s_or_b64 exec, exec, s[0:1]
	v_or_b32_e32 v0, s17, v0
	v_cmp_eq_u32_e32 vcc, 0, v0
	s_and_b64 exec, exec, vcc
	s_cbranch_execz .LBB15_49
; %bb.48:
	v_mov_b32_e32 v0, 0
	ds_read_b32 v1, v0 offset:2096
	s_lshl_b32 s0, s6, 8
	s_mov_b32 s1, 0
	s_lshl_b64 s[0:1], s[0:1], 1
	s_add_u32 s0, s22, s0
	s_waitcnt lgkmcnt(1)
	v_mov_b32_e32 v2, 1
	s_addc_u32 s1, s23, s1
	s_waitcnt lgkmcnt(0)
	v_lshlrev_b32_sdwa v1, v2, v1 dst_sel:DWORD dst_unused:UNUSED_PAD src0_sel:DWORD src1_sel:BYTE_0
	global_load_sshort v1, v1, s[0:1]
	s_lshl_b64 s[0:1], s[6:7], 2
	s_add_u32 s0, s28, s0
	s_addc_u32 s1, s29, s1
	s_waitcnt vmcnt(0)
	global_store_dword v0, v1, s[0:1]
.LBB15_49:
	s_endpgm
.LBB15_50:
	s_cbranch_execnz .LBB15_15
	s_branch .LBB15_16
	.section	.rodata,"a",@progbits
	.p2align	6, 0x0
	.amdhsa_kernel _ZN2at6native6mbtopk29computeBlockwiseWithinKCountsIjaEEvPT_PsPjjibS6_PT0_S6_S4_S6_j
		.amdhsa_group_segment_fixed_size 2100
		.amdhsa_private_segment_fixed_size 0
		.amdhsa_kernarg_size 344
		.amdhsa_user_sgpr_count 6
		.amdhsa_user_sgpr_private_segment_buffer 1
		.amdhsa_user_sgpr_dispatch_ptr 0
		.amdhsa_user_sgpr_queue_ptr 0
		.amdhsa_user_sgpr_kernarg_segment_ptr 1
		.amdhsa_user_sgpr_dispatch_id 0
		.amdhsa_user_sgpr_flat_scratch_init 0
		.amdhsa_user_sgpr_kernarg_preload_length 0
		.amdhsa_user_sgpr_kernarg_preload_offset 0
		.amdhsa_user_sgpr_private_segment_size 0
		.amdhsa_uses_dynamic_stack 0
		.amdhsa_system_sgpr_private_segment_wavefront_offset 0
		.amdhsa_system_sgpr_workgroup_id_x 1
		.amdhsa_system_sgpr_workgroup_id_y 1
		.amdhsa_system_sgpr_workgroup_id_z 1
		.amdhsa_system_sgpr_workgroup_info 0
		.amdhsa_system_vgpr_workitem_id 0
		.amdhsa_next_free_vgpr 15
		.amdhsa_next_free_sgpr 30
		.amdhsa_accum_offset 16
		.amdhsa_reserve_vcc 1
		.amdhsa_reserve_flat_scratch 0
		.amdhsa_float_round_mode_32 0
		.amdhsa_float_round_mode_16_64 0
		.amdhsa_float_denorm_mode_32 3
		.amdhsa_float_denorm_mode_16_64 3
		.amdhsa_dx10_clamp 1
		.amdhsa_ieee_mode 1
		.amdhsa_fp16_overflow 0
		.amdhsa_tg_split 0
		.amdhsa_exception_fp_ieee_invalid_op 0
		.amdhsa_exception_fp_denorm_src 0
		.amdhsa_exception_fp_ieee_div_zero 0
		.amdhsa_exception_fp_ieee_overflow 0
		.amdhsa_exception_fp_ieee_underflow 0
		.amdhsa_exception_fp_ieee_inexact 0
		.amdhsa_exception_int_div_zero 0
	.end_amdhsa_kernel
	.section	.text._ZN2at6native6mbtopk29computeBlockwiseWithinKCountsIjaEEvPT_PsPjjibS6_PT0_S6_S4_S6_j,"axG",@progbits,_ZN2at6native6mbtopk29computeBlockwiseWithinKCountsIjaEEvPT_PsPjjibS6_PT0_S6_S4_S6_j,comdat
.Lfunc_end15:
	.size	_ZN2at6native6mbtopk29computeBlockwiseWithinKCountsIjaEEvPT_PsPjjibS6_PT0_S6_S4_S6_j, .Lfunc_end15-_ZN2at6native6mbtopk29computeBlockwiseWithinKCountsIjaEEvPT_PsPjjibS6_PT0_S6_S4_S6_j
                                        ; -- End function
	.section	.AMDGPU.csdata,"",@progbits
; Kernel info:
; codeLenInByte = 2320
; NumSgprs: 34
; NumVgprs: 15
; NumAgprs: 0
; TotalNumVgprs: 15
; ScratchSize: 0
; MemoryBound: 0
; FloatMode: 240
; IeeeMode: 1
; LDSByteSize: 2100 bytes/workgroup (compile time only)
; SGPRBlocks: 4
; VGPRBlocks: 1
; NumSGPRsForWavesPerEU: 34
; NumVGPRsForWavesPerEU: 15
; AccumOffset: 16
; Occupancy: 8
; WaveLimiterHint : 1
; COMPUTE_PGM_RSRC2:SCRATCH_EN: 0
; COMPUTE_PGM_RSRC2:USER_SGPR: 6
; COMPUTE_PGM_RSRC2:TRAP_HANDLER: 0
; COMPUTE_PGM_RSRC2:TGID_X_EN: 1
; COMPUTE_PGM_RSRC2:TGID_Y_EN: 1
; COMPUTE_PGM_RSRC2:TGID_Z_EN: 1
; COMPUTE_PGM_RSRC2:TIDIG_COMP_CNT: 0
; COMPUTE_PGM_RSRC3_GFX90A:ACCUM_OFFSET: 3
; COMPUTE_PGM_RSRC3_GFX90A:TG_SPLIT: 0
	.section	.text._ZN2at6native6mbtopk10gatherTopKIajLi1EEEvNS_4cuda6detail10TensorInfoIKT_T0_EES8_S8_bjS8_NS5_IS6_S8_EES8_NS5_IlS8_EES8_jjPS6_PjSD_j,"axG",@progbits,_ZN2at6native6mbtopk10gatherTopKIajLi1EEEvNS_4cuda6detail10TensorInfoIKT_T0_EES8_S8_bjS8_NS5_IS6_S8_EES8_NS5_IlS8_EES8_jjPS6_PjSD_j,comdat
	.protected	_ZN2at6native6mbtopk10gatherTopKIajLi1EEEvNS_4cuda6detail10TensorInfoIKT_T0_EES8_S8_bjS8_NS5_IS6_S8_EES8_NS5_IlS8_EES8_jjPS6_PjSD_j ; -- Begin function _ZN2at6native6mbtopk10gatherTopKIajLi1EEEvNS_4cuda6detail10TensorInfoIKT_T0_EES8_S8_bjS8_NS5_IS6_S8_EES8_NS5_IlS8_EES8_jjPS6_PjSD_j
	.globl	_ZN2at6native6mbtopk10gatherTopKIajLi1EEEvNS_4cuda6detail10TensorInfoIKT_T0_EES8_S8_bjS8_NS5_IS6_S8_EES8_NS5_IlS8_EES8_jjPS6_PjSD_j
	.p2align	8
	.type	_ZN2at6native6mbtopk10gatherTopKIajLi1EEEvNS_4cuda6detail10TensorInfoIKT_T0_EES8_S8_bjS8_NS5_IS6_S8_EES8_NS5_IlS8_EES8_jjPS6_PjSD_j,@function
_ZN2at6native6mbtopk10gatherTopKIajLi1EEEvNS_4cuda6detail10TensorInfoIKT_T0_EES8_S8_bjS8_NS5_IS6_S8_EES8_NS5_IlS8_EES8_jjPS6_PjSD_j: ; @_ZN2at6native6mbtopk10gatherTopKIajLi1EEEvNS_4cuda6detail10TensorInfoIKT_T0_EES8_S8_bjS8_NS5_IS6_S8_EES8_NS5_IlS8_EES8_jjPS6_PjSD_j
; %bb.0:
	s_load_dwordx2 s[0:1], s[4:5], 0x2d8
	s_load_dword s2, s[4:5], 0x2d0
	s_waitcnt lgkmcnt(0)
	s_mul_i32 s1, s1, s8
	s_add_i32 s1, s1, s7
	s_mul_i32 s0, s1, s0
	s_add_i32 s0, s0, s6
	s_cmp_ge_u32 s0, s2
	s_cbranch_scc1 .LBB16_40
; %bb.1:
	s_load_dwordx8 s[8:15], s[4:5], 0x2a8
	s_mov_b32 s25, 0
	s_waitcnt lgkmcnt(0)
	v_cvt_f32_u32_e32 v1, s10
	s_sub_i32 s1, 0, s10
	v_rcp_iflag_f32_e32 v1, v1
	v_mul_f32_e32 v1, 0x4f7ffffe, v1
	v_cvt_u32_f32_e32 v1, v1
	v_readfirstlane_b32 s2, v1
	s_mul_i32 s1, s1, s2
	s_mul_hi_u32 s1, s2, s1
	s_add_i32 s2, s2, s1
	s_mul_hi_u32 s1, s0, s2
	s_mul_i32 s2, s1, s10
	s_sub_i32 s2, s0, s2
	s_add_i32 s3, s1, 1
	s_sub_i32 s6, s2, s10
	s_cmp_ge_u32 s2, s10
	s_cselect_b32 s1, s3, s1
	s_cselect_b32 s2, s6, s2
	s_add_i32 s3, s1, 1
	s_cmp_ge_u32 s2, s10
	s_cselect_b32 s11, s3, s1
	v_mov_b32_e32 v1, s11
	global_load_ubyte v5, v1, s[12:13]
	s_load_dwordx2 s[6:7], s[4:5], 0x1d0
	s_load_dwordx2 s[20:21], s[4:5], 0xf0
	s_load_dwordx2 s[22:23], s[4:5], 0x0
	s_mul_i32 s24, s11, s10
	s_sub_i32 s33, s0, s24
	v_cmp_ne_u32_e64 s[0:1], 0, v0
	v_cmp_eq_u32_e64 s[2:3], 0, v0
	s_and_saveexec_b64 s[12:13], s[2:3]
	s_cbranch_execz .LBB16_17
; %bb.2:
	s_load_dwordx2 s[26:27], s[4:5], 0x2c8
	s_lshl_b64 s[28:29], s[24:25], 2
	s_add_u32 s16, s14, s28
	s_addc_u32 s17, s15, s29
	s_mov_b32 s24, 0
	s_waitcnt lgkmcnt(0)
	s_add_u32 s18, s26, s28
	s_addc_u32 s19, s27, s29
	s_mov_b32 s34, 0
	s_cmp_lt_u32 s10, 4
	s_cbranch_scc1 .LBB16_14
; %bb.3:
	s_mov_b32 s35, 0
.LBB16_4:                               ; =>This Inner Loop Header: Depth=1
	s_add_u32 s16, s14, s28
	s_addc_u32 s17, s15, s29
	s_load_dwordx4 s[16:19], s[16:17], 0x0
	s_add_u32 s30, s26, s28
	s_addc_u32 s31, s27, s29
	s_cmp_ge_u32 s35, s33
	s_cbranch_scc0 .LBB16_11
; %bb.5:                                ;   in Loop: Header=BB16_4 Depth=1
	s_add_i32 s36, s35, 1
	s_cmp_ge_u32 s36, s33
	s_cbranch_scc0 .LBB16_12
.LBB16_6:                               ;   in Loop: Header=BB16_4 Depth=1
	s_add_i32 s36, s36, 1
	s_cmp_ge_u32 s36, s33
	s_cbranch_scc0 .LBB16_13
.LBB16_7:                               ;   in Loop: Header=BB16_4 Depth=1
	s_add_i32 s36, s36, 1
	s_cmp_ge_u32 s36, s33
	s_cbranch_scc1 .LBB16_9
.LBB16_8:                               ;   in Loop: Header=BB16_4 Depth=1
	s_load_dword s30, s[30:31], 0xc
	s_waitcnt lgkmcnt(0)
	s_add_i32 s25, s25, s19
	s_add_i32 s24, s30, s24
.LBB16_9:                               ;   in Loop: Header=BB16_4 Depth=1
	s_waitcnt lgkmcnt(0)
	s_add_i32 s16, s16, s34
	s_add_i32 s16, s16, s17
	;; [unrolled: 1-line block ×4, first 2 shown]
	s_add_u32 s14, s14, 16
	s_addc_u32 s15, s15, 0
	s_add_u32 s26, s26, 16
	s_addc_u32 s27, s27, 0
	s_add_i32 s31, s36, 4
	s_add_u32 s18, s26, s28
	s_addc_u32 s19, s27, s29
	s_add_u32 s16, s14, s28
	s_addc_u32 s17, s15, s29
	s_add_i32 s30, s36, 1
	s_cmp_ge_u32 s31, s10
	s_cbranch_scc1 .LBB16_15
; %bb.10:                               ;   in Loop: Header=BB16_4 Depth=1
	s_mov_b32 s35, s30
	s_branch .LBB16_4
.LBB16_11:                              ;   in Loop: Header=BB16_4 Depth=1
	s_load_dword s36, s[30:31], 0x0
	s_waitcnt lgkmcnt(0)
	s_add_i32 s25, s16, s25
	s_add_i32 s24, s36, s24
	;; [unrolled: 1-line block ×3, first 2 shown]
	s_cmp_ge_u32 s36, s33
	s_cbranch_scc1 .LBB16_6
.LBB16_12:                              ;   in Loop: Header=BB16_4 Depth=1
	s_load_dword s37, s[30:31], 0x4
	s_waitcnt lgkmcnt(0)
	s_add_i32 s25, s25, s17
	s_add_i32 s24, s37, s24
	;; [unrolled: 1-line block ×3, first 2 shown]
	s_cmp_ge_u32 s36, s33
	s_cbranch_scc1 .LBB16_7
.LBB16_13:                              ;   in Loop: Header=BB16_4 Depth=1
	s_load_dword s37, s[30:31], 0x8
	s_waitcnt lgkmcnt(0)
	s_add_i32 s25, s25, s18
	s_add_i32 s24, s37, s24
	;; [unrolled: 1-line block ×3, first 2 shown]
	s_cmp_ge_u32 s36, s33
	s_cbranch_scc0 .LBB16_8
	s_branch .LBB16_9
.LBB16_14:
	s_mov_b32 s14, 0
	s_cmp_ge_u32 s14, s10
	s_cbranch_scc0 .LBB16_38
	s_branch .LBB16_16
.LBB16_15:
	s_add_i32 s14, s35, 4
	s_cmp_ge_u32 s14, s10
	s_cbranch_scc0 .LBB16_38
.LBB16_16:
	v_mov_b32_e32 v2, s24
	v_mov_b32_e32 v3, s34
	;; [unrolled: 1-line block ×4, first 2 shown]
	ds_write_b96 v1, v[2:4] offset:1056
.LBB16_17:
	s_or_b64 exec, exec, s[12:13]
	s_load_dword s16, s[4:5], 0x23c
	s_load_dword s17, s[4:5], 0x15c
	;; [unrolled: 1-line block ×3, first 2 shown]
	s_load_dwordx4 s[12:15], s[4:5], 0xd8
	s_waitcnt lgkmcnt(0)
	s_mul_i32 s15, s9, s33
	s_lshl_b32 s15, s15, 8
	s_add_i32 s24, s33, 1
	s_mov_b32 s19, 0
	s_sub_i32 s25, s12, s15
	s_add_u32 s25, s25, 0xff
	s_addc_u32 s26, 0, 0
	v_mov_b32_e32 v1, s25
	v_alignbit_b32 v1, s26, v1, 8
	s_cmp_lt_u32 s24, s10
	v_readfirstlane_b32 s10, v1
	s_cselect_b32 s9, s9, s10
	s_cmp_eq_u32 s9, 0
	s_barrier
	s_cbranch_scc1 .LBB16_40
; %bb.18:
	s_mul_i32 s10, s11, s18
	s_add_u32 s10, s22, s10
	s_mul_i32 s17, s11, s17
	s_mul_i32 s18, s11, s16
	s_addc_u32 s11, s23, 0
	s_add_u32 s16, s20, s17
	v_mov_b32_e32 v1, 0
	s_addc_u32 s17, s21, 0
	s_lshl_b64 s[18:19], s[18:19], 3
	ds_read_b96 v[2:4], v1 offset:1056
	s_add_u32 s18, s6, s18
	s_addc_u32 s19, s7, s19
	s_bitcmp1_b32 s14, 0
	s_load_dword s14, s[4:5], 0xe8
	s_load_dword s21, s[4:5], 0x1c8
	v_lshlrev_b32_e32 v7, 2, v0
	v_lshrrev_b32_e32 v8, 3, v0
	s_waitcnt lgkmcnt(0)
	v_add_u32_e32 v2, v2, v3
	v_lshrrev_b32_e32 v3, 5, v0
	v_add_lshl_u32 v7, v8, v7, 2
	v_add_u32_e32 v8, -1, v0
	v_mbcnt_lo_u32_b32 v10, -1, 0
	s_movk_i32 s20, 0x80
	v_add_lshl_u32 v3, v3, v0, 2
	v_cmp_gt_u32_e64 s[4:5], 64, v0
	v_lshrrev_b32_e32 v9, 5, v8
	v_add_u32_e32 v0, s15, v0
	v_mbcnt_hi_u32_b32 v10, -1, v10
	s_waitcnt vmcnt(0)
	v_add_u32_sdwa v6, sext(v5), s20 dst_sel:DWORD dst_unused:UNUSED_PAD src0_sel:BYTE_0 src1_sel:DWORD
	s_cselect_b64 s[6:7], -1, 0
	v_add_lshl_u32 v8, v9, v8, 2
	v_mul_lo_u32 v9, s14, v0
	s_lshl_b32 s22, s14, 8
	v_and_b32_e32 v11, 15, v10
	v_bfe_i32 v12, v10, 4, 1
	v_add_u32_e32 v13, -1, v10
	v_and_b32_e32 v14, 64, v10
                                        ; implicit-def: $vgpr15
	s_branch .LBB16_21
.LBB16_19:                              ;   in Loop: Header=BB16_21 Depth=1
	s_or_b64 exec, exec, s[14:15]
	v_add_u32_e32 v2, v18, v2
.LBB16_20:                              ;   in Loop: Header=BB16_21 Depth=1
	s_add_i32 s9, s9, -1
	v_add_u32_e32 v4, v17, v4
	v_add_u32_e32 v9, s22, v9
	s_cmp_lg_u32 s9, 0
	v_add_u32_e32 v0, 0x100, v0
	s_cbranch_scc0 .LBB16_40
.LBB16_21:                              ; =>This Inner Loop Header: Depth=1
	v_cmp_gt_u32_e32 vcc, s12, v0
	v_mov_b32_e32 v18, 0
	v_mov_b32_e32 v16, 0
	s_and_saveexec_b64 s[14:15], vcc
	s_cbranch_execz .LBB16_23
; %bb.22:                               ;   in Loop: Header=BB16_21 Depth=1
	global_load_ubyte v15, v9, s[10:11]
	s_waitcnt vmcnt(0)
	v_add_u32_sdwa v16, sext(v15), s20 dst_sel:DWORD dst_unused:UNUSED_PAD src0_sel:BYTE_0 src1_sel:DWORD
	v_cmp_gt_u32_e32 vcc, v16, v6
	v_cndmask_b32_e64 v17, 0, 1, vcc
	v_cmp_lt_u32_e32 vcc, v16, v6
	v_cndmask_b32_e64 v16, 0, 1, vcc
	v_cndmask_b32_e64 v16, v16, v17, s[6:7]
	v_cmp_eq_u16_sdwa s[24:25], v15, v5 src0_sel:DWORD src1_sel:BYTE_0
	v_and_b32_e32 v18, 1, v16
	v_cndmask_b32_e64 v16, 0, 1, s[24:25]
.LBB16_23:                              ;   in Loop: Header=BB16_21 Depth=1
	s_or_b64 exec, exec, s[14:15]
	ds_write_b32 v3, v18
	s_waitcnt lgkmcnt(0)
	s_barrier
	s_and_saveexec_b64 s[14:15], s[4:5]
	s_cbranch_execz .LBB16_25
; %bb.24:                               ;   in Loop: Header=BB16_21 Depth=1
	ds_read2_b32 v[20:21], v7 offset1:1
	ds_read2_b32 v[22:23], v7 offset0:2 offset1:3
	v_cmp_ne_u32_e32 vcc, 0, v11
	; wave barrier
	s_waitcnt lgkmcnt(1)
	v_add_u32_e32 v17, v21, v20
	s_waitcnt lgkmcnt(0)
	v_add3_u32 v17, v17, v22, v23
	s_nop 1
	v_mov_b32_dpp v19, v17 row_shr:1 row_mask:0xf bank_mask:0xf
	v_cndmask_b32_e32 v19, 0, v19, vcc
	v_add_u32_e32 v17, v19, v17
	v_cmp_lt_u32_e32 vcc, 1, v11
	s_nop 0
	v_mov_b32_dpp v19, v17 row_shr:2 row_mask:0xf bank_mask:0xf
	v_cndmask_b32_e32 v19, 0, v19, vcc
	v_add_u32_e32 v17, v17, v19
	v_cmp_lt_u32_e32 vcc, 3, v11
	;; [unrolled: 5-line block ×4, first 2 shown]
	s_nop 0
	v_mov_b32_dpp v19, v17 row_bcast:15 row_mask:0xf bank_mask:0xf
	v_and_b32_e32 v19, v12, v19
	v_add_u32_e32 v17, v17, v19
	s_nop 1
	v_mov_b32_dpp v19, v17 row_bcast:31 row_mask:0xf bank_mask:0xf
	v_cndmask_b32_e32 v19, 0, v19, vcc
	v_cmp_lt_i32_e32 vcc, v13, v14
	v_add_u32_e32 v17, v17, v19
	v_cndmask_b32_e32 v19, v13, v10, vcc
	v_lshlrev_b32_e32 v19, 2, v19
	ds_bpermute_b32 v17, v19, v17
	s_waitcnt lgkmcnt(0)
	v_add_u32_e32 v17, v17, v20
	v_cndmask_b32_e64 v17, v17, v18, s[2:3]
	ds_write_b32 v7, v17
	; wave barrier
	ds_read2_b32 v[20:21], v7 offset0:1 offset1:2
	ds_read_b32 v19, v7 offset:12
	s_waitcnt lgkmcnt(1)
	v_add_u32_e32 v17, v20, v17
	v_add_u32_e32 v20, v21, v17
	ds_write2_b32 v7, v17, v20 offset0:1 offset1:2
	s_waitcnt lgkmcnt(1)
	v_add_u32_e32 v17, v19, v20
	ds_write_b32 v7, v17 offset:12
.LBB16_25:                              ;   in Loop: Header=BB16_21 Depth=1
	s_or_b64 exec, exec, s[14:15]
	v_mov_b32_e32 v19, 0
	s_waitcnt lgkmcnt(0)
	s_barrier
	s_and_saveexec_b64 s[14:15], s[0:1]
	s_cbranch_execz .LBB16_27
; %bb.26:                               ;   in Loop: Header=BB16_21 Depth=1
	ds_read_b32 v19, v8
.LBB16_27:                              ;   in Loop: Header=BB16_21 Depth=1
	s_or_b64 exec, exec, s[14:15]
	ds_read_b32 v17, v1 offset:1048
	v_cmp_ne_u32_e32 vcc, 0, v18
	s_waitcnt lgkmcnt(0)
	s_barrier
	s_and_saveexec_b64 s[14:15], vcc
	s_cbranch_execz .LBB16_29
; %bb.28:                               ;   in Loop: Header=BB16_21 Depth=1
	v_add_u32_e32 v18, v19, v4
	v_mul_lo_u32 v19, v18, s21
	global_store_byte v19, v15, s[16:17]
	v_mul_lo_u32 v18, v18, s8
	v_mov_b32_e32 v19, v1
	v_lshlrev_b64 v[18:19], 3, v[18:19]
	v_mov_b32_e32 v20, s19
	v_add_co_u32_e32 v18, vcc, s18, v18
	v_addc_co_u32_e32 v19, vcc, v20, v19, vcc
	global_store_dwordx2 v[18:19], v[0:1], off
.LBB16_29:                              ;   in Loop: Header=BB16_21 Depth=1
	s_or_b64 exec, exec, s[14:15]
	v_cmp_le_u32_e32 vcc, s13, v2
	s_cbranch_vccnz .LBB16_20
; %bb.30:                               ;   in Loop: Header=BB16_21 Depth=1
	ds_write_b32 v3, v16
	s_waitcnt lgkmcnt(0)
	s_barrier
	s_and_saveexec_b64 s[14:15], s[4:5]
	s_cbranch_execz .LBB16_32
; %bb.31:                               ;   in Loop: Header=BB16_21 Depth=1
	ds_read2_b32 v[18:19], v7 offset1:1
	ds_read2_b32 v[20:21], v7 offset0:2 offset1:3
	v_cmp_ne_u32_e32 vcc, 0, v11
	; wave barrier
	s_waitcnt lgkmcnt(1)
	v_add_u32_e32 v19, v19, v18
	s_waitcnt lgkmcnt(0)
	v_add3_u32 v19, v19, v20, v21
	s_nop 1
	v_mov_b32_dpp v20, v19 row_shr:1 row_mask:0xf bank_mask:0xf
	v_cndmask_b32_e32 v20, 0, v20, vcc
	v_add_u32_e32 v19, v20, v19
	v_cmp_lt_u32_e32 vcc, 1, v11
	s_nop 0
	v_mov_b32_dpp v20, v19 row_shr:2 row_mask:0xf bank_mask:0xf
	v_cndmask_b32_e32 v20, 0, v20, vcc
	v_add_u32_e32 v19, v19, v20
	v_cmp_lt_u32_e32 vcc, 3, v11
	;; [unrolled: 5-line block ×4, first 2 shown]
	s_nop 0
	v_mov_b32_dpp v20, v19 row_bcast:15 row_mask:0xf bank_mask:0xf
	v_and_b32_e32 v20, v12, v20
	v_add_u32_e32 v19, v19, v20
	s_nop 1
	v_mov_b32_dpp v20, v19 row_bcast:31 row_mask:0xf bank_mask:0xf
	v_cndmask_b32_e32 v20, 0, v20, vcc
	v_cmp_lt_i32_e32 vcc, v13, v14
	v_add_u32_e32 v19, v19, v20
	v_cndmask_b32_e32 v20, v13, v10, vcc
	v_lshlrev_b32_e32 v20, 2, v20
	ds_bpermute_b32 v19, v20, v19
	s_waitcnt lgkmcnt(0)
	v_add_u32_e32 v18, v19, v18
	v_cndmask_b32_e64 v20, v18, v16, s[2:3]
	ds_write_b32 v7, v20
	; wave barrier
	ds_read2_b32 v[18:19], v7 offset0:1 offset1:2
	ds_read_b32 v21, v7 offset:12
	s_waitcnt lgkmcnt(1)
	v_add_u32_e32 v18, v18, v20
	v_add_u32_e32 v19, v19, v18
	ds_write2_b32 v7, v18, v19 offset0:1 offset1:2
	s_waitcnt lgkmcnt(1)
	v_add_u32_e32 v18, v21, v19
	ds_write_b32 v7, v18 offset:12
.LBB16_32:                              ;   in Loop: Header=BB16_21 Depth=1
	s_or_b64 exec, exec, s[14:15]
	v_mov_b32_e32 v19, 0
	s_waitcnt lgkmcnt(0)
	s_barrier
	s_and_saveexec_b64 s[14:15], s[0:1]
	s_cbranch_execz .LBB16_34
; %bb.33:                               ;   in Loop: Header=BB16_21 Depth=1
	ds_read_b32 v19, v8
.LBB16_34:                              ;   in Loop: Header=BB16_21 Depth=1
	s_or_b64 exec, exec, s[14:15]
	ds_read_b32 v18, v1 offset:1048
	v_cmp_ne_u32_e32 vcc, 0, v16
	s_waitcnt lgkmcnt(0)
	s_barrier
	s_and_saveexec_b64 s[14:15], vcc
	s_cbranch_execz .LBB16_19
; %bb.35:                               ;   in Loop: Header=BB16_21 Depth=1
	v_add_u32_e32 v16, v19, v2
	v_cmp_gt_u32_e32 vcc, s13, v16
	s_and_b64 exec, exec, vcc
	s_cbranch_execz .LBB16_19
; %bb.36:                               ;   in Loop: Header=BB16_21 Depth=1
	v_mul_lo_u32 v20, v16, s8
	v_mov_b32_e32 v21, v1
	v_lshlrev_b64 v[20:21], 3, v[20:21]
	v_mul_lo_u32 v19, v16, s21
	v_mov_b32_e32 v16, s19
	v_add_co_u32_e32 v20, vcc, s18, v20
	v_addc_co_u32_e32 v21, vcc, v16, v21, vcc
	global_store_byte v19, v15, s[16:17]
	global_store_dwordx2 v[20:21], v[0:1], off
	s_branch .LBB16_19
.LBB16_37:                              ;   in Loop: Header=BB16_38 Depth=1
	s_add_u32 s16, s16, 4
	s_addc_u32 s17, s17, 0
	s_waitcnt lgkmcnt(0)
	s_add_i32 s34, s15, s34
	s_add_u32 s18, s18, 4
	s_addc_u32 s19, s19, 0
	s_add_i32 s14, s14, 1
	s_cmp_lt_u32 s14, s10
	s_cbranch_scc0 .LBB16_16
.LBB16_38:                              ; =>This Inner Loop Header: Depth=1
	s_load_dword s15, s[16:17], 0x0
	s_cmp_ge_u32 s14, s33
	s_cbranch_scc1 .LBB16_37
; %bb.39:                               ;   in Loop: Header=BB16_38 Depth=1
	s_load_dword s26, s[18:19], 0x0
	s_waitcnt lgkmcnt(0)
	s_add_i32 s25, s15, s25
	s_add_i32 s24, s26, s24
	s_branch .LBB16_37
.LBB16_40:
	s_endpgm
	.section	.rodata,"a",@progbits
	.p2align	6, 0x0
	.amdhsa_kernel _ZN2at6native6mbtopk10gatherTopKIajLi1EEEvNS_4cuda6detail10TensorInfoIKT_T0_EES8_S8_bjS8_NS5_IS6_S8_EES8_NS5_IlS8_EES8_jjPS6_PjSD_j
		.amdhsa_group_segment_fixed_size 1068
		.amdhsa_private_segment_fixed_size 0
		.amdhsa_kernarg_size 984
		.amdhsa_user_sgpr_count 6
		.amdhsa_user_sgpr_private_segment_buffer 1
		.amdhsa_user_sgpr_dispatch_ptr 0
		.amdhsa_user_sgpr_queue_ptr 0
		.amdhsa_user_sgpr_kernarg_segment_ptr 1
		.amdhsa_user_sgpr_dispatch_id 0
		.amdhsa_user_sgpr_flat_scratch_init 0
		.amdhsa_user_sgpr_kernarg_preload_length 0
		.amdhsa_user_sgpr_kernarg_preload_offset 0
		.amdhsa_user_sgpr_private_segment_size 0
		.amdhsa_uses_dynamic_stack 0
		.amdhsa_system_sgpr_private_segment_wavefront_offset 0
		.amdhsa_system_sgpr_workgroup_id_x 1
		.amdhsa_system_sgpr_workgroup_id_y 1
		.amdhsa_system_sgpr_workgroup_id_z 1
		.amdhsa_system_sgpr_workgroup_info 0
		.amdhsa_system_vgpr_workitem_id 0
		.amdhsa_next_free_vgpr 24
		.amdhsa_next_free_sgpr 38
		.amdhsa_accum_offset 24
		.amdhsa_reserve_vcc 1
		.amdhsa_reserve_flat_scratch 0
		.amdhsa_float_round_mode_32 0
		.amdhsa_float_round_mode_16_64 0
		.amdhsa_float_denorm_mode_32 3
		.amdhsa_float_denorm_mode_16_64 3
		.amdhsa_dx10_clamp 1
		.amdhsa_ieee_mode 1
		.amdhsa_fp16_overflow 0
		.amdhsa_tg_split 0
		.amdhsa_exception_fp_ieee_invalid_op 0
		.amdhsa_exception_fp_denorm_src 0
		.amdhsa_exception_fp_ieee_div_zero 0
		.amdhsa_exception_fp_ieee_overflow 0
		.amdhsa_exception_fp_ieee_underflow 0
		.amdhsa_exception_fp_ieee_inexact 0
		.amdhsa_exception_int_div_zero 0
	.end_amdhsa_kernel
	.section	.text._ZN2at6native6mbtopk10gatherTopKIajLi1EEEvNS_4cuda6detail10TensorInfoIKT_T0_EES8_S8_bjS8_NS5_IS6_S8_EES8_NS5_IlS8_EES8_jjPS6_PjSD_j,"axG",@progbits,_ZN2at6native6mbtopk10gatherTopKIajLi1EEEvNS_4cuda6detail10TensorInfoIKT_T0_EES8_S8_bjS8_NS5_IS6_S8_EES8_NS5_IlS8_EES8_jjPS6_PjSD_j,comdat
.Lfunc_end16:
	.size	_ZN2at6native6mbtopk10gatherTopKIajLi1EEEvNS_4cuda6detail10TensorInfoIKT_T0_EES8_S8_bjS8_NS5_IS6_S8_EES8_NS5_IlS8_EES8_jjPS6_PjSD_j, .Lfunc_end16-_ZN2at6native6mbtopk10gatherTopKIajLi1EEEvNS_4cuda6detail10TensorInfoIKT_T0_EES8_S8_bjS8_NS5_IS6_S8_EES8_NS5_IlS8_EES8_jjPS6_PjSD_j
                                        ; -- End function
	.section	.AMDGPU.csdata,"",@progbits
; Kernel info:
; codeLenInByte = 1976
; NumSgprs: 42
; NumVgprs: 24
; NumAgprs: 0
; TotalNumVgprs: 24
; ScratchSize: 0
; MemoryBound: 0
; FloatMode: 240
; IeeeMode: 1
; LDSByteSize: 1068 bytes/workgroup (compile time only)
; SGPRBlocks: 5
; VGPRBlocks: 2
; NumSGPRsForWavesPerEU: 42
; NumVGPRsForWavesPerEU: 24
; AccumOffset: 24
; Occupancy: 8
; WaveLimiterHint : 1
; COMPUTE_PGM_RSRC2:SCRATCH_EN: 0
; COMPUTE_PGM_RSRC2:USER_SGPR: 6
; COMPUTE_PGM_RSRC2:TRAP_HANDLER: 0
; COMPUTE_PGM_RSRC2:TGID_X_EN: 1
; COMPUTE_PGM_RSRC2:TGID_Y_EN: 1
; COMPUTE_PGM_RSRC2:TGID_Z_EN: 1
; COMPUTE_PGM_RSRC2:TIDIG_COMP_CNT: 0
; COMPUTE_PGM_RSRC3_GFX90A:ACCUM_OFFSET: 5
; COMPUTE_PGM_RSRC3_GFX90A:TG_SPLIT: 0
	.section	.text._ZN2at6native6sbtopk10gatherTopKIajLi1ELb0EEEvNS_4cuda6detail10TensorInfoIKT_T0_EES8_S8_bS8_S8_NS5_IS6_S8_EES8_NS5_IlS8_EES8_PS6_,"axG",@progbits,_ZN2at6native6sbtopk10gatherTopKIajLi1ELb0EEEvNS_4cuda6detail10TensorInfoIKT_T0_EES8_S8_bS8_S8_NS5_IS6_S8_EES8_NS5_IlS8_EES8_PS6_,comdat
	.protected	_ZN2at6native6sbtopk10gatherTopKIajLi1ELb0EEEvNS_4cuda6detail10TensorInfoIKT_T0_EES8_S8_bS8_S8_NS5_IS6_S8_EES8_NS5_IlS8_EES8_PS6_ ; -- Begin function _ZN2at6native6sbtopk10gatherTopKIajLi1ELb0EEEvNS_4cuda6detail10TensorInfoIKT_T0_EES8_S8_bS8_S8_NS5_IS6_S8_EES8_NS5_IlS8_EES8_PS6_
	.globl	_ZN2at6native6sbtopk10gatherTopKIajLi1ELb0EEEvNS_4cuda6detail10TensorInfoIKT_T0_EES8_S8_bS8_S8_NS5_IS6_S8_EES8_NS5_IlS8_EES8_PS6_
	.p2align	8
	.type	_ZN2at6native6sbtopk10gatherTopKIajLi1ELb0EEEvNS_4cuda6detail10TensorInfoIKT_T0_EES8_S8_bS8_S8_NS5_IS6_S8_EES8_NS5_IlS8_EES8_PS6_,@function
_ZN2at6native6sbtopk10gatherTopKIajLi1ELb0EEEvNS_4cuda6detail10TensorInfoIKT_T0_EES8_S8_bS8_S8_NS5_IS6_S8_EES8_NS5_IlS8_EES8_PS6_: ; @_ZN2at6native6sbtopk10gatherTopKIajLi1ELb0EEEvNS_4cuda6detail10TensorInfoIKT_T0_EES8_S8_bS8_S8_NS5_IS6_S8_EES8_NS5_IlS8_EES8_PS6_
; %bb.0:
	s_load_dwordx2 s[10:11], s[4:5], 0x2b8
	s_load_dwordx4 s[60:63], s[4:5], 0xd8
	s_mov_b64 s[14:15], s[4:5]
	s_add_u32 s2, s14, 0x2b8
	s_addc_u32 s3, s15, 0
	s_waitcnt lgkmcnt(0)
	s_mul_i32 s0, s11, s8
	s_add_i32 s0, s0, s7
	s_mul_i32 s0, s0, s10
	s_add_i32 s5, s0, s6
	s_cmp_ge_u32 s5, s63
	s_cbranch_scc1 .LBB17_411
; %bb.1:
	s_load_dwordx2 s[0:1], s[14:15], 0x1d0
                                        ; implicit-def: $vgpr46 : SGPR spill to VGPR lane
	s_mov_b32 s8, 0
	s_waitcnt lgkmcnt(0)
	v_writelane_b32 v46, s0, 0
	v_writelane_b32 v46, s1, 1
	s_load_dwordx2 s[0:1], s[14:15], 0xf0
	s_waitcnt lgkmcnt(0)
	v_writelane_b32 v46, s0, 2
	v_writelane_b32 v46, s1, 3
	s_load_dword s11, s[14:15], 0xe8
	s_load_dword s4, s[14:15], 0x6c
	s_load_dwordx2 s[0:1], s[14:15], 0x0
	v_writelane_b32 v46, s8, 4
	v_writelane_b32 v46, s9, 5
	v_cmp_eq_u32_e64 s[8:9], 0, v0
	s_mov_b64 s[12:13], exec
	v_writelane_b32 v46, s8, 6
	v_writelane_b32 v46, s9, 7
	s_and_b64 s[8:9], s[12:13], s[8:9]
	s_mov_b64 exec, s[8:9]
	s_cbranch_execz .LBB17_3
; %bb.2:
	v_mov_b32_e32 v2, 0
	v_mov_b32_e32 v3, s60
	;; [unrolled: 1-line block ×3, first 2 shown]
	ds_write_b96 v2, v[2:4] offset:4096
.LBB17_3:
	s_or_b64 exec, exec, s[12:13]
	s_load_dword s7, s[14:15], 0x23c
	s_waitcnt lgkmcnt(0)
	s_mul_i32 s4, s4, s5
	s_add_u32 s64, s0, s4
	s_barrier
	v_writelane_b32 v46, s7, 8
	v_writelane_b32 v46, s14, 9
	s_load_dword s7, s[14:15], 0x15c
	s_waitcnt lgkmcnt(0)
	s_load_dword s0, s[2:3], 0xc
	v_writelane_b32 v46, s15, 10
	s_addc_u32 s65, s1, 0
	v_writelane_b32 v46, s7, 11
	s_bitcmp1_b32 s62, 0
	v_writelane_b32 v46, s5, 12
	s_cselect_b64 s[4:5], -1, 0
	v_mbcnt_lo_u32_b32 v2, -1, 0
	v_writelane_b32 v46, s4, 13
	v_mbcnt_hi_u32_b32 v13, -1, v2
	v_writelane_b32 v46, s5, 14
	s_xor_b64 s[62:63], s[4:5], -1
	s_waitcnt lgkmcnt(0)
	s_and_b32 s33, s0, 0xffff
	s_bfe_u32 s5, s0, 0xa0006
	v_cmp_gt_u32_e32 vcc, 64, v0
	v_cmp_gt_i32_e64 s[0:1], 4, v13
	s_lshl_b32 s9, s33, 2
	s_and_b64 s[72:73], vcc, s[0:1]
	s_cmpk_gt_u32 s60, 0xc00
	s_cselect_b64 s[0:1], -1, 0
	v_writelane_b32 v46, s0, 15
	s_cmp_gt_u32 s33, 63
	v_writelane_b32 v46, s1, 16
	s_cselect_b64 s[0:1], -1, 0
	v_writelane_b32 v46, s0, 17
	v_writelane_b32 v46, s1, 18
	s_add_i32 s0, s33, -1
	s_add_i32 s4, s0, s60
	s_cmp_lt_u32 s6, s10
	v_writelane_b32 v46, s0, 19
	s_cselect_b32 s0, 12, 18
	s_add_u32 s0, s2, s0
	s_addc_u32 s1, s3, 0
	v_writelane_b32 v46, s0, 20
	s_add_i32 s2, s5, -2
	v_writelane_b32 v46, s1, 21
	s_lshr_b32 s0, s2, 1
	s_add_i32 s3, s0, 1
	s_cmpk_gt_u32 s33, 0x7f
	s_cselect_b64 s[0:1], -1, 0
	v_writelane_b32 v46, s0, 22
	v_mul_lo_u32 v15, v0, s11
	v_writelane_b32 v46, s1, 23
	v_mov_b32_e32 v2, s65
	v_add_co_u32_e32 v8, vcc, s64, v15
	v_cmp_gt_u32_e64 s[6:7], s60, v0
	v_addc_co_u32_e32 v9, vcc, 0, v2, vcc
	v_writelane_b32 v46, s6, 24
	v_lshrrev_b32_e32 v2, 4, v0
	v_writelane_b32 v46, s7, 25
	v_and_b32_e32 v16, 60, v2
	v_cmp_gt_u32_e64 s[6:7], 2, v0
	v_lshlrev_b64 v[2:3], v13, -1
	v_writelane_b32 v46, s6, 26
	v_not_b32_e32 v6, v2
	v_cvt_f32_u32_e32 v2, s9
	v_writelane_b32 v46, s7, 27
	s_and_b32 s6, s5, 0x3fe
	s_and_b32 s7, s3, 7
	s_cmp_gt_u32 s2, 13
	s_cselect_b64 s[12:13], -1, 0
	v_writelane_b32 v46, s12, 28
	v_rcp_iflag_f32_e32 v2, v2
	v_writelane_b32 v46, s13, 29
	s_and_b32 s2, s3, -8
	v_writelane_b32 v46, s2, 30
	s_cmp_lg_u32 s7, 0
	v_writelane_b32 v46, s7, 31
	s_cselect_b64 s[2:3], -1, 0
	v_writelane_b32 v46, s2, 32
	v_mul_f32_e32 v2, 0x4f7ffffe, v2
	v_writelane_b32 v46, s3, 33
	v_cvt_u32_f32_e32 v2, v2
	v_writelane_b32 v46, s5, 34
	s_cmp_lg_u32 s6, s5
	v_writelane_b32 v46, s6, 35
	s_cselect_b64 s[2:3], -1, 0
	v_writelane_b32 v46, s2, 36
	v_writelane_b32 v46, s3, 37
	s_sub_i32 s2, 0, s9
	v_readfirstlane_b32 s3, v2
	v_cvt_f32_u32_e32 v2, s33
	s_mul_i32 s2, s2, s3
	s_mul_hi_u32 s2, s3, s2
	s_add_i32 s2, s3, s2
	v_writelane_b32 v46, s2, 38
	s_mul_hi_u32 s2, s60, s2
	v_rcp_iflag_f32_e32 v2, v2
	s_mul_i32 s2, s2, s9
	s_sub_i32 s2, s60, s2
	s_sub_i32 s3, s2, s9
	s_cmp_ge_u32 s2, s9
	v_mul_f32_e32 v2, 0x4f7ffffe, v2
	s_cselect_b32 s2, s3, s2
	v_cvt_u32_f32_e32 v2, v2
	s_sub_i32 s3, s2, s9
	s_cmp_ge_u32 s2, s9
	s_cselect_b32 s2, s3, s2
	v_lshlrev_b32_e32 v14, 2, v0
	s_sub_i32 s74, s60, s2
	s_sub_i32 s3, 0, s33
	v_readfirstlane_b32 s5, v2
	v_cmp_gt_u32_e64 s[6:7], s74, v14
	s_mul_i32 s3, s3, s5
	v_writelane_b32 v46, s6, 39
	s_mul_hi_u32 s3, s5, s3
	v_writelane_b32 v46, s7, 40
	s_add_i32 s3, s5, s3
	v_writelane_b32 v46, s3, 41
	s_mul_hi_u32 s3, s4, s3
	s_mul_i32 s3, s3, s33
	s_sub_i32 s3, s4, s3
	s_sub_i32 s5, s3, s33
	s_cmp_ge_u32 s3, s33
	s_cselect_b32 s3, s5, s3
	s_sub_i32 s5, s3, s33
	s_cmp_ge_u32 s3, s33
	v_mul_lo_u32 v2, s11, v14
	s_cselect_b32 s3, s5, s3
	v_add_u32_e32 v18, s11, v2
	v_or_b32_e32 v2, 2, v14
	v_add_u32_e32 v17, s74, v0
	s_sub_i32 s7, s4, s3
	v_mul_lo_u32 v19, s11, v2
	v_or_b32_e32 v2, 3, v14
	s_add_i32 s3, s33, s60
	v_not_b32_e32 v7, v3
	v_mul_lo_u32 v3, v17, s11
	v_cmp_gt_u32_e64 s[4:5], s7, v0
	v_mul_lo_u32 v20, s11, v2
	v_add_u32_e32 v2, s3, v0
	v_lshlrev_b32_e32 v4, 2, v13
	v_mov_b32_e32 v5, s65
	v_add_co_u32_e32 v10, vcc, s64, v3
	v_writelane_b32 v46, s4, 42
	s_mul_i32 s8, s11, s33
	v_subrev_u32_e32 v2, s2, v2
	v_mov_b32_e32 v1, 0
	v_cmp_eq_u32_e64 s[0:1], 0, v13
	v_and_b32_e32 v12, 0x100, v4
	v_cmp_gt_u32_e64 s[14:15], s60, v17
	v_addc_co_u32_e32 v11, vcc, 0, v5, vcc
	v_writelane_b32 v46, s5, 43
	s_lshl_b32 s75, s8, 2
	v_lshlrev_b32_e32 v21, 2, v15
	v_mul_lo_u32 v22, s11, v2
	v_or_b32_e32 v23, 0xc00, v4
	s_mov_b32 s77, 6
	s_mov_b64 s[88:89], 0
	v_mov_b32_e32 v24, 0
	v_mov_b32_e32 v29, s61
	s_movk_i32 s76, 0x80
	v_mov_b32_e32 v25, 0xc00
	v_mov_b32_e32 v28, 0
	s_mov_b32 s4, 0
	v_mov_b32_e32 v27, 0
	v_mov_b32_e32 v26, 0
	v_writelane_b32 v46, s11, 44
                                        ; implicit-def: $sgpr90_sgpr91
                                        ; implicit-def: $sgpr92_sgpr93
                                        ; implicit-def: $sgpr66_sgpr67
                                        ; implicit-def: $sgpr68_sgpr69
                                        ; implicit-def: $sgpr94_sgpr95
                                        ; implicit-def: $sgpr2_sgpr3
                                        ; implicit-def: $sgpr82_sgpr83
                                        ; implicit-def: $sgpr84_sgpr85
                                        ; implicit-def: $sgpr86_sgpr87
                                        ; implicit-def: $sgpr78_sgpr79
	s_branch .LBB17_6
.LBB17_4:                               ;   in Loop: Header=BB17_6 Depth=1
	s_or_b64 exec, exec, s[22:23]
	s_andn2_b64 s[10:11], s[78:79], exec
	s_and_b64 s[12:13], s[20:21], exec
	s_or_b64 s[78:79], s[10:11], s[12:13]
	s_andn2_b64 s[86:87], s[86:87], exec
	s_andn2_b64 s[84:85], s[84:85], exec
	;; [unrolled: 1-line block ×4, first 2 shown]
	s_orn2_b64 s[18:19], s[18:19], exec
	v_mov_b32_e32 v26, v3
	v_mov_b32_e32 v27, v2
	;; [unrolled: 1-line block ×4, first 2 shown]
.LBB17_5:                               ;   in Loop: Header=BB17_6 Depth=1
	s_or_b64 exec, exec, s[16:17]
	s_and_b64 s[10:11], exec, s[18:19]
	s_or_b64 s[88:89], s[10:11], s[88:89]
	s_andn2_b64 s[10:11], s[94:95], exec
	s_and_b64 s[12:13], s[78:79], exec
	s_or_b64 s[94:95], s[10:11], s[12:13]
	s_andn2_b64 s[10:11], s[68:69], exec
	s_and_b64 s[12:13], s[86:87], exec
	;; [unrolled: 3-line block ×5, first 2 shown]
	s_or_b64 s[90:91], s[10:11], s[12:13]
	s_andn2_b64 exec, exec, s[88:89]
	s_cbranch_execz .LBB17_407
.LBB17_6:                               ; =>This Loop Header: Depth=1
                                        ;     Child Loop BB17_11 Depth 2
                                        ;     Child Loop BB17_29 Depth 2
	;; [unrolled: 1-line block ×25, first 2 shown]
	ds_read_b64 v[2:3], v24 offset:4096
	s_waitcnt lgkmcnt(0)
	v_readfirstlane_b32 s5, v2
	s_cmp_lg_u32 s5, 0
	s_cbranch_scc1 .LBB17_36
; %bb.7:                                ;   in Loop: Header=BB17_6 Depth=1
	v_readlane_b32 s10, v46, 15
	v_readlane_b32 s11, v46, 16
	s_and_b64 vcc, exec, s[10:11]
	s_cbranch_vccz .LBB17_19
; %bb.8:                                ;   in Loop: Header=BB17_6 Depth=1
	s_movk_i32 s5, 0xc01
	v_cmp_gt_u32_e32 vcc, s5, v3
	s_mov_b64 s[16:17], 0
	s_mov_b64 s[18:19], 0
	s_cbranch_vccz .LBB17_20
; %bb.9:                                ;   in Loop: Header=BB17_6 Depth=1
	v_readlane_b32 s10, v46, 20
	v_readlane_b32 s11, v46, 21
	s_nop 4
	global_load_ushort v2, v24, s[10:11]
	global_load_ubyte v3, v[8:9], off
	v_readlane_b32 s5, v46, 44
	s_mov_b64 s[22:23], 0
	v_mov_b32_e32 v30, v0
	s_waitcnt vmcnt(1)
	v_add_u32_e32 v5, v0, v2
	v_mul_lo_u32 v4, s5, v2
	v_mul_lo_u32 v5, s5, v5
	s_branch .LBB17_11
.LBB17_10:                              ;   in Loop: Header=BB17_11 Depth=2
	s_or_b64 exec, exec, s[20:21]
	v_add_u32_e32 v5, v5, v4
	v_mov_b32_e32 v3, v31
	s_andn2_b64 exec, exec, s[22:23]
	s_cbranch_execz .LBB17_21
.LBB17_11:                              ;   Parent Loop BB17_6 Depth=1
                                        ; =>  This Inner Loop Header: Depth=2
	v_add_u32_e32 v30, v30, v2
	v_cmp_gt_u32_e64 s[18:19], s60, v30
	v_cmp_le_u32_e32 vcc, s60, v30
	s_waitcnt lgkmcnt(0)
	v_mov_b32_e32 v32, 0
	v_mov_b32_e32 v31, 0
	s_and_saveexec_b64 s[20:21], s[18:19]
	s_cbranch_execz .LBB17_13
; %bb.12:                               ;   in Loop: Header=BB17_11 Depth=2
	global_load_ubyte v31, v5, s[64:65]
.LBB17_13:                              ;   in Loop: Header=BB17_11 Depth=2
	s_or_b64 exec, exec, s[20:21]
	s_waitcnt vmcnt(0)
	v_add_u32_sdwa v33, sext(v3), s76 dst_sel:DWORD dst_unused:UNUSED_PAD src0_sel:BYTE_0 src1_sel:DWORD
	v_and_b32_e32 v33, v33, v26
	v_cmp_eq_u32_e64 s[18:19], v33, v27
	s_cmp_lg_u64 s[18:19], 0
	s_cselect_b64 s[10:11], -1, 0
	s_and_b64 s[10:11], s[0:1], s[10:11]
	s_and_saveexec_b64 s[24:25], s[10:11]
	s_cbranch_execz .LBB17_17
; %bb.14:                               ;   in Loop: Header=BB17_11 Depth=2
	s_mov_b64 s[28:29], exec
	v_mbcnt_lo_u32_b32 v32, s28, 0
	v_mbcnt_hi_u32_b32 v32, s29, v32
	s_bcnt1_i32_b64 s5, s[18:19]
	v_cmp_eq_u32_e64 s[20:21], 0, v32
                                        ; implicit-def: $vgpr33
	s_and_saveexec_b64 s[26:27], s[20:21]
	s_cbranch_execz .LBB17_16
; %bb.15:                               ;   in Loop: Header=BB17_11 Depth=2
	s_bcnt1_i32_b64 s6, s[28:29]
	s_mul_i32 s6, s5, s6
	v_mov_b32_e32 v33, s6
	ds_add_rtn_u32 v33, v24, v33 offset:4104
.LBB17_16:                              ;   in Loop: Header=BB17_11 Depth=2
	s_or_b64 exec, exec, s[26:27]
	s_waitcnt lgkmcnt(0)
	v_readfirstlane_b32 s6, v33
	v_mov_b32_e32 v33, s6
	v_mad_u32_u24 v32, s5, v32, v33
.LBB17_17:                              ;   in Loop: Header=BB17_11 Depth=2
	s_or_b64 exec, exec, s[24:25]
	ds_bpermute_b32 v32, v12, v32
	s_and_b64 s[10:11], exec, vcc
	s_or_b64 s[22:23], s[10:11], s[22:23]
	s_and_saveexec_b64 s[20:21], s[18:19]
	s_cbranch_execz .LBB17_10
; %bb.18:                               ;   in Loop: Header=BB17_11 Depth=2
	v_and_b32_e32 v34, s18, v6
	v_and_b32_e32 v33, s19, v7
	v_bcnt_u32_b32 v34, v34, 0
	v_bcnt_u32_b32 v33, v33, v34
	s_waitcnt lgkmcnt(0)
	v_add_u32_e32 v32, v32, v33
	ds_write_b8 v32, v3
	s_branch .LBB17_10
.LBB17_19:                              ;   in Loop: Header=BB17_6 Depth=1
	s_mov_b64 s[18:19], 0
                                        ; implicit-def: $sgpr5
	s_cbranch_execnz .LBB17_24
	s_branch .LBB17_34
.LBB17_20:                              ;   in Loop: Header=BB17_6 Depth=1
	s_mov_b32 s5, 0
	s_and_b64 vcc, exec, s[16:17]
	s_cbranch_vccnz .LBB17_24
	s_branch .LBB17_34
.LBB17_21:                              ;   in Loop: Header=BB17_6 Depth=1
	s_or_b64 exec, exec, s[22:23]
	s_waitcnt lgkmcnt(0)
	s_barrier
	s_mov_b64 s[18:19], exec
	v_readlane_b32 s10, v46, 6
	v_readlane_b32 s11, v46, 7
	s_and_b64 s[10:11], s[18:19], s[10:11]
	s_mov_b64 exec, s[10:11]
	s_cbranch_execz .LBB17_23
; %bb.22:                               ;   in Loop: Header=BB17_6 Depth=1
	ds_read_b32 v2, v24 offset:4104
	s_waitcnt lgkmcnt(0)
	ds_write_b32 v24, v2 offset:4096
.LBB17_23:                              ;   in Loop: Header=BB17_6 Depth=1
	s_or_b64 exec, exec, s[18:19]
	s_waitcnt lgkmcnt(0)
	s_barrier
	s_mov_b64 s[18:19], -1
	s_mov_b32 s5, 0
	s_and_b64 vcc, exec, s[16:17]
	s_cbranch_vccz .LBB17_34
.LBB17_24:                              ;   in Loop: Header=BB17_6 Depth=1
	v_mov_b32_e32 v2, 0
	s_mov_b64 s[16:17], exec
	v_readlane_b32 s10, v46, 24
	v_readlane_b32 s11, v46, 25
	s_and_b64 s[10:11], s[16:17], s[10:11]
	s_mov_b64 exec, s[10:11]
	s_cbranch_execz .LBB17_26
; %bb.25:                               ;   in Loop: Header=BB17_6 Depth=1
	global_load_ubyte v2, v[8:9], off
.LBB17_26:                              ;   in Loop: Header=BB17_6 Depth=1
	s_or_b64 exec, exec, s[16:17]
	s_mov_b64 s[16:17], exec
	v_readlane_b32 s10, v46, 24
	v_readlane_b32 s11, v46, 25
	s_and_b64 s[10:11], s[16:17], s[10:11]
	s_mov_b64 exec, s[10:11]
	s_cbranch_execz .LBB17_31
; %bb.27:                               ;   in Loop: Header=BB17_6 Depth=1
	v_readlane_b32 s10, v46, 20
	v_readlane_b32 s11, v46, 21
	;; [unrolled: 1-line block ×3, first 2 shown]
	s_mov_b64 s[20:21], 0
	v_mov_b32_e32 v30, v0
	s_nop 1
	global_load_ushort v3, v24, s[10:11]
	s_waitcnt vmcnt(0)
	v_add_u32_e32 v5, v0, v3
	v_mul_lo_u32 v4, s5, v3
	v_mul_lo_u32 v5, s5, v5
	s_branch .LBB17_29
.LBB17_28:                              ;   in Loop: Header=BB17_29 Depth=2
	s_or_b64 exec, exec, s[22:23]
	s_and_b64 s[10:11], exec, vcc
	s_or_b64 s[20:21], s[10:11], s[20:21]
	ds_write_b8 v30, v2
	v_add_u32_e32 v5, v5, v4
	s_waitcnt vmcnt(0)
	v_mov_b32_e32 v2, v32
	v_mov_b32_e32 v30, v31
	s_andn2_b64 exec, exec, s[20:21]
	s_cbranch_execz .LBB17_31
.LBB17_29:                              ;   Parent Loop BB17_6 Depth=1
                                        ; =>  This Inner Loop Header: Depth=2
	v_add_u32_e32 v31, v30, v3
	v_cmp_gt_u32_e64 s[18:19], s60, v31
	v_cmp_le_u32_e32 vcc, s60, v31
	v_mov_b32_e32 v32, 0
	s_and_saveexec_b64 s[22:23], s[18:19]
	s_cbranch_execz .LBB17_28
; %bb.30:                               ;   in Loop: Header=BB17_29 Depth=2
	global_load_ubyte v32, v5, s[64:65]
	s_branch .LBB17_28
.LBB17_31:                              ;   in Loop: Header=BB17_6 Depth=1
	s_or_b64 exec, exec, s[16:17]
	s_waitcnt lgkmcnt(0)
	s_barrier
	s_mov_b64 s[16:17], exec
	v_readlane_b32 s10, v46, 6
	v_readlane_b32 s11, v46, 7
	s_and_b64 s[10:11], s[16:17], s[10:11]
	s_mov_b64 exec, s[10:11]
	s_cbranch_execz .LBB17_33
; %bb.32:                               ;   in Loop: Header=BB17_6 Depth=1
	s_waitcnt vmcnt(0)
	v_mov_b32_e32 v2, s60
	ds_write_b32 v24, v2 offset:4096
.LBB17_33:                              ;   in Loop: Header=BB17_6 Depth=1
	s_or_b64 exec, exec, s[16:17]
	s_mov_b64 s[18:19], -1
	s_waitcnt lgkmcnt(0)
	s_barrier
                                        ; implicit-def: $sgpr5
.LBB17_34:                              ;   in Loop: Header=BB17_6 Depth=1
	s_and_b64 vcc, exec, s[18:19]
	s_cbranch_vccz .LBB17_36
; %bb.35:                               ;   in Loop: Header=BB17_6 Depth=1
	s_waitcnt vmcnt(0)
	ds_read_b32 v2, v24 offset:4096
	s_waitcnt lgkmcnt(0)
	v_readfirstlane_b32 s5, v2
.LBB17_36:                              ;   in Loop: Header=BB17_6 Depth=1
	s_cmp_lt_i32 s5, 1
	s_cbranch_scc0 .LBB17_40
; %bb.37:                               ;   in Loop: Header=BB17_6 Depth=1
	s_waitcnt vmcnt(0)
	v_mov_b32_e32 v2, 0
	s_mov_b32 s6, 0
	v_mov_b32_e32 v3, 0
	v_mov_b32_e32 v4, v2
	;; [unrolled: 1-line block ×3, first 2 shown]
	s_mov_b64 s[80:81], exec
	v_readlane_b32 s10, v46, 39
	v_readlane_b32 s11, v46, 40
	s_and_b64 s[10:11], s[80:81], s[10:11]
	s_mov_b64 exec, s[10:11]
	s_cbranch_execnz .LBB17_41
; %bb.38:                               ;   in Loop: Header=BB17_6 Depth=1
	s_or_b64 exec, exec, s[80:81]
	v_mov_b32_e32 v32, 0
	s_and_saveexec_b64 s[16:17], s[14:15]
	s_cbranch_execnz .LBB17_44
.LBB17_39:                              ;   in Loop: Header=BB17_6 Depth=1
	s_or_b64 exec, exec, s[16:17]
	s_and_saveexec_b64 s[16:17], s[14:15]
	s_cbranch_execnz .LBB17_45
	s_branch .LBB17_50
.LBB17_40:                              ;   in Loop: Header=BB17_6 Depth=1
                                        ; implicit-def: $vgpr5
	s_cbranch_execnz .LBB17_51
	s_branch .LBB17_60
.LBB17_41:                              ;   in Loop: Header=BB17_6 Depth=1
	s_and_b32 s12, s77, 0xfe
	s_mov_b64 s[16:17], 0
	s_mov_b32 s13, 0
	s_mov_b32 s70, 0
	;; [unrolled: 1-line block ×4, first 2 shown]
	v_mov_b32_e32 v30, v14
.LBB17_42:                              ;   Parent Loop BB17_6 Depth=1
                                        ; =>  This Inner Loop Header: Depth=2
	v_add_u32_e32 v2, s6, v21
	v_add_u32_e32 v3, s6, v18
	;; [unrolled: 1-line block ×4, first 2 shown]
	global_load_sbyte v2, v2, s[64:65]
	s_nop 0
	global_load_sbyte v3, v3, s[64:65]
	s_nop 0
	;; [unrolled: 2-line block ×3, first 2 shown]
	global_load_sbyte v5, v5, s[64:65]
	v_add_u32_e32 v30, s9, v30
	s_add_i32 s6, s6, s75
	v_cmp_le_u32_e32 vcc, s74, v30
	s_waitcnt vmcnt(3)
	v_add_u32_e32 v2, 0x80, v2
	s_waitcnt vmcnt(2)
	v_add_u32_e32 v3, 0x80, v3
	v_and_b32_e32 v31, v2, v26
	v_bfe_u32 v2, v2, s12, 2
	s_waitcnt vmcnt(1)
	v_add_u32_e32 v4, 0x80, v4
	v_and_b32_e32 v32, v3, v26
	v_bfe_u32 v3, v3, s12, 2
	v_cmp_eq_u32_e64 s[18:19], v31, v27
	v_cmp_eq_u32_e64 s[26:27], 0, v2
	s_waitcnt vmcnt(0)
	v_add_u32_e32 v5, 0x80, v5
	v_and_b32_e32 v33, v4, v26
	v_bfe_u32 v4, v4, s12, 2
	v_cmp_eq_u32_e64 s[20:21], v32, v27
	v_cmp_eq_u32_e64 s[28:29], 0, v3
	s_and_b64 s[26:27], s[18:19], s[26:27]
	v_and_b32_e32 v34, v5, v26
	v_bfe_u32 v5, v5, s12, 2
	v_cmp_eq_u32_e64 s[22:23], v33, v27
	v_cmp_eq_u32_e64 s[30:31], 0, v4
	;; [unrolled: 1-line block ×5, first 2 shown]
	v_cndmask_b32_e64 v2, 0, 1, s[26:27]
	s_and_b64 s[26:27], s[20:21], s[28:29]
	v_cmp_eq_u32_e64 s[24:25], v34, v27
	v_cmp_eq_u32_e64 s[34:35], 0, v5
	;; [unrolled: 1-line block ×5, first 2 shown]
	v_cndmask_b32_e64 v3, 0, 1, s[26:27]
	s_and_b64 s[26:27], s[22:23], s[30:31]
	v_cmp_eq_u32_e64 s[40:41], 1, v4
	v_cmp_eq_u32_e64 s[48:49], 2, v4
	;; [unrolled: 1-line block ×3, first 2 shown]
	v_cndmask_b32_e64 v4, 0, 1, s[26:27]
	s_and_b64 s[26:27], s[24:25], s[34:35]
	v_cmp_eq_u32_e64 s[42:43], 1, v5
	v_cmp_eq_u32_e64 s[50:51], 2, v5
	;; [unrolled: 1-line block ×3, first 2 shown]
	v_cndmask_b32_e64 v5, 0, 1, s[26:27]
	s_and_b64 s[26:27], s[18:19], s[36:37]
	v_cndmask_b32_e64 v31, 0, 1, s[26:27]
	s_and_b64 s[26:27], s[20:21], s[38:39]
	;; [unrolled: 2-line block ×5, first 2 shown]
	s_and_b64 s[18:19], s[18:19], s[52:53]
	v_cndmask_b32_e64 v35, 0, 1, s[26:27]
	s_and_b64 s[26:27], s[20:21], s[46:47]
	v_cndmask_b32_e64 v39, 0, 1, s[18:19]
	;; [unrolled: 2-line block ×7, first 2 shown]
	v_cndmask_b32_e64 v42, 0, 1, s[18:19]
	v_cmp_ne_u32_e64 s[18:19], 0, v2
	v_cmp_ne_u32_e64 s[20:21], 0, v3
	;; [unrolled: 1-line block ×11, first 2 shown]
	s_bcnt1_i32_b64 s11, s[18:19]
	s_bcnt1_i32_b64 s18, s[20:21]
	;; [unrolled: 1-line block ×8, first 2 shown]
	v_cmp_ne_u32_e64 s[40:41], 0, v37
	v_cmp_ne_u32_e64 s[48:49], 0, v41
	s_bcnt1_i32_b64 s23, s[30:31]
	s_bcnt1_i32_b64 s26, s[38:39]
	;; [unrolled: 1-line block ×3, first 2 shown]
	s_add_i32 s10, s10, s11
	s_add_i32 s11, s71, s21
	;; [unrolled: 1-line block ×4, first 2 shown]
	v_cmp_ne_u32_e64 s[34:35], 0, v34
	v_cmp_ne_u32_e64 s[42:43], 0, v38
	;; [unrolled: 1-line block ×3, first 2 shown]
	s_bcnt1_i32_b64 s27, s[40:41]
	s_bcnt1_i32_b64 s31, s[48:49]
	s_add_i32 s10, s10, s18
	s_add_i32 s11, s11, s22
	;; [unrolled: 1-line block ×4, first 2 shown]
	s_bcnt1_i32_b64 s24, s[34:35]
	s_bcnt1_i32_b64 s28, s[42:43]
	;; [unrolled: 1-line block ×3, first 2 shown]
	s_add_i32 s10, s10, s19
	s_add_i32 s11, s11, s23
	;; [unrolled: 1-line block ×8, first 2 shown]
	s_or_b64 s[16:17], vcc, s[16:17]
	v_mov_b32_e32 v2, s10
	v_mov_b32_e32 v3, s71
	;; [unrolled: 1-line block ×4, first 2 shown]
	s_andn2_b64 exec, exec, s[16:17]
	s_cbranch_execnz .LBB17_42
; %bb.43:                               ;   in Loop: Header=BB17_6 Depth=1
	s_or_b64 exec, exec, s[16:17]
	s_or_b64 exec, exec, s[80:81]
	v_mov_b32_e32 v32, 0
	s_and_saveexec_b64 s[16:17], s[14:15]
	s_cbranch_execz .LBB17_39
.LBB17_44:                              ;   in Loop: Header=BB17_6 Depth=1
	global_load_ubyte v32, v[10:11], off
	s_or_b64 exec, exec, s[16:17]
	s_and_saveexec_b64 s[16:17], s[14:15]
	s_cbranch_execz .LBB17_50
.LBB17_45:                              ;   in Loop: Header=BB17_6 Depth=1
	s_and_b32 s6, s77, 0xfe
	s_mov_b64 s[20:21], 0
	v_mov_b32_e32 v30, v22
	v_mov_b32_e32 v31, v17
	s_branch .LBB17_47
.LBB17_46:                              ;   in Loop: Header=BB17_47 Depth=2
	s_or_b64 exec, exec, s[22:23]
	s_waitcnt vmcnt(0)
	v_add_u32_sdwa v32, sext(v32), s76 dst_sel:DWORD dst_unused:UNUSED_PAD src0_sel:BYTE_0 src1_sel:DWORD
	s_and_b64 s[10:11], exec, vcc
	v_and_b32_e32 v34, v32, v26
	v_bfe_u32 v32, v32, s6, 2
	s_or_b64 s[20:21], s[10:11], s[20:21]
	v_cmp_eq_u32_e32 vcc, v34, v27
	v_cmp_eq_u32_e64 s[18:19], 0, v32
	s_and_b64 s[10:11], vcc, s[18:19]
	v_cndmask_b32_e64 v34, 0, 1, s[10:11]
	v_cmp_ne_u32_e64 s[18:19], 0, v34
	s_bcnt1_i32_b64 s10, s[18:19]
	v_cmp_eq_u32_e64 s[18:19], 1, v32
	v_add_u32_e32 v2, s10, v2
	s_and_b64 s[10:11], vcc, s[18:19]
	v_cndmask_b32_e64 v34, 0, 1, s[10:11]
	v_cmp_ne_u32_e64 s[18:19], 0, v34
	s_bcnt1_i32_b64 s10, s[18:19]
	v_cmp_eq_u32_e64 s[18:19], 2, v32
	v_add_u32_e32 v3, s10, v3
	s_and_b64 s[10:11], vcc, s[18:19]
	v_cndmask_b32_e64 v34, 0, 1, s[10:11]
	v_cmp_ne_u32_e64 s[18:19], 0, v34
	s_bcnt1_i32_b64 s10, s[18:19]
	v_cmp_eq_u32_e64 s[18:19], 3, v32
	v_add_u32_e32 v4, s10, v4
	s_and_b64 s[10:11], vcc, s[18:19]
	v_cndmask_b32_e64 v32, 0, 1, s[10:11]
	v_cmp_ne_u32_e32 vcc, 0, v32
	s_bcnt1_i32_b64 s10, vcc
	v_add_u32_e32 v5, s10, v5
	v_add_u32_e32 v30, s8, v30
	v_mov_b32_e32 v32, v33
	s_andn2_b64 exec, exec, s[20:21]
	s_cbranch_execz .LBB17_49
.LBB17_47:                              ;   Parent Loop BB17_6 Depth=1
                                        ; =>  This Inner Loop Header: Depth=2
	v_add_u32_e32 v31, s33, v31
	v_cmp_gt_u32_e64 s[18:19], s60, v31
	v_cmp_le_u32_e32 vcc, s60, v31
	v_mov_b32_e32 v33, 0
	s_and_saveexec_b64 s[22:23], s[18:19]
	s_cbranch_execz .LBB17_46
; %bb.48:                               ;   in Loop: Header=BB17_47 Depth=2
	global_load_ubyte v33, v30, s[64:65]
	s_branch .LBB17_46
.LBB17_49:                              ;   in Loop: Header=BB17_6 Depth=1
	s_or_b64 exec, exec, s[20:21]
.LBB17_50:                              ;   in Loop: Header=BB17_6 Depth=1
	s_or_b64 exec, exec, s[16:17]
	s_branch .LBB17_60
.LBB17_51:                              ;   in Loop: Header=BB17_6 Depth=1
	v_readlane_b32 s6, v46, 38
	s_mul_hi_u32 s6, s5, s6
	s_mul_i32 s6, s6, s9
	s_sub_i32 s6, s5, s6
	s_sub_i32 s10, s6, s9
	s_cmp_ge_u32 s6, s9
	s_cselect_b32 s6, s10, s6
	s_sub_i32 s10, s6, s9
	s_cmp_ge_u32 s6, s9
	s_cselect_b32 s6, s10, s6
	s_sub_i32 s6, s5, s6
	v_cmp_gt_u32_e32 vcc, s6, v14
	s_mov_b32 s13, 0
	s_waitcnt vmcnt(0)
	v_mov_b32_e32 v2, 0
	v_mov_b32_e32 v3, 0
	;; [unrolled: 1-line block ×4, first 2 shown]
	s_and_saveexec_b64 s[16:17], vcc
	s_cbranch_execz .LBB17_55
; %bb.52:                               ;   in Loop: Header=BB17_6 Depth=1
	s_and_b32 s12, s77, 0xfe
	s_mov_b64 s[80:81], 0
	s_mov_b32 s10, 0
	s_mov_b32 s11, 0
	s_mov_b32 s70, 0
	v_mov_b32_e32 v30, v14
.LBB17_53:                              ;   Parent Loop BB17_6 Depth=1
                                        ; =>  This Inner Loop Header: Depth=2
	ds_read_b32 v2, v30
	v_add_u32_e32 v30, s9, v30
	v_cmp_le_u32_e32 vcc, s6, v30
	s_waitcnt lgkmcnt(0)
	v_add_u32_sdwa v3, sext(v2), s76 dst_sel:DWORD dst_unused:UNUSED_PAD src0_sel:BYTE_0 src1_sel:DWORD
	v_add_u32_sdwa v4, sext(v2), s76 dst_sel:DWORD dst_unused:UNUSED_PAD src0_sel:BYTE_1 src1_sel:DWORD
	v_and_b32_e32 v31, v3, v26
	v_bfe_u32 v3, v3, s12, 2
	v_add_u32_sdwa v5, sext(v2), s76 dst_sel:DWORD dst_unused:UNUSED_PAD src0_sel:BYTE_2 src1_sel:DWORD
	v_add_u32_sdwa v2, sext(v2), s76 dst_sel:DWORD dst_unused:UNUSED_PAD src0_sel:BYTE_3 src1_sel:DWORD
	v_and_b32_e32 v32, v4, v26
	v_bfe_u32 v4, v4, s12, 2
	v_cmp_eq_u32_e64 s[18:19], v31, v27
	v_cmp_eq_u32_e64 s[26:27], 0, v3
	v_and_b32_e32 v33, v5, v26
	v_and_b32_e32 v34, v2, v26
	v_bfe_u32 v5, v5, s12, 2
	v_bfe_u32 v2, v2, s12, 2
	v_cmp_eq_u32_e64 s[20:21], v32, v27
	v_cmp_eq_u32_e64 s[28:29], 0, v4
	s_and_b64 s[26:27], s[18:19], s[26:27]
	v_cmp_eq_u32_e64 s[22:23], v33, v27
	v_cmp_eq_u32_e64 s[30:31], 0, v5
	;; [unrolled: 1-line block ×6, first 2 shown]
	v_cndmask_b32_e64 v2, 0, 1, s[26:27]
	s_and_b64 s[26:27], s[20:21], s[28:29]
	v_cmp_eq_u32_e64 s[24:25], v34, v27
	v_cmp_eq_u32_e64 s[36:37], 1, v3
	;; [unrolled: 1-line block ×4, first 2 shown]
	v_cndmask_b32_e64 v3, 0, 1, s[26:27]
	s_and_b64 s[26:27], s[22:23], s[30:31]
	v_cmp_eq_u32_e64 s[38:39], 1, v4
	v_cmp_eq_u32_e64 s[46:47], 2, v4
	;; [unrolled: 1-line block ×3, first 2 shown]
	v_cndmask_b32_e64 v4, 0, 1, s[26:27]
	s_and_b64 s[26:27], s[24:25], s[34:35]
	v_cmp_eq_u32_e64 s[40:41], 1, v5
	v_cmp_eq_u32_e64 s[48:49], 2, v5
	;; [unrolled: 1-line block ×3, first 2 shown]
	v_cndmask_b32_e64 v5, 0, 1, s[26:27]
	s_and_b64 s[26:27], s[18:19], s[36:37]
	v_cndmask_b32_e64 v31, 0, 1, s[26:27]
	s_and_b64 s[26:27], s[20:21], s[38:39]
	;; [unrolled: 2-line block ×5, first 2 shown]
	s_and_b64 s[18:19], s[18:19], s[52:53]
	v_cndmask_b32_e64 v35, 0, 1, s[26:27]
	s_and_b64 s[26:27], s[20:21], s[46:47]
	v_cndmask_b32_e64 v39, 0, 1, s[18:19]
	s_and_b64 s[18:19], s[20:21], s[54:55]
	v_cndmask_b32_e64 v36, 0, 1, s[26:27]
	s_and_b64 s[26:27], s[22:23], s[48:49]
	v_cndmask_b32_e64 v40, 0, 1, s[18:19]
	s_and_b64 s[18:19], s[22:23], s[56:57]
	v_cndmask_b32_e64 v37, 0, 1, s[26:27]
	s_and_b64 s[26:27], s[24:25], s[50:51]
	v_cndmask_b32_e64 v41, 0, 1, s[18:19]
	s_and_b64 s[18:19], s[24:25], s[58:59]
	v_cndmask_b32_e64 v38, 0, 1, s[26:27]
	v_cndmask_b32_e64 v42, 0, 1, s[18:19]
	v_cmp_ne_u32_e64 s[18:19], 0, v2
	v_cmp_ne_u32_e64 s[20:21], 0, v3
	;; [unrolled: 1-line block ×11, first 2 shown]
	s_bcnt1_i32_b64 s18, s[18:19]
	s_bcnt1_i32_b64 s19, s[20:21]
	;; [unrolled: 1-line block ×8, first 2 shown]
	v_cmp_ne_u32_e64 s[34:35], 0, v34
	v_cmp_ne_u32_e64 s[40:41], 0, v37
	;; [unrolled: 1-line block ×3, first 2 shown]
	s_bcnt1_i32_b64 s23, s[28:29]
	s_bcnt1_i32_b64 s27, s[38:39]
	;; [unrolled: 1-line block ×3, first 2 shown]
	s_add_i32 s18, s70, s18
	s_add_i32 s11, s11, s22
	;; [unrolled: 1-line block ×4, first 2 shown]
	v_cmp_ne_u32_e64 s[42:43], 0, v38
	v_cmp_ne_u32_e64 s[50:51], 0, v42
	s_bcnt1_i32_b64 s25, s[34:35]
	s_bcnt1_i32_b64 s28, s[40:41]
	;; [unrolled: 1-line block ×3, first 2 shown]
	s_add_i32 s18, s18, s19
	s_add_i32 s11, s11, s23
	;; [unrolled: 1-line block ×4, first 2 shown]
	s_bcnt1_i32_b64 s29, s[42:43]
	s_bcnt1_i32_b64 s35, s[50:51]
	s_add_i32 s18, s18, s20
	s_add_i32 s11, s11, s24
	;; [unrolled: 1-line block ×8, first 2 shown]
	s_or_b64 s[80:81], vcc, s[80:81]
	v_mov_b32_e32 v2, s70
	v_mov_b32_e32 v3, s11
	;; [unrolled: 1-line block ×4, first 2 shown]
	s_andn2_b64 exec, exec, s[80:81]
	s_cbranch_execnz .LBB17_53
; %bb.54:                               ;   in Loop: Header=BB17_6 Depth=1
	s_or_b64 exec, exec, s[80:81]
.LBB17_55:                              ;   in Loop: Header=BB17_6 Depth=1
	s_or_b64 exec, exec, s[16:17]
	v_add_u32_e32 v30, s6, v0
	v_cmp_gt_u32_e32 vcc, s5, v30
	s_and_saveexec_b64 s[16:17], vcc
	s_cbranch_execz .LBB17_59
; %bb.56:                               ;   in Loop: Header=BB17_6 Depth=1
	s_and_b32 s6, s77, 0xfe
	s_mov_b64 s[28:29], 0
.LBB17_57:                              ;   Parent Loop BB17_6 Depth=1
                                        ; =>  This Inner Loop Header: Depth=2
	ds_read_i8 v31, v30
	v_add_u32_e32 v30, s33, v30
	v_cmp_le_u32_e32 vcc, s5, v30
	s_waitcnt lgkmcnt(0)
	v_add_u32_e32 v31, 0x80, v31
	v_and_b32_e32 v32, v31, v26
	v_bfe_u32 v31, v31, s6, 2
	v_cmp_eq_u32_e64 s[18:19], v32, v27
	v_cmp_eq_u32_e64 s[20:21], 0, v31
	;; [unrolled: 1-line block ×3, first 2 shown]
	s_and_b64 s[10:11], s[18:19], s[20:21]
	v_cmp_eq_u32_e64 s[24:25], 2, v31
	v_cmp_eq_u32_e64 s[26:27], 3, v31
	v_cndmask_b32_e64 v31, 0, 1, s[10:11]
	s_and_b64 s[10:11], s[18:19], s[22:23]
	v_cndmask_b32_e64 v32, 0, 1, s[10:11]
	s_and_b64 s[10:11], s[18:19], s[24:25]
	;; [unrolled: 2-line block ×3, first 2 shown]
	v_cndmask_b32_e64 v34, 0, 1, s[10:11]
	v_cmp_ne_u32_e64 s[18:19], 0, v31
	v_cmp_ne_u32_e64 s[20:21], 0, v32
	;; [unrolled: 1-line block ×4, first 2 shown]
	s_bcnt1_i32_b64 s10, s[18:19]
	s_bcnt1_i32_b64 s11, s[20:21]
	;; [unrolled: 1-line block ×4, first 2 shown]
	v_add_u32_e32 v2, s10, v2
	v_add_u32_e32 v3, s11, v3
	;; [unrolled: 1-line block ×3, first 2 shown]
	s_or_b64 s[28:29], vcc, s[28:29]
	v_add_u32_e32 v5, s13, v5
	s_andn2_b64 exec, exec, s[28:29]
	s_cbranch_execnz .LBB17_57
; %bb.58:                               ;   in Loop: Header=BB17_6 Depth=1
	s_or_b64 exec, exec, s[28:29]
.LBB17_59:                              ;   in Loop: Header=BB17_6 Depth=1
	s_or_b64 exec, exec, s[16:17]
.LBB17_60:                              ;   in Loop: Header=BB17_6 Depth=1
	s_lshl_b32 s5, s4, 6
	s_and_saveexec_b64 s[16:17], s[0:1]
	s_cbranch_execz .LBB17_62
; %bb.61:                               ;   in Loop: Header=BB17_6 Depth=1
	v_or_b32_e32 v30, s5, v16
	v_lshlrev_b32_e32 v30, 2, v30
	s_waitcnt vmcnt(0)
	ds_write_b128 v30, v[2:5] offset:3072
.LBB17_62:                              ;   in Loop: Header=BB17_6 Depth=1
	s_or_b64 exec, exec, s[16:17]
	s_waitcnt lgkmcnt(0)
	s_barrier
	s_and_saveexec_b64 s[16:17], s[72:73]
	s_cbranch_execz .LBB17_76
; %bb.63:                               ;   in Loop: Header=BB17_6 Depth=1
	v_readlane_b32 s10, v46, 17
	v_readlane_b32 s11, v46, 18
	v_add_u32_e32 v4, s5, v13
	s_andn2_b64 vcc, exec, s[10:11]
	s_waitcnt vmcnt(0)
	v_mov_b32_e32 v2, 0
	s_cbranch_vccnz .LBB17_75
; %bb.64:                               ;   in Loop: Header=BB17_6 Depth=1
	v_readlane_b32 s10, v46, 22
	v_readlane_b32 s11, v46, 23
	s_mov_b32 s6, 0
	s_and_b64 vcc, exec, s[10:11]
	v_mov_b32_e32 v2, 0
	s_cbranch_vccz .LBB17_68
; %bb.65:                               ;   in Loop: Header=BB17_6 Depth=1
	v_readlane_b32 s10, v46, 28
	v_readlane_b32 s18, v46, 4
	;; [unrolled: 1-line block ×3, first 2 shown]
	v_lshl_add_u32 v5, v4, 2, v25
	v_readlane_b32 s19, v46, 5
	s_andn2_b64 vcc, exec, s[10:11]
	s_cbranch_vccnz .LBB17_69
; %bb.66:                               ;   in Loop: Header=BB17_6 Depth=1
	v_writelane_b32 v46, s18, 4
	v_writelane_b32 v46, s19, 5
	s_mov_b32 s19, 1
	s_mov_b32 s18, 0
	v_mov_b32_e32 v2, 0
	v_readlane_b32 s6, v46, 30
	v_mov_b32_e32 v3, 0
.LBB17_67:                              ;   Parent Loop BB17_6 Depth=1
                                        ; =>  This Inner Loop Header: Depth=2
	v_lshl_add_u32 v42, s18, 4, v5
	v_lshl_add_u32 v44, s19, 4, v5
	ds_read2_b32 v[30:31], v42 offset1:8
	ds_read2_b32 v[32:33], v44 offset1:8
	ds_read2_b32 v[34:35], v42 offset0:16 offset1:24
	ds_read2_b32 v[36:37], v44 offset0:16 offset1:24
	;; [unrolled: 1-line block ×6, first 2 shown]
	s_waitcnt lgkmcnt(7)
	v_add3_u32 v2, v30, v2, v31
	s_waitcnt lgkmcnt(6)
	v_add3_u32 v3, v32, v3, v33
	;; [unrolled: 2-line block ×3, first 2 shown]
	v_add3_u32 v2, v34, v2, v35
	s_add_i32 s19, s19, 16
	s_add_i32 s18, s18, 16
	s_add_i32 s6, s6, -8
	s_waitcnt lgkmcnt(3)
	v_add3_u32 v2, v38, v2, v39
	s_waitcnt lgkmcnt(2)
	v_add3_u32 v3, v40, v3, v41
	s_cmp_lg_u32 s6, 0
	s_waitcnt lgkmcnt(0)
	v_add3_u32 v3, v44, v3, v45
	v_add3_u32 v2, v42, v2, v43
	s_cbranch_scc1 .LBB17_67
	s_branch .LBB17_70
.LBB17_68:                              ;   in Loop: Header=BB17_6 Depth=1
	s_cbranch_execnz .LBB17_73
	s_branch .LBB17_75
.LBB17_69:                              ;   in Loop: Header=BB17_6 Depth=1
	s_mov_b32 s6, s18
	s_mov_b32 s19, s18
	v_writelane_b32 v46, s6, 4
	v_pk_mov_b32 v[2:3], s[18:19], s[18:19] op_sel:[0,1]
	s_mov_b32 s19, 1
	v_writelane_b32 v46, s7, 5
.LBB17_70:                              ;   in Loop: Header=BB17_6 Depth=1
	v_readlane_b32 s10, v46, 32
	v_readlane_b32 s11, v46, 33
	s_andn2_b64 vcc, exec, s[10:11]
	v_readlane_b32 s6, v46, 31
	s_cbranch_vccnz .LBB17_72
.LBB17_71:                              ;   Parent Loop BB17_6 Depth=1
                                        ; =>  This Inner Loop Header: Depth=2
	v_lshl_add_u32 v30, s18, 4, v5
	v_lshl_add_u32 v31, s19, 4, v5
	ds_read_b32 v31, v31
	ds_read_b32 v30, v30
	s_add_i32 s19, s19, 2
	s_add_i32 s18, s18, 2
	s_add_i32 s6, s6, -1
	s_cmp_lg_u32 s6, 0
	s_waitcnt lgkmcnt(1)
	v_add_u32_e32 v3, v31, v3
	s_waitcnt lgkmcnt(0)
	v_add_u32_e32 v2, v30, v2
	s_cbranch_scc1 .LBB17_71
.LBB17_72:                              ;   in Loop: Header=BB17_6 Depth=1
	v_readlane_b32 s18, v46, 36
	v_add_u32_e32 v2, v2, v3
	v_readlane_b32 s6, v46, 35
	v_readlane_b32 s19, v46, 37
	s_and_b64 vcc, exec, s[18:19]
	s_cbranch_vccz .LBB17_75
.LBB17_73:                              ;   in Loop: Header=BB17_6 Depth=1
	s_lshl_b32 s10, s4, 8
	s_lshl_b32 s11, s6, 4
	s_add_i32 s10, s10, s11
	v_add_u32_e32 v3, s10, v23
	v_readlane_b32 s10, v46, 34
	s_sub_i32 s6, s10, s6
.LBB17_74:                              ;   Parent Loop BB17_6 Depth=1
                                        ; =>  This Inner Loop Header: Depth=2
	ds_read_b32 v5, v3
	s_add_i32 s6, s6, -1
	v_add_u32_e32 v3, 16, v3
	s_cmp_eq_u32 s6, 0
	s_waitcnt lgkmcnt(0)
	v_add_u32_e32 v2, v5, v2
	s_cbranch_scc0 .LBB17_74
.LBB17_75:                              ;   in Loop: Header=BB17_6 Depth=1
	v_lshlrev_b32_e32 v3, 2, v4
	ds_write_b32 v3, v2 offset:3072
.LBB17_76:                              ;   in Loop: Header=BB17_6 Depth=1
	s_or_b64 exec, exec, s[16:17]
	s_lshl_b32 s5, s5, 2
	s_waitcnt vmcnt(0)
	v_mov_b32_e32 v2, s5
	s_waitcnt lgkmcnt(0)
	s_barrier
	ds_read_b128 v[2:5], v2 offset:3072
	s_and_b32 s6, s77, 0xfe
	s_lshl_b32 s71, 3, s6
	s_not_b32 s12, s71
	s_andn2_b64 vcc, exec, s[62:63]
	s_waitcnt lgkmcnt(0)
	v_readfirstlane_b32 s5, v2
	v_readfirstlane_b32 s13, v3
	;; [unrolled: 1-line block ×4, first 2 shown]
	v_cmp_eq_u32_e64 s[18:19], 1, v29
	s_cbranch_vccnz .LBB17_89
; %bb.77:                               ;   in Loop: Header=BB17_6 Depth=1
	s_cmp_eq_u32 s5, 1
	s_cselect_b64 s[10:11], -1, 0
	s_and_b64 s[36:37], s[10:11], s[18:19]
	s_mov_b64 s[38:39], -1
	v_mov_b32_e32 v2, v27
	v_mov_b32_e32 v3, v26
	v_mov_b32_e32 v4, v28
                                        ; implicit-def: $sgpr22_sgpr23
                                        ; implicit-def: $sgpr28_sgpr29
                                        ; implicit-def: $sgpr26_sgpr27
	s_and_saveexec_b64 s[16:17], s[36:37]
	s_cbranch_execz .LBB17_105
; %bb.78:                               ;   in Loop: Header=BB17_6 Depth=1
	ds_read_b32 v2, v24 offset:4096
	s_waitcnt lgkmcnt(0)
	s_barrier
	v_readfirstlane_b32 s10, v2
	s_mov_b64 s[20:21], exec
	v_readlane_b32 s22, v46, 26
	v_readlane_b32 s23, v46, 27
	s_and_b64 s[22:23], s[20:21], s[22:23]
	s_mov_b64 exec, s[22:23]
	s_cbranch_execz .LBB17_80
; %bb.79:                               ;   in Loop: Header=BB17_6 Depth=1
	ds_write_b8 v0, v1 offset:3072
.LBB17_80:                              ;   in Loop: Header=BB17_6 Depth=1
	s_or_b64 exec, exec, s[20:21]
	v_and_b32_e32 v2, s12, v27
	v_or_b32_e32 v3, s71, v26
	s_cmp_eq_u32 s10, 0
	s_waitcnt lgkmcnt(0)
	s_barrier
	s_cbranch_scc1 .LBB17_91
; %bb.81:                               ;   in Loop: Header=BB17_6 Depth=1
	v_readlane_b32 s11, v46, 19
	s_add_i32 s11, s10, s11
	v_readlane_b32 s20, v46, 41
	s_mul_hi_u32 s20, s11, s20
	s_mul_i32 s20, s20, s33
	s_sub_i32 s20, s11, s20
	s_sub_i32 s21, s20, s33
	s_cmp_ge_u32 s20, s33
	s_cselect_b32 s20, s21, s20
	s_sub_i32 s21, s20, s33
	s_cmp_ge_u32 s20, s33
	s_cselect_b32 s20, s21, s20
	s_sub_i32 s11, s11, s20
	v_cmp_gt_u32_e32 vcc, s11, v0
	s_mov_b64 s[20:21], 0
                                        ; implicit-def: $vgpr4
	s_and_saveexec_b64 s[22:23], vcc
	s_cbranch_execz .LBB17_93
; %bb.82:                               ;   in Loop: Header=BB17_6 Depth=1
	v_mov_b32_e32 v4, v0
                                        ; implicit-def: $sgpr24_sgpr25
	s_branch .LBB17_84
.LBB17_83:                              ;   in Loop: Header=BB17_84 Depth=2
	s_or_b64 exec, exec, s[26:27]
	s_waitcnt lgkmcnt(0)
	s_barrier
	ds_read_u16 v5, v24 offset:3072
	v_add_u32_e32 v4, s33, v4
	v_cmp_le_u32_e32 vcc, s11, v4
	s_waitcnt lgkmcnt(0)
	s_barrier
	v_cmp_ne_u16_sdwa s[26:27], v5, v1 src0_sel:BYTE_0 src1_sel:DWORD
	s_or_b64 s[28:29], vcc, s[26:27]
	s_and_b64 s[28:29], exec, s[28:29]
	s_or_b64 s[20:21], s[28:29], s[20:21]
	s_andn2_b64 s[24:25], s[24:25], exec
	s_and_b64 s[26:27], s[26:27], exec
	s_or_b64 s[24:25], s[24:25], s[26:27]
	s_andn2_b64 exec, exec, s[20:21]
	s_cbranch_execz .LBB17_92
.LBB17_84:                              ;   Parent Loop BB17_6 Depth=1
                                        ; =>  This Inner Loop Header: Depth=2
	v_cmp_gt_u32_e32 vcc, s10, v4
	v_mov_b32_e32 v5, 0
	s_and_saveexec_b64 s[26:27], vcc
	s_cbranch_execz .LBB17_86
; %bb.85:                               ;   in Loop: Header=BB17_84 Depth=2
	ds_read_u8 v5, v4
.LBB17_86:                              ;   in Loop: Header=BB17_84 Depth=2
	s_or_b64 exec, exec, s[26:27]
	s_and_saveexec_b64 s[26:27], vcc
	s_cbranch_execz .LBB17_83
; %bb.87:                               ;   in Loop: Header=BB17_84 Depth=2
	s_waitcnt lgkmcnt(0)
	v_add_u32_sdwa v30, sext(v5), s76 dst_sel:DWORD dst_unused:UNUSED_PAD src0_sel:BYTE_0 src1_sel:DWORD
	v_and_b32_e32 v30, v30, v3
	v_cmp_eq_u32_e32 vcc, v30, v2
	s_and_b64 exec, exec, vcc
	s_cbranch_execz .LBB17_83
; %bb.88:                               ;   in Loop: Header=BB17_84 Depth=2
	v_lshlrev_b16_e32 v5, 8, v5
	v_or_b32_e32 v5, 1, v5
	ds_write_b16 v24, v5 offset:3072
	s_branch .LBB17_83
.LBB17_89:                              ;   in Loop: Header=BB17_6 Depth=1
	s_mov_b64 s[24:25], 0
	s_mov_b64 s[20:21], 0
                                        ; implicit-def: $sgpr26_sgpr27
                                        ; implicit-def: $sgpr28_sgpr29
                                        ; implicit-def: $sgpr22_sgpr23
                                        ; implicit-def: $vgpr30
                                        ; implicit-def: $vgpr5
                                        ; implicit-def: $vgpr2
                                        ; implicit-def: $vgpr3
                                        ; implicit-def: $vgpr4
	s_cbranch_execnz .LBB17_241
.LBB17_90:                              ;   in Loop: Header=BB17_6 Depth=1
	s_mov_b64 s[30:31], s[22:23]
	s_mov_b64 s[34:35], s[22:23]
	s_and_saveexec_b64 s[16:17], s[24:25]
	s_cbranch_execnz .LBB17_403
	s_branch .LBB17_404
.LBB17_91:                              ;   in Loop: Header=BB17_6 Depth=1
	s_mov_b64 s[22:23], -1
	s_mov_b64 s[20:21], 0
                                        ; implicit-def: $sgpr26_sgpr27
                                        ; implicit-def: $vgpr4
	s_mov_b64 s[28:29], s[22:23]
	s_cbranch_execnz .LBB17_94
	s_branch .LBB17_104
.LBB17_92:                              ;   in Loop: Header=BB17_6 Depth=1
	s_or_b64 exec, exec, s[20:21]
	v_lshrrev_b16_e32 v4, 8, v5
	s_and_b64 s[20:21], s[24:25], exec
.LBB17_93:                              ;   in Loop: Header=BB17_6 Depth=1
	s_or_b64 exec, exec, s[22:23]
	s_mov_b64 s[26:27], -1
	s_mov_b64 s[22:23], 0
	s_mov_b64 s[28:29], s[22:23]
	s_branch .LBB17_104
.LBB17_94:                              ;   in Loop: Header=BB17_6 Depth=1
	s_mov_b64 s[20:21], 0
                                        ; implicit-def: $vgpr4
	s_mov_b64 s[22:23], exec
	v_readlane_b32 s10, v46, 42
	v_readlane_b32 s11, v46, 43
	s_and_b64 s[10:11], s[22:23], s[10:11]
	s_mov_b64 exec, s[10:11]
	s_cbranch_execz .LBB17_103
; %bb.95:                               ;   in Loop: Header=BB17_6 Depth=1
	v_mov_b32_e32 v4, v15
	v_mov_b32_e32 v5, v0
                                        ; implicit-def: $sgpr24_sgpr25
	s_branch .LBB17_97
.LBB17_96:                              ;   in Loop: Header=BB17_97 Depth=2
	s_or_b64 exec, exec, s[26:27]
	s_waitcnt lgkmcnt(0)
	s_barrier
	s_waitcnt vmcnt(0)
	ds_read_u16 v30, v24 offset:3072
	v_add_u32_e32 v5, s33, v5
	v_cmp_le_u32_e32 vcc, s7, v5
	v_add_u32_e32 v4, s8, v4
	s_waitcnt lgkmcnt(0)
	v_cmp_ne_u16_sdwa s[10:11], v30, v1 src0_sel:BYTE_0 src1_sel:DWORD
	s_or_b64 s[26:27], vcc, s[10:11]
	s_and_b64 s[26:27], exec, s[26:27]
	s_or_b64 s[20:21], s[26:27], s[20:21]
	s_andn2_b64 s[24:25], s[24:25], exec
	s_and_b64 s[10:11], s[10:11], exec
	s_or_b64 s[24:25], s[24:25], s[10:11]
	s_barrier
	s_andn2_b64 exec, exec, s[20:21]
	s_cbranch_execz .LBB17_102
.LBB17_97:                              ;   Parent Loop BB17_6 Depth=1
                                        ; =>  This Inner Loop Header: Depth=2
	v_cmp_gt_u32_e32 vcc, s60, v5
	v_mov_b32_e32 v30, 0
	s_and_saveexec_b64 s[26:27], vcc
	s_cbranch_execz .LBB17_99
; %bb.98:                               ;   in Loop: Header=BB17_97 Depth=2
	global_load_ubyte v30, v4, s[64:65]
.LBB17_99:                              ;   in Loop: Header=BB17_97 Depth=2
	s_or_b64 exec, exec, s[26:27]
	s_and_saveexec_b64 s[26:27], vcc
	s_cbranch_execz .LBB17_96
; %bb.100:                              ;   in Loop: Header=BB17_97 Depth=2
	s_waitcnt vmcnt(0)
	v_add_u32_sdwa v31, sext(v30), s76 dst_sel:DWORD dst_unused:UNUSED_PAD src0_sel:BYTE_0 src1_sel:DWORD
	v_and_b32_e32 v31, v31, v3
	v_cmp_eq_u32_e32 vcc, v31, v2
	s_and_b64 exec, exec, vcc
	s_cbranch_execz .LBB17_96
; %bb.101:                              ;   in Loop: Header=BB17_97 Depth=2
	v_lshlrev_b16_e32 v30, 8, v30
	v_or_b32_e32 v30, 1, v30
	ds_write_b16 v24, v30 offset:3072
	s_branch .LBB17_96
.LBB17_102:                             ;   in Loop: Header=BB17_6 Depth=1
	s_or_b64 exec, exec, s[20:21]
	v_lshrrev_b16_e32 v4, 8, v30
	s_and_b64 s[20:21], s[24:25], exec
.LBB17_103:                             ;   in Loop: Header=BB17_6 Depth=1
	s_or_b64 exec, exec, s[22:23]
	s_mov_b64 s[28:29], -1
	s_mov_b64 s[22:23], 0
	s_mov_b64 s[26:27], 0
.LBB17_104:                             ;   in Loop: Header=BB17_6 Depth=1
	s_orn2_b64 s[38:39], s[20:21], exec
.LBB17_105:                             ;   in Loop: Header=BB17_6 Depth=1
	s_or_b64 exec, exec, s[16:17]
	s_mov_b64 s[30:31], 0
	s_mov_b64 s[24:25], 0
	s_mov_b64 s[20:21], 0
                                        ; implicit-def: $vgpr30
                                        ; implicit-def: $vgpr5
	s_and_saveexec_b64 s[34:35], s[38:39]
	s_cbranch_execz .LBB17_240
; %bb.106:                              ;   in Loop: Header=BB17_6 Depth=1
	s_xor_b64 s[10:11], s[36:37], -1
	v_mov_b32_e32 v5, 1
	v_mov_b32_e32 v30, 1
	s_and_saveexec_b64 s[16:17], s[10:11]
	s_cbranch_execz .LBB17_116
; %bb.107:                              ;   in Loop: Header=BB17_6 Depth=1
	v_cmp_ge_u32_e32 vcc, s5, v29
                                        ; implicit-def: $sgpr10
                                        ; implicit-def: $sgpr20_sgpr21
	s_and_saveexec_b64 s[24:25], vcc
	s_xor_b64 s[24:25], exec, s[24:25]
	s_cbranch_execz .LBB17_113
; %bb.108:                              ;   in Loop: Header=BB17_6 Depth=1
	ds_read_b32 v5, v24 offset:4096
	s_waitcnt lgkmcnt(0)
	v_cmp_ne_u32_e32 vcc, 0, v5
	s_cbranch_vccnz .LBB17_112
; %bb.109:                              ;   in Loop: Header=BB17_6 Depth=1
	s_mov_b64 s[20:21], exec
	v_readlane_b32 s10, v46, 6
	v_readlane_b32 s11, v46, 7
	s_and_b64 s[10:11], s[20:21], s[10:11]
	s_mov_b64 exec, s[10:11]
	s_cbranch_execz .LBB17_111
; %bb.110:                              ;   in Loop: Header=BB17_6 Depth=1
	v_mov_b32_e32 v5, s5
	ds_write_b32 v24, v5 offset:4100
.LBB17_111:                             ;   in Loop: Header=BB17_6 Depth=1
	s_or_b64 exec, exec, s[20:21]
	s_waitcnt lgkmcnt(0)
	s_barrier
.LBB17_112:                             ;   in Loop: Header=BB17_6 Depth=1
	v_and_b32_e32 v2, s12, v2
	v_or_b32_e32 v3, s71, v3
	s_mov_b64 s[20:21], 0
	s_mov_b32 s10, 8
.LBB17_113:                             ;   in Loop: Header=BB17_6 Depth=1
	s_or_saveexec_b64 s[24:25], s[24:25]
	v_mov_b32_e32 v30, s10
	v_mov_b32_e32 v5, v29
	s_xor_b64 exec, exec, s[24:25]
; %bb.114:                              ;   in Loop: Header=BB17_6 Depth=1
	v_subrev_u32_e32 v5, s5, v29
	v_mov_b32_e32 v30, 0
	s_or_b64 s[20:21], s[20:21], exec
; %bb.115:                              ;   in Loop: Header=BB17_6 Depth=1
	s_or_b64 exec, exec, s[24:25]
	s_and_b64 s[20:21], s[20:21], exec
.LBB17_116:                             ;   in Loop: Header=BB17_6 Depth=1
	s_or_b64 exec, exec, s[16:17]
	s_mov_b64 s[38:39], -1
                                        ; implicit-def: $sgpr16_sgpr17
                                        ; implicit-def: $sgpr24_sgpr25
                                        ; implicit-def: $sgpr40_sgpr41
	s_and_saveexec_b64 s[10:11], s[20:21]
	s_xor_b64 s[20:21], exec, s[10:11]
	s_cbranch_execz .LBB17_237
; %bb.117:                              ;   in Loop: Header=BB17_6 Depth=1
	s_cmp_eq_u32 s13, 1
	s_cselect_b64 s[10:11], -1, 0
	v_cmp_eq_u32_e32 vcc, 1, v5
	s_and_b64 s[42:43], s[10:11], vcc
	s_mov_b64 s[46:47], -1
                                        ; implicit-def: $sgpr24_sgpr25
                                        ; implicit-def: $sgpr38_sgpr39
                                        ; implicit-def: $sgpr36_sgpr37
	s_and_saveexec_b64 s[16:17], s[42:43]
	s_cbranch_execz .LBB17_143
; %bb.118:                              ;   in Loop: Header=BB17_6 Depth=1
	ds_read_b32 v4, v24 offset:4096
	s_waitcnt lgkmcnt(0)
	s_barrier
	v_readfirstlane_b32 s10, v4
	s_mov_b64 s[24:25], exec
	v_readlane_b32 s36, v46, 26
	v_readlane_b32 s37, v46, 27
	s_and_b64 s[36:37], s[24:25], s[36:37]
	s_mov_b64 exec, s[36:37]
	s_cbranch_execz .LBB17_120
; %bb.119:                              ;   in Loop: Header=BB17_6 Depth=1
	ds_write_b8 v0, v1 offset:3072
.LBB17_120:                             ;   in Loop: Header=BB17_6 Depth=1
	s_or_b64 exec, exec, s[24:25]
	v_and_b32_e32 v2, s12, v2
	v_lshl_or_b32 v2, 1, s6, v2
	v_or_b32_e32 v3, s71, v3
	s_cmp_eq_u32 s10, 0
	s_waitcnt lgkmcnt(0)
	s_barrier
	s_cbranch_scc1 .LBB17_129
; %bb.121:                              ;   in Loop: Header=BB17_6 Depth=1
	v_readlane_b32 s11, v46, 19
	s_add_i32 s11, s10, s11
	v_readlane_b32 s24, v46, 41
	s_mul_hi_u32 s24, s11, s24
	s_mul_i32 s24, s24, s33
	s_sub_i32 s24, s11, s24
	s_sub_i32 s25, s24, s33
	s_cmp_ge_u32 s24, s33
	s_cselect_b32 s24, s25, s24
	s_sub_i32 s25, s24, s33
	s_cmp_ge_u32 s24, s33
	s_cselect_b32 s24, s25, s24
	s_sub_i32 s11, s11, s24
	v_cmp_gt_u32_e32 vcc, s11, v0
	s_mov_b64 s[40:41], 0
                                        ; implicit-def: $vgpr4
	s_and_saveexec_b64 s[24:25], vcc
	s_cbranch_execz .LBB17_131
; %bb.122:                              ;   in Loop: Header=BB17_6 Depth=1
	s_mov_b64 s[36:37], 0
	v_mov_b32_e32 v4, v0
                                        ; implicit-def: $sgpr38_sgpr39
	s_branch .LBB17_124
.LBB17_123:                             ;   in Loop: Header=BB17_124 Depth=2
	s_or_b64 exec, exec, s[40:41]
	s_waitcnt lgkmcnt(0)
	s_barrier
	ds_read_u16 v30, v24 offset:3072
	v_add_u32_e32 v4, s33, v4
	v_cmp_le_u32_e32 vcc, s11, v4
	s_waitcnt lgkmcnt(0)
	s_barrier
	v_cmp_ne_u16_sdwa s[40:41], v30, v1 src0_sel:BYTE_0 src1_sel:DWORD
	s_or_b64 s[44:45], vcc, s[40:41]
	s_and_b64 s[44:45], exec, s[44:45]
	s_or_b64 s[36:37], s[44:45], s[36:37]
	s_andn2_b64 s[38:39], s[38:39], exec
	s_and_b64 s[40:41], s[40:41], exec
	s_or_b64 s[38:39], s[38:39], s[40:41]
	s_andn2_b64 exec, exec, s[36:37]
	s_cbranch_execz .LBB17_130
.LBB17_124:                             ;   Parent Loop BB17_6 Depth=1
                                        ; =>  This Inner Loop Header: Depth=2
	v_cmp_gt_u32_e32 vcc, s10, v4
	v_mov_b32_e32 v30, 0
	s_and_saveexec_b64 s[40:41], vcc
	s_cbranch_execz .LBB17_126
; %bb.125:                              ;   in Loop: Header=BB17_124 Depth=2
	ds_read_u8 v30, v4
.LBB17_126:                             ;   in Loop: Header=BB17_124 Depth=2
	s_or_b64 exec, exec, s[40:41]
	s_and_saveexec_b64 s[40:41], vcc
	s_cbranch_execz .LBB17_123
; %bb.127:                              ;   in Loop: Header=BB17_124 Depth=2
	s_waitcnt lgkmcnt(0)
	v_add_u32_sdwa v31, sext(v30), s76 dst_sel:DWORD dst_unused:UNUSED_PAD src0_sel:BYTE_0 src1_sel:DWORD
	v_and_b32_e32 v31, v31, v3
	v_cmp_eq_u32_e32 vcc, v31, v2
	s_and_b64 exec, exec, vcc
	s_cbranch_execz .LBB17_123
; %bb.128:                              ;   in Loop: Header=BB17_124 Depth=2
	v_lshlrev_b16_e32 v30, 8, v30
	v_or_b32_e32 v30, 1, v30
	ds_write_b16 v24, v30 offset:3072
	s_branch .LBB17_123
.LBB17_129:                             ;   in Loop: Header=BB17_6 Depth=1
	s_mov_b64 s[24:25], -1
	s_mov_b64 s[40:41], 0
                                        ; implicit-def: $sgpr36_sgpr37
                                        ; implicit-def: $vgpr4
	s_mov_b64 s[38:39], s[24:25]
	s_cbranch_execnz .LBB17_132
	s_branch .LBB17_142
.LBB17_130:                             ;   in Loop: Header=BB17_6 Depth=1
	s_or_b64 exec, exec, s[36:37]
	v_lshrrev_b16_e32 v4, 8, v30
	s_and_b64 s[40:41], s[38:39], exec
.LBB17_131:                             ;   in Loop: Header=BB17_6 Depth=1
	s_or_b64 exec, exec, s[24:25]
	s_mov_b64 s[36:37], -1
	s_mov_b64 s[24:25], 0
	s_mov_b64 s[38:39], s[24:25]
	s_branch .LBB17_142
.LBB17_132:                             ;   in Loop: Header=BB17_6 Depth=1
	s_mov_b64 s[40:41], 0
                                        ; implicit-def: $vgpr4
	s_mov_b64 s[24:25], exec
	v_readlane_b32 s10, v46, 42
	v_readlane_b32 s11, v46, 43
	s_and_b64 s[10:11], s[24:25], s[10:11]
	s_mov_b64 exec, s[10:11]
	s_cbranch_execz .LBB17_141
; %bb.133:                              ;   in Loop: Header=BB17_6 Depth=1
	s_mov_b64 s[36:37], 0
	v_mov_b32_e32 v4, v15
	v_mov_b32_e32 v30, v0
                                        ; implicit-def: $sgpr38_sgpr39
	s_branch .LBB17_135
.LBB17_134:                             ;   in Loop: Header=BB17_135 Depth=2
	s_or_b64 exec, exec, s[40:41]
	s_waitcnt lgkmcnt(0)
	s_barrier
	s_waitcnt vmcnt(0)
	ds_read_u16 v31, v24 offset:3072
	v_add_u32_e32 v30, s33, v30
	v_cmp_le_u32_e32 vcc, s7, v30
	v_add_u32_e32 v4, s8, v4
	s_waitcnt lgkmcnt(0)
	v_cmp_ne_u16_sdwa s[10:11], v31, v1 src0_sel:BYTE_0 src1_sel:DWORD
	s_or_b64 s[40:41], vcc, s[10:11]
	s_and_b64 s[40:41], exec, s[40:41]
	s_or_b64 s[36:37], s[40:41], s[36:37]
	s_andn2_b64 s[38:39], s[38:39], exec
	s_and_b64 s[10:11], s[10:11], exec
	s_or_b64 s[38:39], s[38:39], s[10:11]
	s_barrier
	s_andn2_b64 exec, exec, s[36:37]
	s_cbranch_execz .LBB17_140
.LBB17_135:                             ;   Parent Loop BB17_6 Depth=1
                                        ; =>  This Inner Loop Header: Depth=2
	v_cmp_gt_u32_e32 vcc, s60, v30
	v_mov_b32_e32 v31, 0
	s_and_saveexec_b64 s[40:41], vcc
	s_cbranch_execz .LBB17_137
; %bb.136:                              ;   in Loop: Header=BB17_135 Depth=2
	global_load_ubyte v31, v4, s[64:65]
.LBB17_137:                             ;   in Loop: Header=BB17_135 Depth=2
	s_or_b64 exec, exec, s[40:41]
	s_and_saveexec_b64 s[40:41], vcc
	s_cbranch_execz .LBB17_134
; %bb.138:                              ;   in Loop: Header=BB17_135 Depth=2
	s_waitcnt vmcnt(0)
	v_add_u32_sdwa v32, sext(v31), s76 dst_sel:DWORD dst_unused:UNUSED_PAD src0_sel:BYTE_0 src1_sel:DWORD
	v_and_b32_e32 v32, v32, v3
	v_cmp_eq_u32_e32 vcc, v32, v2
	s_and_b64 exec, exec, vcc
	s_cbranch_execz .LBB17_134
; %bb.139:                              ;   in Loop: Header=BB17_135 Depth=2
	v_lshlrev_b16_e32 v31, 8, v31
	v_or_b32_e32 v31, 1, v31
	ds_write_b16 v24, v31 offset:3072
	s_branch .LBB17_134
.LBB17_140:                             ;   in Loop: Header=BB17_6 Depth=1
	s_or_b64 exec, exec, s[36:37]
	v_lshrrev_b16_e32 v4, 8, v31
	s_and_b64 s[40:41], s[38:39], exec
.LBB17_141:                             ;   in Loop: Header=BB17_6 Depth=1
	s_or_b64 exec, exec, s[24:25]
	s_mov_b64 s[38:39], -1
	s_mov_b64 s[24:25], 0
	s_mov_b64 s[36:37], 0
.LBB17_142:                             ;   in Loop: Header=BB17_6 Depth=1
	s_orn2_b64 s[46:47], s[40:41], exec
.LBB17_143:                             ;   in Loop: Header=BB17_6 Depth=1
	s_or_b64 exec, exec, s[16:17]
	s_mov_b64 s[44:45], 0
                                        ; implicit-def: $vgpr30
	s_and_saveexec_b64 s[40:41], s[46:47]
	s_cbranch_execz .LBB17_236
; %bb.144:                              ;   in Loop: Header=BB17_6 Depth=1
	s_xor_b64 s[10:11], s[42:43], -1
	s_mov_b64 s[46:47], 0
	v_mov_b32_e32 v31, 1
	v_mov_b32_e32 v30, 1
	s_and_saveexec_b64 s[16:17], s[10:11]
	s_cbranch_execz .LBB17_154
; %bb.145:                              ;   in Loop: Header=BB17_6 Depth=1
	v_cmp_ge_u32_e32 vcc, s13, v5
                                        ; implicit-def: $sgpr10
                                        ; implicit-def: $sgpr42_sgpr43
	s_and_saveexec_b64 s[44:45], vcc
	s_xor_b64 s[44:45], exec, s[44:45]
	s_cbranch_execz .LBB17_151
; %bb.146:                              ;   in Loop: Header=BB17_6 Depth=1
	ds_read_b32 v30, v24 offset:4096
	s_waitcnt lgkmcnt(0)
	v_cmp_ne_u32_e32 vcc, 0, v30
	s_cbranch_vccnz .LBB17_150
; %bb.147:                              ;   in Loop: Header=BB17_6 Depth=1
	s_mov_b64 s[42:43], exec
	v_readlane_b32 s10, v46, 6
	v_readlane_b32 s11, v46, 7
	s_and_b64 s[10:11], s[42:43], s[10:11]
	s_mov_b64 exec, s[10:11]
	s_cbranch_execz .LBB17_149
; %bb.148:                              ;   in Loop: Header=BB17_6 Depth=1
	v_mov_b32_e32 v30, s13
	ds_write_b32 v24, v30 offset:4100
.LBB17_149:                             ;   in Loop: Header=BB17_6 Depth=1
	s_or_b64 exec, exec, s[42:43]
	s_waitcnt lgkmcnt(0)
	s_barrier
.LBB17_150:                             ;   in Loop: Header=BB17_6 Depth=1
	v_and_b32_e32 v2, s12, v2
	v_lshl_or_b32 v2, 1, s6, v2
	v_or_b32_e32 v3, s71, v3
	s_mov_b64 s[42:43], 0
	s_mov_b32 s10, 8
.LBB17_151:                             ;   in Loop: Header=BB17_6 Depth=1
	s_or_saveexec_b64 s[44:45], s[44:45]
	v_mov_b32_e32 v30, s10
	s_xor_b64 exec, exec, s[44:45]
; %bb.152:                              ;   in Loop: Header=BB17_6 Depth=1
	v_subrev_u32_e32 v5, s13, v5
	v_mov_b32_e32 v30, 0
	s_or_b64 s[42:43], s[42:43], exec
; %bb.153:                              ;   in Loop: Header=BB17_6 Depth=1
	s_or_b64 exec, exec, s[44:45]
	s_and_b64 s[46:47], s[42:43], exec
	v_mov_b32_e32 v31, v5
.LBB17_154:                             ;   in Loop: Header=BB17_6 Depth=1
	s_or_b64 exec, exec, s[16:17]
	s_mov_b64 s[16:17], -1
                                        ; implicit-def: $sgpr44_sgpr45
                                        ; implicit-def: $sgpr48_sgpr49
                                        ; implicit-def: $sgpr50_sgpr51
	s_and_saveexec_b64 s[42:43], s[46:47]
	s_cbranch_execz .LBB17_235
; %bb.155:                              ;   in Loop: Header=BB17_6 Depth=1
	s_cmp_eq_u32 s70, 1
	s_cselect_b64 s[10:11], -1, 0
	v_cmp_eq_u32_e32 vcc, 1, v31
	s_and_b64 s[52:53], s[10:11], vcc
	s_mov_b64 s[54:55], -1
                                        ; implicit-def: $sgpr44_sgpr45
                                        ; implicit-def: $sgpr48_sgpr49
                                        ; implicit-def: $sgpr46_sgpr47
	s_and_saveexec_b64 s[16:17], s[52:53]
	s_cbranch_execz .LBB17_181
; %bb.156:                              ;   in Loop: Header=BB17_6 Depth=1
	ds_read_b32 v4, v24 offset:4096
	s_waitcnt lgkmcnt(0)
	s_barrier
	v_readfirstlane_b32 s10, v4
	s_mov_b64 s[44:45], exec
	v_readlane_b32 s46, v46, 26
	v_readlane_b32 s47, v46, 27
	s_and_b64 s[46:47], s[44:45], s[46:47]
	s_mov_b64 exec, s[46:47]
	s_cbranch_execz .LBB17_158
; %bb.157:                              ;   in Loop: Header=BB17_6 Depth=1
	ds_write_b8 v0, v1 offset:3072
.LBB17_158:                             ;   in Loop: Header=BB17_6 Depth=1
	s_or_b64 exec, exec, s[44:45]
	v_and_b32_e32 v2, s12, v2
	v_lshl_or_b32 v2, 2, s6, v2
	v_or_b32_e32 v3, s71, v3
	s_cmp_eq_u32 s10, 0
	s_waitcnt lgkmcnt(0)
	s_barrier
	s_cbranch_scc1 .LBB17_167
; %bb.159:                              ;   in Loop: Header=BB17_6 Depth=1
	v_readlane_b32 s11, v46, 19
	s_add_i32 s11, s10, s11
	v_readlane_b32 s44, v46, 41
	s_mul_hi_u32 s44, s11, s44
	s_mul_i32 s44, s44, s33
	s_sub_i32 s44, s11, s44
	s_sub_i32 s45, s44, s33
	s_cmp_ge_u32 s44, s33
	s_cselect_b32 s44, s45, s44
	s_sub_i32 s45, s44, s33
	s_cmp_ge_u32 s44, s33
	s_cselect_b32 s44, s45, s44
	s_sub_i32 s11, s11, s44
	v_cmp_gt_u32_e32 vcc, s11, v0
	s_mov_b64 s[50:51], 0
                                        ; implicit-def: $vgpr4
	s_and_saveexec_b64 s[44:45], vcc
	s_cbranch_execz .LBB17_169
; %bb.160:                              ;   in Loop: Header=BB17_6 Depth=1
	s_mov_b64 s[46:47], 0
	v_mov_b32_e32 v4, v0
                                        ; implicit-def: $sgpr48_sgpr49
	s_branch .LBB17_162
.LBB17_161:                             ;   in Loop: Header=BB17_162 Depth=2
	s_or_b64 exec, exec, s[50:51]
	s_waitcnt lgkmcnt(0)
	s_barrier
	ds_read_u16 v5, v24 offset:3072
	v_add_u32_e32 v4, s33, v4
	v_cmp_le_u32_e32 vcc, s11, v4
	s_waitcnt lgkmcnt(0)
	s_barrier
	v_cmp_ne_u16_sdwa s[50:51], v5, v1 src0_sel:BYTE_0 src1_sel:DWORD
	s_or_b64 s[54:55], vcc, s[50:51]
	s_and_b64 s[54:55], exec, s[54:55]
	s_or_b64 s[46:47], s[54:55], s[46:47]
	s_andn2_b64 s[48:49], s[48:49], exec
	s_and_b64 s[50:51], s[50:51], exec
	s_or_b64 s[48:49], s[48:49], s[50:51]
	s_andn2_b64 exec, exec, s[46:47]
	s_cbranch_execz .LBB17_168
.LBB17_162:                             ;   Parent Loop BB17_6 Depth=1
                                        ; =>  This Inner Loop Header: Depth=2
	v_cmp_gt_u32_e32 vcc, s10, v4
	v_mov_b32_e32 v5, 0
	s_and_saveexec_b64 s[50:51], vcc
	s_cbranch_execz .LBB17_164
; %bb.163:                              ;   in Loop: Header=BB17_162 Depth=2
	ds_read_u8 v5, v4
.LBB17_164:                             ;   in Loop: Header=BB17_162 Depth=2
	s_or_b64 exec, exec, s[50:51]
	s_and_saveexec_b64 s[50:51], vcc
	s_cbranch_execz .LBB17_161
; %bb.165:                              ;   in Loop: Header=BB17_162 Depth=2
	s_waitcnt lgkmcnt(0)
	v_add_u32_sdwa v30, sext(v5), s76 dst_sel:DWORD dst_unused:UNUSED_PAD src0_sel:BYTE_0 src1_sel:DWORD
	v_and_b32_e32 v30, v30, v3
	v_cmp_eq_u32_e32 vcc, v30, v2
	s_and_b64 exec, exec, vcc
	s_cbranch_execz .LBB17_161
; %bb.166:                              ;   in Loop: Header=BB17_162 Depth=2
	v_lshlrev_b16_e32 v5, 8, v5
	v_or_b32_e32 v5, 1, v5
	ds_write_b16 v24, v5 offset:3072
	s_branch .LBB17_161
.LBB17_167:                             ;   in Loop: Header=BB17_6 Depth=1
	s_mov_b64 s[44:45], -1
	s_mov_b64 s[50:51], 0
                                        ; implicit-def: $sgpr46_sgpr47
                                        ; implicit-def: $vgpr4
	s_mov_b64 s[48:49], s[44:45]
	s_cbranch_execnz .LBB17_170
	s_branch .LBB17_180
.LBB17_168:                             ;   in Loop: Header=BB17_6 Depth=1
	s_or_b64 exec, exec, s[46:47]
	v_lshrrev_b16_e32 v4, 8, v5
	s_and_b64 s[50:51], s[48:49], exec
.LBB17_169:                             ;   in Loop: Header=BB17_6 Depth=1
	s_or_b64 exec, exec, s[44:45]
	s_mov_b64 s[46:47], -1
	s_mov_b64 s[44:45], 0
	s_mov_b64 s[48:49], s[44:45]
	s_branch .LBB17_180
.LBB17_170:                             ;   in Loop: Header=BB17_6 Depth=1
	s_mov_b64 s[50:51], 0
                                        ; implicit-def: $vgpr4
	s_mov_b64 s[44:45], exec
	v_readlane_b32 s10, v46, 42
	v_readlane_b32 s11, v46, 43
	s_and_b64 s[10:11], s[44:45], s[10:11]
	s_mov_b64 exec, s[10:11]
	s_cbranch_execz .LBB17_179
; %bb.171:                              ;   in Loop: Header=BB17_6 Depth=1
	s_mov_b64 s[46:47], 0
	v_mov_b32_e32 v4, v15
	v_mov_b32_e32 v5, v0
                                        ; implicit-def: $sgpr48_sgpr49
	s_branch .LBB17_173
.LBB17_172:                             ;   in Loop: Header=BB17_173 Depth=2
	s_or_b64 exec, exec, s[50:51]
	s_waitcnt lgkmcnt(0)
	s_barrier
	s_waitcnt vmcnt(0)
	ds_read_u16 v30, v24 offset:3072
	v_add_u32_e32 v5, s33, v5
	v_cmp_le_u32_e32 vcc, s7, v5
	v_add_u32_e32 v4, s8, v4
	s_waitcnt lgkmcnt(0)
	v_cmp_ne_u16_sdwa s[10:11], v30, v1 src0_sel:BYTE_0 src1_sel:DWORD
	s_or_b64 s[50:51], vcc, s[10:11]
	s_and_b64 s[50:51], exec, s[50:51]
	s_or_b64 s[46:47], s[50:51], s[46:47]
	s_andn2_b64 s[48:49], s[48:49], exec
	s_and_b64 s[10:11], s[10:11], exec
	s_or_b64 s[48:49], s[48:49], s[10:11]
	s_barrier
	s_andn2_b64 exec, exec, s[46:47]
	s_cbranch_execz .LBB17_178
.LBB17_173:                             ;   Parent Loop BB17_6 Depth=1
                                        ; =>  This Inner Loop Header: Depth=2
	v_cmp_gt_u32_e32 vcc, s60, v5
	v_mov_b32_e32 v30, 0
	s_and_saveexec_b64 s[50:51], vcc
	s_cbranch_execz .LBB17_175
; %bb.174:                              ;   in Loop: Header=BB17_173 Depth=2
	global_load_ubyte v30, v4, s[64:65]
.LBB17_175:                             ;   in Loop: Header=BB17_173 Depth=2
	s_or_b64 exec, exec, s[50:51]
	s_and_saveexec_b64 s[50:51], vcc
	s_cbranch_execz .LBB17_172
; %bb.176:                              ;   in Loop: Header=BB17_173 Depth=2
	s_waitcnt vmcnt(0)
	v_add_u32_sdwa v32, sext(v30), s76 dst_sel:DWORD dst_unused:UNUSED_PAD src0_sel:BYTE_0 src1_sel:DWORD
	v_and_b32_e32 v32, v32, v3
	v_cmp_eq_u32_e32 vcc, v32, v2
	s_and_b64 exec, exec, vcc
	s_cbranch_execz .LBB17_172
; %bb.177:                              ;   in Loop: Header=BB17_173 Depth=2
	v_lshlrev_b16_e32 v30, 8, v30
	v_or_b32_e32 v30, 1, v30
	ds_write_b16 v24, v30 offset:3072
	s_branch .LBB17_172
.LBB17_178:                             ;   in Loop: Header=BB17_6 Depth=1
	s_or_b64 exec, exec, s[46:47]
	v_lshrrev_b16_e32 v4, 8, v30
	s_and_b64 s[50:51], s[48:49], exec
.LBB17_179:                             ;   in Loop: Header=BB17_6 Depth=1
	s_or_b64 exec, exec, s[44:45]
	s_mov_b64 s[48:49], -1
	s_mov_b64 s[44:45], 0
	s_mov_b64 s[46:47], 0
.LBB17_180:                             ;   in Loop: Header=BB17_6 Depth=1
	s_orn2_b64 s[54:55], s[50:51], exec
.LBB17_181:                             ;   in Loop: Header=BB17_6 Depth=1
	s_or_b64 exec, exec, s[16:17]
	s_mov_b64 s[16:17], 0
                                        ; implicit-def: $vgpr30
	s_and_saveexec_b64 s[50:51], s[54:55]
	s_cbranch_execz .LBB17_234
; %bb.182:                              ;   in Loop: Header=BB17_6 Depth=1
	s_xor_b64 s[10:11], s[52:53], -1
	s_mov_b64 s[54:55], 0
	v_mov_b32_e32 v5, 1
	v_mov_b32_e32 v30, 1
	s_and_saveexec_b64 s[16:17], s[10:11]
	s_cbranch_execz .LBB17_192
; %bb.183:                              ;   in Loop: Header=BB17_6 Depth=1
	v_cmp_ge_u32_e32 vcc, s70, v31
                                        ; implicit-def: $sgpr10
                                        ; implicit-def: $sgpr52_sgpr53
	s_and_saveexec_b64 s[54:55], vcc
	s_xor_b64 s[54:55], exec, s[54:55]
	s_cbranch_execz .LBB17_189
; %bb.184:                              ;   in Loop: Header=BB17_6 Depth=1
	ds_read_b32 v5, v24 offset:4096
	s_waitcnt lgkmcnt(0)
	v_cmp_ne_u32_e32 vcc, 0, v5
	s_cbranch_vccnz .LBB17_188
; %bb.185:                              ;   in Loop: Header=BB17_6 Depth=1
	s_mov_b64 s[52:53], exec
	v_readlane_b32 s10, v46, 6
	v_readlane_b32 s11, v46, 7
	s_and_b64 s[10:11], s[52:53], s[10:11]
	s_mov_b64 exec, s[10:11]
	s_cbranch_execz .LBB17_187
; %bb.186:                              ;   in Loop: Header=BB17_6 Depth=1
	v_mov_b32_e32 v5, s70
	ds_write_b32 v24, v5 offset:4100
.LBB17_187:                             ;   in Loop: Header=BB17_6 Depth=1
	s_or_b64 exec, exec, s[52:53]
	s_waitcnt lgkmcnt(0)
	s_barrier
.LBB17_188:                             ;   in Loop: Header=BB17_6 Depth=1
	v_and_b32_e32 v2, s12, v2
	v_lshl_or_b32 v2, 2, s6, v2
	v_or_b32_e32 v3, s71, v3
	s_mov_b64 s[52:53], 0
	s_mov_b32 s10, 8
.LBB17_189:                             ;   in Loop: Header=BB17_6 Depth=1
	s_or_saveexec_b64 s[54:55], s[54:55]
	v_mov_b32_e32 v30, s10
	s_xor_b64 exec, exec, s[54:55]
; %bb.190:                              ;   in Loop: Header=BB17_6 Depth=1
	v_subrev_u32_e32 v31, s70, v31
	v_mov_b32_e32 v30, 0
	s_or_b64 s[52:53], s[52:53], exec
; %bb.191:                              ;   in Loop: Header=BB17_6 Depth=1
	s_or_b64 exec, exec, s[54:55]
	s_and_b64 s[54:55], s[52:53], exec
	v_mov_b32_e32 v5, v31
.LBB17_192:                             ;   in Loop: Header=BB17_6 Depth=1
	s_or_b64 exec, exec, s[16:17]
	s_mov_b64 s[16:17], -1
                                        ; implicit-def: $sgpr80_sgpr81
                                        ; implicit-def: $sgpr58_sgpr59
                                        ; implicit-def: $sgpr10_sgpr11
                                        ; kill: killed $sgpr10_sgpr11
	s_and_saveexec_b64 s[52:53], s[54:55]
	s_cbranch_execz .LBB17_233
; %bb.193:                              ;   in Loop: Header=BB17_6 Depth=1
	s_cmp_eq_u32 s56, 1
	s_cselect_b64 s[10:11], -1, 0
	v_cmp_eq_u32_e32 vcc, 1, v5
	s_mov_b64 s[54:55], -1
	s_and_b64 s[10:11], s[10:11], vcc
                                        ; implicit-def: $sgpr80_sgpr81
                                        ; implicit-def: $sgpr58_sgpr59
                                        ; implicit-def: $sgpr16_sgpr17
                                        ; kill: killed $sgpr16_sgpr17
	s_mov_b64 s[16:17], exec
	v_writelane_b32 v46, s10, 51
	v_writelane_b32 v46, s11, 52
	;; [unrolled: 1-line block ×3, first 2 shown]
	s_and_b64 s[10:11], s[16:17], s[10:11]
	v_writelane_b32 v46, s17, 54
	s_mov_b64 exec, s[10:11]
	s_cbranch_execz .LBB17_220
; %bb.194:                              ;   in Loop: Header=BB17_6 Depth=1
	ds_read_b32 v4, v24 offset:4096
	v_readlane_b32 s16, v46, 26
	v_readlane_b32 s17, v46, 27
	s_waitcnt lgkmcnt(0)
	s_barrier
	v_readfirstlane_b32 s10, v4
	s_and_saveexec_b64 s[54:55], s[16:17]
	s_cbranch_execz .LBB17_196
; %bb.195:                              ;   in Loop: Header=BB17_6 Depth=1
	ds_write_b8 v0, v1 offset:3072
.LBB17_196:                             ;   in Loop: Header=BB17_6 Depth=1
	s_or_b64 exec, exec, s[54:55]
	v_or_b32_e32 v2, s71, v2
	v_or_b32_e32 v3, s71, v3
	s_cmp_eq_u32 s10, 0
	s_waitcnt lgkmcnt(0)
	s_barrier
	s_cbranch_scc1 .LBB17_205
; %bb.197:                              ;   in Loop: Header=BB17_6 Depth=1
	v_readlane_b32 s11, v46, 19
	s_add_i32 s11, s10, s11
	v_readlane_b32 s16, v46, 41
	s_mul_hi_u32 s16, s11, s16
	s_mul_i32 s16, s16, s33
	s_sub_i32 s16, s11, s16
	s_sub_i32 s17, s16, s33
	s_cmp_ge_u32 s16, s33
	s_cselect_b32 s16, s17, s16
	s_sub_i32 s17, s16, s33
	s_cmp_ge_u32 s16, s33
	s_cselect_b32 s16, s17, s16
	s_sub_i32 s11, s11, s16
	s_mov_b64 s[54:55], 0
	v_cmp_gt_u32_e32 vcc, s11, v0
                                        ; implicit-def: $vgpr4
	s_mov_b64 s[16:17], exec
	v_writelane_b32 v46, s16, 57
	s_and_b64 s[58:59], s[16:17], vcc
	v_writelane_b32 v46, s17, 58
	s_mov_b64 exec, s[58:59]
	s_cbranch_execz .LBB17_207
; %bb.198:                              ;   in Loop: Header=BB17_6 Depth=1
	v_mov_b32_e32 v4, v0
                                        ; implicit-def: $sgpr58_sgpr59
	s_branch .LBB17_200
.LBB17_199:                             ;   in Loop: Header=BB17_200 Depth=2
	s_or_b64 exec, exec, s[80:81]
	s_waitcnt lgkmcnt(0)
	s_barrier
	ds_read_u16 v30, v24 offset:3072
	v_add_u32_e32 v4, s33, v4
	v_cmp_le_u32_e32 vcc, s11, v4
	s_waitcnt lgkmcnt(0)
	s_barrier
	v_cmp_ne_u16_sdwa s[16:17], v30, v1 src0_sel:BYTE_0 src1_sel:DWORD
	s_or_b64 s[80:81], vcc, s[16:17]
	s_and_b64 s[80:81], exec, s[80:81]
	s_or_b64 s[54:55], s[80:81], s[54:55]
	s_andn2_b64 s[58:59], s[58:59], exec
	s_and_b64 s[16:17], s[16:17], exec
	s_or_b64 s[58:59], s[58:59], s[16:17]
	s_andn2_b64 exec, exec, s[54:55]
	s_cbranch_execz .LBB17_206
.LBB17_200:                             ;   Parent Loop BB17_6 Depth=1
                                        ; =>  This Inner Loop Header: Depth=2
	v_cmp_gt_u32_e32 vcc, s10, v4
	v_mov_b32_e32 v30, 0
	s_and_saveexec_b64 s[80:81], vcc
	s_cbranch_execz .LBB17_202
; %bb.201:                              ;   in Loop: Header=BB17_200 Depth=2
	ds_read_u8 v30, v4
.LBB17_202:                             ;   in Loop: Header=BB17_200 Depth=2
	s_or_b64 exec, exec, s[80:81]
	s_and_saveexec_b64 s[80:81], vcc
	s_cbranch_execz .LBB17_199
; %bb.203:                              ;   in Loop: Header=BB17_200 Depth=2
	s_waitcnt lgkmcnt(0)
	v_add_u32_sdwa v31, sext(v30), s76 dst_sel:DWORD dst_unused:UNUSED_PAD src0_sel:BYTE_0 src1_sel:DWORD
	v_and_b32_e32 v31, v31, v3
	v_cmp_eq_u32_e32 vcc, v31, v2
	s_and_b64 exec, exec, vcc
	s_cbranch_execz .LBB17_199
; %bb.204:                              ;   in Loop: Header=BB17_200 Depth=2
	v_lshlrev_b16_e32 v30, 8, v30
	v_or_b32_e32 v30, 1, v30
	ds_write_b16 v24, v30 offset:3072
	s_branch .LBB17_199
.LBB17_205:                             ;   in Loop: Header=BB17_6 Depth=1
	s_mov_b64 s[80:81], -1
	s_mov_b64 s[54:55], 0
                                        ; implicit-def: $sgpr10_sgpr11
                                        ; implicit-def: $vgpr4
	s_branch .LBB17_208
.LBB17_206:                             ;   in Loop: Header=BB17_6 Depth=1
	s_or_b64 exec, exec, s[54:55]
	v_lshrrev_b16_e32 v4, 8, v30
	s_and_b64 s[54:55], s[58:59], exec
.LBB17_207:                             ;   in Loop: Header=BB17_6 Depth=1
	v_readlane_b32 s10, v46, 57
	v_readlane_b32 s11, v46, 58
	s_or_b64 exec, exec, s[10:11]
	s_mov_b64 s[10:11], -1
	s_mov_b64 s[80:81], 0
.LBB17_208:                             ;   in Loop: Header=BB17_6 Depth=1
	s_and_b64 vcc, exec, s[80:81]
	s_mov_b64 s[58:59], s[80:81]
	s_cbranch_vccz .LBB17_219
; %bb.209:                              ;   in Loop: Header=BB17_6 Depth=1
	s_mov_b64 s[54:55], 0
                                        ; implicit-def: $vgpr4
	s_mov_b64 s[16:17], exec
	v_readlane_b32 s10, v46, 42
	v_readlane_b32 s11, v46, 43
	v_writelane_b32 v46, s16, 59
	s_and_b64 s[10:11], s[16:17], s[10:11]
	v_writelane_b32 v46, s17, 60
	s_mov_b64 exec, s[10:11]
	s_cbranch_execz .LBB17_218
; %bb.210:                              ;   in Loop: Header=BB17_6 Depth=1
	v_mov_b32_e32 v4, v15
	v_mov_b32_e32 v30, v0
                                        ; implicit-def: $sgpr58_sgpr59
	s_branch .LBB17_212
.LBB17_211:                             ;   in Loop: Header=BB17_212 Depth=2
	s_or_b64 exec, exec, s[80:81]
	s_waitcnt lgkmcnt(0)
	s_barrier
	s_waitcnt vmcnt(0)
	ds_read_u16 v31, v24 offset:3072
	v_add_u32_e32 v30, s33, v30
	v_cmp_le_u32_e32 vcc, s7, v30
	v_add_u32_e32 v4, s8, v4
	s_waitcnt lgkmcnt(0)
	v_cmp_ne_u16_sdwa s[10:11], v31, v1 src0_sel:BYTE_0 src1_sel:DWORD
	s_or_b64 s[16:17], vcc, s[10:11]
	s_and_b64 s[16:17], exec, s[16:17]
	s_or_b64 s[54:55], s[16:17], s[54:55]
	s_andn2_b64 s[16:17], s[58:59], exec
	s_and_b64 s[10:11], s[10:11], exec
	s_or_b64 s[58:59], s[16:17], s[10:11]
	s_barrier
	s_andn2_b64 exec, exec, s[54:55]
	s_cbranch_execz .LBB17_217
.LBB17_212:                             ;   Parent Loop BB17_6 Depth=1
                                        ; =>  This Inner Loop Header: Depth=2
	v_cmp_gt_u32_e32 vcc, s60, v30
	v_mov_b32_e32 v31, 0
	s_and_saveexec_b64 s[80:81], vcc
	s_cbranch_execz .LBB17_214
; %bb.213:                              ;   in Loop: Header=BB17_212 Depth=2
	global_load_ubyte v31, v4, s[64:65]
.LBB17_214:                             ;   in Loop: Header=BB17_212 Depth=2
	s_or_b64 exec, exec, s[80:81]
	s_and_saveexec_b64 s[80:81], vcc
	s_cbranch_execz .LBB17_211
; %bb.215:                              ;   in Loop: Header=BB17_212 Depth=2
	s_waitcnt vmcnt(0)
	v_add_u32_sdwa v32, sext(v31), s76 dst_sel:DWORD dst_unused:UNUSED_PAD src0_sel:BYTE_0 src1_sel:DWORD
	v_and_b32_e32 v32, v32, v3
	v_cmp_eq_u32_e32 vcc, v32, v2
	s_and_b64 exec, exec, vcc
	s_cbranch_execz .LBB17_211
; %bb.216:                              ;   in Loop: Header=BB17_212 Depth=2
	v_lshlrev_b16_e32 v31, 8, v31
	v_or_b32_e32 v31, 1, v31
	ds_write_b16 v24, v31 offset:3072
	s_branch .LBB17_211
.LBB17_217:                             ;   in Loop: Header=BB17_6 Depth=1
	s_or_b64 exec, exec, s[54:55]
	v_lshrrev_b16_e32 v4, 8, v31
	s_and_b64 s[54:55], s[58:59], exec
.LBB17_218:                             ;   in Loop: Header=BB17_6 Depth=1
	v_readlane_b32 s10, v46, 59
	v_readlane_b32 s11, v46, 60
	s_or_b64 exec, exec, s[10:11]
	s_mov_b64 s[58:59], -1
	s_mov_b64 s[80:81], 0
	s_mov_b64 s[10:11], 0
.LBB17_219:                             ;   in Loop: Header=BB17_6 Depth=1
	v_writelane_b32 v46, s10, 55
	s_orn2_b64 s[54:55], s[54:55], exec
	v_writelane_b32 v46, s11, 56
.LBB17_220:                             ;   in Loop: Header=BB17_6 Depth=1
	v_readlane_b32 s10, v46, 53
	v_readlane_b32 s11, v46, 54
	s_or_b64 exec, exec, s[10:11]
	s_mov_b64 vcc, 0
                                        ; implicit-def: $vgpr30
                                        ; implicit-def: $vgpr31
	s_and_saveexec_b64 s[16:17], s[54:55]
	s_cbranch_execz .LBB17_232
; %bb.221:                              ;   in Loop: Header=BB17_6 Depth=1
	v_readlane_b32 s10, v46, 51
	v_readlane_b32 s11, v46, 52
	s_xor_b64 s[10:11], s[10:11], -1
	v_mov_b32_e32 v30, 1
	v_mov_b32_e32 v31, 1
	s_and_saveexec_b64 s[54:55], s[10:11]
	s_cbranch_execz .LBB17_231
; %bb.222:                              ;   in Loop: Header=BB17_6 Depth=1
	v_cmp_ge_u32_e32 vcc, s56, v5
                                        ; implicit-def: $sgpr57
	s_and_saveexec_b64 s[10:11], vcc
	s_xor_b64 s[10:11], exec, s[10:11]
	s_cbranch_execz .LBB17_228
; %bb.223:                              ;   in Loop: Header=BB17_6 Depth=1
	ds_read_b32 v30, v24 offset:4096
	s_waitcnt lgkmcnt(0)
	v_cmp_ne_u32_e32 vcc, 0, v30
	s_cbranch_vccnz .LBB17_227
; %bb.224:                              ;   in Loop: Header=BB17_6 Depth=1
	v_writelane_b32 v46, s10, 61
	v_writelane_b32 v46, s11, 62
	s_mov_b64 vcc, exec
	v_readlane_b32 s10, v46, 6
	v_readlane_b32 s11, v46, 7
	s_and_b64 s[10:11], vcc, s[10:11]
	s_mov_b64 exec, s[10:11]
	s_cbranch_execz .LBB17_226
; %bb.225:                              ;   in Loop: Header=BB17_6 Depth=1
	v_mov_b32_e32 v30, s56
	ds_write_b32 v24, v30 offset:4100
.LBB17_226:                             ;   in Loop: Header=BB17_6 Depth=1
	s_or_b64 exec, exec, vcc
	v_readlane_b32 s10, v46, 61
	v_readlane_b32 s11, v46, 62
	s_waitcnt lgkmcnt(0)
	s_barrier
.LBB17_227:                             ;   in Loop: Header=BB17_6 Depth=1
	v_or_b32_e32 v2, s71, v2
	v_or_b32_e32 v3, s71, v3
	s_mov_b32 s57, 8
.LBB17_228:                             ;   in Loop: Header=BB17_6 Depth=1
	s_or_saveexec_b64 vcc, s[10:11]
	v_mov_b32_e32 v30, s57
	s_xor_b64 exec, exec, vcc
; %bb.229:                              ;   in Loop: Header=BB17_6 Depth=1
	v_subrev_u32_e32 v5, s56, v5
	v_mov_b32_e32 v30, 8
; %bb.230:                              ;   in Loop: Header=BB17_6 Depth=1
	s_or_b64 exec, exec, vcc
	v_mov_b32_e32 v31, v5
.LBB17_231:                             ;   in Loop: Header=BB17_6 Depth=1
	s_or_b64 exec, exec, s[54:55]
	s_mov_b64 vcc, exec
.LBB17_232:                             ;   in Loop: Header=BB17_6 Depth=1
	s_or_b64 exec, exec, s[16:17]
	s_orn2_b64 s[16:17], vcc, exec
	v_mov_b32_e32 v5, v31
.LBB17_233:                             ;   in Loop: Header=BB17_6 Depth=1
	s_or_b64 exec, exec, s[52:53]
	s_andn2_b64 s[10:11], s[44:45], exec
	s_and_b64 s[44:45], s[80:81], exec
	s_or_b64 s[44:45], s[10:11], s[44:45]
	s_andn2_b64 s[10:11], s[48:49], exec
	s_and_b64 s[48:49], s[58:59], exec
	s_or_b64 s[48:49], s[10:11], s[48:49]
	s_andn2_b64 s[10:11], s[46:47], exec
	v_readlane_b32 s46, v46, 55
	v_readlane_b32 s47, v46, 56
	s_and_b64 s[46:47], s[46:47], exec
	s_or_b64 s[46:47], s[10:11], s[46:47]
	s_and_b64 s[16:17], s[16:17], exec
	v_mov_b32_e32 v31, v5
.LBB17_234:                             ;   in Loop: Header=BB17_6 Depth=1
	s_or_b64 exec, exec, s[50:51]
	s_and_b64 s[50:51], s[44:45], exec
	s_and_b64 s[48:49], s[48:49], exec
	s_and_b64 s[44:45], s[46:47], exec
	s_orn2_b64 s[16:17], s[16:17], exec
.LBB17_235:                             ;   in Loop: Header=BB17_6 Depth=1
	s_or_b64 exec, exec, s[42:43]
	s_andn2_b64 s[10:11], s[24:25], exec
	s_and_b64 s[24:25], s[50:51], exec
	s_or_b64 s[24:25], s[10:11], s[24:25]
	s_andn2_b64 s[10:11], s[38:39], exec
	s_and_b64 s[38:39], s[48:49], exec
	s_or_b64 s[38:39], s[10:11], s[38:39]
	;; [unrolled: 3-line block ×3, first 2 shown]
	s_and_b64 s[44:45], s[16:17], exec
	v_mov_b32_e32 v5, v31
.LBB17_236:                             ;   in Loop: Header=BB17_6 Depth=1
	s_or_b64 exec, exec, s[40:41]
	s_and_b64 s[40:41], s[24:25], exec
	s_and_b64 s[24:25], s[38:39], exec
	;; [unrolled: 1-line block ×3, first 2 shown]
	s_orn2_b64 s[38:39], s[44:45], exec
.LBB17_237:                             ;   in Loop: Header=BB17_6 Depth=1
	s_or_b64 exec, exec, s[20:21]
	s_mov_b64 s[36:37], 0
	s_mov_b64 s[20:21], 0
	s_and_saveexec_b64 s[10:11], s[38:39]
	s_xor_b64 s[38:39], exec, s[10:11]
; %bb.238:                              ;   in Loop: Header=BB17_6 Depth=1
	v_cmp_eq_u32_e32 vcc, 8, v30
	v_cmp_ne_u32_e64 s[20:21], 8, v30
	s_andn2_b64 s[40:41], s[40:41], exec
	s_andn2_b64 s[24:25], s[24:25], exec
	;; [unrolled: 1-line block ×3, first 2 shown]
	s_and_b64 s[20:21], s[20:21], exec
	s_and_b64 s[36:37], vcc, exec
; %bb.239:                              ;   in Loop: Header=BB17_6 Depth=1
	s_or_b64 exec, exec, s[38:39]
	s_andn2_b64 s[10:11], s[22:23], exec
	s_and_b64 s[22:23], s[40:41], exec
	s_or_b64 s[22:23], s[10:11], s[22:23]
	s_andn2_b64 s[10:11], s[28:29], exec
	s_and_b64 s[24:25], s[24:25], exec
	s_or_b64 s[28:29], s[10:11], s[24:25]
	;; [unrolled: 3-line block ×3, first 2 shown]
	s_and_b64 s[20:21], s[20:21], exec
	s_and_b64 s[24:25], s[36:37], exec
.LBB17_240:                             ;   in Loop: Header=BB17_6 Depth=1
	s_or_b64 exec, exec, s[34:35]
	s_and_b64 vcc, exec, s[30:31]
	s_cbranch_vccz .LBB17_90
.LBB17_241:                             ;   in Loop: Header=BB17_6 Depth=1
	s_cmp_eq_u32 s56, 1
	s_cselect_b64 s[10:11], -1, 0
	s_and_b64 s[18:19], s[10:11], s[18:19]
	s_mov_b64 s[28:29], -1
                                        ; implicit-def: $sgpr30_sgpr31
                                        ; implicit-def: $sgpr34_sgpr35
                                        ; implicit-def: $sgpr22_sgpr23
	s_and_saveexec_b64 s[16:17], s[18:19]
	s_cbranch_execz .LBB17_267
; %bb.242:                              ;   in Loop: Header=BB17_6 Depth=1
	ds_read_b32 v2, v24 offset:4096
	s_waitcnt lgkmcnt(0)
	s_barrier
	v_readfirstlane_b32 s10, v2
	s_mov_b64 s[22:23], exec
	v_readlane_b32 s26, v46, 26
	v_readlane_b32 s27, v46, 27
	s_and_b64 s[26:27], s[22:23], s[26:27]
	s_mov_b64 exec, s[26:27]
	s_cbranch_execz .LBB17_244
; %bb.243:                              ;   in Loop: Header=BB17_6 Depth=1
	ds_write_b8 v0, v1 offset:3072
.LBB17_244:                             ;   in Loop: Header=BB17_6 Depth=1
	s_or_b64 exec, exec, s[22:23]
	v_or_b32_e32 v27, s71, v27
	v_or_b32_e32 v26, s71, v26
	s_cmp_eq_u32 s10, 0
	s_waitcnt lgkmcnt(0)
	s_barrier
	s_cbranch_scc1 .LBB17_253
; %bb.245:                              ;   in Loop: Header=BB17_6 Depth=1
	v_readlane_b32 s11, v46, 19
	s_add_i32 s11, s10, s11
	v_readlane_b32 s22, v46, 41
	s_mul_hi_u32 s22, s11, s22
	s_mul_i32 s22, s22, s33
	s_sub_i32 s22, s11, s22
	s_sub_i32 s23, s22, s33
	s_cmp_ge_u32 s22, s33
	s_cselect_b32 s22, s23, s22
	s_sub_i32 s23, s22, s33
	s_cmp_ge_u32 s22, s33
	s_cselect_b32 s22, s23, s22
	s_sub_i32 s11, s11, s22
	v_cmp_gt_u32_e32 vcc, s11, v0
	s_mov_b64 s[26:27], 0
                                        ; implicit-def: $vgpr28
	s_and_saveexec_b64 s[22:23], vcc
	s_cbranch_execz .LBB17_255
; %bb.246:                              ;   in Loop: Header=BB17_6 Depth=1
	v_mov_b32_e32 v2, v0
                                        ; implicit-def: $sgpr28_sgpr29
	s_branch .LBB17_248
.LBB17_247:                             ;   in Loop: Header=BB17_248 Depth=2
	s_or_b64 exec, exec, s[30:31]
	s_waitcnt lgkmcnt(0)
	s_barrier
	ds_read_u16 v3, v24 offset:3072
	v_add_u32_e32 v2, s33, v2
	v_cmp_le_u32_e32 vcc, s11, v2
	s_waitcnt lgkmcnt(0)
	s_barrier
	v_cmp_ne_u16_sdwa s[30:31], v3, v1 src0_sel:BYTE_0 src1_sel:DWORD
	s_or_b64 s[34:35], vcc, s[30:31]
	s_and_b64 s[34:35], exec, s[34:35]
	s_or_b64 s[26:27], s[34:35], s[26:27]
	s_andn2_b64 s[28:29], s[28:29], exec
	s_and_b64 s[30:31], s[30:31], exec
	s_or_b64 s[28:29], s[28:29], s[30:31]
	s_andn2_b64 exec, exec, s[26:27]
	s_cbranch_execz .LBB17_254
.LBB17_248:                             ;   Parent Loop BB17_6 Depth=1
                                        ; =>  This Inner Loop Header: Depth=2
	v_cmp_gt_u32_e32 vcc, s10, v2
	v_mov_b32_e32 v3, 0
	s_and_saveexec_b64 s[30:31], vcc
	s_cbranch_execz .LBB17_250
; %bb.249:                              ;   in Loop: Header=BB17_248 Depth=2
	ds_read_u8 v3, v2
.LBB17_250:                             ;   in Loop: Header=BB17_248 Depth=2
	s_or_b64 exec, exec, s[30:31]
	s_and_saveexec_b64 s[30:31], vcc
	s_cbranch_execz .LBB17_247
; %bb.251:                              ;   in Loop: Header=BB17_248 Depth=2
	s_waitcnt lgkmcnt(0)
	v_add_u32_sdwa v4, sext(v3), s76 dst_sel:DWORD dst_unused:UNUSED_PAD src0_sel:BYTE_0 src1_sel:DWORD
	v_and_b32_e32 v4, v4, v26
	v_cmp_eq_u32_e32 vcc, v4, v27
	s_and_b64 exec, exec, vcc
	s_cbranch_execz .LBB17_247
; %bb.252:                              ;   in Loop: Header=BB17_248 Depth=2
	v_lshlrev_b16_e32 v3, 8, v3
	v_or_b32_e32 v3, 1, v3
	ds_write_b16 v24, v3 offset:3072
	s_branch .LBB17_247
.LBB17_253:                             ;   in Loop: Header=BB17_6 Depth=1
	s_mov_b64 s[30:31], -1
	s_mov_b64 s[26:27], 0
                                        ; implicit-def: $sgpr34_sgpr35
                                        ; implicit-def: $vgpr28
	s_mov_b64 s[22:23], s[30:31]
	s_cbranch_execnz .LBB17_256
	s_branch .LBB17_266
.LBB17_254:                             ;   in Loop: Header=BB17_6 Depth=1
	s_or_b64 exec, exec, s[26:27]
	v_lshrrev_b16_e32 v28, 8, v3
	s_and_b64 s[26:27], s[28:29], exec
.LBB17_255:                             ;   in Loop: Header=BB17_6 Depth=1
	s_or_b64 exec, exec, s[22:23]
	s_mov_b64 s[30:31], 0
	s_mov_b64 s[34:35], -1
	s_mov_b64 s[22:23], s[30:31]
	s_branch .LBB17_266
.LBB17_256:                             ;   in Loop: Header=BB17_6 Depth=1
	s_mov_b64 s[26:27], 0
                                        ; implicit-def: $vgpr28
	s_mov_b64 s[22:23], exec
	v_readlane_b32 s10, v46, 42
	v_readlane_b32 s11, v46, 43
	s_and_b64 s[10:11], s[22:23], s[10:11]
	s_mov_b64 exec, s[10:11]
	s_cbranch_execz .LBB17_265
; %bb.257:                              ;   in Loop: Header=BB17_6 Depth=1
	v_mov_b32_e32 v2, v15
	v_mov_b32_e32 v3, v0
                                        ; implicit-def: $sgpr28_sgpr29
	s_branch .LBB17_259
.LBB17_258:                             ;   in Loop: Header=BB17_259 Depth=2
	s_or_b64 exec, exec, s[30:31]
	s_waitcnt lgkmcnt(0)
	s_barrier
	s_waitcnt vmcnt(0)
	ds_read_u16 v4, v24 offset:3072
	v_add_u32_e32 v3, s33, v3
	v_cmp_le_u32_e32 vcc, s7, v3
	v_add_u32_e32 v2, s8, v2
	s_waitcnt lgkmcnt(0)
	v_cmp_ne_u16_sdwa s[10:11], v4, v1 src0_sel:BYTE_0 src1_sel:DWORD
	s_or_b64 s[30:31], vcc, s[10:11]
	s_and_b64 s[30:31], exec, s[30:31]
	s_or_b64 s[26:27], s[30:31], s[26:27]
	s_andn2_b64 s[28:29], s[28:29], exec
	s_and_b64 s[10:11], s[10:11], exec
	s_or_b64 s[28:29], s[28:29], s[10:11]
	s_barrier
	s_andn2_b64 exec, exec, s[26:27]
	s_cbranch_execz .LBB17_264
.LBB17_259:                             ;   Parent Loop BB17_6 Depth=1
                                        ; =>  This Inner Loop Header: Depth=2
	v_cmp_gt_u32_e32 vcc, s60, v3
	v_mov_b32_e32 v4, 0
	s_and_saveexec_b64 s[30:31], vcc
	s_cbranch_execz .LBB17_261
; %bb.260:                              ;   in Loop: Header=BB17_259 Depth=2
	global_load_ubyte v4, v2, s[64:65]
.LBB17_261:                             ;   in Loop: Header=BB17_259 Depth=2
	s_or_b64 exec, exec, s[30:31]
	s_and_saveexec_b64 s[30:31], vcc
	s_cbranch_execz .LBB17_258
; %bb.262:                              ;   in Loop: Header=BB17_259 Depth=2
	s_waitcnt vmcnt(0)
	v_add_u32_sdwa v5, sext(v4), s76 dst_sel:DWORD dst_unused:UNUSED_PAD src0_sel:BYTE_0 src1_sel:DWORD
	v_and_b32_e32 v5, v5, v26
	v_cmp_eq_u32_e32 vcc, v5, v27
	s_and_b64 exec, exec, vcc
	s_cbranch_execz .LBB17_258
; %bb.263:                              ;   in Loop: Header=BB17_259 Depth=2
	v_lshlrev_b16_e32 v4, 8, v4
	v_or_b32_e32 v4, 1, v4
	ds_write_b16 v24, v4 offset:3072
	s_branch .LBB17_258
.LBB17_264:                             ;   in Loop: Header=BB17_6 Depth=1
	s_or_b64 exec, exec, s[26:27]
	v_lshrrev_b16_e32 v28, 8, v4
	s_and_b64 s[26:27], s[28:29], exec
.LBB17_265:                             ;   in Loop: Header=BB17_6 Depth=1
	s_or_b64 exec, exec, s[22:23]
	s_mov_b64 s[34:35], 0
	s_mov_b64 s[30:31], -1
	s_mov_b64 s[22:23], 0
.LBB17_266:                             ;   in Loop: Header=BB17_6 Depth=1
	s_orn2_b64 s[28:29], s[26:27], exec
.LBB17_267:                             ;   in Loop: Header=BB17_6 Depth=1
	s_or_b64 exec, exec, s[16:17]
                                        ; implicit-def: $vgpr30
                                        ; implicit-def: $vgpr5
                                        ; implicit-def: $vgpr2
                                        ; implicit-def: $vgpr3
                                        ; implicit-def: $vgpr4
	s_and_saveexec_b64 s[26:27], s[28:29]
	s_cbranch_execz .LBB17_402
; %bb.268:                              ;   in Loop: Header=BB17_6 Depth=1
	s_xor_b64 s[10:11], s[18:19], -1
	s_mov_b64 s[18:19], 0
	v_mov_b32_e32 v5, 1
	v_mov_b32_e32 v30, 1
	s_and_saveexec_b64 s[16:17], s[10:11]
	s_cbranch_execz .LBB17_278
; %bb.269:                              ;   in Loop: Header=BB17_6 Depth=1
	v_cmp_ge_u32_e32 vcc, s56, v29
                                        ; implicit-def: $sgpr10
                                        ; implicit-def: $sgpr18_sgpr19
	s_and_saveexec_b64 s[28:29], vcc
	s_xor_b64 s[28:29], exec, s[28:29]
	s_cbranch_execz .LBB17_275
; %bb.270:                              ;   in Loop: Header=BB17_6 Depth=1
	ds_read_b32 v2, v24 offset:4096
	s_waitcnt lgkmcnt(0)
	v_cmp_ne_u32_e32 vcc, 0, v2
	s_cbranch_vccnz .LBB17_274
; %bb.271:                              ;   in Loop: Header=BB17_6 Depth=1
	s_mov_b64 s[18:19], exec
	v_readlane_b32 s10, v46, 6
	v_readlane_b32 s11, v46, 7
	s_and_b64 s[10:11], s[18:19], s[10:11]
	s_mov_b64 exec, s[10:11]
	s_cbranch_execz .LBB17_273
; %bb.272:                              ;   in Loop: Header=BB17_6 Depth=1
	v_mov_b32_e32 v2, s56
	ds_write_b32 v24, v2 offset:4100
.LBB17_273:                             ;   in Loop: Header=BB17_6 Depth=1
	s_or_b64 exec, exec, s[18:19]
	s_waitcnt lgkmcnt(0)
	s_barrier
.LBB17_274:                             ;   in Loop: Header=BB17_6 Depth=1
	v_or_b32_e32 v27, s71, v27
	v_or_b32_e32 v26, s71, v26
	s_mov_b64 s[18:19], 0
	s_mov_b32 s10, 5
.LBB17_275:                             ;   in Loop: Header=BB17_6 Depth=1
	s_or_saveexec_b64 s[28:29], s[28:29]
	v_mov_b32_e32 v30, s10
	s_xor_b64 exec, exec, s[28:29]
; %bb.276:                              ;   in Loop: Header=BB17_6 Depth=1
	v_subrev_u32_e32 v29, s56, v29
	v_mov_b32_e32 v30, 0
	s_or_b64 s[18:19], s[18:19], exec
; %bb.277:                              ;   in Loop: Header=BB17_6 Depth=1
	s_or_b64 exec, exec, s[28:29]
	s_and_b64 s[18:19], s[18:19], exec
	v_mov_b32_e32 v5, v29
.LBB17_278:                             ;   in Loop: Header=BB17_6 Depth=1
	s_or_b64 exec, exec, s[16:17]
	s_mov_b64 s[38:39], -1
                                        ; implicit-def: $sgpr16_sgpr17
                                        ; implicit-def: $sgpr28_sgpr29
                                        ; implicit-def: $sgpr40_sgpr41
	s_and_saveexec_b64 s[10:11], s[18:19]
	s_xor_b64 s[18:19], exec, s[10:11]
	s_cbranch_execz .LBB17_399
; %bb.279:                              ;   in Loop: Header=BB17_6 Depth=1
	s_cmp_eq_u32 s70, 1
	s_cselect_b64 s[10:11], -1, 0
	v_cmp_eq_u32_e32 vcc, 1, v5
	s_and_b64 s[42:43], s[10:11], vcc
	s_mov_b64 s[46:47], -1
                                        ; implicit-def: $sgpr28_sgpr29
                                        ; implicit-def: $sgpr36_sgpr37
                                        ; implicit-def: $sgpr38_sgpr39
	s_and_saveexec_b64 s[16:17], s[42:43]
	s_cbranch_execz .LBB17_305
; %bb.280:                              ;   in Loop: Header=BB17_6 Depth=1
	ds_read_b32 v2, v24 offset:4096
	s_waitcnt lgkmcnt(0)
	s_barrier
	v_readfirstlane_b32 s10, v2
	s_mov_b64 s[28:29], exec
	v_readlane_b32 s36, v46, 26
	v_readlane_b32 s37, v46, 27
	s_and_b64 s[36:37], s[28:29], s[36:37]
	s_mov_b64 exec, s[36:37]
	s_cbranch_execz .LBB17_282
; %bb.281:                              ;   in Loop: Header=BB17_6 Depth=1
	ds_write_b8 v0, v1 offset:3072
.LBB17_282:                             ;   in Loop: Header=BB17_6 Depth=1
	s_or_b64 exec, exec, s[28:29]
	v_and_b32_e32 v2, s12, v27
	v_lshl_or_b32 v27, 2, s6, v2
	v_or_b32_e32 v26, s71, v26
	s_cmp_eq_u32 s10, 0
	s_waitcnt lgkmcnt(0)
	s_barrier
	s_cbranch_scc1 .LBB17_291
; %bb.283:                              ;   in Loop: Header=BB17_6 Depth=1
	v_readlane_b32 s11, v46, 19
	s_add_i32 s11, s10, s11
	v_readlane_b32 s28, v46, 41
	s_mul_hi_u32 s28, s11, s28
	s_mul_i32 s28, s28, s33
	s_sub_i32 s28, s11, s28
	s_sub_i32 s29, s28, s33
	s_cmp_ge_u32 s28, s33
	s_cselect_b32 s28, s29, s28
	s_sub_i32 s29, s28, s33
	s_cmp_ge_u32 s28, s33
	s_cselect_b32 s28, s29, s28
	s_sub_i32 s11, s11, s28
	v_cmp_gt_u32_e32 vcc, s11, v0
	s_mov_b64 s[40:41], 0
                                        ; implicit-def: $vgpr28
	s_and_saveexec_b64 s[28:29], vcc
	s_cbranch_execz .LBB17_293
; %bb.284:                              ;   in Loop: Header=BB17_6 Depth=1
	s_mov_b64 s[36:37], 0
	v_mov_b32_e32 v2, v0
                                        ; implicit-def: $sgpr38_sgpr39
	s_branch .LBB17_286
.LBB17_285:                             ;   in Loop: Header=BB17_286 Depth=2
	s_or_b64 exec, exec, s[40:41]
	s_waitcnt lgkmcnt(0)
	s_barrier
	ds_read_u16 v3, v24 offset:3072
	v_add_u32_e32 v2, s33, v2
	v_cmp_le_u32_e32 vcc, s11, v2
	s_waitcnt lgkmcnt(0)
	s_barrier
	v_cmp_ne_u16_sdwa s[40:41], v3, v1 src0_sel:BYTE_0 src1_sel:DWORD
	s_or_b64 s[44:45], vcc, s[40:41]
	s_and_b64 s[44:45], exec, s[44:45]
	s_or_b64 s[36:37], s[44:45], s[36:37]
	s_andn2_b64 s[38:39], s[38:39], exec
	s_and_b64 s[40:41], s[40:41], exec
	s_or_b64 s[38:39], s[38:39], s[40:41]
	s_andn2_b64 exec, exec, s[36:37]
	s_cbranch_execz .LBB17_292
.LBB17_286:                             ;   Parent Loop BB17_6 Depth=1
                                        ; =>  This Inner Loop Header: Depth=2
	v_cmp_gt_u32_e32 vcc, s10, v2
	v_mov_b32_e32 v3, 0
	s_and_saveexec_b64 s[40:41], vcc
	s_cbranch_execz .LBB17_288
; %bb.287:                              ;   in Loop: Header=BB17_286 Depth=2
	ds_read_u8 v3, v2
.LBB17_288:                             ;   in Loop: Header=BB17_286 Depth=2
	s_or_b64 exec, exec, s[40:41]
	s_and_saveexec_b64 s[40:41], vcc
	s_cbranch_execz .LBB17_285
; %bb.289:                              ;   in Loop: Header=BB17_286 Depth=2
	s_waitcnt lgkmcnt(0)
	v_add_u32_sdwa v4, sext(v3), s76 dst_sel:DWORD dst_unused:UNUSED_PAD src0_sel:BYTE_0 src1_sel:DWORD
	v_and_b32_e32 v4, v4, v26
	v_cmp_eq_u32_e32 vcc, v4, v27
	s_and_b64 exec, exec, vcc
	s_cbranch_execz .LBB17_285
; %bb.290:                              ;   in Loop: Header=BB17_286 Depth=2
	v_lshlrev_b16_e32 v3, 8, v3
	v_or_b32_e32 v3, 1, v3
	ds_write_b16 v24, v3 offset:3072
	s_branch .LBB17_285
.LBB17_291:                             ;   in Loop: Header=BB17_6 Depth=1
	s_mov_b64 s[28:29], -1
	s_mov_b64 s[40:41], 0
                                        ; implicit-def: $sgpr36_sgpr37
                                        ; implicit-def: $vgpr28
	s_mov_b64 s[38:39], s[28:29]
	s_cbranch_execnz .LBB17_294
	s_branch .LBB17_304
.LBB17_292:                             ;   in Loop: Header=BB17_6 Depth=1
	s_or_b64 exec, exec, s[36:37]
	v_lshrrev_b16_e32 v28, 8, v3
	s_and_b64 s[40:41], s[38:39], exec
.LBB17_293:                             ;   in Loop: Header=BB17_6 Depth=1
	s_or_b64 exec, exec, s[28:29]
	s_mov_b64 s[28:29], 0
	s_mov_b64 s[36:37], -1
	s_mov_b64 s[38:39], s[28:29]
	s_branch .LBB17_304
.LBB17_294:                             ;   in Loop: Header=BB17_6 Depth=1
	s_mov_b64 s[40:41], 0
                                        ; implicit-def: $vgpr28
	s_mov_b64 s[28:29], exec
	v_readlane_b32 s10, v46, 42
	v_readlane_b32 s11, v46, 43
	s_and_b64 s[10:11], s[28:29], s[10:11]
	s_mov_b64 exec, s[10:11]
	s_cbranch_execz .LBB17_303
; %bb.295:                              ;   in Loop: Header=BB17_6 Depth=1
	s_mov_b64 s[36:37], 0
	v_mov_b32_e32 v2, v15
	v_mov_b32_e32 v3, v0
                                        ; implicit-def: $sgpr38_sgpr39
	s_branch .LBB17_297
.LBB17_296:                             ;   in Loop: Header=BB17_297 Depth=2
	s_or_b64 exec, exec, s[40:41]
	s_waitcnt lgkmcnt(0)
	s_barrier
	s_waitcnt vmcnt(0)
	ds_read_u16 v4, v24 offset:3072
	v_add_u32_e32 v3, s33, v3
	v_cmp_le_u32_e32 vcc, s7, v3
	v_add_u32_e32 v2, s8, v2
	s_waitcnt lgkmcnt(0)
	v_cmp_ne_u16_sdwa s[10:11], v4, v1 src0_sel:BYTE_0 src1_sel:DWORD
	s_or_b64 s[40:41], vcc, s[10:11]
	s_and_b64 s[40:41], exec, s[40:41]
	s_or_b64 s[36:37], s[40:41], s[36:37]
	s_andn2_b64 s[38:39], s[38:39], exec
	s_and_b64 s[10:11], s[10:11], exec
	s_or_b64 s[38:39], s[38:39], s[10:11]
	s_barrier
	s_andn2_b64 exec, exec, s[36:37]
	s_cbranch_execz .LBB17_302
.LBB17_297:                             ;   Parent Loop BB17_6 Depth=1
                                        ; =>  This Inner Loop Header: Depth=2
	v_cmp_gt_u32_e32 vcc, s60, v3
	v_mov_b32_e32 v4, 0
	s_and_saveexec_b64 s[40:41], vcc
	s_cbranch_execz .LBB17_299
; %bb.298:                              ;   in Loop: Header=BB17_297 Depth=2
	global_load_ubyte v4, v2, s[64:65]
.LBB17_299:                             ;   in Loop: Header=BB17_297 Depth=2
	s_or_b64 exec, exec, s[40:41]
	s_and_saveexec_b64 s[40:41], vcc
	s_cbranch_execz .LBB17_296
; %bb.300:                              ;   in Loop: Header=BB17_297 Depth=2
	s_waitcnt vmcnt(0)
	v_add_u32_sdwa v28, sext(v4), s76 dst_sel:DWORD dst_unused:UNUSED_PAD src0_sel:BYTE_0 src1_sel:DWORD
	v_and_b32_e32 v28, v28, v26
	v_cmp_eq_u32_e32 vcc, v28, v27
	s_and_b64 exec, exec, vcc
	s_cbranch_execz .LBB17_296
; %bb.301:                              ;   in Loop: Header=BB17_297 Depth=2
	v_lshlrev_b16_e32 v4, 8, v4
	v_or_b32_e32 v4, 1, v4
	ds_write_b16 v24, v4 offset:3072
	s_branch .LBB17_296
.LBB17_302:                             ;   in Loop: Header=BB17_6 Depth=1
	s_or_b64 exec, exec, s[36:37]
	v_lshrrev_b16_e32 v28, 8, v4
	s_and_b64 s[40:41], s[38:39], exec
.LBB17_303:                             ;   in Loop: Header=BB17_6 Depth=1
	s_or_b64 exec, exec, s[28:29]
	s_mov_b64 s[36:37], 0
	s_mov_b64 s[28:29], -1
	s_mov_b64 s[38:39], 0
.LBB17_304:                             ;   in Loop: Header=BB17_6 Depth=1
	s_orn2_b64 s[46:47], s[40:41], exec
.LBB17_305:                             ;   in Loop: Header=BB17_6 Depth=1
	s_or_b64 exec, exec, s[16:17]
	s_mov_b64 s[44:45], 0
                                        ; implicit-def: $vgpr30
	s_and_saveexec_b64 s[40:41], s[46:47]
	s_cbranch_execz .LBB17_398
; %bb.306:                              ;   in Loop: Header=BB17_6 Depth=1
	s_xor_b64 s[10:11], s[42:43], -1
	s_mov_b64 s[48:49], 0
	v_mov_b32_e32 v2, 1
	v_mov_b32_e32 v30, 1
	s_and_saveexec_b64 s[16:17], s[10:11]
	s_cbranch_execz .LBB17_316
; %bb.307:                              ;   in Loop: Header=BB17_6 Depth=1
	v_cmp_ge_u32_e32 vcc, s70, v5
                                        ; implicit-def: $sgpr10
                                        ; implicit-def: $sgpr42_sgpr43
	s_and_saveexec_b64 s[44:45], vcc
	s_xor_b64 s[44:45], exec, s[44:45]
	s_cbranch_execz .LBB17_313
; %bb.308:                              ;   in Loop: Header=BB17_6 Depth=1
	ds_read_b32 v2, v24 offset:4096
	s_waitcnt lgkmcnt(0)
	v_cmp_ne_u32_e32 vcc, 0, v2
	s_cbranch_vccnz .LBB17_312
; %bb.309:                              ;   in Loop: Header=BB17_6 Depth=1
	s_mov_b64 s[42:43], exec
	v_readlane_b32 s10, v46, 6
	v_readlane_b32 s11, v46, 7
	s_and_b64 s[10:11], s[42:43], s[10:11]
	s_mov_b64 exec, s[10:11]
	s_cbranch_execz .LBB17_311
; %bb.310:                              ;   in Loop: Header=BB17_6 Depth=1
	v_mov_b32_e32 v2, s70
	ds_write_b32 v24, v2 offset:4100
.LBB17_311:                             ;   in Loop: Header=BB17_6 Depth=1
	s_or_b64 exec, exec, s[42:43]
	s_waitcnt lgkmcnt(0)
	s_barrier
.LBB17_312:                             ;   in Loop: Header=BB17_6 Depth=1
	v_and_b32_e32 v2, s12, v27
	v_lshl_or_b32 v27, 2, s6, v2
	v_or_b32_e32 v26, s71, v26
	s_mov_b64 s[42:43], 0
	s_mov_b32 s10, 5
.LBB17_313:                             ;   in Loop: Header=BB17_6 Depth=1
	s_or_saveexec_b64 s[44:45], s[44:45]
	v_mov_b32_e32 v30, s10
	s_xor_b64 exec, exec, s[44:45]
; %bb.314:                              ;   in Loop: Header=BB17_6 Depth=1
	v_subrev_u32_e32 v5, s70, v5
	v_mov_b32_e32 v30, 0
	s_or_b64 s[42:43], s[42:43], exec
; %bb.315:                              ;   in Loop: Header=BB17_6 Depth=1
	s_or_b64 exec, exec, s[44:45]
	s_and_b64 s[48:49], s[42:43], exec
	v_mov_b32_e32 v2, v5
.LBB17_316:                             ;   in Loop: Header=BB17_6 Depth=1
	s_or_b64 exec, exec, s[16:17]
	s_mov_b64 s[16:17], -1
                                        ; implicit-def: $sgpr44_sgpr45
                                        ; implicit-def: $sgpr46_sgpr47
                                        ; implicit-def: $sgpr50_sgpr51
	s_and_saveexec_b64 s[42:43], s[48:49]
	s_cbranch_execz .LBB17_397
; %bb.317:                              ;   in Loop: Header=BB17_6 Depth=1
	s_cmp_eq_u32 s13, 1
	s_cselect_b64 s[10:11], -1, 0
	v_cmp_eq_u32_e32 vcc, 1, v2
	s_and_b64 s[52:53], s[10:11], vcc
	s_mov_b64 s[54:55], -1
                                        ; implicit-def: $sgpr44_sgpr45
                                        ; implicit-def: $sgpr46_sgpr47
                                        ; implicit-def: $sgpr48_sgpr49
	s_and_saveexec_b64 s[16:17], s[52:53]
	s_cbranch_execz .LBB17_343
; %bb.318:                              ;   in Loop: Header=BB17_6 Depth=1
	ds_read_b32 v3, v24 offset:4096
	s_waitcnt lgkmcnt(0)
	s_barrier
	v_readfirstlane_b32 s10, v3
	s_mov_b64 s[44:45], exec
	v_readlane_b32 s46, v46, 26
	v_readlane_b32 s47, v46, 27
	s_and_b64 s[46:47], s[44:45], s[46:47]
	s_mov_b64 exec, s[46:47]
	s_cbranch_execz .LBB17_320
; %bb.319:                              ;   in Loop: Header=BB17_6 Depth=1
	ds_write_b8 v0, v1 offset:3072
.LBB17_320:                             ;   in Loop: Header=BB17_6 Depth=1
	s_or_b64 exec, exec, s[44:45]
	v_and_b32_e32 v3, s12, v27
	v_lshl_or_b32 v27, 1, s6, v3
	v_or_b32_e32 v26, s71, v26
	s_cmp_eq_u32 s10, 0
	s_waitcnt lgkmcnt(0)
	s_barrier
	s_cbranch_scc1 .LBB17_329
; %bb.321:                              ;   in Loop: Header=BB17_6 Depth=1
	v_readlane_b32 s11, v46, 19
	s_add_i32 s11, s10, s11
	v_readlane_b32 s44, v46, 41
	s_mul_hi_u32 s44, s11, s44
	s_mul_i32 s44, s44, s33
	s_sub_i32 s44, s11, s44
	s_sub_i32 s45, s44, s33
	s_cmp_ge_u32 s44, s33
	s_cselect_b32 s44, s45, s44
	s_sub_i32 s45, s44, s33
	s_cmp_ge_u32 s44, s33
	s_cselect_b32 s44, s45, s44
	s_sub_i32 s11, s11, s44
	v_cmp_gt_u32_e32 vcc, s11, v0
	s_mov_b64 s[50:51], 0
                                        ; implicit-def: $vgpr28
	s_and_saveexec_b64 s[44:45], vcc
	s_cbranch_execz .LBB17_331
; %bb.322:                              ;   in Loop: Header=BB17_6 Depth=1
	s_mov_b64 s[46:47], 0
	v_mov_b32_e32 v3, v0
                                        ; implicit-def: $sgpr48_sgpr49
	s_branch .LBB17_324
.LBB17_323:                             ;   in Loop: Header=BB17_324 Depth=2
	s_or_b64 exec, exec, s[50:51]
	s_waitcnt lgkmcnt(0)
	s_barrier
	ds_read_u16 v4, v24 offset:3072
	v_add_u32_e32 v3, s33, v3
	v_cmp_le_u32_e32 vcc, s11, v3
	s_waitcnt lgkmcnt(0)
	s_barrier
	v_cmp_ne_u16_sdwa s[50:51], v4, v1 src0_sel:BYTE_0 src1_sel:DWORD
	s_or_b64 s[54:55], vcc, s[50:51]
	s_and_b64 s[54:55], exec, s[54:55]
	s_or_b64 s[46:47], s[54:55], s[46:47]
	s_andn2_b64 s[48:49], s[48:49], exec
	s_and_b64 s[50:51], s[50:51], exec
	s_or_b64 s[48:49], s[48:49], s[50:51]
	s_andn2_b64 exec, exec, s[46:47]
	s_cbranch_execz .LBB17_330
.LBB17_324:                             ;   Parent Loop BB17_6 Depth=1
                                        ; =>  This Inner Loop Header: Depth=2
	v_cmp_gt_u32_e32 vcc, s10, v3
	v_mov_b32_e32 v4, 0
	s_and_saveexec_b64 s[50:51], vcc
	s_cbranch_execz .LBB17_326
; %bb.325:                              ;   in Loop: Header=BB17_324 Depth=2
	ds_read_u8 v4, v3
.LBB17_326:                             ;   in Loop: Header=BB17_324 Depth=2
	s_or_b64 exec, exec, s[50:51]
	s_and_saveexec_b64 s[50:51], vcc
	s_cbranch_execz .LBB17_323
; %bb.327:                              ;   in Loop: Header=BB17_324 Depth=2
	s_waitcnt lgkmcnt(0)
	v_add_u32_sdwa v5, sext(v4), s76 dst_sel:DWORD dst_unused:UNUSED_PAD src0_sel:BYTE_0 src1_sel:DWORD
	v_and_b32_e32 v5, v5, v26
	v_cmp_eq_u32_e32 vcc, v5, v27
	s_and_b64 exec, exec, vcc
	s_cbranch_execz .LBB17_323
; %bb.328:                              ;   in Loop: Header=BB17_324 Depth=2
	v_lshlrev_b16_e32 v4, 8, v4
	v_or_b32_e32 v4, 1, v4
	ds_write_b16 v24, v4 offset:3072
	s_branch .LBB17_323
.LBB17_329:                             ;   in Loop: Header=BB17_6 Depth=1
	s_mov_b64 s[44:45], -1
	s_mov_b64 s[50:51], 0
                                        ; implicit-def: $sgpr46_sgpr47
                                        ; implicit-def: $vgpr28
	s_mov_b64 s[48:49], s[44:45]
	s_cbranch_execnz .LBB17_332
	s_branch .LBB17_342
.LBB17_330:                             ;   in Loop: Header=BB17_6 Depth=1
	s_or_b64 exec, exec, s[46:47]
	v_lshrrev_b16_e32 v28, 8, v4
	s_and_b64 s[50:51], s[48:49], exec
.LBB17_331:                             ;   in Loop: Header=BB17_6 Depth=1
	s_or_b64 exec, exec, s[44:45]
	s_mov_b64 s[44:45], 0
	s_mov_b64 s[46:47], -1
	s_mov_b64 s[48:49], s[44:45]
	s_branch .LBB17_342
.LBB17_332:                             ;   in Loop: Header=BB17_6 Depth=1
	s_mov_b64 s[50:51], 0
                                        ; implicit-def: $vgpr28
	s_mov_b64 s[44:45], exec
	v_readlane_b32 s10, v46, 42
	v_readlane_b32 s11, v46, 43
	s_and_b64 s[10:11], s[44:45], s[10:11]
	s_mov_b64 exec, s[10:11]
	s_cbranch_execz .LBB17_341
; %bb.333:                              ;   in Loop: Header=BB17_6 Depth=1
	s_mov_b64 s[46:47], 0
	v_mov_b32_e32 v3, v15
	v_mov_b32_e32 v4, v0
                                        ; implicit-def: $sgpr48_sgpr49
	s_branch .LBB17_335
.LBB17_334:                             ;   in Loop: Header=BB17_335 Depth=2
	s_or_b64 exec, exec, s[50:51]
	s_waitcnt lgkmcnt(0)
	s_barrier
	s_waitcnt vmcnt(0)
	ds_read_u16 v5, v24 offset:3072
	v_add_u32_e32 v4, s33, v4
	v_cmp_le_u32_e32 vcc, s7, v4
	v_add_u32_e32 v3, s8, v3
	s_waitcnt lgkmcnt(0)
	v_cmp_ne_u16_sdwa s[10:11], v5, v1 src0_sel:BYTE_0 src1_sel:DWORD
	s_or_b64 s[50:51], vcc, s[10:11]
	s_and_b64 s[50:51], exec, s[50:51]
	s_or_b64 s[46:47], s[50:51], s[46:47]
	s_andn2_b64 s[48:49], s[48:49], exec
	s_and_b64 s[10:11], s[10:11], exec
	s_or_b64 s[48:49], s[48:49], s[10:11]
	s_barrier
	s_andn2_b64 exec, exec, s[46:47]
	s_cbranch_execz .LBB17_340
.LBB17_335:                             ;   Parent Loop BB17_6 Depth=1
                                        ; =>  This Inner Loop Header: Depth=2
	v_cmp_gt_u32_e32 vcc, s60, v4
	v_mov_b32_e32 v5, 0
	s_and_saveexec_b64 s[50:51], vcc
	s_cbranch_execz .LBB17_337
; %bb.336:                              ;   in Loop: Header=BB17_335 Depth=2
	global_load_ubyte v5, v3, s[64:65]
.LBB17_337:                             ;   in Loop: Header=BB17_335 Depth=2
	s_or_b64 exec, exec, s[50:51]
	s_and_saveexec_b64 s[50:51], vcc
	s_cbranch_execz .LBB17_334
; %bb.338:                              ;   in Loop: Header=BB17_335 Depth=2
	s_waitcnt vmcnt(0)
	v_add_u32_sdwa v28, sext(v5), s76 dst_sel:DWORD dst_unused:UNUSED_PAD src0_sel:BYTE_0 src1_sel:DWORD
	v_and_b32_e32 v28, v28, v26
	v_cmp_eq_u32_e32 vcc, v28, v27
	s_and_b64 exec, exec, vcc
	s_cbranch_execz .LBB17_334
; %bb.339:                              ;   in Loop: Header=BB17_335 Depth=2
	v_lshlrev_b16_e32 v5, 8, v5
	v_or_b32_e32 v5, 1, v5
	ds_write_b16 v24, v5 offset:3072
	s_branch .LBB17_334
.LBB17_340:                             ;   in Loop: Header=BB17_6 Depth=1
	s_or_b64 exec, exec, s[46:47]
	v_lshrrev_b16_e32 v28, 8, v5
	s_and_b64 s[50:51], s[48:49], exec
.LBB17_341:                             ;   in Loop: Header=BB17_6 Depth=1
	s_or_b64 exec, exec, s[44:45]
	s_mov_b64 s[46:47], 0
	s_mov_b64 s[44:45], -1
	s_mov_b64 s[48:49], 0
.LBB17_342:                             ;   in Loop: Header=BB17_6 Depth=1
	s_orn2_b64 s[54:55], s[50:51], exec
.LBB17_343:                             ;   in Loop: Header=BB17_6 Depth=1
	s_or_b64 exec, exec, s[16:17]
	s_mov_b64 s[16:17], 0
                                        ; implicit-def: $vgpr30
	s_and_saveexec_b64 s[50:51], s[54:55]
	s_cbranch_execz .LBB17_396
; %bb.344:                              ;   in Loop: Header=BB17_6 Depth=1
	s_xor_b64 s[10:11], s[52:53], -1
	s_mov_b64 s[54:55], 0
	v_mov_b32_e32 v3, 1
	v_mov_b32_e32 v30, 1
	s_and_saveexec_b64 s[16:17], s[10:11]
	s_cbranch_execz .LBB17_354
; %bb.345:                              ;   in Loop: Header=BB17_6 Depth=1
	v_cmp_ge_u32_e32 vcc, s13, v2
                                        ; implicit-def: $sgpr10
                                        ; implicit-def: $sgpr52_sgpr53
	s_and_saveexec_b64 s[54:55], vcc
	s_xor_b64 s[54:55], exec, s[54:55]
	s_cbranch_execz .LBB17_351
; %bb.346:                              ;   in Loop: Header=BB17_6 Depth=1
	ds_read_b32 v3, v24 offset:4096
	s_waitcnt lgkmcnt(0)
	v_cmp_ne_u32_e32 vcc, 0, v3
	s_cbranch_vccnz .LBB17_350
; %bb.347:                              ;   in Loop: Header=BB17_6 Depth=1
	s_mov_b64 s[52:53], exec
	v_readlane_b32 s10, v46, 6
	v_readlane_b32 s11, v46, 7
	s_and_b64 s[10:11], s[52:53], s[10:11]
	s_mov_b64 exec, s[10:11]
	s_cbranch_execz .LBB17_349
; %bb.348:                              ;   in Loop: Header=BB17_6 Depth=1
	v_mov_b32_e32 v3, s13
	ds_write_b32 v24, v3 offset:4100
.LBB17_349:                             ;   in Loop: Header=BB17_6 Depth=1
	s_or_b64 exec, exec, s[52:53]
	s_waitcnt lgkmcnt(0)
	s_barrier
.LBB17_350:                             ;   in Loop: Header=BB17_6 Depth=1
	v_and_b32_e32 v3, s12, v27
	v_lshl_or_b32 v27, 1, s6, v3
	v_or_b32_e32 v26, s71, v26
	s_mov_b64 s[52:53], 0
	s_mov_b32 s10, 5
.LBB17_351:                             ;   in Loop: Header=BB17_6 Depth=1
	s_or_saveexec_b64 s[54:55], s[54:55]
	v_mov_b32_e32 v30, s10
	s_xor_b64 exec, exec, s[54:55]
; %bb.352:                              ;   in Loop: Header=BB17_6 Depth=1
	v_subrev_u32_e32 v2, s13, v2
	v_mov_b32_e32 v30, 0
	s_or_b64 s[52:53], s[52:53], exec
; %bb.353:                              ;   in Loop: Header=BB17_6 Depth=1
	s_or_b64 exec, exec, s[54:55]
	s_and_b64 s[54:55], s[52:53], exec
	v_mov_b32_e32 v3, v2
.LBB17_354:                             ;   in Loop: Header=BB17_6 Depth=1
	s_or_b64 exec, exec, s[16:17]
	s_mov_b64 s[16:17], -1
                                        ; implicit-def: $sgpr56_sgpr57
                                        ; implicit-def: $sgpr58_sgpr59
                                        ; implicit-def: $sgpr80_sgpr81
	s_and_saveexec_b64 s[52:53], s[54:55]
	s_cbranch_execz .LBB17_395
; %bb.355:                              ;   in Loop: Header=BB17_6 Depth=1
	s_cmp_eq_u32 s5, 1
	s_cselect_b64 s[10:11], -1, 0
	v_cmp_eq_u32_e32 vcc, 1, v3
	s_mov_b64 s[54:55], -1
	s_and_b64 s[10:11], s[10:11], vcc
                                        ; implicit-def: $sgpr56_sgpr57
                                        ; implicit-def: $sgpr58_sgpr59
                                        ; implicit-def: $sgpr80_sgpr81
	s_mov_b64 s[16:17], exec
	v_writelane_b32 v46, s10, 45
	v_writelane_b32 v46, s11, 46
	s_and_b64 s[10:11], s[16:17], s[10:11]
	s_mov_b64 exec, s[10:11]
	s_cbranch_execz .LBB17_382
; %bb.356:                              ;   in Loop: Header=BB17_6 Depth=1
	ds_read_b32 v2, v24 offset:4096
	s_waitcnt lgkmcnt(0)
	s_barrier
	v_readfirstlane_b32 s6, v2
	s_mov_b64 s[54:55], exec
	v_readlane_b32 s10, v46, 26
	v_readlane_b32 s11, v46, 27
	s_and_b64 s[10:11], s[54:55], s[10:11]
	s_mov_b64 exec, s[10:11]
	s_cbranch_execz .LBB17_358
; %bb.357:                              ;   in Loop: Header=BB17_6 Depth=1
	ds_write_b8 v0, v1 offset:3072
.LBB17_358:                             ;   in Loop: Header=BB17_6 Depth=1
	s_or_b64 exec, exec, s[54:55]
	v_and_b32_e32 v27, s12, v27
	v_or_b32_e32 v26, s71, v26
	s_cmp_eq_u32 s6, 0
	s_waitcnt lgkmcnt(0)
	s_barrier
	s_cbranch_scc1 .LBB17_367
; %bb.359:                              ;   in Loop: Header=BB17_6 Depth=1
	v_readlane_b32 s10, v46, 19
	s_add_i32 s10, s6, s10
	v_readlane_b32 s11, v46, 41
	s_mul_hi_u32 s11, s10, s11
	s_mul_i32 s11, s11, s33
	s_sub_i32 s11, s10, s11
	s_sub_i32 s13, s11, s33
	s_cmp_ge_u32 s11, s33
	s_cselect_b32 s11, s13, s11
	s_sub_i32 s13, s11, s33
	s_cmp_ge_u32 s11, s33
	s_cselect_b32 s11, s13, s11
	s_sub_i32 s10, s10, s11
	s_mov_b64 s[54:55], 0
	v_cmp_gt_u32_e32 vcc, s10, v0
                                        ; implicit-def: $vgpr28
	s_mov_b64 s[56:57], exec
	v_writelane_b32 v46, s56, 47
	s_and_b64 s[58:59], s[56:57], vcc
	v_writelane_b32 v46, s57, 48
	s_mov_b64 exec, s[58:59]
	s_cbranch_execz .LBB17_369
; %bb.360:                              ;   in Loop: Header=BB17_6 Depth=1
	v_mov_b32_e32 v2, v0
                                        ; implicit-def: $sgpr58_sgpr59
	s_branch .LBB17_362
.LBB17_361:                             ;   in Loop: Header=BB17_362 Depth=2
	s_or_b64 exec, exec, s[80:81]
	s_waitcnt lgkmcnt(0)
	s_barrier
	ds_read_u16 v4, v24 offset:3072
	v_add_u32_e32 v2, s33, v2
	v_cmp_le_u32_e32 vcc, s10, v2
	s_waitcnt lgkmcnt(0)
	s_barrier
	v_cmp_ne_u16_sdwa s[56:57], v4, v1 src0_sel:BYTE_0 src1_sel:DWORD
	s_or_b64 s[80:81], vcc, s[56:57]
	s_and_b64 s[80:81], exec, s[80:81]
	s_or_b64 s[54:55], s[80:81], s[54:55]
	s_andn2_b64 s[58:59], s[58:59], exec
	s_and_b64 s[56:57], s[56:57], exec
	s_or_b64 s[58:59], s[58:59], s[56:57]
	s_andn2_b64 exec, exec, s[54:55]
	s_cbranch_execz .LBB17_368
.LBB17_362:                             ;   Parent Loop BB17_6 Depth=1
                                        ; =>  This Inner Loop Header: Depth=2
	v_cmp_gt_u32_e32 vcc, s6, v2
	v_mov_b32_e32 v4, 0
	s_and_saveexec_b64 s[80:81], vcc
	s_cbranch_execz .LBB17_364
; %bb.363:                              ;   in Loop: Header=BB17_362 Depth=2
	ds_read_u8 v4, v2
.LBB17_364:                             ;   in Loop: Header=BB17_362 Depth=2
	s_or_b64 exec, exec, s[80:81]
	s_and_saveexec_b64 s[80:81], vcc
	s_cbranch_execz .LBB17_361
; %bb.365:                              ;   in Loop: Header=BB17_362 Depth=2
	s_waitcnt lgkmcnt(0)
	v_add_u32_sdwa v5, sext(v4), s76 dst_sel:DWORD dst_unused:UNUSED_PAD src0_sel:BYTE_0 src1_sel:DWORD
	v_and_b32_e32 v5, v5, v26
	v_cmp_eq_u32_e32 vcc, v5, v27
	s_and_b64 exec, exec, vcc
	s_cbranch_execz .LBB17_361
; %bb.366:                              ;   in Loop: Header=BB17_362 Depth=2
	v_lshlrev_b16_e32 v4, 8, v4
	v_or_b32_e32 v4, 1, v4
	ds_write_b16 v24, v4 offset:3072
	s_branch .LBB17_361
.LBB17_367:                             ;   in Loop: Header=BB17_6 Depth=1
	s_mov_b64 s[56:57], -1
	s_mov_b64 s[54:55], 0
                                        ; implicit-def: $sgpr58_sgpr59
                                        ; implicit-def: $vgpr28
	s_branch .LBB17_370
.LBB17_368:                             ;   in Loop: Header=BB17_6 Depth=1
	s_or_b64 exec, exec, s[54:55]
	v_lshrrev_b16_e32 v28, 8, v4
	s_and_b64 s[54:55], s[58:59], exec
.LBB17_369:                             ;   in Loop: Header=BB17_6 Depth=1
	v_readlane_b32 s10, v46, 47
	v_readlane_b32 s11, v46, 48
	s_or_b64 exec, exec, s[10:11]
	s_mov_b64 s[56:57], 0
	s_mov_b64 s[58:59], -1
.LBB17_370:                             ;   in Loop: Header=BB17_6 Depth=1
	s_and_b64 vcc, exec, s[56:57]
	s_mov_b64 s[80:81], s[56:57]
	s_cbranch_vccz .LBB17_381
; %bb.371:                              ;   in Loop: Header=BB17_6 Depth=1
	s_mov_b64 s[54:55], 0
                                        ; implicit-def: $vgpr28
	s_mov_b64 s[56:57], exec
	v_readlane_b32 s10, v46, 42
	v_readlane_b32 s11, v46, 43
	s_and_b64 s[10:11], s[56:57], s[10:11]
	s_mov_b64 exec, s[10:11]
	s_cbranch_execz .LBB17_380
; %bb.372:                              ;   in Loop: Header=BB17_6 Depth=1
	v_mov_b32_e32 v2, v15
	v_mov_b32_e32 v4, v0
                                        ; implicit-def: $sgpr58_sgpr59
	s_branch .LBB17_374
.LBB17_373:                             ;   in Loop: Header=BB17_374 Depth=2
	s_or_b64 exec, exec, s[80:81]
	s_waitcnt lgkmcnt(0)
	s_barrier
	s_waitcnt vmcnt(0)
	ds_read_u16 v5, v24 offset:3072
	v_add_u32_e32 v4, s33, v4
	v_cmp_le_u32_e32 vcc, s7, v4
	v_add_u32_e32 v2, s8, v2
	s_waitcnt lgkmcnt(0)
	v_cmp_ne_u16_sdwa s[10:11], v5, v1 src0_sel:BYTE_0 src1_sel:DWORD
	s_or_b64 s[80:81], vcc, s[10:11]
	s_and_b64 s[80:81], exec, s[80:81]
	s_or_b64 s[54:55], s[80:81], s[54:55]
	s_andn2_b64 s[58:59], s[58:59], exec
	s_and_b64 s[10:11], s[10:11], exec
	s_or_b64 s[58:59], s[58:59], s[10:11]
	s_barrier
	s_andn2_b64 exec, exec, s[54:55]
	s_cbranch_execz .LBB17_379
.LBB17_374:                             ;   Parent Loop BB17_6 Depth=1
                                        ; =>  This Inner Loop Header: Depth=2
	v_cmp_gt_u32_e32 vcc, s60, v4
	v_mov_b32_e32 v5, 0
	s_and_saveexec_b64 s[80:81], vcc
	s_cbranch_execz .LBB17_376
; %bb.375:                              ;   in Loop: Header=BB17_374 Depth=2
	global_load_ubyte v5, v2, s[64:65]
.LBB17_376:                             ;   in Loop: Header=BB17_374 Depth=2
	s_or_b64 exec, exec, s[80:81]
	s_and_saveexec_b64 s[80:81], vcc
	s_cbranch_execz .LBB17_373
; %bb.377:                              ;   in Loop: Header=BB17_374 Depth=2
	s_waitcnt vmcnt(0)
	v_add_u32_sdwa v28, sext(v5), s76 dst_sel:DWORD dst_unused:UNUSED_PAD src0_sel:BYTE_0 src1_sel:DWORD
	v_and_b32_e32 v28, v28, v26
	v_cmp_eq_u32_e32 vcc, v28, v27
	s_and_b64 exec, exec, vcc
	s_cbranch_execz .LBB17_373
; %bb.378:                              ;   in Loop: Header=BB17_374 Depth=2
	v_lshlrev_b16_e32 v5, 8, v5
	v_or_b32_e32 v5, 1, v5
	ds_write_b16 v24, v5 offset:3072
	s_branch .LBB17_373
.LBB17_379:                             ;   in Loop: Header=BB17_6 Depth=1
	s_or_b64 exec, exec, s[54:55]
	v_lshrrev_b16_e32 v28, 8, v5
	s_and_b64 s[54:55], s[58:59], exec
.LBB17_380:                             ;   in Loop: Header=BB17_6 Depth=1
	s_or_b64 exec, exec, s[56:57]
	s_mov_b64 s[58:59], 0
	s_mov_b64 s[56:57], -1
	s_mov_b64 s[80:81], 0
.LBB17_381:                             ;   in Loop: Header=BB17_6 Depth=1
	s_orn2_b64 s[54:55], s[54:55], exec
.LBB17_382:                             ;   in Loop: Header=BB17_6 Depth=1
	s_or_b64 exec, exec, s[16:17]
	s_mov_b64 vcc, 0
                                        ; implicit-def: $vgpr30
                                        ; implicit-def: $vgpr2
	s_and_saveexec_b64 s[16:17], s[54:55]
	s_cbranch_execz .LBB17_394
; %bb.383:                              ;   in Loop: Header=BB17_6 Depth=1
	v_readlane_b32 s10, v46, 45
	v_readlane_b32 s11, v46, 46
	s_xor_b64 s[10:11], s[10:11], -1
	v_mov_b32_e32 v30, 1
	v_mov_b32_e32 v2, 1
	s_and_saveexec_b64 s[54:55], s[10:11]
	s_cbranch_execz .LBB17_393
; %bb.384:                              ;   in Loop: Header=BB17_6 Depth=1
	v_cmp_ge_u32_e32 vcc, s5, v3
                                        ; implicit-def: $sgpr6
	s_and_saveexec_b64 s[10:11], vcc
	s_xor_b64 s[10:11], exec, s[10:11]
	s_cbranch_execz .LBB17_390
; %bb.385:                              ;   in Loop: Header=BB17_6 Depth=1
	ds_read_b32 v2, v24 offset:4096
	s_waitcnt lgkmcnt(0)
	v_cmp_ne_u32_e32 vcc, 0, v2
	s_cbranch_vccnz .LBB17_389
; %bb.386:                              ;   in Loop: Header=BB17_6 Depth=1
	v_writelane_b32 v46, s10, 49
	v_writelane_b32 v46, s11, 50
	s_mov_b64 vcc, exec
	v_readlane_b32 s10, v46, 6
	v_readlane_b32 s11, v46, 7
	s_and_b64 s[10:11], vcc, s[10:11]
	s_mov_b64 exec, s[10:11]
	s_cbranch_execz .LBB17_388
; %bb.387:                              ;   in Loop: Header=BB17_6 Depth=1
	v_mov_b32_e32 v2, s5
	ds_write_b32 v24, v2 offset:4100
.LBB17_388:                             ;   in Loop: Header=BB17_6 Depth=1
	s_or_b64 exec, exec, vcc
	v_readlane_b32 s10, v46, 49
	v_readlane_b32 s11, v46, 50
	s_waitcnt lgkmcnt(0)
	s_barrier
.LBB17_389:                             ;   in Loop: Header=BB17_6 Depth=1
	v_and_b32_e32 v27, s12, v27
	v_or_b32_e32 v26, s71, v26
	s_mov_b32 s6, 5
.LBB17_390:                             ;   in Loop: Header=BB17_6 Depth=1
	s_or_saveexec_b64 vcc, s[10:11]
	v_mov_b32_e32 v30, s6
	s_xor_b64 exec, exec, vcc
; %bb.391:                              ;   in Loop: Header=BB17_6 Depth=1
	v_subrev_u32_e32 v3, s5, v3
	v_mov_b32_e32 v30, 5
; %bb.392:                              ;   in Loop: Header=BB17_6 Depth=1
	s_or_b64 exec, exec, vcc
	v_mov_b32_e32 v2, v3
.LBB17_393:                             ;   in Loop: Header=BB17_6 Depth=1
	s_or_b64 exec, exec, s[54:55]
	s_mov_b64 vcc, exec
.LBB17_394:                             ;   in Loop: Header=BB17_6 Depth=1
	s_or_b64 exec, exec, s[16:17]
	s_orn2_b64 s[16:17], vcc, exec
	v_mov_b32_e32 v3, v2
.LBB17_395:                             ;   in Loop: Header=BB17_6 Depth=1
	s_or_b64 exec, exec, s[52:53]
	s_andn2_b64 s[10:11], s[44:45], exec
	s_and_b64 s[12:13], s[56:57], exec
	s_or_b64 s[44:45], s[10:11], s[12:13]
	s_andn2_b64 s[10:11], s[46:47], exec
	s_and_b64 s[12:13], s[58:59], exec
	s_or_b64 s[46:47], s[10:11], s[12:13]
	;; [unrolled: 3-line block ×3, first 2 shown]
	s_and_b64 s[16:17], s[16:17], exec
	v_mov_b32_e32 v2, v3
.LBB17_396:                             ;   in Loop: Header=BB17_6 Depth=1
	s_or_b64 exec, exec, s[50:51]
	s_and_b64 s[50:51], s[44:45], exec
	s_and_b64 s[46:47], s[46:47], exec
	;; [unrolled: 1-line block ×3, first 2 shown]
	s_orn2_b64 s[16:17], s[16:17], exec
.LBB17_397:                             ;   in Loop: Header=BB17_6 Depth=1
	s_or_b64 exec, exec, s[42:43]
	s_andn2_b64 s[10:11], s[28:29], exec
	s_and_b64 s[12:13], s[50:51], exec
	s_or_b64 s[28:29], s[10:11], s[12:13]
	s_andn2_b64 s[10:11], s[36:37], exec
	s_and_b64 s[12:13], s[46:47], exec
	s_or_b64 s[36:37], s[10:11], s[12:13]
	s_andn2_b64 s[10:11], s[38:39], exec
	s_and_b64 s[12:13], s[44:45], exec
	s_or_b64 s[38:39], s[10:11], s[12:13]
	s_and_b64 s[44:45], s[16:17], exec
	v_mov_b32_e32 v5, v2
.LBB17_398:                             ;   in Loop: Header=BB17_6 Depth=1
	s_or_b64 exec, exec, s[40:41]
	s_and_b64 s[40:41], s[28:29], exec
	s_and_b64 s[28:29], s[36:37], exec
	;; [unrolled: 1-line block ×3, first 2 shown]
	s_orn2_b64 s[38:39], s[44:45], exec
.LBB17_399:                             ;   in Loop: Header=BB17_6 Depth=1
	s_or_b64 exec, exec, s[18:19]
	s_mov_b64 s[18:19], s[24:25]
	s_mov_b64 s[36:37], s[20:21]
	s_and_saveexec_b64 s[42:43], s[38:39]
; %bb.400:                              ;   in Loop: Header=BB17_6 Depth=1
	v_cmp_ne_u32_e64 s[18:19], 5, v30
	v_cmp_eq_u32_e32 vcc, 5, v30
	s_andn2_b64 s[10:11], s[20:21], exec
	s_and_b64 s[12:13], s[18:19], exec
	s_or_b64 s[36:37], s[10:11], s[12:13]
	s_andn2_b64 s[10:11], s[24:25], exec
	s_and_b64 s[12:13], vcc, exec
	s_andn2_b64 s[40:41], s[40:41], exec
	s_andn2_b64 s[28:29], s[28:29], exec
	;; [unrolled: 1-line block ×3, first 2 shown]
	s_or_b64 s[18:19], s[10:11], s[12:13]
; %bb.401:                              ;   in Loop: Header=BB17_6 Depth=1
	s_or_b64 exec, exec, s[42:43]
	s_andn2_b64 s[10:11], s[30:31], exec
	s_and_b64 s[12:13], s[40:41], exec
	s_or_b64 s[30:31], s[10:11], s[12:13]
	s_andn2_b64 s[10:11], s[34:35], exec
	s_and_b64 s[12:13], s[28:29], exec
	s_or_b64 s[34:35], s[10:11], s[12:13]
	;; [unrolled: 3-line block ×5, first 2 shown]
	v_mov_b32_e32 v2, v27
	v_mov_b32_e32 v3, v26
	;; [unrolled: 1-line block ×3, first 2 shown]
.LBB17_402:                             ;   in Loop: Header=BB17_6 Depth=1
	s_or_b64 exec, exec, s[26:27]
	s_mov_b64 s[28:29], s[22:23]
	s_mov_b64 s[26:27], s[22:23]
	s_and_saveexec_b64 s[16:17], s[24:25]
.LBB17_403:                             ;   in Loop: Header=BB17_6 Depth=1
	v_mov_b32_e32 v30, 0
	s_andn2_b64 s[22:23], s[22:23], exec
	s_andn2_b64 s[30:31], s[30:31], exec
	;; [unrolled: 1-line block ×5, first 2 shown]
	s_or_b64 s[20:21], s[20:21], exec
.LBB17_404:                             ;   in Loop: Header=BB17_6 Depth=1
	s_or_b64 exec, exec, s[16:17]
	s_andn2_b64 s[10:11], s[78:79], exec
	s_and_b64 s[12:13], s[22:23], exec
	s_or_b64 s[78:79], s[10:11], s[12:13]
	s_andn2_b64 s[10:11], s[86:87], exec
	s_and_b64 s[12:13], s[30:31], exec
	s_or_b64 s[86:87], s[10:11], s[12:13]
	;; [unrolled: 3-line block ×4, first 2 shown]
	s_andn2_b64 s[2:3], s[2:3], exec
	s_and_b64 s[10:11], s[26:27], exec
	s_mov_b64 s[18:19], -1
	s_or_b64 s[2:3], s[2:3], s[10:11]
                                        ; implicit-def: $vgpr26
                                        ; implicit-def: $vgpr27
                                        ; implicit-def: $vgpr29
                                        ; implicit-def: $vgpr28
	s_and_saveexec_b64 s[10:11], s[20:21]
	s_xor_b64 s[16:17], exec, s[10:11]
	s_cbranch_execz .LBB17_5
; %bb.405:                              ;   in Loop: Header=BB17_6 Depth=1
	v_cmp_eq_u32_e32 vcc, 0, v30
	s_mov_b64 s[20:21], -1
	s_and_saveexec_b64 s[22:23], vcc
	s_cbranch_execz .LBB17_4
; %bb.406:                              ;   in Loop: Header=BB17_6 Depth=1
	s_xor_b32 s4, s4, 1
	s_add_i32 s5, s77, -2
	s_cmp_eq_u32 s77, 0
	s_cselect_b64 s[10:11], -1, 0
	s_xor_b64 s[20:21], exec, -1
	s_orn2_b64 s[18:19], s[10:11], exec
	s_mov_b32 s77, s5
	s_branch .LBB17_4
.LBB17_407:
	s_or_b64 exec, exec, s[88:89]
	s_xor_b64 s[16:17], s[68:69], -1
	s_xor_b64 s[20:21], s[66:67], -1
	s_xor_b64 s[18:19], s[92:93], -1
	s_xor_b64 s[4:5], s[90:91], -1
	s_xor_b64 s[2:3], s[94:95], -1
	s_mov_b64 s[12:13], 0
	s_and_saveexec_b64 s[6:7], s[4:5]
	s_xor_b64 s[10:11], exec, s[6:7]
	s_cbranch_execnz .LBB17_412
; %bb.408:
	s_andn2_saveexec_b64 s[0:1], s[10:11]
	s_cbranch_execnz .LBB17_431
.LBB17_409:
	s_or_b64 exec, exec, s[0:1]
	s_and_saveexec_b64 s[0:1], s[12:13]
.LBB17_410:
	; divergent unreachable
.LBB17_411:
	s_endpgm
.LBB17_412:
	s_mov_b64 s[14:15], 0
	s_and_saveexec_b64 s[4:5], s[18:19]
	s_xor_b64 s[12:13], exec, s[4:5]
	s_cbranch_execz .LBB17_429
; %bb.413:
	s_mov_b64 s[18:19], 0
	s_and_saveexec_b64 s[4:5], s[20:21]
	s_xor_b64 s[14:15], exec, s[4:5]
	s_cbranch_execz .LBB17_427
; %bb.414:
	s_and_saveexec_b64 s[4:5], s[16:17]
	s_xor_b64 s[16:17], exec, s[4:5]
	s_cbranch_execz .LBB17_425
; %bb.415:
	s_and_saveexec_b64 s[4:5], s[2:3]
	s_xor_b64 s[2:3], exec, s[4:5]
; %bb.416:
	v_xor_b32_e32 v4, 0xffffff80, v2
; %bb.417:
	s_or_b64 exec, exec, s[2:3]
	s_mov_b64 s[2:3], exec
	v_readlane_b32 s4, v46, 6
	v_readlane_b32 s5, v46, 7
	;; [unrolled: 1-line block ×3, first 2 shown]
	s_and_b64 s[4:5], s[2:3], s[4:5]
	v_readlane_b32 s35, v46, 14
	v_readlane_b32 s22, v46, 44
	s_mov_b64 exec, s[4:5]
	s_cbranch_execz .LBB17_419
; %bb.418:
	v_mov_b32_e32 v1, 0
	ds_write_b32 v1, v1 offset:4108
.LBB17_419:
	s_or_b64 exec, exec, s[2:3]
	v_mov_b32_e32 v11, 0
	s_waitcnt lgkmcnt(0)
	s_barrier
	s_mov_b64 s[2:3], exec
	v_readlane_b32 s4, v46, 24
	v_readlane_b32 s5, v46, 25
	s_and_b64 s[4:5], s[2:3], s[4:5]
	v_readlane_b32 s6, v46, 12
	s_mov_b64 exec, s[4:5]
	s_cbranch_execz .LBB17_421
; %bb.420:
	global_load_ubyte v11, v[8:9], off
.LBB17_421:
	s_or_b64 exec, exec, s[2:3]
	v_readlane_b32 s2, v46, 11
	s_add_i32 s9, s60, 63
	s_mul_i32 s4, s2, s6
	v_readlane_b32 s2, v46, 8
	s_andn2_b32 s9, s9, 63
	s_mul_i32 s2, s2, s6
	v_readlane_b32 s6, v46, 2
	s_mov_b32 s3, 0
	v_readlane_b32 s7, v46, 3
	s_add_u32 s42, s6, s4
	s_addc_u32 s43, s7, 0
	s_lshl_b64 s[2:3], s[2:3], 3
	v_readlane_b32 s4, v46, 0
	v_readlane_b32 s5, v46, 1
	s_add_u32 s44, s4, s2
	s_addc_u32 s45, s5, s3
	v_readlane_b32 s2, v46, 9
	v_readlane_b32 s3, v46, 10
	s_load_dword s46, s[2:3], 0x1c8
	s_load_dword s47, s[2:3], 0x2a8
	v_add_u32_e32 v2, s33, v0
	v_cmp_gt_u32_e32 vcc, s9, v0
	s_mov_b64 s[20:21], -1
	s_mov_b64 s[2:3], 0
	v_mul_lo_u32 v5, s22, v2
	s_mov_b64 s[4:5], 0
	s_and_saveexec_b64 s[18:19], vcc
	s_cbranch_execnz .LBB17_432
; %bb.422:
	s_or_b64 exec, exec, s[18:19]
	s_and_saveexec_b64 s[18:19], s[20:21]
	s_cbranch_execnz .LBB17_447
.LBB17_423:
	s_or_b64 exec, exec, s[18:19]
	s_and_saveexec_b64 s[0:1], s[4:5]
	s_xor_b64 s[0:1], exec, s[0:1]
	s_cbranch_execnz .LBB17_469
.LBB17_424:
	s_or_b64 exec, exec, s[0:1]
	s_and_b64 s[18:19], s[2:3], exec
.LBB17_425:
	s_andn2_saveexec_b64 s[0:1], s[16:17]
	s_cbranch_execnz .LBB17_472
.LBB17_426:
	s_or_b64 exec, exec, s[0:1]
	s_and_b64 s[18:19], s[18:19], exec
.LBB17_427:
	s_andn2_saveexec_b64 s[0:1], s[14:15]
	s_cbranch_execnz .LBB17_471
.LBB17_428:
	s_or_b64 exec, exec, s[0:1]
	s_and_b64 s[14:15], s[18:19], exec
.LBB17_429:
	s_andn2_saveexec_b64 s[0:1], s[12:13]
	s_cbranch_execnz .LBB17_470
.LBB17_430:
	s_or_b64 exec, exec, s[0:1]
	s_and_b64 s[12:13], s[14:15], exec
	s_andn2_saveexec_b64 s[0:1], s[10:11]
	s_cbranch_execz .LBB17_409
.LBB17_431:
	s_or_b64 s[12:13], s[12:13], exec
	s_trap 2
	s_or_b64 exec, exec, s[0:1]
	s_and_saveexec_b64 s[0:1], s[12:13]
	s_cbranch_execnz .LBB17_410
	s_branch .LBB17_411
.LBB17_432:
	s_movk_i32 s6, 0x80
	v_add_u32_sdwa v1, sext(v4), s6 dst_sel:DWORD dst_unused:UNUSED_PAD src0_sel:BYTE_0 src1_sel:DWORD
	v_mul_lo_u32 v10, s22, v2
	s_mov_b64 s[20:21], 0
	v_mov_b32_e32 v3, 0
	v_mov_b32_e32 v2, v0
                                        ; implicit-def: $sgpr22_sgpr23
                                        ; implicit-def: $vgpr15
	s_branch .LBB17_434
.LBB17_433:                             ;   in Loop: Header=BB17_434 Depth=1
	s_or_b64 exec, exec, s[24:25]
	s_xor_b64 s[24:25], s[28:29], -1
	s_and_b64 s[4:5], exec, s[4:5]
	s_or_b64 s[20:21], s[4:5], s[20:21]
	s_andn2_b64 s[4:5], s[22:23], exec
	s_and_b64 s[22:23], s[24:25], exec
	s_or_b64 s[22:23], s[4:5], s[22:23]
	v_mov_b32_e32 v11, v14
	v_mov_b32_e32 v2, v13
	s_andn2_b64 exec, exec, s[20:21]
	s_cbranch_execz .LBB17_446
.LBB17_434:                             ; =>This Inner Loop Header: Depth=1
	v_add_u32_e32 v13, s33, v2
	v_cmp_gt_u32_e32 vcc, s60, v13
	v_mov_b32_e32 v14, 0
	s_and_saveexec_b64 s[4:5], vcc
	s_cbranch_execz .LBB17_436
; %bb.435:                              ;   in Loop: Header=BB17_434 Depth=1
	global_load_ubyte v14, v10, s[64:65]
.LBB17_436:                             ;   in Loop: Header=BB17_434 Depth=1
	s_or_b64 exec, exec, s[4:5]
	s_waitcnt vmcnt(0)
	v_add_u32_sdwa v16, sext(v11), s6 dst_sel:DWORD dst_unused:UNUSED_PAD src0_sel:BYTE_0 src1_sel:DWORD
	v_cmp_gt_u32_e64 s[4:5], v16, v1
	v_cndmask_b32_e64 v17, 0, 1, s[4:5]
	v_cmp_lt_u32_e64 s[4:5], v16, v1
	v_cndmask_b32_e64 v16, 0, 1, s[4:5]
	v_cndmask_b32_e64 v16, v16, v17, s[34:35]
	v_and_b32_e32 v16, 1, v16
	v_cmp_gt_u32_e32 vcc, s60, v2
	v_cmp_eq_u32_e64 s[4:5], 1, v16
	s_and_b64 s[24:25], vcc, s[4:5]
	v_cndmask_b32_e64 v16, 0, 1, s[24:25]
	v_cmp_ne_u32_e32 vcc, 0, v16
	s_cmp_lg_u64 vcc, 0
	s_cselect_b64 s[4:5], -1, 0
	s_and_b64 s[4:5], s[0:1], s[4:5]
	s_and_saveexec_b64 s[26:27], s[4:5]
	s_cbranch_execz .LBB17_440
; %bb.437:                              ;   in Loop: Header=BB17_434 Depth=1
	s_mov_b64 s[30:31], exec
	s_waitcnt lgkmcnt(0)
	v_mbcnt_lo_u32_b32 v15, s30, 0
	v_mbcnt_hi_u32_b32 v15, s31, v15
	s_bcnt1_i32_b64 s7, vcc
	v_cmp_eq_u32_e64 s[4:5], 0, v15
                                        ; implicit-def: $vgpr16
	s_and_saveexec_b64 s[28:29], s[4:5]
	s_cbranch_execz .LBB17_439
; %bb.438:                              ;   in Loop: Header=BB17_434 Depth=1
	s_bcnt1_i32_b64 s4, s[30:31]
	s_mul_i32 s4, s7, s4
	v_mov_b32_e32 v16, s4
	ds_add_rtn_u32 v16, v3, v16 offset:4108
.LBB17_439:                             ;   in Loop: Header=BB17_434 Depth=1
	s_or_b64 exec, exec, s[28:29]
	s_waitcnt lgkmcnt(0)
	v_readfirstlane_b32 s4, v16
	v_mov_b32_e32 v16, s4
	v_mad_u32_u24 v15, s7, v15, v16
.LBB17_440:                             ;   in Loop: Header=BB17_434 Depth=1
	s_or_b64 exec, exec, s[26:27]
	s_waitcnt lgkmcnt(0)
	ds_bpermute_b32 v15, v12, v15
	s_mov_b64 s[4:5], -1
	s_mov_b64 s[30:31], -1
                                        ; implicit-def: $sgpr28_sgpr29
	s_and_saveexec_b64 s[26:27], s[24:25]
	s_cbranch_execz .LBB17_444
; %bb.441:                              ;   in Loop: Header=BB17_434 Depth=1
	v_and_b32_e32 v17, vcc_lo, v6
	v_and_b32_e32 v16, vcc_hi, v7
	v_bcnt_u32_b32 v17, v17, 0
	v_bcnt_u32_b32 v16, v16, v17
	s_waitcnt lgkmcnt(0)
	v_add_u32_e32 v16, v15, v16
	v_cmp_gt_u32_e32 vcc, s61, v16
	s_mov_b64 s[24:25], 0
	s_and_saveexec_b64 s[28:29], vcc
	s_cbranch_execz .LBB17_443
; %bb.442:                              ;   in Loop: Header=BB17_434 Depth=1
	v_mul_lo_u32 v17, v16, s46
	v_mul_lo_u32 v16, v16, s47
	global_store_byte v17, v11, s[42:43]
	v_mov_b32_e32 v17, v3
	v_lshlrev_b64 v[16:17], 3, v[16:17]
	v_mov_b32_e32 v11, s45
	v_add_co_u32_e32 v16, vcc, s44, v16
	s_mov_b64 s[24:25], exec
	v_addc_co_u32_e32 v17, vcc, v11, v17, vcc
	global_store_dwordx2 v[16:17], v[2:3], off
.LBB17_443:                             ;   in Loop: Header=BB17_434 Depth=1
	s_or_b64 exec, exec, s[28:29]
	s_mov_b64 s[28:29], -1
	s_orn2_b64 s[30:31], s[24:25], exec
.LBB17_444:                             ;   in Loop: Header=BB17_434 Depth=1
	s_or_b64 exec, exec, s[26:27]
	s_and_saveexec_b64 s[24:25], s[30:31]
	s_cbranch_execz .LBB17_433
; %bb.445:                              ;   in Loop: Header=BB17_434 Depth=1
	v_cmp_le_u32_e32 vcc, s9, v13
	v_add_u32_e32 v10, s8, v10
	s_andn2_b64 s[28:29], s[28:29], exec
	s_orn2_b64 s[4:5], vcc, exec
	s_branch .LBB17_433
.LBB17_446:
	s_or_b64 exec, exec, s[20:21]
	s_mov_b64 s[4:5], exec
	s_orn2_b64 s[20:21], s[22:23], exec
	s_or_b64 exec, exec, s[18:19]
	s_and_saveexec_b64 s[18:19], s[20:21]
	s_cbranch_execz .LBB17_423
.LBB17_447:
	v_mov_b32_e32 v1, 0
	v_mov_b32_e32 v3, 0
	s_waitcnt lgkmcnt(0)
	s_barrier
	s_mov_b64 s[2:3], exec
	v_readlane_b32 s6, v46, 24
	v_readlane_b32 s7, v46, 25
	s_and_b64 s[6:7], s[2:3], s[6:7]
	s_mov_b64 exec, s[6:7]
	s_cbranch_execz .LBB17_449
; %bb.448:
	global_load_ubyte v3, v[8:9], off
.LBB17_449:
	s_or_b64 exec, exec, s[2:3]
	s_mov_b64 s[20:21], 0
                                        ; implicit-def: $sgpr6_sgpr7
                                        ; implicit-def: $sgpr22_sgpr23
                                        ; implicit-def: $sgpr24_sgpr25
                                        ; implicit-def: $vgpr2
	s_branch .LBB17_452
.LBB17_450:                             ;   in Loop: Header=BB17_452 Depth=1
	s_or_b64 exec, exec, s[30:31]
	s_andn2_b64 s[2:3], s[24:25], exec
	s_and_b64 s[24:25], s[36:37], exec
	s_or_b64 s[24:25], s[2:3], s[24:25]
	s_andn2_b64 s[2:3], s[22:23], exec
	s_and_b64 s[22:23], s[28:29], exec
	s_or_b64 s[22:23], s[2:3], s[22:23]
	v_mov_b32_e32 v0, v8
.LBB17_451:                             ;   in Loop: Header=BB17_452 Depth=1
	s_or_b64 exec, exec, s[26:27]
	s_xor_b64 s[2:3], s[24:25], -1
	s_and_b64 s[26:27], exec, s[22:23]
	s_or_b64 s[20:21], s[26:27], s[20:21]
	s_andn2_b64 s[6:7], s[6:7], exec
	s_and_b64 s[2:3], s[2:3], exec
	s_or_b64 s[6:7], s[6:7], s[2:3]
	s_andn2_b64 exec, exec, s[20:21]
	s_cbranch_execz .LBB17_467
.LBB17_452:                             ; =>This Inner Loop Header: Depth=1
	v_cmp_gt_u32_e32 vcc, s9, v0
	s_or_b64 s[24:25], s[24:25], exec
	s_or_b64 s[22:23], s[22:23], exec
	s_and_saveexec_b64 s[26:27], vcc
	s_cbranch_execz .LBB17_451
; %bb.453:                              ;   in Loop: Header=BB17_452 Depth=1
	v_add_u32_e32 v8, s33, v0
	v_cmp_gt_u32_e32 vcc, s60, v8
	v_mov_b32_e32 v9, 0
	s_and_saveexec_b64 s[2:3], vcc
	s_cbranch_execz .LBB17_455
; %bb.454:                              ;   in Loop: Header=BB17_452 Depth=1
	global_load_ubyte v9, v5, s[64:65]
.LBB17_455:                             ;   in Loop: Header=BB17_452 Depth=1
	s_or_b64 exec, exec, s[2:3]
	s_waitcnt vmcnt(0)
	v_and_b32_e32 v10, 0xff, v3
	v_cmp_gt_u32_e32 vcc, s60, v0
	v_cmp_eq_u16_sdwa s[2:3], v10, v4 src0_sel:DWORD src1_sel:BYTE_0
	s_and_b64 s[30:31], vcc, s[2:3]
	v_cndmask_b32_e64 v10, 0, 1, s[30:31]
	v_cmp_ne_u32_e32 vcc, 0, v10
	s_cmp_lg_u64 vcc, 0
	s_cselect_b64 s[2:3], -1, 0
	s_and_b64 s[2:3], s[0:1], s[2:3]
	s_and_saveexec_b64 s[28:29], s[2:3]
	s_cbranch_execz .LBB17_459
; %bb.456:                              ;   in Loop: Header=BB17_452 Depth=1
	s_mov_b64 s[36:37], exec
	v_mbcnt_lo_u32_b32 v2, s36, 0
	v_mbcnt_hi_u32_b32 v2, s37, v2
	s_bcnt1_i32_b64 s38, vcc
	v_cmp_eq_u32_e64 s[2:3], 0, v2
                                        ; implicit-def: $vgpr10
	s_and_saveexec_b64 s[34:35], s[2:3]
	s_cbranch_execz .LBB17_458
; %bb.457:                              ;   in Loop: Header=BB17_452 Depth=1
	s_bcnt1_i32_b64 s2, s[36:37]
	s_mul_i32 s2, s38, s2
	v_mov_b32_e32 v10, s2
	ds_add_rtn_u32 v10, v1, v10 offset:4108
.LBB17_458:                             ;   in Loop: Header=BB17_452 Depth=1
	s_or_b64 exec, exec, s[34:35]
	s_waitcnt lgkmcnt(0)
	v_readfirstlane_b32 s2, v10
	v_mov_b32_e32 v10, s2
	v_mad_u32_u24 v2, s38, v2, v10
.LBB17_459:                             ;   in Loop: Header=BB17_452 Depth=1
	s_or_b64 exec, exec, s[28:29]
	ds_bpermute_b32 v2, v12, v2
	s_cmp_eq_u64 vcc, 0
	s_cselect_b64 s[34:35], -1, 0
	s_mov_b64 s[28:29], -1
	s_mov_b64 s[36:37], -1
	s_waitcnt lgkmcnt(0)
	v_cmp_gt_u32_e64 s[2:3], s61, v2
	s_or_b64 s[2:3], s[34:35], s[2:3]
	v_cndmask_b32_e64 v3, v3, v9, s[2:3]
	s_and_b64 s[38:39], s[30:31], s[2:3]
	s_mov_b64 s[34:35], -1
	s_and_saveexec_b64 s[30:31], s[38:39]
	s_cbranch_execz .LBB17_465
; %bb.460:                              ;   in Loop: Header=BB17_452 Depth=1
	v_and_b32_e32 v10, vcc_lo, v6
	v_and_b32_e32 v3, vcc_hi, v7
	v_bcnt_u32_b32 v10, v10, 0
	v_bcnt_u32_b32 v3, v3, v10
	v_sub_u32_e32 v10, s61, v2
	v_cmp_le_u32_e64 s[34:35], v10, v3
	v_cmp_gt_u32_e32 vcc, v10, v3
	s_mov_b64 s[38:39], -1
	s_and_saveexec_b64 s[36:37], vcc
	s_cbranch_execz .LBB17_464
; %bb.461:                              ;   in Loop: Header=BB17_452 Depth=1
	v_add_u32_e32 v3, v2, v3
	v_cmp_gt_u32_e32 vcc, s61, v3
	s_mov_b64 s[40:41], s[34:35]
	s_and_saveexec_b64 s[38:39], vcc
	s_cbranch_execz .LBB17_463
; %bb.462:                              ;   in Loop: Header=BB17_452 Depth=1
	v_mul_lo_u32 v11, v3, s46
	v_mul_lo_u32 v10, v3, s47
	global_store_byte v11, v4, s[42:43]
	v_mov_b32_e32 v11, v1
	v_lshlrev_b64 v[10:11], 3, v[10:11]
	v_mov_b32_e32 v3, s45
	v_add_co_u32_e32 v10, vcc, s44, v10
	v_addc_co_u32_e32 v11, vcc, v3, v11, vcc
	s_or_b64 s[40:41], s[34:35], exec
	global_store_dwordx2 v[10:11], v[0:1], off
.LBB17_463:                             ;   in Loop: Header=BB17_452 Depth=1
	s_or_b64 exec, exec, s[38:39]
	s_andn2_b64 s[34:35], s[34:35], exec
	s_and_b64 s[40:41], s[40:41], exec
	s_xor_b64 s[38:39], exec, -1
	s_or_b64 s[34:35], s[34:35], s[40:41]
.LBB17_464:                             ;   in Loop: Header=BB17_452 Depth=1
	s_or_b64 exec, exec, s[36:37]
	s_orn2_b64 s[36:37], s[38:39], exec
	s_or_b64 s[2:3], s[2:3], exec
	s_orn2_b64 s[34:35], s[34:35], exec
	v_mov_b32_e32 v3, v9
.LBB17_465:                             ;   in Loop: Header=BB17_452 Depth=1
	s_or_b64 exec, exec, s[30:31]
	s_and_saveexec_b64 s[30:31], s[34:35]
	s_cbranch_execz .LBB17_450
; %bb.466:                              ;   in Loop: Header=BB17_452 Depth=1
	s_xor_b64 s[2:3], s[2:3], -1
	v_add_u32_e32 v5, s8, v5
	s_or_b64 s[36:37], s[36:37], exec
	s_orn2_b64 s[28:29], s[2:3], exec
	s_branch .LBB17_450
.LBB17_467:
	s_or_b64 exec, exec, s[20:21]
	s_mov_b64 s[0:1], 0
	s_and_saveexec_b64 s[2:3], s[6:7]
	s_xor_b64 s[2:3], exec, s[2:3]
	s_cbranch_execnz .LBB17_473
.LBB17_468:
	s_or_b64 exec, exec, s[2:3]
	s_and_b64 s[2:3], s[0:1], exec
	s_andn2_b64 s[4:5], s[4:5], exec
	s_or_b64 exec, exec, s[18:19]
	s_and_saveexec_b64 s[0:1], s[4:5]
	s_xor_b64 s[0:1], exec, s[0:1]
	s_cbranch_execz .LBB17_424
.LBB17_469:
	s_or_b64 s[2:3], s[2:3], exec
	s_trap 2
	s_branch .LBB17_424
.LBB17_470:
	s_or_b64 s[14:15], s[14:15], exec
	s_trap 2
	s_branch .LBB17_430
.LBB17_471:
	s_or_b64 s[18:19], s[18:19], exec
	s_trap 2
	s_branch .LBB17_428
.LBB17_472:
	s_trap 2
	s_or_b64 s[18:19], s[18:19], exec
	s_branch .LBB17_426
.LBB17_473:
	s_mov_b64 s[0:1], exec
	s_trap 2
	s_branch .LBB17_468
	.section	.rodata,"a",@progbits
	.p2align	6, 0x0
	.amdhsa_kernel _ZN2at6native6sbtopk10gatherTopKIajLi1ELb0EEEvNS_4cuda6detail10TensorInfoIKT_T0_EES8_S8_bS8_S8_NS5_IS6_S8_EES8_NS5_IlS8_EES8_PS6_
		.amdhsa_group_segment_fixed_size 4112
		.amdhsa_private_segment_fixed_size 0
		.amdhsa_kernarg_size 952
		.amdhsa_user_sgpr_count 6
		.amdhsa_user_sgpr_private_segment_buffer 1
		.amdhsa_user_sgpr_dispatch_ptr 0
		.amdhsa_user_sgpr_queue_ptr 0
		.amdhsa_user_sgpr_kernarg_segment_ptr 1
		.amdhsa_user_sgpr_dispatch_id 0
		.amdhsa_user_sgpr_flat_scratch_init 0
		.amdhsa_user_sgpr_kernarg_preload_length 0
		.amdhsa_user_sgpr_kernarg_preload_offset 0
		.amdhsa_user_sgpr_private_segment_size 0
		.amdhsa_uses_dynamic_stack 0
		.amdhsa_system_sgpr_private_segment_wavefront_offset 0
		.amdhsa_system_sgpr_workgroup_id_x 1
		.amdhsa_system_sgpr_workgroup_id_y 1
		.amdhsa_system_sgpr_workgroup_id_z 1
		.amdhsa_system_sgpr_workgroup_info 0
		.amdhsa_system_vgpr_workitem_id 0
		.amdhsa_next_free_vgpr 47
		.amdhsa_next_free_sgpr 96
		.amdhsa_accum_offset 48
		.amdhsa_reserve_vcc 1
		.amdhsa_reserve_flat_scratch 0
		.amdhsa_float_round_mode_32 0
		.amdhsa_float_round_mode_16_64 0
		.amdhsa_float_denorm_mode_32 3
		.amdhsa_float_denorm_mode_16_64 3
		.amdhsa_dx10_clamp 1
		.amdhsa_ieee_mode 1
		.amdhsa_fp16_overflow 0
		.amdhsa_tg_split 0
		.amdhsa_exception_fp_ieee_invalid_op 0
		.amdhsa_exception_fp_denorm_src 0
		.amdhsa_exception_fp_ieee_div_zero 0
		.amdhsa_exception_fp_ieee_overflow 0
		.amdhsa_exception_fp_ieee_underflow 0
		.amdhsa_exception_fp_ieee_inexact 0
		.amdhsa_exception_int_div_zero 0
	.end_amdhsa_kernel
	.section	.text._ZN2at6native6sbtopk10gatherTopKIajLi1ELb0EEEvNS_4cuda6detail10TensorInfoIKT_T0_EES8_S8_bS8_S8_NS5_IS6_S8_EES8_NS5_IlS8_EES8_PS6_,"axG",@progbits,_ZN2at6native6sbtopk10gatherTopKIajLi1ELb0EEEvNS_4cuda6detail10TensorInfoIKT_T0_EES8_S8_bS8_S8_NS5_IS6_S8_EES8_NS5_IlS8_EES8_PS6_,comdat
.Lfunc_end17:
	.size	_ZN2at6native6sbtopk10gatherTopKIajLi1ELb0EEEvNS_4cuda6detail10TensorInfoIKT_T0_EES8_S8_bS8_S8_NS5_IS6_S8_EES8_NS5_IlS8_EES8_PS6_, .Lfunc_end17-_ZN2at6native6sbtopk10gatherTopKIajLi1ELb0EEEvNS_4cuda6detail10TensorInfoIKT_T0_EES8_S8_bS8_S8_NS5_IS6_S8_EES8_NS5_IlS8_EES8_PS6_
                                        ; -- End function
	.section	.AMDGPU.csdata,"",@progbits
; Kernel info:
; codeLenInByte = 15000
; NumSgprs: 100
; NumVgprs: 47
; NumAgprs: 0
; TotalNumVgprs: 47
; ScratchSize: 0
; MemoryBound: 0
; FloatMode: 240
; IeeeMode: 1
; LDSByteSize: 4112 bytes/workgroup (compile time only)
; SGPRBlocks: 12
; VGPRBlocks: 5
; NumSGPRsForWavesPerEU: 100
; NumVGPRsForWavesPerEU: 47
; AccumOffset: 48
; Occupancy: 8
; WaveLimiterHint : 1
; COMPUTE_PGM_RSRC2:SCRATCH_EN: 0
; COMPUTE_PGM_RSRC2:USER_SGPR: 6
; COMPUTE_PGM_RSRC2:TRAP_HANDLER: 0
; COMPUTE_PGM_RSRC2:TGID_X_EN: 1
; COMPUTE_PGM_RSRC2:TGID_Y_EN: 1
; COMPUTE_PGM_RSRC2:TGID_Z_EN: 1
; COMPUTE_PGM_RSRC2:TIDIG_COMP_CNT: 0
; COMPUTE_PGM_RSRC3_GFX90A:ACCUM_OFFSET: 11
; COMPUTE_PGM_RSRC3_GFX90A:TG_SPLIT: 0
	.section	.text._ZN2at6native6mbtopk23computeBlockDigitCountsIajjLi2EEEvNS_4cuda6detail10TensorInfoIKT_T0_EEjPjjS8_iijT1_PSB_Ps,"axG",@progbits,_ZN2at6native6mbtopk23computeBlockDigitCountsIajjLi2EEEvNS_4cuda6detail10TensorInfoIKT_T0_EEjPjjS8_iijT1_PSB_Ps,comdat
	.protected	_ZN2at6native6mbtopk23computeBlockDigitCountsIajjLi2EEEvNS_4cuda6detail10TensorInfoIKT_T0_EEjPjjS8_iijT1_PSB_Ps ; -- Begin function _ZN2at6native6mbtopk23computeBlockDigitCountsIajjLi2EEEvNS_4cuda6detail10TensorInfoIKT_T0_EEjPjjS8_iijT1_PSB_Ps
	.globl	_ZN2at6native6mbtopk23computeBlockDigitCountsIajjLi2EEEvNS_4cuda6detail10TensorInfoIKT_T0_EEjPjjS8_iijT1_PSB_Ps
	.p2align	8
	.type	_ZN2at6native6mbtopk23computeBlockDigitCountsIajjLi2EEEvNS_4cuda6detail10TensorInfoIKT_T0_EEjPjjS8_iijT1_PSB_Ps,@function
_ZN2at6native6mbtopk23computeBlockDigitCountsIajjLi2EEEvNS_4cuda6detail10TensorInfoIKT_T0_EEjPjjS8_iijT1_PSB_Ps: ; @_ZN2at6native6mbtopk23computeBlockDigitCountsIajjLi2EEEvNS_4cuda6detail10TensorInfoIKT_T0_EEjPjjS8_iijT1_PSB_Ps
; %bb.0:
	s_load_dwordx2 s[10:11], s[4:5], 0xf8
	s_load_dwordx4 s[12:15], s[4:5], 0xe8
	s_load_dwordx2 s[0:1], s[4:5], 0x110
	s_waitcnt lgkmcnt(0)
	v_cvt_f32_u32_e32 v1, s10
	s_sub_i32 s2, 0, s10
	s_mul_i32 s1, s1, s8
	s_add_i32 s1, s1, s7
	v_rcp_iflag_f32_e32 v1, v1
	s_mul_i32 s16, s1, s0
	s_add_i32 s16, s16, s6
	s_mov_b32 s7, 0
	v_mul_f32_e32 v1, 0x4f7ffffe, v1
	v_cvt_u32_f32_e32 v1, v1
	v_readfirstlane_b32 s0, v1
	s_mul_i32 s2, s2, s0
	s_mul_hi_u32 s1, s0, s2
	s_add_i32 s0, s0, s1
	s_mul_hi_u32 s0, s16, s0
	s_mul_i32 s1, s0, s10
	s_sub_i32 s1, s16, s1
	s_add_i32 s2, s0, 1
	s_sub_i32 s3, s1, s10
	s_cmp_ge_u32 s1, s10
	s_cselect_b32 s0, s2, s0
	s_cselect_b32 s1, s3, s1
	s_add_i32 s2, s0, 1
	s_cmp_ge_u32 s1, s10
	s_cselect_b32 s6, s2, s0
	s_cmp_ge_u32 s6, s12
	s_cbranch_scc1 .LBB18_29
; %bb.1:
	s_load_dword s18, s[4:5], 0xc
	s_load_dwordx4 s[0:3], s[4:5], 0x100
	s_lshl_b64 s[8:9], s[6:7], 2
	s_movk_i32 s7, 0x100
	v_cmp_gt_u32_e32 vcc, s7, v0
	s_waitcnt lgkmcnt(0)
	v_cvt_f32_u32_e32 v1, s18
	s_add_u32 s0, s0, s8
	s_addc_u32 s1, s1, s9
	v_rcp_iflag_f32_e32 v1, v1
	v_mul_f32_e32 v1, 0x4f7ffffe, v1
	v_cvt_u32_f32_e32 v1, v1
	v_readfirstlane_b32 s7, v1
	v_lshlrev_b32_e32 v1, 2, v0
	s_and_saveexec_b64 s[8:9], vcc
	s_cbranch_execz .LBB18_3
; %bb.2:
	v_mov_b32_e32 v2, 0
	ds_write_b32 v1, v2
.LBB18_3:
	s_or_b64 exec, exec, s[8:9]
	s_load_dword s8, s[4:5], 0xd8
	s_mul_i32 s9, s6, s10
	s_sub_i32 s9, s16, s9
	s_add_i32 s17, s9, 1
	s_mul_i32 s9, s15, s9
	s_lshl_b32 s12, s9, 8
	s_waitcnt lgkmcnt(0)
	s_sub_i32 s9, s8, s12
	s_add_u32 s9, s9, 0xff
	s_addc_u32 s19, 0, 0
	v_mov_b32_e32 v2, s9
	v_alignbit_b32 v2, s19, v2, 8
	s_cmp_lt_u32 s17, s10
	v_readfirstlane_b32 s9, v2
	s_cselect_b32 s17, s15, s9
	s_cmp_lt_i32 s17, 1
	s_mov_b32 s15, 0
	s_barrier
	s_cbranch_scc1 .LBB18_25
; %bb.4:
	s_sub_i32 s9, 0, s18
	s_mul_i32 s9, s9, s7
	s_mul_hi_u32 s9, s7, s9
	s_add_i32 s7, s7, s9
	s_load_dwordx2 s[20:21], s[4:5], 0x6c
	s_load_dwordx2 s[22:23], s[4:5], 0x0
	s_mul_hi_u32 s4, s6, s7
	s_load_dword s9, s[0:1], 0x0
	s_mul_i32 s0, s4, s18
	s_sub_i32 s0, s6, s0
	s_add_i32 s1, s4, 1
	s_sub_i32 s5, s0, s18
	s_cmp_ge_u32 s0, s18
	s_cselect_b32 s1, s1, s4
	s_cselect_b32 s0, s5, s0
	s_add_i32 s4, s1, 1
	s_cmp_ge_u32 s0, s18
	s_cselect_b32 s0, s4, s1
	s_mul_i32 s1, s0, s18
	s_sub_i32 s1, s6, s1
	s_waitcnt lgkmcnt(0)
	s_mul_i32 s1, s1, s21
	s_mul_i32 s0, s0, s20
	s_add_i32 s0, s0, s1
	s_add_u32 s4, s22, s0
	s_addc_u32 s5, s23, 0
	s_and_b32 s10, s14, 0xff
	s_cmp_lt_u32 s17, 4
	s_cbranch_scc1 .LBB18_19
; %bb.5:
	v_add_u32_e32 v6, s12, v0
	v_add_u32_e32 v2, 0x300, v6
	;; [unrolled: 1-line block ×4, first 2 shown]
	s_and_b32 s15, s17, 0x7ffffffc
	v_mul_lo_u32 v3, s13, v2
	s_lshl_b32 s14, s13, 10
	v_mul_lo_u32 v4, s13, v4
	v_mul_lo_u32 v5, s13, v5
	;; [unrolled: 1-line block ×3, first 2 shown]
	s_mov_b32 s18, 0
	v_mov_b32_e32 v7, 1
	s_mov_b32 s19, 0
	s_branch .LBB18_7
.LBB18_6:                               ;   in Loop: Header=BB18_7 Depth=1
	s_or_b64 exec, exec, s[6:7]
	s_add_i32 s19, s19, 4
	s_add_i32 s18, s18, s14
	s_cmp_eq_u32 s15, s19
	v_add_u32_e32 v2, 0x400, v2
	s_cbranch_scc1 .LBB18_19
.LBB18_7:                               ; =>This Inner Loop Header: Depth=1
	v_add_u32_e32 v8, 0xfffffd00, v2
	v_cmp_gt_u32_e64 s[0:1], s8, v8
	s_and_saveexec_b64 s[6:7], s[0:1]
	s_cbranch_execz .LBB18_10
; %bb.8:                                ;   in Loop: Header=BB18_7 Depth=1
	v_add_u32_e32 v8, s18, v6
	global_load_sbyte v8, v8, s[4:5]
	s_waitcnt vmcnt(0)
	v_add_u32_e32 v8, 0x80, v8
	v_xor_b32_e32 v9, s9, v8
	v_and_b32_e32 v9, s11, v9
	v_cmp_eq_u32_e64 s[0:1], 0, v9
	s_and_b64 exec, exec, s[0:1]
	s_cbranch_execz .LBB18_10
; %bb.9:                                ;   in Loop: Header=BB18_7 Depth=1
	v_lshrrev_b32_e32 v8, s10, v8
	v_lshlrev_b32_e32 v8, 2, v8
	ds_add_u32 v8, v7
.LBB18_10:                              ;   in Loop: Header=BB18_7 Depth=1
	s_or_b64 exec, exec, s[6:7]
	v_add_u32_e32 v8, 0xfffffe00, v2
	v_cmp_gt_u32_e64 s[0:1], s8, v8
	s_and_saveexec_b64 s[6:7], s[0:1]
	s_cbranch_execz .LBB18_13
; %bb.11:                               ;   in Loop: Header=BB18_7 Depth=1
	v_add_u32_e32 v8, s18, v5
	global_load_sbyte v8, v8, s[4:5]
	s_waitcnt vmcnt(0)
	v_add_u32_e32 v8, 0x80, v8
	v_xor_b32_e32 v9, s9, v8
	v_and_b32_e32 v9, s11, v9
	v_cmp_eq_u32_e64 s[0:1], 0, v9
	s_and_b64 exec, exec, s[0:1]
	s_cbranch_execz .LBB18_13
; %bb.12:                               ;   in Loop: Header=BB18_7 Depth=1
	v_lshrrev_b32_e32 v8, s10, v8
	v_lshlrev_b32_e32 v8, 2, v8
	ds_add_u32 v8, v7
.LBB18_13:                              ;   in Loop: Header=BB18_7 Depth=1
	s_or_b64 exec, exec, s[6:7]
	v_add_u32_e32 v8, 0xffffff00, v2
	v_cmp_gt_u32_e64 s[0:1], s8, v8
	s_and_saveexec_b64 s[6:7], s[0:1]
	s_cbranch_execz .LBB18_16
; %bb.14:                               ;   in Loop: Header=BB18_7 Depth=1
	v_add_u32_e32 v8, s18, v4
	global_load_sbyte v8, v8, s[4:5]
	s_waitcnt vmcnt(0)
	v_add_u32_e32 v8, 0x80, v8
	v_xor_b32_e32 v9, s9, v8
	v_and_b32_e32 v9, s11, v9
	v_cmp_eq_u32_e64 s[0:1], 0, v9
	s_and_b64 exec, exec, s[0:1]
	s_cbranch_execz .LBB18_16
; %bb.15:                               ;   in Loop: Header=BB18_7 Depth=1
	v_lshrrev_b32_e32 v8, s10, v8
	v_lshlrev_b32_e32 v8, 2, v8
	ds_add_u32 v8, v7
.LBB18_16:                              ;   in Loop: Header=BB18_7 Depth=1
	s_or_b64 exec, exec, s[6:7]
	v_cmp_gt_u32_e64 s[0:1], s8, v2
	s_and_saveexec_b64 s[6:7], s[0:1]
	s_cbranch_execz .LBB18_6
; %bb.17:                               ;   in Loop: Header=BB18_7 Depth=1
	v_add_u32_e32 v8, s18, v3
	global_load_sbyte v8, v8, s[4:5]
	s_waitcnt vmcnt(0)
	v_add_u32_e32 v8, 0x80, v8
	v_xor_b32_e32 v9, s9, v8
	v_and_b32_e32 v9, s11, v9
	v_cmp_eq_u32_e64 s[0:1], 0, v9
	s_and_b64 exec, exec, s[0:1]
	s_cbranch_execz .LBB18_6
; %bb.18:                               ;   in Loop: Header=BB18_7 Depth=1
	v_lshrrev_b32_e32 v8, s10, v8
	v_lshlrev_b32_e32 v8, 2, v8
	ds_add_u32 v8, v7
	s_branch .LBB18_6
.LBB18_19:
	s_and_b32 s14, s17, 3
	s_cmp_eq_u32 s14, 0
	s_cbranch_scc1 .LBB18_25
; %bb.20:
	s_lshl_b32 s0, s15, 8
	s_add_i32 s0, s0, s12
	v_add_u32_e32 v2, s0, v0
	v_mul_lo_u32 v3, s13, v2
	s_lshl_b32 s12, s13, 8
	v_mov_b32_e32 v4, 1
	s_branch .LBB18_22
.LBB18_21:                              ;   in Loop: Header=BB18_22 Depth=1
	s_or_b64 exec, exec, s[6:7]
	s_add_i32 s14, s14, -1
	v_add_u32_e32 v3, s12, v3
	s_cmp_lg_u32 s14, 0
	v_add_u32_e32 v2, 0x100, v2
	s_cbranch_scc0 .LBB18_25
.LBB18_22:                              ; =>This Inner Loop Header: Depth=1
	v_cmp_gt_u32_e64 s[0:1], s8, v2
	s_and_saveexec_b64 s[6:7], s[0:1]
	s_cbranch_execz .LBB18_21
; %bb.23:                               ;   in Loop: Header=BB18_22 Depth=1
	global_load_sbyte v5, v3, s[4:5]
	s_waitcnt vmcnt(0)
	v_add_u32_e32 v5, 0x80, v5
	v_xor_b32_e32 v6, s9, v5
	v_and_b32_e32 v6, s11, v6
	v_cmp_eq_u32_e64 s[0:1], 0, v6
	s_and_b64 exec, exec, s[0:1]
	s_cbranch_execz .LBB18_21
; %bb.24:                               ;   in Loop: Header=BB18_22 Depth=1
	v_lshrrev_b32_e32 v5, s10, v5
	v_lshlrev_b32_e32 v5, 2, v5
	ds_add_u32 v5, v4
	s_branch .LBB18_21
.LBB18_25:
	v_mov_b32_e32 v2, 0
	s_waitcnt lgkmcnt(0)
	s_barrier
	s_and_saveexec_b64 s[0:1], vcc
	s_cbranch_execz .LBB18_27
; %bb.26:
	ds_read_b32 v2, v1
.LBB18_27:
	s_or_b64 exec, exec, s[0:1]
	s_and_saveexec_b64 s[0:1], vcc
	s_cbranch_execz .LBB18_29
; %bb.28:
	v_lshl_or_b32 v0, s16, 8, v0
	v_mov_b32_e32 v1, 0
	v_lshlrev_b64 v[0:1], 1, v[0:1]
	v_mov_b32_e32 v3, s3
	v_add_co_u32_e32 v0, vcc, s2, v0
	v_addc_co_u32_e32 v1, vcc, v3, v1, vcc
	s_waitcnt lgkmcnt(0)
	global_store_short v[0:1], v2, off
.LBB18_29:
	s_endpgm
	.section	.rodata,"a",@progbits
	.p2align	6, 0x0
	.amdhsa_kernel _ZN2at6native6mbtopk23computeBlockDigitCountsIajjLi2EEEvNS_4cuda6detail10TensorInfoIKT_T0_EEjPjjS8_iijT1_PSB_Ps
		.amdhsa_group_segment_fixed_size 1024
		.amdhsa_private_segment_fixed_size 0
		.amdhsa_kernarg_size 528
		.amdhsa_user_sgpr_count 6
		.amdhsa_user_sgpr_private_segment_buffer 1
		.amdhsa_user_sgpr_dispatch_ptr 0
		.amdhsa_user_sgpr_queue_ptr 0
		.amdhsa_user_sgpr_kernarg_segment_ptr 1
		.amdhsa_user_sgpr_dispatch_id 0
		.amdhsa_user_sgpr_flat_scratch_init 0
		.amdhsa_user_sgpr_kernarg_preload_length 0
		.amdhsa_user_sgpr_kernarg_preload_offset 0
		.amdhsa_user_sgpr_private_segment_size 0
		.amdhsa_uses_dynamic_stack 0
		.amdhsa_system_sgpr_private_segment_wavefront_offset 0
		.amdhsa_system_sgpr_workgroup_id_x 1
		.amdhsa_system_sgpr_workgroup_id_y 1
		.amdhsa_system_sgpr_workgroup_id_z 1
		.amdhsa_system_sgpr_workgroup_info 0
		.amdhsa_system_vgpr_workitem_id 0
		.amdhsa_next_free_vgpr 10
		.amdhsa_next_free_sgpr 24
		.amdhsa_accum_offset 12
		.amdhsa_reserve_vcc 1
		.amdhsa_reserve_flat_scratch 0
		.amdhsa_float_round_mode_32 0
		.amdhsa_float_round_mode_16_64 0
		.amdhsa_float_denorm_mode_32 3
		.amdhsa_float_denorm_mode_16_64 3
		.amdhsa_dx10_clamp 1
		.amdhsa_ieee_mode 1
		.amdhsa_fp16_overflow 0
		.amdhsa_tg_split 0
		.amdhsa_exception_fp_ieee_invalid_op 0
		.amdhsa_exception_fp_denorm_src 0
		.amdhsa_exception_fp_ieee_div_zero 0
		.amdhsa_exception_fp_ieee_overflow 0
		.amdhsa_exception_fp_ieee_underflow 0
		.amdhsa_exception_fp_ieee_inexact 0
		.amdhsa_exception_int_div_zero 0
	.end_amdhsa_kernel
	.section	.text._ZN2at6native6mbtopk23computeBlockDigitCountsIajjLi2EEEvNS_4cuda6detail10TensorInfoIKT_T0_EEjPjjS8_iijT1_PSB_Ps,"axG",@progbits,_ZN2at6native6mbtopk23computeBlockDigitCountsIajjLi2EEEvNS_4cuda6detail10TensorInfoIKT_T0_EEjPjjS8_iijT1_PSB_Ps,comdat
.Lfunc_end18:
	.size	_ZN2at6native6mbtopk23computeBlockDigitCountsIajjLi2EEEvNS_4cuda6detail10TensorInfoIKT_T0_EEjPjjS8_iijT1_PSB_Ps, .Lfunc_end18-_ZN2at6native6mbtopk23computeBlockDigitCountsIajjLi2EEEvNS_4cuda6detail10TensorInfoIKT_T0_EEjPjjS8_iijT1_PSB_Ps
                                        ; -- End function
	.section	.AMDGPU.csdata,"",@progbits
; Kernel info:
; codeLenInByte = 1168
; NumSgprs: 28
; NumVgprs: 10
; NumAgprs: 0
; TotalNumVgprs: 10
; ScratchSize: 0
; MemoryBound: 0
; FloatMode: 240
; IeeeMode: 1
; LDSByteSize: 1024 bytes/workgroup (compile time only)
; SGPRBlocks: 3
; VGPRBlocks: 1
; NumSGPRsForWavesPerEU: 28
; NumVGPRsForWavesPerEU: 10
; AccumOffset: 12
; Occupancy: 8
; WaveLimiterHint : 1
; COMPUTE_PGM_RSRC2:SCRATCH_EN: 0
; COMPUTE_PGM_RSRC2:USER_SGPR: 6
; COMPUTE_PGM_RSRC2:TRAP_HANDLER: 0
; COMPUTE_PGM_RSRC2:TGID_X_EN: 1
; COMPUTE_PGM_RSRC2:TGID_Y_EN: 1
; COMPUTE_PGM_RSRC2:TGID_Z_EN: 1
; COMPUTE_PGM_RSRC2:TIDIG_COMP_CNT: 0
; COMPUTE_PGM_RSRC3_GFX90A:ACCUM_OFFSET: 2
; COMPUTE_PGM_RSRC3_GFX90A:TG_SPLIT: 0
	.section	.text._ZN2at6native6mbtopk10gatherTopKIajLi2EEEvNS_4cuda6detail10TensorInfoIKT_T0_EES8_S8_bjS8_NS5_IS6_S8_EES8_NS5_IlS8_EES8_jjPS6_PjSD_j,"axG",@progbits,_ZN2at6native6mbtopk10gatherTopKIajLi2EEEvNS_4cuda6detail10TensorInfoIKT_T0_EES8_S8_bjS8_NS5_IS6_S8_EES8_NS5_IlS8_EES8_jjPS6_PjSD_j,comdat
	.protected	_ZN2at6native6mbtopk10gatherTopKIajLi2EEEvNS_4cuda6detail10TensorInfoIKT_T0_EES8_S8_bjS8_NS5_IS6_S8_EES8_NS5_IlS8_EES8_jjPS6_PjSD_j ; -- Begin function _ZN2at6native6mbtopk10gatherTopKIajLi2EEEvNS_4cuda6detail10TensorInfoIKT_T0_EES8_S8_bjS8_NS5_IS6_S8_EES8_NS5_IlS8_EES8_jjPS6_PjSD_j
	.globl	_ZN2at6native6mbtopk10gatherTopKIajLi2EEEvNS_4cuda6detail10TensorInfoIKT_T0_EES8_S8_bjS8_NS5_IS6_S8_EES8_NS5_IlS8_EES8_jjPS6_PjSD_j
	.p2align	8
	.type	_ZN2at6native6mbtopk10gatherTopKIajLi2EEEvNS_4cuda6detail10TensorInfoIKT_T0_EES8_S8_bjS8_NS5_IS6_S8_EES8_NS5_IlS8_EES8_jjPS6_PjSD_j,@function
_ZN2at6native6mbtopk10gatherTopKIajLi2EEEvNS_4cuda6detail10TensorInfoIKT_T0_EES8_S8_bjS8_NS5_IS6_S8_EES8_NS5_IlS8_EES8_jjPS6_PjSD_j: ; @_ZN2at6native6mbtopk10gatherTopKIajLi2EEEvNS_4cuda6detail10TensorInfoIKT_T0_EES8_S8_bjS8_NS5_IS6_S8_EES8_NS5_IlS8_EES8_jjPS6_PjSD_j
; %bb.0:
	s_load_dwordx2 s[0:1], s[4:5], 0x2d8
	s_load_dword s2, s[4:5], 0x2d0
	s_waitcnt lgkmcnt(0)
	s_mul_i32 s1, s1, s8
	s_add_i32 s1, s1, s7
	s_mul_i32 s0, s1, s0
	s_add_i32 s0, s0, s6
	s_cmp_ge_u32 s0, s2
	s_cbranch_scc1 .LBB19_40
; %bb.1:
	s_load_dwordx8 s[8:15], s[4:5], 0x2a8
	s_load_dword s41, s[4:5], 0xc
	s_waitcnt lgkmcnt(0)
	v_cvt_f32_u32_e32 v1, s10
	s_sub_i32 s1, 0, s10
	v_rcp_iflag_f32_e32 v1, v1
	v_mul_f32_e32 v1, 0x4f7ffffe, v1
	v_cvt_u32_f32_e32 v1, v1
	v_readfirstlane_b32 s2, v1
	s_mul_i32 s1, s1, s2
	s_mul_hi_u32 s1, s2, s1
	s_add_i32 s2, s2, s1
	s_mul_hi_u32 s1, s0, s2
	s_mul_i32 s2, s1, s10
	s_sub_i32 s2, s0, s2
	s_add_i32 s3, s1, 1
	s_sub_i32 s6, s2, s10
	s_cmp_ge_u32 s2, s10
	s_cselect_b32 s1, s3, s1
	s_cselect_b32 s2, s6, s2
	s_add_i32 s3, s1, 1
	s_cmp_ge_u32 s2, s10
	s_cselect_b32 s11, s3, s1
	v_mov_b32_e32 v1, s11
	global_load_ubyte v5, v1, s[12:13]
	v_cvt_f32_u32_e32 v1, s41
	s_load_dwordx2 s[20:21], s[4:5], 0xf0
	s_load_dwordx2 s[28:29], s[4:5], 0x6c
	;; [unrolled: 1-line block ×4, first 2 shown]
	s_load_dword s33, s[4:5], 0x1dc
	s_load_dwordx2 s[6:7], s[4:5], 0x1d0
	s_load_dwordx2 s[26:27], s[4:5], 0x15c
	s_load_dword s40, s[4:5], 0xfc
	s_mul_i32 s12, s11, s10
	v_rcp_iflag_f32_e32 v1, v1
	s_sub_i32 s45, s0, s12
	s_sub_i32 s0, 0, s41
	s_waitcnt lgkmcnt(0)
	v_cvt_f32_u32_e32 v2, s40
	v_mul_f32_e32 v1, 0x4f7ffffe, v1
	v_cvt_u32_f32_e32 v1, v1
	s_mov_b32 s13, 0
	v_cmp_eq_u32_e64 s[2:3], 0, v0
	v_readfirstlane_b32 s1, v1
	v_rcp_iflag_f32_e32 v1, v2
	v_cvt_f32_u32_e32 v2, s33
	s_mul_i32 s0, s0, s1
	s_mul_hi_u32 s0, s1, s0
	v_mul_f32_e32 v1, 0x4f7ffffe, v1
	v_cvt_u32_f32_e32 v1, v1
	v_rcp_iflag_f32_e32 v2, v2
	s_add_i32 s1, s1, s0
	s_mul_hi_u32 s44, s11, s1
	v_readfirstlane_b32 s1, v1
	v_mul_f32_e32 v1, 0x4f7ffffe, v2
	s_sub_i32 s0, 0, s40
	v_cvt_u32_f32_e32 v1, v1
	s_mul_i32 s0, s0, s1
	s_mul_hi_u32 s0, s1, s0
	s_add_i32 s1, s1, s0
	s_mul_hi_u32 s43, s11, s1
	s_sub_i32 s0, 0, s33
	v_readfirstlane_b32 s1, v1
	s_mul_i32 s0, s0, s1
	s_mul_hi_u32 s0, s1, s0
	s_add_i32 s1, s1, s0
	s_mul_hi_u32 s42, s11, s1
	v_cmp_ne_u32_e64 s[0:1], 0, v0
	s_and_saveexec_b64 s[30:31], s[2:3]
	s_cbranch_execz .LBB19_17
; %bb.2:
	s_load_dwordx2 s[34:35], s[4:5], 0x2c8
	s_lshl_b64 s[36:37], s[12:13], 2
	s_add_u32 s16, s14, s36
	s_addc_u32 s17, s15, s37
	s_mov_b32 s12, 0
	s_waitcnt lgkmcnt(0)
	s_add_u32 s18, s34, s36
	s_addc_u32 s19, s35, s37
	s_mov_b32 s46, 0
	s_cmp_lt_u32 s10, 4
	s_cbranch_scc1 .LBB19_14
; %bb.3:
	s_mov_b32 s47, 0
.LBB19_4:                               ; =>This Inner Loop Header: Depth=1
	s_add_u32 s16, s14, s36
	s_addc_u32 s17, s15, s37
	s_load_dwordx4 s[16:19], s[16:17], 0x0
	s_add_u32 s38, s34, s36
	s_addc_u32 s39, s35, s37
	s_cmp_ge_u32 s47, s45
	s_cbranch_scc0 .LBB19_11
; %bb.5:                                ;   in Loop: Header=BB19_4 Depth=1
	s_add_i32 s48, s47, 1
	s_cmp_ge_u32 s48, s45
	s_cbranch_scc0 .LBB19_12
.LBB19_6:                               ;   in Loop: Header=BB19_4 Depth=1
	s_add_i32 s48, s48, 1
	s_cmp_ge_u32 s48, s45
	s_cbranch_scc0 .LBB19_13
.LBB19_7:                               ;   in Loop: Header=BB19_4 Depth=1
	s_add_i32 s48, s48, 1
	s_cmp_ge_u32 s48, s45
	s_cbranch_scc1 .LBB19_9
.LBB19_8:                               ;   in Loop: Header=BB19_4 Depth=1
	s_load_dword s38, s[38:39], 0xc
	s_waitcnt lgkmcnt(0)
	s_add_i32 s13, s13, s19
	s_add_i32 s12, s38, s12
.LBB19_9:                               ;   in Loop: Header=BB19_4 Depth=1
	s_waitcnt lgkmcnt(0)
	s_add_i32 s16, s16, s46
	s_add_i32 s16, s16, s17
	;; [unrolled: 1-line block ×4, first 2 shown]
	s_add_u32 s14, s14, 16
	s_addc_u32 s15, s15, 0
	s_add_u32 s34, s34, 16
	s_addc_u32 s35, s35, 0
	s_add_i32 s39, s48, 4
	s_add_u32 s18, s34, s36
	s_addc_u32 s19, s35, s37
	s_add_u32 s16, s14, s36
	s_addc_u32 s17, s15, s37
	s_add_i32 s38, s48, 1
	s_cmp_ge_u32 s39, s10
	s_cbranch_scc1 .LBB19_15
; %bb.10:                               ;   in Loop: Header=BB19_4 Depth=1
	s_mov_b32 s47, s38
	s_branch .LBB19_4
.LBB19_11:                              ;   in Loop: Header=BB19_4 Depth=1
	s_load_dword s48, s[38:39], 0x0
	s_waitcnt lgkmcnt(0)
	s_add_i32 s13, s16, s13
	s_add_i32 s12, s48, s12
	;; [unrolled: 1-line block ×3, first 2 shown]
	s_cmp_ge_u32 s48, s45
	s_cbranch_scc1 .LBB19_6
.LBB19_12:                              ;   in Loop: Header=BB19_4 Depth=1
	s_load_dword s49, s[38:39], 0x4
	s_waitcnt lgkmcnt(0)
	s_add_i32 s13, s13, s17
	s_add_i32 s12, s49, s12
	;; [unrolled: 1-line block ×3, first 2 shown]
	s_cmp_ge_u32 s48, s45
	s_cbranch_scc1 .LBB19_7
.LBB19_13:                              ;   in Loop: Header=BB19_4 Depth=1
	s_load_dword s49, s[38:39], 0x8
	s_waitcnt lgkmcnt(0)
	s_add_i32 s13, s13, s18
	s_add_i32 s12, s49, s12
	;; [unrolled: 1-line block ×3, first 2 shown]
	s_cmp_ge_u32 s48, s45
	s_cbranch_scc0 .LBB19_8
	s_branch .LBB19_9
.LBB19_14:
	s_mov_b32 s14, 0
	s_cmp_ge_u32 s14, s10
	s_cbranch_scc0 .LBB19_38
	s_branch .LBB19_16
.LBB19_15:
	s_add_i32 s14, s47, 4
	s_cmp_ge_u32 s14, s10
	s_cbranch_scc0 .LBB19_38
.LBB19_16:
	v_mov_b32_e32 v2, s12
	v_mov_b32_e32 v3, s46
	;; [unrolled: 1-line block ×4, first 2 shown]
	ds_write_b96 v1, v[2:4] offset:1056
.LBB19_17:
	s_or_b64 exec, exec, s[30:31]
	s_load_dwordx4 s[12:15], s[4:5], 0xd8
	s_waitcnt lgkmcnt(0)
	s_mul_i32 s15, s9, s45
	s_lshl_b32 s15, s15, 8
	s_add_i32 s16, s45, 1
	s_mov_b32 s19, 0
	s_sub_i32 s17, s12, s15
	s_add_u32 s17, s17, 0xff
	s_addc_u32 s18, 0, 0
	v_mov_b32_e32 v1, s17
	v_alignbit_b32 v1, s18, v1, 8
	s_cmp_lt_u32 s16, s10
	v_readfirstlane_b32 s10, v1
	s_cselect_b32 s9, s9, s10
	s_cmp_eq_u32 s9, 0
	s_barrier
	s_cbranch_scc1 .LBB19_40
; %bb.18:
	s_mul_i32 s10, s44, s41
	s_sub_i32 s10, s11, s10
	s_add_i32 s16, s44, 1
	s_sub_i32 s17, s10, s41
	s_cmp_ge_u32 s10, s41
	s_cselect_b32 s16, s16, s44
	s_cselect_b32 s10, s17, s10
	s_add_i32 s17, s16, 1
	s_cmp_ge_u32 s10, s41
	s_cselect_b32 s10, s17, s16
	s_mul_i32 s16, s10, s41
	s_sub_i32 s16, s11, s16
	s_mul_i32 s16, s16, s29
	s_mul_i32 s10, s10, s28
	s_add_i32 s10, s10, s16
	s_mul_i32 s16, s43, s40
	s_sub_i32 s16, s11, s16
	s_add_i32 s17, s43, 1
	s_sub_i32 s18, s16, s40
	s_cmp_ge_u32 s16, s40
	s_cselect_b32 s17, s17, s43
	s_cselect_b32 s16, s18, s16
	s_add_i32 s18, s17, 1
	s_cmp_ge_u32 s16, s40
	s_cselect_b32 s16, s18, s17
	s_mul_i32 s17, s16, s40
	s_sub_i32 s17, s11, s17
	s_mul_i32 s17, s17, s27
	s_mul_i32 s16, s16, s26
	s_add_i32 s16, s16, s17
	;; [unrolled: 15-line block ×3, first 2 shown]
	s_add_u32 s10, s22, s10
	s_addc_u32 s11, s23, 0
	s_add_u32 s16, s20, s16
	v_mov_b32_e32 v1, 0
	s_addc_u32 s17, s21, 0
	s_lshl_b64 s[18:19], s[18:19], 3
	ds_read_b96 v[2:4], v1 offset:1056
	s_add_u32 s18, s6, s18
	s_addc_u32 s19, s7, s19
	s_bitcmp1_b32 s14, 0
	s_load_dword s14, s[4:5], 0xe8
	s_load_dword s21, s[4:5], 0x1c8
	v_lshlrev_b32_e32 v7, 2, v0
	v_lshrrev_b32_e32 v8, 3, v0
	s_waitcnt lgkmcnt(0)
	v_add_u32_e32 v2, v2, v3
	v_lshrrev_b32_e32 v3, 5, v0
	v_add_lshl_u32 v7, v8, v7, 2
	v_add_u32_e32 v8, -1, v0
	v_mbcnt_lo_u32_b32 v10, -1, 0
	s_movk_i32 s20, 0x80
	v_add_lshl_u32 v3, v3, v0, 2
	v_cmp_gt_u32_e64 s[4:5], 64, v0
	v_lshrrev_b32_e32 v9, 5, v8
	v_add_u32_e32 v0, s15, v0
	v_mbcnt_hi_u32_b32 v10, -1, v10
	s_waitcnt vmcnt(0)
	v_add_u32_sdwa v6, sext(v5), s20 dst_sel:DWORD dst_unused:UNUSED_PAD src0_sel:BYTE_0 src1_sel:DWORD
	s_cselect_b64 s[6:7], -1, 0
	v_add_lshl_u32 v8, v9, v8, 2
	v_mul_lo_u32 v9, s14, v0
	s_lshl_b32 s22, s14, 8
	v_and_b32_e32 v11, 15, v10
	v_bfe_i32 v12, v10, 4, 1
	v_add_u32_e32 v13, -1, v10
	v_and_b32_e32 v14, 64, v10
                                        ; implicit-def: $vgpr15
	s_branch .LBB19_21
.LBB19_19:                              ;   in Loop: Header=BB19_21 Depth=1
	s_or_b64 exec, exec, s[14:15]
	v_add_u32_e32 v2, v18, v2
.LBB19_20:                              ;   in Loop: Header=BB19_21 Depth=1
	s_add_i32 s9, s9, -1
	v_add_u32_e32 v4, v17, v4
	v_add_u32_e32 v9, s22, v9
	s_cmp_lg_u32 s9, 0
	v_add_u32_e32 v0, 0x100, v0
	s_cbranch_scc0 .LBB19_40
.LBB19_21:                              ; =>This Inner Loop Header: Depth=1
	v_cmp_gt_u32_e32 vcc, s12, v0
	v_mov_b32_e32 v18, 0
	v_mov_b32_e32 v16, 0
	s_and_saveexec_b64 s[14:15], vcc
	s_cbranch_execz .LBB19_23
; %bb.22:                               ;   in Loop: Header=BB19_21 Depth=1
	global_load_ubyte v15, v9, s[10:11]
	s_waitcnt vmcnt(0)
	v_add_u32_sdwa v16, sext(v15), s20 dst_sel:DWORD dst_unused:UNUSED_PAD src0_sel:BYTE_0 src1_sel:DWORD
	v_cmp_gt_u32_e32 vcc, v16, v6
	v_cndmask_b32_e64 v17, 0, 1, vcc
	v_cmp_lt_u32_e32 vcc, v16, v6
	v_cndmask_b32_e64 v16, 0, 1, vcc
	v_cndmask_b32_e64 v16, v16, v17, s[6:7]
	v_cmp_eq_u16_sdwa s[24:25], v15, v5 src0_sel:DWORD src1_sel:BYTE_0
	v_and_b32_e32 v18, 1, v16
	v_cndmask_b32_e64 v16, 0, 1, s[24:25]
.LBB19_23:                              ;   in Loop: Header=BB19_21 Depth=1
	s_or_b64 exec, exec, s[14:15]
	ds_write_b32 v3, v18
	s_waitcnt lgkmcnt(0)
	s_barrier
	s_and_saveexec_b64 s[14:15], s[4:5]
	s_cbranch_execz .LBB19_25
; %bb.24:                               ;   in Loop: Header=BB19_21 Depth=1
	ds_read2_b32 v[20:21], v7 offset1:1
	ds_read2_b32 v[22:23], v7 offset0:2 offset1:3
	v_cmp_ne_u32_e32 vcc, 0, v11
	; wave barrier
	s_waitcnt lgkmcnt(1)
	v_add_u32_e32 v17, v21, v20
	s_waitcnt lgkmcnt(0)
	v_add3_u32 v17, v17, v22, v23
	s_nop 1
	v_mov_b32_dpp v19, v17 row_shr:1 row_mask:0xf bank_mask:0xf
	v_cndmask_b32_e32 v19, 0, v19, vcc
	v_add_u32_e32 v17, v19, v17
	v_cmp_lt_u32_e32 vcc, 1, v11
	s_nop 0
	v_mov_b32_dpp v19, v17 row_shr:2 row_mask:0xf bank_mask:0xf
	v_cndmask_b32_e32 v19, 0, v19, vcc
	v_add_u32_e32 v17, v17, v19
	v_cmp_lt_u32_e32 vcc, 3, v11
	;; [unrolled: 5-line block ×4, first 2 shown]
	s_nop 0
	v_mov_b32_dpp v19, v17 row_bcast:15 row_mask:0xf bank_mask:0xf
	v_and_b32_e32 v19, v12, v19
	v_add_u32_e32 v17, v17, v19
	s_nop 1
	v_mov_b32_dpp v19, v17 row_bcast:31 row_mask:0xf bank_mask:0xf
	v_cndmask_b32_e32 v19, 0, v19, vcc
	v_cmp_lt_i32_e32 vcc, v13, v14
	v_add_u32_e32 v17, v17, v19
	v_cndmask_b32_e32 v19, v13, v10, vcc
	v_lshlrev_b32_e32 v19, 2, v19
	ds_bpermute_b32 v17, v19, v17
	s_waitcnt lgkmcnt(0)
	v_add_u32_e32 v17, v17, v20
	v_cndmask_b32_e64 v17, v17, v18, s[2:3]
	ds_write_b32 v7, v17
	; wave barrier
	ds_read2_b32 v[20:21], v7 offset0:1 offset1:2
	ds_read_b32 v19, v7 offset:12
	s_waitcnt lgkmcnt(1)
	v_add_u32_e32 v17, v20, v17
	v_add_u32_e32 v20, v21, v17
	ds_write2_b32 v7, v17, v20 offset0:1 offset1:2
	s_waitcnt lgkmcnt(1)
	v_add_u32_e32 v17, v19, v20
	ds_write_b32 v7, v17 offset:12
.LBB19_25:                              ;   in Loop: Header=BB19_21 Depth=1
	s_or_b64 exec, exec, s[14:15]
	v_mov_b32_e32 v19, 0
	s_waitcnt lgkmcnt(0)
	s_barrier
	s_and_saveexec_b64 s[14:15], s[0:1]
	s_cbranch_execz .LBB19_27
; %bb.26:                               ;   in Loop: Header=BB19_21 Depth=1
	ds_read_b32 v19, v8
.LBB19_27:                              ;   in Loop: Header=BB19_21 Depth=1
	s_or_b64 exec, exec, s[14:15]
	ds_read_b32 v17, v1 offset:1048
	v_cmp_ne_u32_e32 vcc, 0, v18
	s_waitcnt lgkmcnt(0)
	s_barrier
	s_and_saveexec_b64 s[14:15], vcc
	s_cbranch_execz .LBB19_29
; %bb.28:                               ;   in Loop: Header=BB19_21 Depth=1
	v_add_u32_e32 v18, v19, v4
	v_mul_lo_u32 v19, v18, s21
	global_store_byte v19, v15, s[16:17]
	v_mul_lo_u32 v18, v18, s8
	v_mov_b32_e32 v19, v1
	v_lshlrev_b64 v[18:19], 3, v[18:19]
	v_mov_b32_e32 v20, s19
	v_add_co_u32_e32 v18, vcc, s18, v18
	v_addc_co_u32_e32 v19, vcc, v20, v19, vcc
	global_store_dwordx2 v[18:19], v[0:1], off
.LBB19_29:                              ;   in Loop: Header=BB19_21 Depth=1
	s_or_b64 exec, exec, s[14:15]
	v_cmp_le_u32_e32 vcc, s13, v2
	s_cbranch_vccnz .LBB19_20
; %bb.30:                               ;   in Loop: Header=BB19_21 Depth=1
	ds_write_b32 v3, v16
	s_waitcnt lgkmcnt(0)
	s_barrier
	s_and_saveexec_b64 s[14:15], s[4:5]
	s_cbranch_execz .LBB19_32
; %bb.31:                               ;   in Loop: Header=BB19_21 Depth=1
	ds_read2_b32 v[18:19], v7 offset1:1
	ds_read2_b32 v[20:21], v7 offset0:2 offset1:3
	v_cmp_ne_u32_e32 vcc, 0, v11
	; wave barrier
	s_waitcnt lgkmcnt(1)
	v_add_u32_e32 v19, v19, v18
	s_waitcnt lgkmcnt(0)
	v_add3_u32 v19, v19, v20, v21
	s_nop 1
	v_mov_b32_dpp v20, v19 row_shr:1 row_mask:0xf bank_mask:0xf
	v_cndmask_b32_e32 v20, 0, v20, vcc
	v_add_u32_e32 v19, v20, v19
	v_cmp_lt_u32_e32 vcc, 1, v11
	s_nop 0
	v_mov_b32_dpp v20, v19 row_shr:2 row_mask:0xf bank_mask:0xf
	v_cndmask_b32_e32 v20, 0, v20, vcc
	v_add_u32_e32 v19, v19, v20
	v_cmp_lt_u32_e32 vcc, 3, v11
	;; [unrolled: 5-line block ×4, first 2 shown]
	s_nop 0
	v_mov_b32_dpp v20, v19 row_bcast:15 row_mask:0xf bank_mask:0xf
	v_and_b32_e32 v20, v12, v20
	v_add_u32_e32 v19, v19, v20
	s_nop 1
	v_mov_b32_dpp v20, v19 row_bcast:31 row_mask:0xf bank_mask:0xf
	v_cndmask_b32_e32 v20, 0, v20, vcc
	v_cmp_lt_i32_e32 vcc, v13, v14
	v_add_u32_e32 v19, v19, v20
	v_cndmask_b32_e32 v20, v13, v10, vcc
	v_lshlrev_b32_e32 v20, 2, v20
	ds_bpermute_b32 v19, v20, v19
	s_waitcnt lgkmcnt(0)
	v_add_u32_e32 v18, v19, v18
	v_cndmask_b32_e64 v20, v18, v16, s[2:3]
	ds_write_b32 v7, v20
	; wave barrier
	ds_read2_b32 v[18:19], v7 offset0:1 offset1:2
	ds_read_b32 v21, v7 offset:12
	s_waitcnt lgkmcnt(1)
	v_add_u32_e32 v18, v18, v20
	v_add_u32_e32 v19, v19, v18
	ds_write2_b32 v7, v18, v19 offset0:1 offset1:2
	s_waitcnt lgkmcnt(1)
	v_add_u32_e32 v18, v21, v19
	ds_write_b32 v7, v18 offset:12
.LBB19_32:                              ;   in Loop: Header=BB19_21 Depth=1
	s_or_b64 exec, exec, s[14:15]
	v_mov_b32_e32 v19, 0
	s_waitcnt lgkmcnt(0)
	s_barrier
	s_and_saveexec_b64 s[14:15], s[0:1]
	s_cbranch_execz .LBB19_34
; %bb.33:                               ;   in Loop: Header=BB19_21 Depth=1
	ds_read_b32 v19, v8
.LBB19_34:                              ;   in Loop: Header=BB19_21 Depth=1
	s_or_b64 exec, exec, s[14:15]
	ds_read_b32 v18, v1 offset:1048
	v_cmp_ne_u32_e32 vcc, 0, v16
	s_waitcnt lgkmcnt(0)
	s_barrier
	s_and_saveexec_b64 s[14:15], vcc
	s_cbranch_execz .LBB19_19
; %bb.35:                               ;   in Loop: Header=BB19_21 Depth=1
	v_add_u32_e32 v16, v19, v2
	v_cmp_gt_u32_e32 vcc, s13, v16
	s_and_b64 exec, exec, vcc
	s_cbranch_execz .LBB19_19
; %bb.36:                               ;   in Loop: Header=BB19_21 Depth=1
	v_mul_lo_u32 v20, v16, s8
	v_mov_b32_e32 v21, v1
	v_lshlrev_b64 v[20:21], 3, v[20:21]
	v_mul_lo_u32 v19, v16, s21
	v_mov_b32_e32 v16, s19
	v_add_co_u32_e32 v20, vcc, s18, v20
	v_addc_co_u32_e32 v21, vcc, v16, v21, vcc
	global_store_byte v19, v15, s[16:17]
	global_store_dwordx2 v[20:21], v[0:1], off
	s_branch .LBB19_19
.LBB19_37:                              ;   in Loop: Header=BB19_38 Depth=1
	s_add_u32 s16, s16, 4
	s_addc_u32 s17, s17, 0
	s_waitcnt lgkmcnt(0)
	s_add_i32 s46, s15, s46
	s_add_u32 s18, s18, 4
	s_addc_u32 s19, s19, 0
	s_add_i32 s14, s14, 1
	s_cmp_lt_u32 s14, s10
	s_cbranch_scc0 .LBB19_16
.LBB19_38:                              ; =>This Inner Loop Header: Depth=1
	s_load_dword s15, s[16:17], 0x0
	s_cmp_ge_u32 s14, s45
	s_cbranch_scc1 .LBB19_37
; %bb.39:                               ;   in Loop: Header=BB19_38 Depth=1
	s_load_dword s34, s[18:19], 0x0
	s_waitcnt lgkmcnt(0)
	s_add_i32 s13, s15, s13
	s_add_i32 s12, s34, s12
	s_branch .LBB19_37
.LBB19_40:
	s_endpgm
	.section	.rodata,"a",@progbits
	.p2align	6, 0x0
	.amdhsa_kernel _ZN2at6native6mbtopk10gatherTopKIajLi2EEEvNS_4cuda6detail10TensorInfoIKT_T0_EES8_S8_bjS8_NS5_IS6_S8_EES8_NS5_IlS8_EES8_jjPS6_PjSD_j
		.amdhsa_group_segment_fixed_size 1068
		.amdhsa_private_segment_fixed_size 0
		.amdhsa_kernarg_size 984
		.amdhsa_user_sgpr_count 6
		.amdhsa_user_sgpr_private_segment_buffer 1
		.amdhsa_user_sgpr_dispatch_ptr 0
		.amdhsa_user_sgpr_queue_ptr 0
		.amdhsa_user_sgpr_kernarg_segment_ptr 1
		.amdhsa_user_sgpr_dispatch_id 0
		.amdhsa_user_sgpr_flat_scratch_init 0
		.amdhsa_user_sgpr_kernarg_preload_length 0
		.amdhsa_user_sgpr_kernarg_preload_offset 0
		.amdhsa_user_sgpr_private_segment_size 0
		.amdhsa_uses_dynamic_stack 0
		.amdhsa_system_sgpr_private_segment_wavefront_offset 0
		.amdhsa_system_sgpr_workgroup_id_x 1
		.amdhsa_system_sgpr_workgroup_id_y 1
		.amdhsa_system_sgpr_workgroup_id_z 1
		.amdhsa_system_sgpr_workgroup_info 0
		.amdhsa_system_vgpr_workitem_id 0
		.amdhsa_next_free_vgpr 24
		.amdhsa_next_free_sgpr 50
		.amdhsa_accum_offset 24
		.amdhsa_reserve_vcc 1
		.amdhsa_reserve_flat_scratch 0
		.amdhsa_float_round_mode_32 0
		.amdhsa_float_round_mode_16_64 0
		.amdhsa_float_denorm_mode_32 3
		.amdhsa_float_denorm_mode_16_64 3
		.amdhsa_dx10_clamp 1
		.amdhsa_ieee_mode 1
		.amdhsa_fp16_overflow 0
		.amdhsa_tg_split 0
		.amdhsa_exception_fp_ieee_invalid_op 0
		.amdhsa_exception_fp_denorm_src 0
		.amdhsa_exception_fp_ieee_div_zero 0
		.amdhsa_exception_fp_ieee_overflow 0
		.amdhsa_exception_fp_ieee_underflow 0
		.amdhsa_exception_fp_ieee_inexact 0
		.amdhsa_exception_int_div_zero 0
	.end_amdhsa_kernel
	.section	.text._ZN2at6native6mbtopk10gatherTopKIajLi2EEEvNS_4cuda6detail10TensorInfoIKT_T0_EES8_S8_bjS8_NS5_IS6_S8_EES8_NS5_IlS8_EES8_jjPS6_PjSD_j,"axG",@progbits,_ZN2at6native6mbtopk10gatherTopKIajLi2EEEvNS_4cuda6detail10TensorInfoIKT_T0_EES8_S8_bjS8_NS5_IS6_S8_EES8_NS5_IlS8_EES8_jjPS6_PjSD_j,comdat
.Lfunc_end19:
	.size	_ZN2at6native6mbtopk10gatherTopKIajLi2EEEvNS_4cuda6detail10TensorInfoIKT_T0_EES8_S8_bjS8_NS5_IS6_S8_EES8_NS5_IlS8_EES8_jjPS6_PjSD_j, .Lfunc_end19-_ZN2at6native6mbtopk10gatherTopKIajLi2EEEvNS_4cuda6detail10TensorInfoIKT_T0_EES8_S8_bjS8_NS5_IS6_S8_EES8_NS5_IlS8_EES8_jjPS6_PjSD_j
                                        ; -- End function
	.section	.AMDGPU.csdata,"",@progbits
; Kernel info:
; codeLenInByte = 2304
; NumSgprs: 54
; NumVgprs: 24
; NumAgprs: 0
; TotalNumVgprs: 24
; ScratchSize: 0
; MemoryBound: 0
; FloatMode: 240
; IeeeMode: 1
; LDSByteSize: 1068 bytes/workgroup (compile time only)
; SGPRBlocks: 6
; VGPRBlocks: 2
; NumSGPRsForWavesPerEU: 54
; NumVGPRsForWavesPerEU: 24
; AccumOffset: 24
; Occupancy: 8
; WaveLimiterHint : 1
; COMPUTE_PGM_RSRC2:SCRATCH_EN: 0
; COMPUTE_PGM_RSRC2:USER_SGPR: 6
; COMPUTE_PGM_RSRC2:TRAP_HANDLER: 0
; COMPUTE_PGM_RSRC2:TGID_X_EN: 1
; COMPUTE_PGM_RSRC2:TGID_Y_EN: 1
; COMPUTE_PGM_RSRC2:TGID_Z_EN: 1
; COMPUTE_PGM_RSRC2:TIDIG_COMP_CNT: 0
; COMPUTE_PGM_RSRC3_GFX90A:ACCUM_OFFSET: 5
; COMPUTE_PGM_RSRC3_GFX90A:TG_SPLIT: 0
	.section	.text._ZN2at6native6sbtopk10gatherTopKIajLi2ELb0EEEvNS_4cuda6detail10TensorInfoIKT_T0_EES8_S8_bS8_S8_NS5_IS6_S8_EES8_NS5_IlS8_EES8_PS6_,"axG",@progbits,_ZN2at6native6sbtopk10gatherTopKIajLi2ELb0EEEvNS_4cuda6detail10TensorInfoIKT_T0_EES8_S8_bS8_S8_NS5_IS6_S8_EES8_NS5_IlS8_EES8_PS6_,comdat
	.protected	_ZN2at6native6sbtopk10gatherTopKIajLi2ELb0EEEvNS_4cuda6detail10TensorInfoIKT_T0_EES8_S8_bS8_S8_NS5_IS6_S8_EES8_NS5_IlS8_EES8_PS6_ ; -- Begin function _ZN2at6native6sbtopk10gatherTopKIajLi2ELb0EEEvNS_4cuda6detail10TensorInfoIKT_T0_EES8_S8_bS8_S8_NS5_IS6_S8_EES8_NS5_IlS8_EES8_PS6_
	.globl	_ZN2at6native6sbtopk10gatherTopKIajLi2ELb0EEEvNS_4cuda6detail10TensorInfoIKT_T0_EES8_S8_bS8_S8_NS5_IS6_S8_EES8_NS5_IlS8_EES8_PS6_
	.p2align	8
	.type	_ZN2at6native6sbtopk10gatherTopKIajLi2ELb0EEEvNS_4cuda6detail10TensorInfoIKT_T0_EES8_S8_bS8_S8_NS5_IS6_S8_EES8_NS5_IlS8_EES8_PS6_,@function
_ZN2at6native6sbtopk10gatherTopKIajLi2ELb0EEEvNS_4cuda6detail10TensorInfoIKT_T0_EES8_S8_bS8_S8_NS5_IS6_S8_EES8_NS5_IlS8_EES8_PS6_: ; @_ZN2at6native6sbtopk10gatherTopKIajLi2ELb0EEEvNS_4cuda6detail10TensorInfoIKT_T0_EES8_S8_bS8_S8_NS5_IS6_S8_EES8_NS5_IlS8_EES8_PS6_
; %bb.0:
	s_load_dwordx2 s[10:11], s[4:5], 0x2b8
	s_load_dwordx4 s[60:63], s[4:5], 0xd8
	s_add_u32 s2, s4, 0x2b8
	s_addc_u32 s3, s5, 0
	s_waitcnt lgkmcnt(0)
	s_mul_i32 s0, s11, s8
	s_add_i32 s0, s0, s7
	s_mul_i32 s0, s0, s10
	s_add_i32 s17, s0, s6
	s_cmp_ge_u32 s17, s63
	s_cbranch_scc1 .LBB20_411
; %bb.1:
	s_load_dwordx2 s[8:9], s[4:5], 0x1d0
                                        ; implicit-def: $vgpr47 : SGPR spill to VGPR lane
	s_load_dword s11, s[4:5], 0xc
	s_load_dword s16, s[4:5], 0xe8
	s_load_dwordx2 s[12:13], s[4:5], 0x6c
	s_load_dwordx2 s[0:1], s[4:5], 0x0
	s_load_dword s14, s[4:5], 0xfc
	s_waitcnt lgkmcnt(0)
	v_cvt_f32_u32_e32 v1, s11
	v_writelane_b32 v47, s8, 0
	v_writelane_b32 v47, s9, 1
	s_load_dwordx2 s[8:9], s[4:5], 0x15c
	v_rcp_iflag_f32_e32 v1, v1
	v_cvt_f32_u32_e32 v2, s14
	s_waitcnt lgkmcnt(0)
	v_writelane_b32 v47, s8, 2
	v_writelane_b32 v47, s9, 3
	s_load_dwordx2 s[8:9], s[4:5], 0x23c
	v_mul_f32_e32 v1, 0x4f7ffffe, v1
	v_cvt_u32_f32_e32 v1, v1
	v_rcp_iflag_f32_e32 v2, v2
	s_waitcnt lgkmcnt(0)
	v_writelane_b32 v47, s8, 4
	v_writelane_b32 v47, s9, 5
	s_load_dword s9, s[4:5], 0x1dc
	v_writelane_b32 v47, s4, 6
	v_writelane_b32 v47, s5, 7
	s_load_dwordx2 s[4:5], s[4:5], 0xf0
	v_readfirstlane_b32 s7, v1
	v_mul_f32_e32 v1, 0x4f7ffffe, v2
	s_waitcnt lgkmcnt(0)
	v_cvt_f32_u32_e32 v2, s9
	v_cvt_u32_f32_e32 v1, v1
	v_writelane_b32 v47, s4, 8
	v_writelane_b32 v47, s5, 9
	s_mov_b32 s4, 0
	v_writelane_b32 v47, s4, 10
	v_rcp_iflag_f32_e32 v2, v2
	v_writelane_b32 v47, s5, 11
	s_sub_i32 s5, 0, s11
	s_mul_i32 s5, s5, s7
	s_mul_hi_u32 s5, s7, s5
	s_add_i32 s7, s7, s5
	v_readfirstlane_b32 s8, v1
	v_mul_f32_e32 v1, 0x4f7ffffe, v2
	s_mul_hi_u32 s5, s17, s7
	s_sub_i32 s7, 0, s14
	v_cvt_u32_f32_e32 v1, v1
	s_mul_i32 s7, s7, s8
	s_mul_hi_u32 s7, s8, s7
	s_add_i32 s8, s8, s7
	s_mul_hi_u32 s4, s17, s8
	s_sub_i32 s7, 0, s9
	v_readfirstlane_b32 s8, v1
	s_mul_i32 s7, s7, s8
	v_writelane_b32 v47, s14, 12
	s_mul_hi_u32 s7, s8, s7
	v_writelane_b32 v47, s4, 13
	s_add_i32 s8, s8, s7
	v_writelane_b32 v47, s9, 14
	s_mul_hi_u32 s4, s17, s8
	v_writelane_b32 v47, s4, 15
	v_cmp_eq_u32_e64 s[8:9], 0, v0
	s_mov_b64 s[14:15], exec
	v_writelane_b32 v47, s8, 16
	v_writelane_b32 v47, s9, 17
	s_and_b64 s[8:9], s[14:15], s[8:9]
	s_mov_b64 exec, s[8:9]
	s_cbranch_execz .LBB20_3
; %bb.2:
	v_mov_b32_e32 v2, 0
	v_mov_b32_e32 v3, s60
	;; [unrolled: 1-line block ×3, first 2 shown]
	ds_write_b96 v2, v[2:4] offset:4096
.LBB20_3:
	s_or_b64 exec, exec, s[14:15]
	s_mul_i32 s7, s5, s11
	s_sub_i32 s7, s17, s7
	s_add_i32 s8, s5, 1
	s_sub_i32 s9, s7, s11
	s_cmp_ge_u32 s7, s11
	s_cselect_b32 s5, s8, s5
	s_cselect_b32 s7, s9, s7
	s_add_i32 s8, s5, 1
	s_cmp_ge_u32 s7, s11
	s_cselect_b32 s5, s8, s5
	s_mul_i32 s4, s5, s11
	s_sub_i32 s4, s17, s4
	s_mul_i32 s4, s4, s13
	s_mul_i32 s5, s5, s12
	s_add_i32 s5, s5, s4
	s_add_u32 s64, s0, s5
	s_waitcnt lgkmcnt(0)
	s_barrier
	s_load_dword s0, s[2:3], 0xc
	s_addc_u32 s65, s1, 0
	s_bitcmp1_b32 s62, 0
	v_writelane_b32 v47, s17, 18
	s_cselect_b64 s[4:5], -1, 0
	v_mbcnt_lo_u32_b32 v2, -1, 0
	v_writelane_b32 v47, s4, 19
	v_mbcnt_hi_u32_b32 v13, -1, v2
	v_writelane_b32 v47, s5, 20
	s_xor_b64 s[62:63], s[4:5], -1
	s_waitcnt lgkmcnt(0)
	s_and_b32 s33, s0, 0xffff
	s_bfe_u32 s5, s0, 0xa0006
	v_cmp_gt_u32_e32 vcc, 64, v0
	v_cmp_gt_i32_e64 s[0:1], 4, v13
	s_lshl_b32 s9, s33, 2
	s_and_b64 s[76:77], vcc, s[0:1]
	s_cmpk_gt_u32 s60, 0xc00
	s_cselect_b64 s[0:1], -1, 0
	v_writelane_b32 v47, s0, 21
	s_cmp_gt_u32 s33, 63
	v_writelane_b32 v47, s1, 22
	s_cselect_b64 s[0:1], -1, 0
	v_writelane_b32 v47, s0, 23
	v_writelane_b32 v47, s1, 24
	s_add_i32 s0, s33, -1
	s_add_i32 s4, s0, s60
	s_cmp_lt_u32 s6, s10
	v_writelane_b32 v47, s0, 25
	s_cselect_b32 s0, 12, 18
	s_add_u32 s0, s2, s0
	s_addc_u32 s1, s3, 0
	v_writelane_b32 v47, s0, 26
	s_add_i32 s2, s5, -2
	v_writelane_b32 v47, s1, 27
	s_lshr_b32 s0, s2, 1
	s_add_i32 s3, s0, 1
	s_cmpk_gt_u32 s33, 0x7f
	s_cselect_b64 s[0:1], -1, 0
	v_writelane_b32 v47, s0, 28
	v_mul_lo_u32 v15, v0, s16
	v_writelane_b32 v47, s1, 29
	v_mov_b32_e32 v2, s65
	v_add_co_u32_e32 v8, vcc, s64, v15
	v_cmp_gt_u32_e64 s[6:7], s60, v0
	v_addc_co_u32_e32 v9, vcc, 0, v2, vcc
	v_writelane_b32 v47, s6, 30
	v_lshrrev_b32_e32 v2, 4, v0
	v_writelane_b32 v47, s7, 31
	v_and_b32_e32 v16, 60, v2
	v_cmp_gt_u32_e64 s[6:7], 2, v0
	v_lshlrev_b64 v[2:3], v13, -1
	v_writelane_b32 v47, s6, 32
	v_not_b32_e32 v6, v2
	v_cvt_f32_u32_e32 v2, s9
	v_writelane_b32 v47, s7, 33
	s_and_b32 s6, s5, 0x3fe
	s_and_b32 s7, s3, 7
	s_cmp_gt_u32 s2, 13
	s_cselect_b64 s[10:11], -1, 0
	v_writelane_b32 v47, s10, 34
	v_rcp_iflag_f32_e32 v2, v2
	v_writelane_b32 v47, s11, 35
	s_and_b32 s2, s3, -8
	v_writelane_b32 v47, s2, 36
	s_cmp_lg_u32 s7, 0
	v_writelane_b32 v47, s7, 37
	s_cselect_b64 s[2:3], -1, 0
	v_writelane_b32 v47, s2, 38
	v_mul_f32_e32 v2, 0x4f7ffffe, v2
	v_writelane_b32 v47, s3, 39
	v_cvt_u32_f32_e32 v2, v2
	v_writelane_b32 v47, s5, 40
	s_cmp_lg_u32 s6, s5
	v_writelane_b32 v47, s6, 41
	s_cselect_b64 s[2:3], -1, 0
	v_writelane_b32 v47, s2, 42
	v_writelane_b32 v47, s3, 43
	s_sub_i32 s2, 0, s9
	v_readfirstlane_b32 s3, v2
	v_cvt_f32_u32_e32 v2, s33
	s_mul_i32 s2, s2, s3
	s_mul_hi_u32 s2, s3, s2
	s_add_i32 s2, s3, s2
	v_writelane_b32 v47, s2, 44
	s_mul_hi_u32 s2, s60, s2
	v_rcp_iflag_f32_e32 v2, v2
	s_mul_i32 s2, s2, s9
	s_sub_i32 s2, s60, s2
	s_sub_i32 s3, s2, s9
	s_cmp_ge_u32 s2, s9
	v_mul_f32_e32 v2, 0x4f7ffffe, v2
	s_cselect_b32 s2, s3, s2
	v_cvt_u32_f32_e32 v2, v2
	s_sub_i32 s3, s2, s9
	s_cmp_ge_u32 s2, s9
	s_cselect_b32 s2, s3, s2
	v_lshlrev_b32_e32 v14, 2, v0
	s_sub_i32 s78, s60, s2
	s_sub_i32 s3, 0, s33
	v_readfirstlane_b32 s5, v2
	v_cmp_gt_u32_e64 s[6:7], s78, v14
	s_mul_i32 s3, s3, s5
	v_writelane_b32 v47, s6, 45
	s_mul_hi_u32 s3, s5, s3
	v_writelane_b32 v47, s7, 46
	s_add_i32 s3, s5, s3
	v_writelane_b32 v47, s3, 47
	s_mul_hi_u32 s3, s4, s3
	s_mul_i32 s3, s3, s33
	s_sub_i32 s3, s4, s3
	s_sub_i32 s5, s3, s33
	s_cmp_ge_u32 s3, s33
	s_cselect_b32 s3, s5, s3
	s_sub_i32 s5, s3, s33
	s_cmp_ge_u32 s3, s33
	v_mul_lo_u32 v2, s16, v14
	s_cselect_b32 s3, s5, s3
	v_add_u32_e32 v18, s16, v2
	v_or_b32_e32 v2, 2, v14
	v_add_u32_e32 v17, s78, v0
	s_sub_i32 s7, s4, s3
	v_mul_lo_u32 v19, s16, v2
	v_or_b32_e32 v2, 3, v14
	s_add_i32 s3, s33, s60
	v_not_b32_e32 v7, v3
	v_mul_lo_u32 v3, v17, s16
	v_cmp_gt_u32_e64 s[4:5], s7, v0
	v_mul_lo_u32 v20, s16, v2
	v_add_u32_e32 v2, s3, v0
	v_lshlrev_b32_e32 v4, 2, v13
	v_mov_b32_e32 v5, s65
	v_add_co_u32_e32 v10, vcc, s64, v3
	v_writelane_b32 v47, s4, 48
	s_mul_i32 s8, s16, s33
	v_subrev_u32_e32 v2, s2, v2
	v_mov_b32_e32 v1, 0
	v_cmp_eq_u32_e64 s[0:1], 0, v13
	v_and_b32_e32 v12, 0x100, v4
	v_cmp_gt_u32_e64 s[14:15], s60, v17
	v_addc_co_u32_e32 v11, vcc, 0, v5, vcc
	v_writelane_b32 v47, s5, 49
	s_lshl_b32 s79, s8, 2
	v_lshlrev_b32_e32 v21, 2, v15
	v_mul_lo_u32 v22, s16, v2
	v_or_b32_e32 v23, 0xc00, v4
	s_mov_b32 s81, 6
	s_mov_b64 s[92:93], 0
	v_mov_b32_e32 v24, 0
	v_mov_b32_e32 v29, s61
	s_movk_i32 s80, 0x80
	v_mov_b32_e32 v25, 0xc00
	v_mov_b32_e32 v28, 0
	s_mov_b32 s12, 0
	v_mov_b32_e32 v27, 0
	v_mov_b32_e32 v26, 0
	v_writelane_b32 v47, s16, 50
                                        ; implicit-def: $sgpr94_sgpr95
                                        ; implicit-def: $sgpr66_sgpr67
                                        ; implicit-def: $sgpr70_sgpr71
                                        ; implicit-def: $sgpr72_sgpr73
                                        ; implicit-def: $sgpr68_sgpr69
                                        ; implicit-def: $sgpr2_sgpr3
                                        ; implicit-def: $sgpr86_sgpr87
                                        ; implicit-def: $sgpr88_sgpr89
                                        ; implicit-def: $sgpr90_sgpr91
                                        ; implicit-def: $sgpr82_sgpr83
	s_branch .LBB20_6
.LBB20_4:                               ;   in Loop: Header=BB20_6 Depth=1
	s_or_b64 exec, exec, s[22:23]
	s_andn2_b64 s[4:5], s[82:83], exec
	s_and_b64 s[10:11], s[20:21], exec
	s_or_b64 s[82:83], s[4:5], s[10:11]
	s_andn2_b64 s[90:91], s[90:91], exec
	s_andn2_b64 s[88:89], s[88:89], exec
	s_andn2_b64 s[86:87], s[86:87], exec
	s_andn2_b64 s[2:3], s[2:3], exec
	s_orn2_b64 s[18:19], s[18:19], exec
	v_mov_b32_e32 v26, v3
	v_mov_b32_e32 v27, v2
	;; [unrolled: 1-line block ×4, first 2 shown]
.LBB20_5:                               ;   in Loop: Header=BB20_6 Depth=1
	s_or_b64 exec, exec, s[16:17]
	s_and_b64 s[4:5], exec, s[18:19]
	s_or_b64 s[92:93], s[4:5], s[92:93]
	s_andn2_b64 s[4:5], s[68:69], exec
	s_and_b64 s[10:11], s[82:83], exec
	s_or_b64 s[68:69], s[4:5], s[10:11]
	s_andn2_b64 s[4:5], s[72:73], exec
	s_and_b64 s[10:11], s[90:91], exec
	;; [unrolled: 3-line block ×5, first 2 shown]
	s_or_b64 s[94:95], s[4:5], s[10:11]
	s_andn2_b64 exec, exec, s[92:93]
	s_cbranch_execz .LBB20_407
.LBB20_6:                               ; =>This Loop Header: Depth=1
                                        ;     Child Loop BB20_11 Depth 2
                                        ;     Child Loop BB20_29 Depth 2
	;; [unrolled: 1-line block ×25, first 2 shown]
	ds_read_b64 v[2:3], v24 offset:4096
	s_waitcnt lgkmcnt(0)
	v_readfirstlane_b32 s6, v2
	s_cmp_lg_u32 s6, 0
	s_cbranch_scc1 .LBB20_36
; %bb.7:                                ;   in Loop: Header=BB20_6 Depth=1
	v_readlane_b32 s4, v47, 21
	v_readlane_b32 s5, v47, 22
	s_and_b64 vcc, exec, s[4:5]
	s_cbranch_vccz .LBB20_19
; %bb.8:                                ;   in Loop: Header=BB20_6 Depth=1
	s_movk_i32 s4, 0xc01
	v_cmp_gt_u32_e32 vcc, s4, v3
	s_mov_b64 s[16:17], 0
	s_mov_b64 s[18:19], 0
	s_cbranch_vccz .LBB20_20
; %bb.9:                                ;   in Loop: Header=BB20_6 Depth=1
	v_readlane_b32 s4, v47, 26
	v_readlane_b32 s5, v47, 27
	s_nop 4
	global_load_ushort v2, v24, s[4:5]
	global_load_ubyte v3, v[8:9], off
	v_readlane_b32 s4, v47, 50
	s_mov_b64 s[22:23], 0
	v_mov_b32_e32 v30, v0
	s_waitcnt vmcnt(1)
	v_add_u32_e32 v5, v0, v2
	v_mul_lo_u32 v4, s4, v2
	v_mul_lo_u32 v5, s4, v5
	s_branch .LBB20_11
.LBB20_10:                              ;   in Loop: Header=BB20_11 Depth=2
	s_or_b64 exec, exec, s[20:21]
	v_add_u32_e32 v5, v5, v4
	v_mov_b32_e32 v3, v31
	s_andn2_b64 exec, exec, s[22:23]
	s_cbranch_execz .LBB20_21
.LBB20_11:                              ;   Parent Loop BB20_6 Depth=1
                                        ; =>  This Inner Loop Header: Depth=2
	v_add_u32_e32 v30, v30, v2
	v_cmp_gt_u32_e64 s[18:19], s60, v30
	v_cmp_le_u32_e32 vcc, s60, v30
	s_waitcnt lgkmcnt(0)
	v_mov_b32_e32 v32, 0
	v_mov_b32_e32 v31, 0
	s_and_saveexec_b64 s[20:21], s[18:19]
	s_cbranch_execz .LBB20_13
; %bb.12:                               ;   in Loop: Header=BB20_11 Depth=2
	global_load_ubyte v31, v5, s[64:65]
.LBB20_13:                              ;   in Loop: Header=BB20_11 Depth=2
	s_or_b64 exec, exec, s[20:21]
	s_waitcnt vmcnt(0)
	v_add_u32_sdwa v33, sext(v3), s80 dst_sel:DWORD dst_unused:UNUSED_PAD src0_sel:BYTE_0 src1_sel:DWORD
	v_and_b32_e32 v33, v33, v26
	v_cmp_eq_u32_e64 s[18:19], v33, v27
	s_cmp_lg_u64 s[18:19], 0
	s_cselect_b64 s[4:5], -1, 0
	s_and_b64 s[4:5], s[0:1], s[4:5]
	s_and_saveexec_b64 s[24:25], s[4:5]
	s_cbranch_execz .LBB20_17
; %bb.14:                               ;   in Loop: Header=BB20_11 Depth=2
	s_mov_b64 s[28:29], exec
	v_mbcnt_lo_u32_b32 v32, s28, 0
	v_mbcnt_hi_u32_b32 v32, s29, v32
	s_bcnt1_i32_b64 s4, s[18:19]
	v_cmp_eq_u32_e64 s[20:21], 0, v32
                                        ; implicit-def: $vgpr33
	s_and_saveexec_b64 s[26:27], s[20:21]
	s_cbranch_execz .LBB20_16
; %bb.15:                               ;   in Loop: Header=BB20_11 Depth=2
	s_bcnt1_i32_b64 s5, s[28:29]
	s_mul_i32 s5, s4, s5
	v_mov_b32_e32 v33, s5
	ds_add_rtn_u32 v33, v24, v33 offset:4104
.LBB20_16:                              ;   in Loop: Header=BB20_11 Depth=2
	s_or_b64 exec, exec, s[26:27]
	s_waitcnt lgkmcnt(0)
	v_readfirstlane_b32 s5, v33
	v_mov_b32_e32 v33, s5
	v_mad_u32_u24 v32, s4, v32, v33
.LBB20_17:                              ;   in Loop: Header=BB20_11 Depth=2
	s_or_b64 exec, exec, s[24:25]
	ds_bpermute_b32 v32, v12, v32
	s_and_b64 s[4:5], exec, vcc
	s_or_b64 s[22:23], s[4:5], s[22:23]
	s_and_saveexec_b64 s[20:21], s[18:19]
	s_cbranch_execz .LBB20_10
; %bb.18:                               ;   in Loop: Header=BB20_11 Depth=2
	v_and_b32_e32 v34, s18, v6
	v_and_b32_e32 v33, s19, v7
	v_bcnt_u32_b32 v34, v34, 0
	v_bcnt_u32_b32 v33, v33, v34
	s_waitcnt lgkmcnt(0)
	v_add_u32_e32 v32, v32, v33
	ds_write_b8 v32, v3
	s_branch .LBB20_10
.LBB20_19:                              ;   in Loop: Header=BB20_6 Depth=1
	s_mov_b64 s[18:19], 0
                                        ; implicit-def: $sgpr6
	s_cbranch_execnz .LBB20_24
	s_branch .LBB20_34
.LBB20_20:                              ;   in Loop: Header=BB20_6 Depth=1
	s_mov_b32 s6, 0
	s_and_b64 vcc, exec, s[16:17]
	s_cbranch_vccnz .LBB20_24
	s_branch .LBB20_34
.LBB20_21:                              ;   in Loop: Header=BB20_6 Depth=1
	s_or_b64 exec, exec, s[22:23]
	s_waitcnt lgkmcnt(0)
	s_barrier
	s_mov_b64 s[18:19], exec
	v_readlane_b32 s4, v47, 16
	v_readlane_b32 s5, v47, 17
	s_and_b64 s[4:5], s[18:19], s[4:5]
	s_mov_b64 exec, s[4:5]
	s_cbranch_execz .LBB20_23
; %bb.22:                               ;   in Loop: Header=BB20_6 Depth=1
	ds_read_b32 v2, v24 offset:4104
	s_waitcnt lgkmcnt(0)
	ds_write_b32 v24, v2 offset:4096
.LBB20_23:                              ;   in Loop: Header=BB20_6 Depth=1
	s_or_b64 exec, exec, s[18:19]
	s_waitcnt lgkmcnt(0)
	s_barrier
	s_mov_b64 s[18:19], -1
	s_mov_b32 s6, 0
	s_and_b64 vcc, exec, s[16:17]
	s_cbranch_vccz .LBB20_34
.LBB20_24:                              ;   in Loop: Header=BB20_6 Depth=1
	v_mov_b32_e32 v2, 0
	s_mov_b64 s[16:17], exec
	v_readlane_b32 s4, v47, 30
	v_readlane_b32 s5, v47, 31
	s_and_b64 s[4:5], s[16:17], s[4:5]
	s_mov_b64 exec, s[4:5]
	s_cbranch_execz .LBB20_26
; %bb.25:                               ;   in Loop: Header=BB20_6 Depth=1
	global_load_ubyte v2, v[8:9], off
.LBB20_26:                              ;   in Loop: Header=BB20_6 Depth=1
	s_or_b64 exec, exec, s[16:17]
	s_mov_b64 s[16:17], exec
	v_readlane_b32 s4, v47, 30
	v_readlane_b32 s5, v47, 31
	s_and_b64 s[4:5], s[16:17], s[4:5]
	s_mov_b64 exec, s[4:5]
	s_cbranch_execz .LBB20_31
; %bb.27:                               ;   in Loop: Header=BB20_6 Depth=1
	v_readlane_b32 s4, v47, 26
	v_readlane_b32 s5, v47, 27
	s_mov_b64 s[20:21], 0
	v_mov_b32_e32 v30, v0
	s_nop 2
	global_load_ushort v3, v24, s[4:5]
	v_readlane_b32 s4, v47, 50
	s_waitcnt vmcnt(0)
	v_add_u32_e32 v5, v0, v3
	v_mul_lo_u32 v4, s4, v3
	v_mul_lo_u32 v5, s4, v5
	s_branch .LBB20_29
.LBB20_28:                              ;   in Loop: Header=BB20_29 Depth=2
	s_or_b64 exec, exec, s[22:23]
	s_and_b64 s[4:5], exec, vcc
	s_or_b64 s[20:21], s[4:5], s[20:21]
	ds_write_b8 v30, v2
	v_add_u32_e32 v5, v5, v4
	s_waitcnt vmcnt(0)
	v_mov_b32_e32 v2, v32
	v_mov_b32_e32 v30, v31
	s_andn2_b64 exec, exec, s[20:21]
	s_cbranch_execz .LBB20_31
.LBB20_29:                              ;   Parent Loop BB20_6 Depth=1
                                        ; =>  This Inner Loop Header: Depth=2
	v_add_u32_e32 v31, v30, v3
	v_cmp_gt_u32_e64 s[18:19], s60, v31
	v_cmp_le_u32_e32 vcc, s60, v31
	v_mov_b32_e32 v32, 0
	s_and_saveexec_b64 s[22:23], s[18:19]
	s_cbranch_execz .LBB20_28
; %bb.30:                               ;   in Loop: Header=BB20_29 Depth=2
	global_load_ubyte v32, v5, s[64:65]
	s_branch .LBB20_28
.LBB20_31:                              ;   in Loop: Header=BB20_6 Depth=1
	s_or_b64 exec, exec, s[16:17]
	s_waitcnt lgkmcnt(0)
	s_barrier
	s_mov_b64 s[16:17], exec
	v_readlane_b32 s4, v47, 16
	v_readlane_b32 s5, v47, 17
	s_and_b64 s[4:5], s[16:17], s[4:5]
	s_mov_b64 exec, s[4:5]
	s_cbranch_execz .LBB20_33
; %bb.32:                               ;   in Loop: Header=BB20_6 Depth=1
	s_waitcnt vmcnt(0)
	v_mov_b32_e32 v2, s60
	ds_write_b32 v24, v2 offset:4096
.LBB20_33:                              ;   in Loop: Header=BB20_6 Depth=1
	s_or_b64 exec, exec, s[16:17]
	s_mov_b64 s[18:19], -1
	s_waitcnt lgkmcnt(0)
	s_barrier
                                        ; implicit-def: $sgpr6
.LBB20_34:                              ;   in Loop: Header=BB20_6 Depth=1
	s_and_b64 vcc, exec, s[18:19]
	s_cbranch_vccz .LBB20_36
; %bb.35:                               ;   in Loop: Header=BB20_6 Depth=1
	s_waitcnt vmcnt(0)
	ds_read_b32 v2, v24 offset:4096
	s_waitcnt lgkmcnt(0)
	v_readfirstlane_b32 s6, v2
.LBB20_36:                              ;   in Loop: Header=BB20_6 Depth=1
	s_cmp_lt_i32 s6, 1
	s_cbranch_scc0 .LBB20_40
; %bb.37:                               ;   in Loop: Header=BB20_6 Depth=1
	s_waitcnt vmcnt(0)
	v_mov_b32_e32 v2, 0
	s_mov_b32 s10, 0
	v_mov_b32_e32 v3, 0
	v_mov_b32_e32 v4, v2
	;; [unrolled: 1-line block ×3, first 2 shown]
	s_mov_b64 s[84:85], exec
	v_readlane_b32 s4, v47, 45
	v_readlane_b32 s5, v47, 46
	s_and_b64 s[4:5], s[84:85], s[4:5]
	s_mov_b64 exec, s[4:5]
	s_cbranch_execnz .LBB20_41
; %bb.38:                               ;   in Loop: Header=BB20_6 Depth=1
	s_or_b64 exec, exec, s[84:85]
	v_mov_b32_e32 v32, 0
	s_and_saveexec_b64 s[16:17], s[14:15]
	s_cbranch_execnz .LBB20_44
.LBB20_39:                              ;   in Loop: Header=BB20_6 Depth=1
	s_or_b64 exec, exec, s[16:17]
	s_and_saveexec_b64 s[16:17], s[14:15]
	s_cbranch_execnz .LBB20_45
	s_branch .LBB20_50
.LBB20_40:                              ;   in Loop: Header=BB20_6 Depth=1
                                        ; implicit-def: $vgpr5
	s_cbranch_execnz .LBB20_51
	s_branch .LBB20_60
.LBB20_41:                              ;   in Loop: Header=BB20_6 Depth=1
	s_and_b32 s11, s81, 0xfe
	s_mov_b64 s[16:17], 0
	s_mov_b32 s13, 0
	s_mov_b32 s74, 0
	;; [unrolled: 1-line block ×4, first 2 shown]
	v_mov_b32_e32 v30, v14
.LBB20_42:                              ;   Parent Loop BB20_6 Depth=1
                                        ; =>  This Inner Loop Header: Depth=2
	v_add_u32_e32 v2, s10, v21
	v_add_u32_e32 v3, s10, v18
	;; [unrolled: 1-line block ×4, first 2 shown]
	global_load_sbyte v2, v2, s[64:65]
	s_nop 0
	global_load_sbyte v3, v3, s[64:65]
	s_nop 0
	;; [unrolled: 2-line block ×3, first 2 shown]
	global_load_sbyte v5, v5, s[64:65]
	v_add_u32_e32 v30, s9, v30
	s_add_i32 s10, s10, s79
	v_cmp_le_u32_e32 vcc, s78, v30
	s_waitcnt vmcnt(3)
	v_add_u32_e32 v2, 0x80, v2
	s_waitcnt vmcnt(2)
	v_add_u32_e32 v3, 0x80, v3
	v_and_b32_e32 v31, v2, v26
	v_bfe_u32 v2, v2, s11, 2
	s_waitcnt vmcnt(1)
	v_add_u32_e32 v4, 0x80, v4
	v_and_b32_e32 v32, v3, v26
	v_bfe_u32 v3, v3, s11, 2
	v_cmp_eq_u32_e64 s[18:19], v31, v27
	v_cmp_eq_u32_e64 s[26:27], 0, v2
	s_waitcnt vmcnt(0)
	v_add_u32_e32 v5, 0x80, v5
	v_and_b32_e32 v33, v4, v26
	v_bfe_u32 v4, v4, s11, 2
	v_cmp_eq_u32_e64 s[20:21], v32, v27
	v_cmp_eq_u32_e64 s[28:29], 0, v3
	s_and_b64 s[26:27], s[18:19], s[26:27]
	v_and_b32_e32 v34, v5, v26
	v_bfe_u32 v5, v5, s11, 2
	v_cmp_eq_u32_e64 s[22:23], v33, v27
	v_cmp_eq_u32_e64 s[30:31], 0, v4
	;; [unrolled: 1-line block ×5, first 2 shown]
	v_cndmask_b32_e64 v2, 0, 1, s[26:27]
	s_and_b64 s[26:27], s[20:21], s[28:29]
	v_cmp_eq_u32_e64 s[24:25], v34, v27
	v_cmp_eq_u32_e64 s[34:35], 0, v5
	;; [unrolled: 1-line block ×5, first 2 shown]
	v_cndmask_b32_e64 v3, 0, 1, s[26:27]
	s_and_b64 s[26:27], s[22:23], s[30:31]
	v_cmp_eq_u32_e64 s[40:41], 1, v4
	v_cmp_eq_u32_e64 s[48:49], 2, v4
	;; [unrolled: 1-line block ×3, first 2 shown]
	v_cndmask_b32_e64 v4, 0, 1, s[26:27]
	s_and_b64 s[26:27], s[24:25], s[34:35]
	v_cmp_eq_u32_e64 s[42:43], 1, v5
	v_cmp_eq_u32_e64 s[50:51], 2, v5
	;; [unrolled: 1-line block ×3, first 2 shown]
	v_cndmask_b32_e64 v5, 0, 1, s[26:27]
	s_and_b64 s[26:27], s[18:19], s[36:37]
	v_cndmask_b32_e64 v31, 0, 1, s[26:27]
	s_and_b64 s[26:27], s[20:21], s[38:39]
	;; [unrolled: 2-line block ×5, first 2 shown]
	s_and_b64 s[18:19], s[18:19], s[52:53]
	v_cndmask_b32_e64 v35, 0, 1, s[26:27]
	s_and_b64 s[26:27], s[20:21], s[46:47]
	v_cndmask_b32_e64 v39, 0, 1, s[18:19]
	;; [unrolled: 2-line block ×7, first 2 shown]
	v_cndmask_b32_e64 v42, 0, 1, s[18:19]
	v_cmp_ne_u32_e64 s[18:19], 0, v2
	v_cmp_ne_u32_e64 s[20:21], 0, v3
	;; [unrolled: 1-line block ×11, first 2 shown]
	s_bcnt1_i32_b64 s5, s[18:19]
	s_bcnt1_i32_b64 s18, s[20:21]
	;; [unrolled: 1-line block ×8, first 2 shown]
	v_cmp_ne_u32_e64 s[40:41], 0, v37
	v_cmp_ne_u32_e64 s[48:49], 0, v41
	s_bcnt1_i32_b64 s23, s[30:31]
	s_bcnt1_i32_b64 s26, s[38:39]
	;; [unrolled: 1-line block ×3, first 2 shown]
	s_add_i32 s4, s4, s5
	s_add_i32 s5, s75, s21
	;; [unrolled: 1-line block ×4, first 2 shown]
	v_cmp_ne_u32_e64 s[34:35], 0, v34
	v_cmp_ne_u32_e64 s[42:43], 0, v38
	;; [unrolled: 1-line block ×3, first 2 shown]
	s_bcnt1_i32_b64 s27, s[40:41]
	s_bcnt1_i32_b64 s31, s[48:49]
	s_add_i32 s4, s4, s18
	s_add_i32 s5, s5, s22
	;; [unrolled: 1-line block ×4, first 2 shown]
	s_bcnt1_i32_b64 s24, s[34:35]
	s_bcnt1_i32_b64 s28, s[42:43]
	;; [unrolled: 1-line block ×3, first 2 shown]
	s_add_i32 s4, s4, s19
	s_add_i32 s5, s5, s23
	;; [unrolled: 1-line block ×8, first 2 shown]
	s_or_b64 s[16:17], vcc, s[16:17]
	v_mov_b32_e32 v2, s4
	v_mov_b32_e32 v3, s75
	;; [unrolled: 1-line block ×4, first 2 shown]
	s_andn2_b64 exec, exec, s[16:17]
	s_cbranch_execnz .LBB20_42
; %bb.43:                               ;   in Loop: Header=BB20_6 Depth=1
	s_or_b64 exec, exec, s[16:17]
	s_or_b64 exec, exec, s[84:85]
	v_mov_b32_e32 v32, 0
	s_and_saveexec_b64 s[16:17], s[14:15]
	s_cbranch_execz .LBB20_39
.LBB20_44:                              ;   in Loop: Header=BB20_6 Depth=1
	global_load_ubyte v32, v[10:11], off
	s_or_b64 exec, exec, s[16:17]
	s_and_saveexec_b64 s[16:17], s[14:15]
	s_cbranch_execz .LBB20_50
.LBB20_45:                              ;   in Loop: Header=BB20_6 Depth=1
	s_and_b32 s4, s81, 0xfe
	s_mov_b64 s[20:21], 0
	v_mov_b32_e32 v30, v22
	v_mov_b32_e32 v31, v17
	s_branch .LBB20_47
.LBB20_46:                              ;   in Loop: Header=BB20_47 Depth=2
	s_or_b64 exec, exec, s[22:23]
	s_waitcnt vmcnt(0)
	v_add_u32_sdwa v32, sext(v32), s80 dst_sel:DWORD dst_unused:UNUSED_PAD src0_sel:BYTE_0 src1_sel:DWORD
	s_and_b64 s[10:11], exec, vcc
	v_and_b32_e32 v34, v32, v26
	v_bfe_u32 v32, v32, s4, 2
	s_or_b64 s[20:21], s[10:11], s[20:21]
	v_cmp_eq_u32_e32 vcc, v34, v27
	v_cmp_eq_u32_e64 s[18:19], 0, v32
	s_and_b64 s[10:11], vcc, s[18:19]
	v_cndmask_b32_e64 v34, 0, 1, s[10:11]
	v_cmp_ne_u32_e64 s[18:19], 0, v34
	s_bcnt1_i32_b64 s5, s[18:19]
	v_cmp_eq_u32_e64 s[18:19], 1, v32
	s_and_b64 s[10:11], vcc, s[18:19]
	v_cndmask_b32_e64 v34, 0, 1, s[10:11]
	v_cmp_ne_u32_e64 s[18:19], 0, v34
	v_add_u32_e32 v2, s5, v2
	s_bcnt1_i32_b64 s5, s[18:19]
	v_cmp_eq_u32_e64 s[18:19], 2, v32
	s_and_b64 s[10:11], vcc, s[18:19]
	v_cndmask_b32_e64 v34, 0, 1, s[10:11]
	v_cmp_ne_u32_e64 s[18:19], 0, v34
	v_add_u32_e32 v3, s5, v3
	s_bcnt1_i32_b64 s5, s[18:19]
	v_cmp_eq_u32_e64 s[18:19], 3, v32
	s_and_b64 s[10:11], vcc, s[18:19]
	v_cndmask_b32_e64 v32, 0, 1, s[10:11]
	v_cmp_ne_u32_e32 vcc, 0, v32
	v_add_u32_e32 v4, s5, v4
	s_bcnt1_i32_b64 s5, vcc
	v_add_u32_e32 v5, s5, v5
	v_add_u32_e32 v30, s8, v30
	v_mov_b32_e32 v32, v33
	s_andn2_b64 exec, exec, s[20:21]
	s_cbranch_execz .LBB20_49
.LBB20_47:                              ;   Parent Loop BB20_6 Depth=1
                                        ; =>  This Inner Loop Header: Depth=2
	v_add_u32_e32 v31, s33, v31
	v_cmp_gt_u32_e64 s[18:19], s60, v31
	v_cmp_le_u32_e32 vcc, s60, v31
	v_mov_b32_e32 v33, 0
	s_and_saveexec_b64 s[22:23], s[18:19]
	s_cbranch_execz .LBB20_46
; %bb.48:                               ;   in Loop: Header=BB20_47 Depth=2
	global_load_ubyte v33, v30, s[64:65]
	s_branch .LBB20_46
.LBB20_49:                              ;   in Loop: Header=BB20_6 Depth=1
	s_or_b64 exec, exec, s[20:21]
.LBB20_50:                              ;   in Loop: Header=BB20_6 Depth=1
	s_or_b64 exec, exec, s[16:17]
	s_branch .LBB20_60
.LBB20_51:                              ;   in Loop: Header=BB20_6 Depth=1
	v_readlane_b32 s4, v47, 44
	s_mul_hi_u32 s4, s6, s4
	s_mul_i32 s4, s4, s9
	s_sub_i32 s4, s6, s4
	s_sub_i32 s5, s4, s9
	s_cmp_ge_u32 s4, s9
	s_cselect_b32 s4, s5, s4
	s_sub_i32 s5, s4, s9
	s_cmp_ge_u32 s4, s9
	s_cselect_b32 s4, s5, s4
	s_sub_i32 s10, s6, s4
	v_cmp_gt_u32_e32 vcc, s10, v14
	s_mov_b32 s13, 0
	s_waitcnt vmcnt(0)
	v_mov_b32_e32 v2, 0
	v_mov_b32_e32 v3, 0
	;; [unrolled: 1-line block ×4, first 2 shown]
	s_and_saveexec_b64 s[16:17], vcc
	s_cbranch_execz .LBB20_55
; %bb.52:                               ;   in Loop: Header=BB20_6 Depth=1
	s_and_b32 s11, s81, 0xfe
	s_mov_b64 s[84:85], 0
	s_mov_b32 s4, 0
	s_mov_b32 s5, 0
	;; [unrolled: 1-line block ×3, first 2 shown]
	v_mov_b32_e32 v30, v14
.LBB20_53:                              ;   Parent Loop BB20_6 Depth=1
                                        ; =>  This Inner Loop Header: Depth=2
	ds_read_b32 v2, v30
	v_add_u32_e32 v30, s9, v30
	v_cmp_le_u32_e32 vcc, s10, v30
	s_waitcnt lgkmcnt(0)
	v_add_u32_sdwa v3, sext(v2), s80 dst_sel:DWORD dst_unused:UNUSED_PAD src0_sel:BYTE_0 src1_sel:DWORD
	v_add_u32_sdwa v4, sext(v2), s80 dst_sel:DWORD dst_unused:UNUSED_PAD src0_sel:BYTE_1 src1_sel:DWORD
	v_and_b32_e32 v31, v3, v26
	v_bfe_u32 v3, v3, s11, 2
	v_add_u32_sdwa v5, sext(v2), s80 dst_sel:DWORD dst_unused:UNUSED_PAD src0_sel:BYTE_2 src1_sel:DWORD
	v_add_u32_sdwa v2, sext(v2), s80 dst_sel:DWORD dst_unused:UNUSED_PAD src0_sel:BYTE_3 src1_sel:DWORD
	v_and_b32_e32 v32, v4, v26
	v_bfe_u32 v4, v4, s11, 2
	v_cmp_eq_u32_e64 s[18:19], v31, v27
	v_cmp_eq_u32_e64 s[26:27], 0, v3
	v_and_b32_e32 v33, v5, v26
	v_and_b32_e32 v34, v2, v26
	v_bfe_u32 v5, v5, s11, 2
	v_bfe_u32 v2, v2, s11, 2
	v_cmp_eq_u32_e64 s[20:21], v32, v27
	v_cmp_eq_u32_e64 s[28:29], 0, v4
	s_and_b64 s[26:27], s[18:19], s[26:27]
	v_cmp_eq_u32_e64 s[22:23], v33, v27
	v_cmp_eq_u32_e64 s[30:31], 0, v5
	;; [unrolled: 1-line block ×6, first 2 shown]
	v_cndmask_b32_e64 v2, 0, 1, s[26:27]
	s_and_b64 s[26:27], s[20:21], s[28:29]
	v_cmp_eq_u32_e64 s[24:25], v34, v27
	v_cmp_eq_u32_e64 s[36:37], 1, v3
	;; [unrolled: 1-line block ×4, first 2 shown]
	v_cndmask_b32_e64 v3, 0, 1, s[26:27]
	s_and_b64 s[26:27], s[22:23], s[30:31]
	v_cmp_eq_u32_e64 s[38:39], 1, v4
	v_cmp_eq_u32_e64 s[46:47], 2, v4
	;; [unrolled: 1-line block ×3, first 2 shown]
	v_cndmask_b32_e64 v4, 0, 1, s[26:27]
	s_and_b64 s[26:27], s[24:25], s[34:35]
	v_cmp_eq_u32_e64 s[40:41], 1, v5
	v_cmp_eq_u32_e64 s[48:49], 2, v5
	v_cmp_eq_u32_e64 s[56:57], 3, v5
	v_cndmask_b32_e64 v5, 0, 1, s[26:27]
	s_and_b64 s[26:27], s[18:19], s[36:37]
	v_cndmask_b32_e64 v31, 0, 1, s[26:27]
	s_and_b64 s[26:27], s[20:21], s[38:39]
	;; [unrolled: 2-line block ×5, first 2 shown]
	s_and_b64 s[18:19], s[18:19], s[52:53]
	v_cndmask_b32_e64 v35, 0, 1, s[26:27]
	s_and_b64 s[26:27], s[20:21], s[46:47]
	v_cndmask_b32_e64 v39, 0, 1, s[18:19]
	;; [unrolled: 2-line block ×7, first 2 shown]
	v_cndmask_b32_e64 v42, 0, 1, s[18:19]
	v_cmp_ne_u32_e64 s[18:19], 0, v2
	v_cmp_ne_u32_e64 s[20:21], 0, v3
	;; [unrolled: 1-line block ×11, first 2 shown]
	s_bcnt1_i32_b64 s18, s[18:19]
	s_bcnt1_i32_b64 s19, s[20:21]
	s_bcnt1_i32_b64 s20, s[22:23]
	s_bcnt1_i32_b64 s21, s[24:25]
	s_bcnt1_i32_b64 s22, s[26:27]
	s_bcnt1_i32_b64 s24, s[30:31]
	s_bcnt1_i32_b64 s26, s[36:37]
	s_bcnt1_i32_b64 s30, s[44:45]
	v_cmp_ne_u32_e64 s[34:35], 0, v34
	v_cmp_ne_u32_e64 s[40:41], 0, v37
	;; [unrolled: 1-line block ×3, first 2 shown]
	s_bcnt1_i32_b64 s23, s[28:29]
	s_bcnt1_i32_b64 s27, s[38:39]
	;; [unrolled: 1-line block ×3, first 2 shown]
	s_add_i32 s18, s74, s18
	s_add_i32 s5, s5, s22
	;; [unrolled: 1-line block ×4, first 2 shown]
	v_cmp_ne_u32_e64 s[42:43], 0, v38
	v_cmp_ne_u32_e64 s[50:51], 0, v42
	s_bcnt1_i32_b64 s25, s[34:35]
	s_bcnt1_i32_b64 s28, s[40:41]
	;; [unrolled: 1-line block ×3, first 2 shown]
	s_add_i32 s18, s18, s19
	s_add_i32 s5, s5, s23
	;; [unrolled: 1-line block ×4, first 2 shown]
	s_bcnt1_i32_b64 s29, s[42:43]
	s_bcnt1_i32_b64 s35, s[50:51]
	s_add_i32 s18, s18, s20
	s_add_i32 s5, s5, s24
	;; [unrolled: 1-line block ×8, first 2 shown]
	s_or_b64 s[84:85], vcc, s[84:85]
	v_mov_b32_e32 v2, s74
	v_mov_b32_e32 v3, s5
	;; [unrolled: 1-line block ×4, first 2 shown]
	s_andn2_b64 exec, exec, s[84:85]
	s_cbranch_execnz .LBB20_53
; %bb.54:                               ;   in Loop: Header=BB20_6 Depth=1
	s_or_b64 exec, exec, s[84:85]
.LBB20_55:                              ;   in Loop: Header=BB20_6 Depth=1
	s_or_b64 exec, exec, s[16:17]
	v_add_u32_e32 v30, s10, v0
	v_cmp_gt_u32_e32 vcc, s6, v30
	s_and_saveexec_b64 s[16:17], vcc
	s_cbranch_execz .LBB20_59
; %bb.56:                               ;   in Loop: Header=BB20_6 Depth=1
	s_and_b32 s4, s81, 0xfe
	s_mov_b64 s[28:29], 0
.LBB20_57:                              ;   Parent Loop BB20_6 Depth=1
                                        ; =>  This Inner Loop Header: Depth=2
	ds_read_i8 v31, v30
	v_add_u32_e32 v30, s33, v30
	v_cmp_le_u32_e32 vcc, s6, v30
	s_waitcnt lgkmcnt(0)
	v_add_u32_e32 v31, 0x80, v31
	v_and_b32_e32 v32, v31, v26
	v_bfe_u32 v31, v31, s4, 2
	v_cmp_eq_u32_e64 s[18:19], v32, v27
	v_cmp_eq_u32_e64 s[20:21], 0, v31
	;; [unrolled: 1-line block ×3, first 2 shown]
	s_and_b64 s[10:11], s[18:19], s[20:21]
	v_cmp_eq_u32_e64 s[24:25], 2, v31
	v_cmp_eq_u32_e64 s[26:27], 3, v31
	v_cndmask_b32_e64 v31, 0, 1, s[10:11]
	s_and_b64 s[10:11], s[18:19], s[22:23]
	v_cndmask_b32_e64 v32, 0, 1, s[10:11]
	s_and_b64 s[10:11], s[18:19], s[24:25]
	v_cndmask_b32_e64 v33, 0, 1, s[10:11]
	s_and_b64 s[10:11], s[18:19], s[26:27]
	v_cndmask_b32_e64 v34, 0, 1, s[10:11]
	v_cmp_ne_u32_e64 s[18:19], 0, v31
	v_cmp_ne_u32_e64 s[20:21], 0, v32
	;; [unrolled: 1-line block ×4, first 2 shown]
	s_bcnt1_i32_b64 s5, s[18:19]
	s_bcnt1_i32_b64 s10, s[20:21]
	;; [unrolled: 1-line block ×4, first 2 shown]
	v_add_u32_e32 v2, s5, v2
	v_add_u32_e32 v3, s10, v3
	;; [unrolled: 1-line block ×3, first 2 shown]
	s_or_b64 s[28:29], vcc, s[28:29]
	v_add_u32_e32 v5, s13, v5
	s_andn2_b64 exec, exec, s[28:29]
	s_cbranch_execnz .LBB20_57
; %bb.58:                               ;   in Loop: Header=BB20_6 Depth=1
	s_or_b64 exec, exec, s[28:29]
.LBB20_59:                              ;   in Loop: Header=BB20_6 Depth=1
	s_or_b64 exec, exec, s[16:17]
.LBB20_60:                              ;   in Loop: Header=BB20_6 Depth=1
	s_lshl_b32 s4, s12, 6
	s_and_saveexec_b64 s[16:17], s[0:1]
	s_cbranch_execz .LBB20_62
; %bb.61:                               ;   in Loop: Header=BB20_6 Depth=1
	v_or_b32_e32 v30, s4, v16
	v_lshlrev_b32_e32 v30, 2, v30
	s_waitcnt vmcnt(0)
	ds_write_b128 v30, v[2:5] offset:3072
.LBB20_62:                              ;   in Loop: Header=BB20_6 Depth=1
	s_or_b64 exec, exec, s[16:17]
	s_waitcnt lgkmcnt(0)
	s_barrier
	s_and_saveexec_b64 s[16:17], s[76:77]
	s_cbranch_execz .LBB20_76
; %bb.63:                               ;   in Loop: Header=BB20_6 Depth=1
	v_readlane_b32 s10, v47, 23
	v_readlane_b32 s11, v47, 24
	v_add_u32_e32 v4, s4, v13
	s_andn2_b64 vcc, exec, s[10:11]
	s_waitcnt vmcnt(0)
	v_mov_b32_e32 v2, 0
	s_cbranch_vccnz .LBB20_75
; %bb.64:                               ;   in Loop: Header=BB20_6 Depth=1
	v_readlane_b32 s10, v47, 28
	v_readlane_b32 s11, v47, 29
	s_mov_b32 s5, 0
	s_and_b64 vcc, exec, s[10:11]
	v_mov_b32_e32 v2, 0
	s_cbranch_vccz .LBB20_68
; %bb.65:                               ;   in Loop: Header=BB20_6 Depth=1
	v_readlane_b32 s10, v47, 34
	v_readlane_b32 s18, v47, 10
	;; [unrolled: 1-line block ×3, first 2 shown]
	v_lshl_add_u32 v5, v4, 2, v25
	v_readlane_b32 s19, v47, 11
	s_andn2_b64 vcc, exec, s[10:11]
	s_cbranch_vccnz .LBB20_69
; %bb.66:                               ;   in Loop: Header=BB20_6 Depth=1
	v_writelane_b32 v47, s18, 10
	v_writelane_b32 v47, s19, 11
	s_mov_b32 s19, 1
	s_mov_b32 s18, 0
	v_mov_b32_e32 v2, 0
	v_readlane_b32 s5, v47, 36
	v_mov_b32_e32 v3, 0
.LBB20_67:                              ;   Parent Loop BB20_6 Depth=1
                                        ; =>  This Inner Loop Header: Depth=2
	v_lshl_add_u32 v42, s18, 4, v5
	v_lshl_add_u32 v44, s19, 4, v5
	ds_read2_b32 v[30:31], v42 offset1:8
	ds_read2_b32 v[32:33], v44 offset1:8
	ds_read2_b32 v[34:35], v42 offset0:16 offset1:24
	ds_read2_b32 v[36:37], v44 offset0:16 offset1:24
	;; [unrolled: 1-line block ×6, first 2 shown]
	s_waitcnt lgkmcnt(7)
	v_add3_u32 v2, v30, v2, v31
	s_waitcnt lgkmcnt(6)
	v_add3_u32 v3, v32, v3, v33
	;; [unrolled: 2-line block ×3, first 2 shown]
	v_add3_u32 v2, v34, v2, v35
	s_add_i32 s19, s19, 16
	s_add_i32 s18, s18, 16
	s_add_i32 s5, s5, -8
	s_waitcnt lgkmcnt(3)
	v_add3_u32 v2, v38, v2, v39
	s_waitcnt lgkmcnt(2)
	v_add3_u32 v3, v40, v3, v41
	s_cmp_lg_u32 s5, 0
	s_waitcnt lgkmcnt(0)
	v_add3_u32 v3, v44, v3, v45
	v_add3_u32 v2, v42, v2, v43
	s_cbranch_scc1 .LBB20_67
	s_branch .LBB20_70
.LBB20_68:                              ;   in Loop: Header=BB20_6 Depth=1
	s_cbranch_execnz .LBB20_73
	s_branch .LBB20_75
.LBB20_69:                              ;   in Loop: Header=BB20_6 Depth=1
	s_mov_b32 s6, s18
	s_mov_b32 s19, s18
	v_writelane_b32 v47, s6, 10
	v_pk_mov_b32 v[2:3], s[18:19], s[18:19] op_sel:[0,1]
	s_mov_b32 s19, 1
	v_writelane_b32 v47, s7, 11
.LBB20_70:                              ;   in Loop: Header=BB20_6 Depth=1
	v_readlane_b32 s10, v47, 38
	v_readlane_b32 s11, v47, 39
	s_andn2_b64 vcc, exec, s[10:11]
	v_readlane_b32 s5, v47, 37
	s_cbranch_vccnz .LBB20_72
.LBB20_71:                              ;   Parent Loop BB20_6 Depth=1
                                        ; =>  This Inner Loop Header: Depth=2
	v_lshl_add_u32 v30, s18, 4, v5
	v_lshl_add_u32 v31, s19, 4, v5
	ds_read_b32 v31, v31
	ds_read_b32 v30, v30
	s_add_i32 s19, s19, 2
	s_add_i32 s18, s18, 2
	s_add_i32 s5, s5, -1
	s_cmp_lg_u32 s5, 0
	s_waitcnt lgkmcnt(1)
	v_add_u32_e32 v3, v31, v3
	s_waitcnt lgkmcnt(0)
	v_add_u32_e32 v2, v30, v2
	s_cbranch_scc1 .LBB20_71
.LBB20_72:                              ;   in Loop: Header=BB20_6 Depth=1
	v_readlane_b32 s18, v47, 42
	v_add_u32_e32 v2, v2, v3
	v_readlane_b32 s5, v47, 41
	v_readlane_b32 s19, v47, 43
	s_and_b64 vcc, exec, s[18:19]
	s_cbranch_vccz .LBB20_75
.LBB20_73:                              ;   in Loop: Header=BB20_6 Depth=1
	s_lshl_b32 s6, s12, 8
	s_lshl_b32 s10, s5, 4
	s_add_i32 s6, s6, s10
	v_add_u32_e32 v3, s6, v23
	v_readlane_b32 s6, v47, 40
	s_sub_i32 s5, s6, s5
.LBB20_74:                              ;   Parent Loop BB20_6 Depth=1
                                        ; =>  This Inner Loop Header: Depth=2
	ds_read_b32 v5, v3
	s_add_i32 s5, s5, -1
	v_add_u32_e32 v3, 16, v3
	s_cmp_eq_u32 s5, 0
	s_waitcnt lgkmcnt(0)
	v_add_u32_e32 v2, v5, v2
	s_cbranch_scc0 .LBB20_74
.LBB20_75:                              ;   in Loop: Header=BB20_6 Depth=1
	v_lshlrev_b32_e32 v3, 2, v4
	ds_write_b32 v3, v2 offset:3072
.LBB20_76:                              ;   in Loop: Header=BB20_6 Depth=1
	s_or_b64 exec, exec, s[16:17]
	s_lshl_b32 s4, s4, 2
	s_waitcnt vmcnt(0)
	v_mov_b32_e32 v2, s4
	s_waitcnt lgkmcnt(0)
	s_barrier
	ds_read_b128 v[2:5], v2 offset:3072
	s_and_b32 s56, s81, 0xfe
	s_lshl_b32 s75, 3, s56
	s_not_b32 s6, s75
	s_andn2_b64 vcc, exec, s[62:63]
	s_waitcnt lgkmcnt(0)
	v_readfirstlane_b32 s13, v2
	v_readfirstlane_b32 s74, v3
	;; [unrolled: 1-line block ×4, first 2 shown]
	v_cmp_eq_u32_e64 s[18:19], 1, v29
	s_cbranch_vccnz .LBB20_89
; %bb.77:                               ;   in Loop: Header=BB20_6 Depth=1
	s_cmp_eq_u32 s13, 1
	s_cselect_b64 s[4:5], -1, 0
	s_and_b64 s[36:37], s[4:5], s[18:19]
	s_mov_b64 s[38:39], -1
	v_mov_b32_e32 v2, v27
	v_mov_b32_e32 v3, v26
	;; [unrolled: 1-line block ×3, first 2 shown]
                                        ; implicit-def: $sgpr22_sgpr23
                                        ; implicit-def: $sgpr28_sgpr29
                                        ; implicit-def: $sgpr26_sgpr27
	s_and_saveexec_b64 s[16:17], s[36:37]
	s_cbranch_execz .LBB20_105
; %bb.78:                               ;   in Loop: Header=BB20_6 Depth=1
	ds_read_b32 v2, v24 offset:4096
	s_waitcnt lgkmcnt(0)
	s_barrier
	v_readfirstlane_b32 s4, v2
	s_mov_b64 s[20:21], exec
	v_readlane_b32 s22, v47, 32
	v_readlane_b32 s23, v47, 33
	s_and_b64 s[22:23], s[20:21], s[22:23]
	s_mov_b64 exec, s[22:23]
	s_cbranch_execz .LBB20_80
; %bb.79:                               ;   in Loop: Header=BB20_6 Depth=1
	ds_write_b8 v0, v1 offset:3072
.LBB20_80:                              ;   in Loop: Header=BB20_6 Depth=1
	s_or_b64 exec, exec, s[20:21]
	v_and_b32_e32 v2, s6, v27
	v_or_b32_e32 v3, s75, v26
	s_cmp_eq_u32 s4, 0
	s_waitcnt lgkmcnt(0)
	s_barrier
	s_cbranch_scc1 .LBB20_91
; %bb.81:                               ;   in Loop: Header=BB20_6 Depth=1
	v_readlane_b32 s5, v47, 25
	s_add_i32 s5, s4, s5
	v_readlane_b32 s11, v47, 47
	s_mul_hi_u32 s11, s5, s11
	s_mul_i32 s11, s11, s33
	s_sub_i32 s11, s5, s11
	s_sub_i32 s20, s11, s33
	s_cmp_ge_u32 s11, s33
	s_cselect_b32 s11, s20, s11
	s_sub_i32 s20, s11, s33
	s_cmp_ge_u32 s11, s33
	s_cselect_b32 s11, s20, s11
	s_sub_i32 s5, s5, s11
	v_cmp_gt_u32_e32 vcc, s5, v0
	s_mov_b64 s[20:21], 0
                                        ; implicit-def: $vgpr4
	s_and_saveexec_b64 s[22:23], vcc
	s_cbranch_execz .LBB20_93
; %bb.82:                               ;   in Loop: Header=BB20_6 Depth=1
	v_mov_b32_e32 v4, v0
                                        ; implicit-def: $sgpr24_sgpr25
	s_branch .LBB20_84
.LBB20_83:                              ;   in Loop: Header=BB20_84 Depth=2
	s_or_b64 exec, exec, s[26:27]
	s_waitcnt lgkmcnt(0)
	s_barrier
	ds_read_u16 v5, v24 offset:3072
	v_add_u32_e32 v4, s33, v4
	v_cmp_le_u32_e32 vcc, s5, v4
	s_waitcnt lgkmcnt(0)
	s_barrier
	v_cmp_ne_u16_sdwa s[26:27], v5, v1 src0_sel:BYTE_0 src1_sel:DWORD
	s_or_b64 s[28:29], vcc, s[26:27]
	s_and_b64 s[28:29], exec, s[28:29]
	s_or_b64 s[20:21], s[28:29], s[20:21]
	s_andn2_b64 s[24:25], s[24:25], exec
	s_and_b64 s[26:27], s[26:27], exec
	s_or_b64 s[24:25], s[24:25], s[26:27]
	s_andn2_b64 exec, exec, s[20:21]
	s_cbranch_execz .LBB20_92
.LBB20_84:                              ;   Parent Loop BB20_6 Depth=1
                                        ; =>  This Inner Loop Header: Depth=2
	v_cmp_gt_u32_e32 vcc, s4, v4
	v_mov_b32_e32 v5, 0
	s_and_saveexec_b64 s[26:27], vcc
	s_cbranch_execz .LBB20_86
; %bb.85:                               ;   in Loop: Header=BB20_84 Depth=2
	ds_read_u8 v5, v4
.LBB20_86:                              ;   in Loop: Header=BB20_84 Depth=2
	s_or_b64 exec, exec, s[26:27]
	s_and_saveexec_b64 s[26:27], vcc
	s_cbranch_execz .LBB20_83
; %bb.87:                               ;   in Loop: Header=BB20_84 Depth=2
	s_waitcnt lgkmcnt(0)
	v_add_u32_sdwa v30, sext(v5), s80 dst_sel:DWORD dst_unused:UNUSED_PAD src0_sel:BYTE_0 src1_sel:DWORD
	v_and_b32_e32 v30, v30, v3
	v_cmp_eq_u32_e32 vcc, v30, v2
	s_and_b64 exec, exec, vcc
	s_cbranch_execz .LBB20_83
; %bb.88:                               ;   in Loop: Header=BB20_84 Depth=2
	v_lshlrev_b16_e32 v5, 8, v5
	v_or_b32_e32 v5, 1, v5
	ds_write_b16 v24, v5 offset:3072
	s_branch .LBB20_83
.LBB20_89:                              ;   in Loop: Header=BB20_6 Depth=1
	s_mov_b64 s[24:25], 0
	s_mov_b64 s[20:21], 0
                                        ; implicit-def: $sgpr26_sgpr27
                                        ; implicit-def: $sgpr28_sgpr29
                                        ; implicit-def: $sgpr22_sgpr23
                                        ; implicit-def: $vgpr30
                                        ; implicit-def: $vgpr5
                                        ; implicit-def: $vgpr2
                                        ; implicit-def: $vgpr3
                                        ; implicit-def: $vgpr4
	s_cbranch_execnz .LBB20_241
.LBB20_90:                              ;   in Loop: Header=BB20_6 Depth=1
	s_mov_b64 s[30:31], s[22:23]
	s_mov_b64 s[34:35], s[22:23]
	s_and_saveexec_b64 s[16:17], s[24:25]
	s_cbranch_execnz .LBB20_403
	s_branch .LBB20_404
.LBB20_91:                              ;   in Loop: Header=BB20_6 Depth=1
	s_mov_b64 s[22:23], -1
	s_mov_b64 s[20:21], 0
                                        ; implicit-def: $sgpr26_sgpr27
                                        ; implicit-def: $vgpr4
	s_mov_b64 s[28:29], s[22:23]
	s_cbranch_execnz .LBB20_94
	s_branch .LBB20_104
.LBB20_92:                              ;   in Loop: Header=BB20_6 Depth=1
	s_or_b64 exec, exec, s[20:21]
	v_lshrrev_b16_e32 v4, 8, v5
	s_and_b64 s[20:21], s[24:25], exec
.LBB20_93:                              ;   in Loop: Header=BB20_6 Depth=1
	s_or_b64 exec, exec, s[22:23]
	s_mov_b64 s[26:27], -1
	s_mov_b64 s[22:23], 0
	s_mov_b64 s[28:29], s[22:23]
	s_branch .LBB20_104
.LBB20_94:                              ;   in Loop: Header=BB20_6 Depth=1
	s_mov_b64 s[20:21], 0
                                        ; implicit-def: $vgpr4
	s_mov_b64 s[22:23], exec
	v_readlane_b32 s4, v47, 48
	v_readlane_b32 s5, v47, 49
	s_and_b64 s[4:5], s[22:23], s[4:5]
	s_mov_b64 exec, s[4:5]
	s_cbranch_execz .LBB20_103
; %bb.95:                               ;   in Loop: Header=BB20_6 Depth=1
	v_mov_b32_e32 v4, v15
	v_mov_b32_e32 v5, v0
                                        ; implicit-def: $sgpr24_sgpr25
	s_branch .LBB20_97
.LBB20_96:                              ;   in Loop: Header=BB20_97 Depth=2
	s_or_b64 exec, exec, s[26:27]
	s_waitcnt lgkmcnt(0)
	s_barrier
	s_waitcnt vmcnt(0)
	ds_read_u16 v30, v24 offset:3072
	v_add_u32_e32 v5, s33, v5
	v_cmp_le_u32_e32 vcc, s7, v5
	v_add_u32_e32 v4, s8, v4
	s_waitcnt lgkmcnt(0)
	v_cmp_ne_u16_sdwa s[4:5], v30, v1 src0_sel:BYTE_0 src1_sel:DWORD
	s_or_b64 s[26:27], vcc, s[4:5]
	s_and_b64 s[26:27], exec, s[26:27]
	s_or_b64 s[20:21], s[26:27], s[20:21]
	s_andn2_b64 s[24:25], s[24:25], exec
	s_and_b64 s[4:5], s[4:5], exec
	s_or_b64 s[24:25], s[24:25], s[4:5]
	s_barrier
	s_andn2_b64 exec, exec, s[20:21]
	s_cbranch_execz .LBB20_102
.LBB20_97:                              ;   Parent Loop BB20_6 Depth=1
                                        ; =>  This Inner Loop Header: Depth=2
	v_cmp_gt_u32_e32 vcc, s60, v5
	v_mov_b32_e32 v30, 0
	s_and_saveexec_b64 s[26:27], vcc
	s_cbranch_execz .LBB20_99
; %bb.98:                               ;   in Loop: Header=BB20_97 Depth=2
	global_load_ubyte v30, v4, s[64:65]
.LBB20_99:                              ;   in Loop: Header=BB20_97 Depth=2
	s_or_b64 exec, exec, s[26:27]
	s_and_saveexec_b64 s[26:27], vcc
	s_cbranch_execz .LBB20_96
; %bb.100:                              ;   in Loop: Header=BB20_97 Depth=2
	s_waitcnt vmcnt(0)
	v_add_u32_sdwa v31, sext(v30), s80 dst_sel:DWORD dst_unused:UNUSED_PAD src0_sel:BYTE_0 src1_sel:DWORD
	v_and_b32_e32 v31, v31, v3
	v_cmp_eq_u32_e32 vcc, v31, v2
	s_and_b64 exec, exec, vcc
	s_cbranch_execz .LBB20_96
; %bb.101:                              ;   in Loop: Header=BB20_97 Depth=2
	v_lshlrev_b16_e32 v30, 8, v30
	v_or_b32_e32 v30, 1, v30
	ds_write_b16 v24, v30 offset:3072
	s_branch .LBB20_96
.LBB20_102:                             ;   in Loop: Header=BB20_6 Depth=1
	s_or_b64 exec, exec, s[20:21]
	v_lshrrev_b16_e32 v4, 8, v30
	s_and_b64 s[20:21], s[24:25], exec
.LBB20_103:                             ;   in Loop: Header=BB20_6 Depth=1
	s_or_b64 exec, exec, s[22:23]
	s_mov_b64 s[28:29], -1
	s_mov_b64 s[22:23], 0
	s_mov_b64 s[26:27], 0
.LBB20_104:                             ;   in Loop: Header=BB20_6 Depth=1
	s_orn2_b64 s[38:39], s[20:21], exec
.LBB20_105:                             ;   in Loop: Header=BB20_6 Depth=1
	s_or_b64 exec, exec, s[16:17]
	s_mov_b64 s[30:31], 0
	s_mov_b64 s[24:25], 0
	;; [unrolled: 1-line block ×3, first 2 shown]
                                        ; implicit-def: $vgpr30
                                        ; implicit-def: $vgpr5
	s_and_saveexec_b64 s[34:35], s[38:39]
	s_cbranch_execz .LBB20_240
; %bb.106:                              ;   in Loop: Header=BB20_6 Depth=1
	s_xor_b64 s[4:5], s[36:37], -1
	v_mov_b32_e32 v5, 1
	v_mov_b32_e32 v30, 1
	s_and_saveexec_b64 s[16:17], s[4:5]
	s_cbranch_execz .LBB20_116
; %bb.107:                              ;   in Loop: Header=BB20_6 Depth=1
	v_cmp_ge_u32_e32 vcc, s13, v29
                                        ; implicit-def: $sgpr4
                                        ; implicit-def: $sgpr20_sgpr21
	s_and_saveexec_b64 s[24:25], vcc
	s_xor_b64 s[24:25], exec, s[24:25]
	s_cbranch_execz .LBB20_113
; %bb.108:                              ;   in Loop: Header=BB20_6 Depth=1
	ds_read_b32 v5, v24 offset:4096
	s_waitcnt lgkmcnt(0)
	v_cmp_ne_u32_e32 vcc, 0, v5
	s_cbranch_vccnz .LBB20_112
; %bb.109:                              ;   in Loop: Header=BB20_6 Depth=1
	s_mov_b64 s[20:21], exec
	v_readlane_b32 s4, v47, 16
	v_readlane_b32 s5, v47, 17
	s_and_b64 s[4:5], s[20:21], s[4:5]
	s_mov_b64 exec, s[4:5]
	s_cbranch_execz .LBB20_111
; %bb.110:                              ;   in Loop: Header=BB20_6 Depth=1
	v_mov_b32_e32 v5, s13
	ds_write_b32 v24, v5 offset:4100
.LBB20_111:                             ;   in Loop: Header=BB20_6 Depth=1
	s_or_b64 exec, exec, s[20:21]
	s_waitcnt lgkmcnt(0)
	s_barrier
.LBB20_112:                             ;   in Loop: Header=BB20_6 Depth=1
	v_and_b32_e32 v2, s6, v2
	v_or_b32_e32 v3, s75, v3
	s_mov_b64 s[20:21], 0
	s_mov_b32 s4, 8
.LBB20_113:                             ;   in Loop: Header=BB20_6 Depth=1
	s_or_saveexec_b64 s[24:25], s[24:25]
	v_mov_b32_e32 v30, s4
	v_mov_b32_e32 v5, v29
	s_xor_b64 exec, exec, s[24:25]
; %bb.114:                              ;   in Loop: Header=BB20_6 Depth=1
	v_subrev_u32_e32 v5, s13, v29
	v_mov_b32_e32 v30, 0
	s_or_b64 s[20:21], s[20:21], exec
; %bb.115:                              ;   in Loop: Header=BB20_6 Depth=1
	s_or_b64 exec, exec, s[24:25]
	s_and_b64 s[20:21], s[20:21], exec
.LBB20_116:                             ;   in Loop: Header=BB20_6 Depth=1
	s_or_b64 exec, exec, s[16:17]
	s_mov_b64 s[38:39], -1
                                        ; implicit-def: $sgpr16_sgpr17
                                        ; implicit-def: $sgpr24_sgpr25
                                        ; implicit-def: $sgpr40_sgpr41
	s_and_saveexec_b64 s[4:5], s[20:21]
	s_xor_b64 s[20:21], exec, s[4:5]
	s_cbranch_execz .LBB20_237
; %bb.117:                              ;   in Loop: Header=BB20_6 Depth=1
	s_cmp_eq_u32 s74, 1
	s_cselect_b64 s[4:5], -1, 0
	v_cmp_eq_u32_e32 vcc, 1, v5
	s_and_b64 s[42:43], s[4:5], vcc
	s_mov_b64 s[46:47], -1
                                        ; implicit-def: $sgpr24_sgpr25
                                        ; implicit-def: $sgpr38_sgpr39
                                        ; implicit-def: $sgpr36_sgpr37
	s_and_saveexec_b64 s[16:17], s[42:43]
	s_cbranch_execz .LBB20_143
; %bb.118:                              ;   in Loop: Header=BB20_6 Depth=1
	ds_read_b32 v4, v24 offset:4096
	s_waitcnt lgkmcnt(0)
	s_barrier
	v_readfirstlane_b32 s4, v4
	s_mov_b64 s[24:25], exec
	v_readlane_b32 s36, v47, 32
	v_readlane_b32 s37, v47, 33
	s_and_b64 s[36:37], s[24:25], s[36:37]
	s_mov_b64 exec, s[36:37]
	s_cbranch_execz .LBB20_120
; %bb.119:                              ;   in Loop: Header=BB20_6 Depth=1
	ds_write_b8 v0, v1 offset:3072
.LBB20_120:                             ;   in Loop: Header=BB20_6 Depth=1
	s_or_b64 exec, exec, s[24:25]
	v_and_b32_e32 v2, s6, v2
	v_lshl_or_b32 v2, 1, s56, v2
	v_or_b32_e32 v3, s75, v3
	s_cmp_eq_u32 s4, 0
	s_waitcnt lgkmcnt(0)
	s_barrier
	s_cbranch_scc1 .LBB20_129
; %bb.121:                              ;   in Loop: Header=BB20_6 Depth=1
	v_readlane_b32 s5, v47, 25
	s_add_i32 s5, s4, s5
	v_readlane_b32 s11, v47, 47
	s_mul_hi_u32 s11, s5, s11
	s_mul_i32 s11, s11, s33
	s_sub_i32 s11, s5, s11
	s_sub_i32 s24, s11, s33
	s_cmp_ge_u32 s11, s33
	s_cselect_b32 s11, s24, s11
	s_sub_i32 s24, s11, s33
	s_cmp_ge_u32 s11, s33
	s_cselect_b32 s11, s24, s11
	s_sub_i32 s5, s5, s11
	v_cmp_gt_u32_e32 vcc, s5, v0
	s_mov_b64 s[40:41], 0
                                        ; implicit-def: $vgpr4
	s_and_saveexec_b64 s[24:25], vcc
	s_cbranch_execz .LBB20_131
; %bb.122:                              ;   in Loop: Header=BB20_6 Depth=1
	s_mov_b64 s[36:37], 0
	v_mov_b32_e32 v4, v0
                                        ; implicit-def: $sgpr38_sgpr39
	s_branch .LBB20_124
.LBB20_123:                             ;   in Loop: Header=BB20_124 Depth=2
	s_or_b64 exec, exec, s[40:41]
	s_waitcnt lgkmcnt(0)
	s_barrier
	ds_read_u16 v30, v24 offset:3072
	v_add_u32_e32 v4, s33, v4
	v_cmp_le_u32_e32 vcc, s5, v4
	s_waitcnt lgkmcnt(0)
	s_barrier
	v_cmp_ne_u16_sdwa s[40:41], v30, v1 src0_sel:BYTE_0 src1_sel:DWORD
	s_or_b64 s[44:45], vcc, s[40:41]
	s_and_b64 s[44:45], exec, s[44:45]
	s_or_b64 s[36:37], s[44:45], s[36:37]
	s_andn2_b64 s[38:39], s[38:39], exec
	s_and_b64 s[40:41], s[40:41], exec
	s_or_b64 s[38:39], s[38:39], s[40:41]
	s_andn2_b64 exec, exec, s[36:37]
	s_cbranch_execz .LBB20_130
.LBB20_124:                             ;   Parent Loop BB20_6 Depth=1
                                        ; =>  This Inner Loop Header: Depth=2
	v_cmp_gt_u32_e32 vcc, s4, v4
	v_mov_b32_e32 v30, 0
	s_and_saveexec_b64 s[40:41], vcc
	s_cbranch_execz .LBB20_126
; %bb.125:                              ;   in Loop: Header=BB20_124 Depth=2
	ds_read_u8 v30, v4
.LBB20_126:                             ;   in Loop: Header=BB20_124 Depth=2
	s_or_b64 exec, exec, s[40:41]
	s_and_saveexec_b64 s[40:41], vcc
	s_cbranch_execz .LBB20_123
; %bb.127:                              ;   in Loop: Header=BB20_124 Depth=2
	s_waitcnt lgkmcnt(0)
	v_add_u32_sdwa v31, sext(v30), s80 dst_sel:DWORD dst_unused:UNUSED_PAD src0_sel:BYTE_0 src1_sel:DWORD
	v_and_b32_e32 v31, v31, v3
	v_cmp_eq_u32_e32 vcc, v31, v2
	s_and_b64 exec, exec, vcc
	s_cbranch_execz .LBB20_123
; %bb.128:                              ;   in Loop: Header=BB20_124 Depth=2
	v_lshlrev_b16_e32 v30, 8, v30
	v_or_b32_e32 v30, 1, v30
	ds_write_b16 v24, v30 offset:3072
	s_branch .LBB20_123
.LBB20_129:                             ;   in Loop: Header=BB20_6 Depth=1
	s_mov_b64 s[24:25], -1
	s_mov_b64 s[40:41], 0
                                        ; implicit-def: $sgpr36_sgpr37
                                        ; implicit-def: $vgpr4
	s_mov_b64 s[38:39], s[24:25]
	s_cbranch_execnz .LBB20_132
	s_branch .LBB20_142
.LBB20_130:                             ;   in Loop: Header=BB20_6 Depth=1
	s_or_b64 exec, exec, s[36:37]
	v_lshrrev_b16_e32 v4, 8, v30
	s_and_b64 s[40:41], s[38:39], exec
.LBB20_131:                             ;   in Loop: Header=BB20_6 Depth=1
	s_or_b64 exec, exec, s[24:25]
	s_mov_b64 s[36:37], -1
	s_mov_b64 s[24:25], 0
	s_mov_b64 s[38:39], s[24:25]
	s_branch .LBB20_142
.LBB20_132:                             ;   in Loop: Header=BB20_6 Depth=1
	s_mov_b64 s[40:41], 0
                                        ; implicit-def: $vgpr4
	s_mov_b64 s[24:25], exec
	v_readlane_b32 s4, v47, 48
	v_readlane_b32 s5, v47, 49
	s_and_b64 s[4:5], s[24:25], s[4:5]
	s_mov_b64 exec, s[4:5]
	s_cbranch_execz .LBB20_141
; %bb.133:                              ;   in Loop: Header=BB20_6 Depth=1
	s_mov_b64 s[36:37], 0
	v_mov_b32_e32 v4, v15
	v_mov_b32_e32 v30, v0
                                        ; implicit-def: $sgpr38_sgpr39
	s_branch .LBB20_135
.LBB20_134:                             ;   in Loop: Header=BB20_135 Depth=2
	s_or_b64 exec, exec, s[40:41]
	s_waitcnt lgkmcnt(0)
	s_barrier
	s_waitcnt vmcnt(0)
	ds_read_u16 v31, v24 offset:3072
	v_add_u32_e32 v30, s33, v30
	v_cmp_le_u32_e32 vcc, s7, v30
	v_add_u32_e32 v4, s8, v4
	s_waitcnt lgkmcnt(0)
	v_cmp_ne_u16_sdwa s[4:5], v31, v1 src0_sel:BYTE_0 src1_sel:DWORD
	s_or_b64 s[40:41], vcc, s[4:5]
	s_and_b64 s[40:41], exec, s[40:41]
	s_or_b64 s[36:37], s[40:41], s[36:37]
	s_andn2_b64 s[38:39], s[38:39], exec
	s_and_b64 s[4:5], s[4:5], exec
	s_or_b64 s[38:39], s[38:39], s[4:5]
	s_barrier
	s_andn2_b64 exec, exec, s[36:37]
	s_cbranch_execz .LBB20_140
.LBB20_135:                             ;   Parent Loop BB20_6 Depth=1
                                        ; =>  This Inner Loop Header: Depth=2
	v_cmp_gt_u32_e32 vcc, s60, v30
	v_mov_b32_e32 v31, 0
	s_and_saveexec_b64 s[40:41], vcc
	s_cbranch_execz .LBB20_137
; %bb.136:                              ;   in Loop: Header=BB20_135 Depth=2
	global_load_ubyte v31, v4, s[64:65]
.LBB20_137:                             ;   in Loop: Header=BB20_135 Depth=2
	s_or_b64 exec, exec, s[40:41]
	s_and_saveexec_b64 s[40:41], vcc
	s_cbranch_execz .LBB20_134
; %bb.138:                              ;   in Loop: Header=BB20_135 Depth=2
	s_waitcnt vmcnt(0)
	v_add_u32_sdwa v32, sext(v31), s80 dst_sel:DWORD dst_unused:UNUSED_PAD src0_sel:BYTE_0 src1_sel:DWORD
	v_and_b32_e32 v32, v32, v3
	v_cmp_eq_u32_e32 vcc, v32, v2
	s_and_b64 exec, exec, vcc
	s_cbranch_execz .LBB20_134
; %bb.139:                              ;   in Loop: Header=BB20_135 Depth=2
	v_lshlrev_b16_e32 v31, 8, v31
	v_or_b32_e32 v31, 1, v31
	ds_write_b16 v24, v31 offset:3072
	s_branch .LBB20_134
.LBB20_140:                             ;   in Loop: Header=BB20_6 Depth=1
	s_or_b64 exec, exec, s[36:37]
	v_lshrrev_b16_e32 v4, 8, v31
	s_and_b64 s[40:41], s[38:39], exec
.LBB20_141:                             ;   in Loop: Header=BB20_6 Depth=1
	s_or_b64 exec, exec, s[24:25]
	s_mov_b64 s[38:39], -1
	s_mov_b64 s[24:25], 0
	s_mov_b64 s[36:37], 0
.LBB20_142:                             ;   in Loop: Header=BB20_6 Depth=1
	s_orn2_b64 s[46:47], s[40:41], exec
.LBB20_143:                             ;   in Loop: Header=BB20_6 Depth=1
	s_or_b64 exec, exec, s[16:17]
	s_mov_b64 s[44:45], 0
                                        ; implicit-def: $vgpr30
	s_and_saveexec_b64 s[40:41], s[46:47]
	s_cbranch_execz .LBB20_236
; %bb.144:                              ;   in Loop: Header=BB20_6 Depth=1
	s_xor_b64 s[4:5], s[42:43], -1
	s_mov_b64 s[46:47], 0
	v_mov_b32_e32 v31, 1
	v_mov_b32_e32 v30, 1
	s_and_saveexec_b64 s[16:17], s[4:5]
	s_cbranch_execz .LBB20_154
; %bb.145:                              ;   in Loop: Header=BB20_6 Depth=1
	v_cmp_ge_u32_e32 vcc, s74, v5
                                        ; implicit-def: $sgpr4
                                        ; implicit-def: $sgpr42_sgpr43
	s_and_saveexec_b64 s[44:45], vcc
	s_xor_b64 s[44:45], exec, s[44:45]
	s_cbranch_execz .LBB20_151
; %bb.146:                              ;   in Loop: Header=BB20_6 Depth=1
	ds_read_b32 v30, v24 offset:4096
	s_waitcnt lgkmcnt(0)
	v_cmp_ne_u32_e32 vcc, 0, v30
	s_cbranch_vccnz .LBB20_150
; %bb.147:                              ;   in Loop: Header=BB20_6 Depth=1
	s_mov_b64 s[42:43], exec
	v_readlane_b32 s4, v47, 16
	v_readlane_b32 s5, v47, 17
	s_and_b64 s[4:5], s[42:43], s[4:5]
	s_mov_b64 exec, s[4:5]
	s_cbranch_execz .LBB20_149
; %bb.148:                              ;   in Loop: Header=BB20_6 Depth=1
	v_mov_b32_e32 v30, s74
	ds_write_b32 v24, v30 offset:4100
.LBB20_149:                             ;   in Loop: Header=BB20_6 Depth=1
	s_or_b64 exec, exec, s[42:43]
	s_waitcnt lgkmcnt(0)
	s_barrier
.LBB20_150:                             ;   in Loop: Header=BB20_6 Depth=1
	v_and_b32_e32 v2, s6, v2
	v_lshl_or_b32 v2, 1, s56, v2
	v_or_b32_e32 v3, s75, v3
	s_mov_b64 s[42:43], 0
	s_mov_b32 s4, 8
.LBB20_151:                             ;   in Loop: Header=BB20_6 Depth=1
	s_or_saveexec_b64 s[44:45], s[44:45]
	v_mov_b32_e32 v30, s4
	s_xor_b64 exec, exec, s[44:45]
; %bb.152:                              ;   in Loop: Header=BB20_6 Depth=1
	v_subrev_u32_e32 v5, s74, v5
	v_mov_b32_e32 v30, 0
	s_or_b64 s[42:43], s[42:43], exec
; %bb.153:                              ;   in Loop: Header=BB20_6 Depth=1
	s_or_b64 exec, exec, s[44:45]
	s_and_b64 s[46:47], s[42:43], exec
	v_mov_b32_e32 v31, v5
.LBB20_154:                             ;   in Loop: Header=BB20_6 Depth=1
	s_or_b64 exec, exec, s[16:17]
	s_mov_b64 s[16:17], -1
                                        ; implicit-def: $sgpr44_sgpr45
                                        ; implicit-def: $sgpr48_sgpr49
                                        ; implicit-def: $sgpr50_sgpr51
	s_and_saveexec_b64 s[42:43], s[46:47]
	s_cbranch_execz .LBB20_235
; %bb.155:                              ;   in Loop: Header=BB20_6 Depth=1
	s_cmp_eq_u32 s57, 1
	s_cselect_b64 s[4:5], -1, 0
	v_cmp_eq_u32_e32 vcc, 1, v31
	s_and_b64 s[52:53], s[4:5], vcc
	s_mov_b64 s[54:55], -1
                                        ; implicit-def: $sgpr44_sgpr45
                                        ; implicit-def: $sgpr48_sgpr49
                                        ; implicit-def: $sgpr46_sgpr47
	s_and_saveexec_b64 s[16:17], s[52:53]
	s_cbranch_execz .LBB20_181
; %bb.156:                              ;   in Loop: Header=BB20_6 Depth=1
	ds_read_b32 v4, v24 offset:4096
	s_waitcnt lgkmcnt(0)
	s_barrier
	v_readfirstlane_b32 s4, v4
	s_mov_b64 s[44:45], exec
	v_readlane_b32 s46, v47, 32
	v_readlane_b32 s47, v47, 33
	s_and_b64 s[46:47], s[44:45], s[46:47]
	s_mov_b64 exec, s[46:47]
	s_cbranch_execz .LBB20_158
; %bb.157:                              ;   in Loop: Header=BB20_6 Depth=1
	ds_write_b8 v0, v1 offset:3072
.LBB20_158:                             ;   in Loop: Header=BB20_6 Depth=1
	s_or_b64 exec, exec, s[44:45]
	v_and_b32_e32 v2, s6, v2
	v_lshl_or_b32 v2, 2, s56, v2
	v_or_b32_e32 v3, s75, v3
	s_cmp_eq_u32 s4, 0
	s_waitcnt lgkmcnt(0)
	s_barrier
	s_cbranch_scc1 .LBB20_167
; %bb.159:                              ;   in Loop: Header=BB20_6 Depth=1
	v_readlane_b32 s5, v47, 25
	s_add_i32 s5, s4, s5
	v_readlane_b32 s11, v47, 47
	s_mul_hi_u32 s11, s5, s11
	s_mul_i32 s11, s11, s33
	s_sub_i32 s11, s5, s11
	s_sub_i32 s44, s11, s33
	s_cmp_ge_u32 s11, s33
	s_cselect_b32 s11, s44, s11
	s_sub_i32 s44, s11, s33
	s_cmp_ge_u32 s11, s33
	s_cselect_b32 s11, s44, s11
	s_sub_i32 s5, s5, s11
	v_cmp_gt_u32_e32 vcc, s5, v0
	s_mov_b64 s[50:51], 0
                                        ; implicit-def: $vgpr4
	s_and_saveexec_b64 s[44:45], vcc
	s_cbranch_execz .LBB20_169
; %bb.160:                              ;   in Loop: Header=BB20_6 Depth=1
	s_mov_b64 s[46:47], 0
	v_mov_b32_e32 v4, v0
                                        ; implicit-def: $sgpr48_sgpr49
	s_branch .LBB20_162
.LBB20_161:                             ;   in Loop: Header=BB20_162 Depth=2
	s_or_b64 exec, exec, s[50:51]
	s_waitcnt lgkmcnt(0)
	s_barrier
	ds_read_u16 v5, v24 offset:3072
	v_add_u32_e32 v4, s33, v4
	v_cmp_le_u32_e32 vcc, s5, v4
	s_waitcnt lgkmcnt(0)
	s_barrier
	v_cmp_ne_u16_sdwa s[50:51], v5, v1 src0_sel:BYTE_0 src1_sel:DWORD
	s_or_b64 s[54:55], vcc, s[50:51]
	s_and_b64 s[54:55], exec, s[54:55]
	s_or_b64 s[46:47], s[54:55], s[46:47]
	s_andn2_b64 s[48:49], s[48:49], exec
	s_and_b64 s[50:51], s[50:51], exec
	s_or_b64 s[48:49], s[48:49], s[50:51]
	s_andn2_b64 exec, exec, s[46:47]
	s_cbranch_execz .LBB20_168
.LBB20_162:                             ;   Parent Loop BB20_6 Depth=1
                                        ; =>  This Inner Loop Header: Depth=2
	v_cmp_gt_u32_e32 vcc, s4, v4
	v_mov_b32_e32 v5, 0
	s_and_saveexec_b64 s[50:51], vcc
	s_cbranch_execz .LBB20_164
; %bb.163:                              ;   in Loop: Header=BB20_162 Depth=2
	ds_read_u8 v5, v4
.LBB20_164:                             ;   in Loop: Header=BB20_162 Depth=2
	s_or_b64 exec, exec, s[50:51]
	s_and_saveexec_b64 s[50:51], vcc
	s_cbranch_execz .LBB20_161
; %bb.165:                              ;   in Loop: Header=BB20_162 Depth=2
	s_waitcnt lgkmcnt(0)
	v_add_u32_sdwa v30, sext(v5), s80 dst_sel:DWORD dst_unused:UNUSED_PAD src0_sel:BYTE_0 src1_sel:DWORD
	v_and_b32_e32 v30, v30, v3
	v_cmp_eq_u32_e32 vcc, v30, v2
	s_and_b64 exec, exec, vcc
	s_cbranch_execz .LBB20_161
; %bb.166:                              ;   in Loop: Header=BB20_162 Depth=2
	v_lshlrev_b16_e32 v5, 8, v5
	v_or_b32_e32 v5, 1, v5
	ds_write_b16 v24, v5 offset:3072
	s_branch .LBB20_161
.LBB20_167:                             ;   in Loop: Header=BB20_6 Depth=1
	s_mov_b64 s[44:45], -1
	s_mov_b64 s[50:51], 0
                                        ; implicit-def: $sgpr46_sgpr47
                                        ; implicit-def: $vgpr4
	s_mov_b64 s[48:49], s[44:45]
	s_cbranch_execnz .LBB20_170
	s_branch .LBB20_180
.LBB20_168:                             ;   in Loop: Header=BB20_6 Depth=1
	s_or_b64 exec, exec, s[46:47]
	v_lshrrev_b16_e32 v4, 8, v5
	s_and_b64 s[50:51], s[48:49], exec
.LBB20_169:                             ;   in Loop: Header=BB20_6 Depth=1
	s_or_b64 exec, exec, s[44:45]
	s_mov_b64 s[46:47], -1
	s_mov_b64 s[44:45], 0
	s_mov_b64 s[48:49], s[44:45]
	s_branch .LBB20_180
.LBB20_170:                             ;   in Loop: Header=BB20_6 Depth=1
	s_mov_b64 s[50:51], 0
                                        ; implicit-def: $vgpr4
	s_mov_b64 s[44:45], exec
	v_readlane_b32 s4, v47, 48
	v_readlane_b32 s5, v47, 49
	s_and_b64 s[4:5], s[44:45], s[4:5]
	s_mov_b64 exec, s[4:5]
	s_cbranch_execz .LBB20_179
; %bb.171:                              ;   in Loop: Header=BB20_6 Depth=1
	s_mov_b64 s[46:47], 0
	v_mov_b32_e32 v4, v15
	v_mov_b32_e32 v5, v0
                                        ; implicit-def: $sgpr48_sgpr49
	s_branch .LBB20_173
.LBB20_172:                             ;   in Loop: Header=BB20_173 Depth=2
	s_or_b64 exec, exec, s[50:51]
	s_waitcnt lgkmcnt(0)
	s_barrier
	s_waitcnt vmcnt(0)
	ds_read_u16 v30, v24 offset:3072
	v_add_u32_e32 v5, s33, v5
	v_cmp_le_u32_e32 vcc, s7, v5
	v_add_u32_e32 v4, s8, v4
	s_waitcnt lgkmcnt(0)
	v_cmp_ne_u16_sdwa s[4:5], v30, v1 src0_sel:BYTE_0 src1_sel:DWORD
	s_or_b64 s[50:51], vcc, s[4:5]
	s_and_b64 s[50:51], exec, s[50:51]
	s_or_b64 s[46:47], s[50:51], s[46:47]
	s_andn2_b64 s[48:49], s[48:49], exec
	s_and_b64 s[4:5], s[4:5], exec
	s_or_b64 s[48:49], s[48:49], s[4:5]
	s_barrier
	s_andn2_b64 exec, exec, s[46:47]
	s_cbranch_execz .LBB20_178
.LBB20_173:                             ;   Parent Loop BB20_6 Depth=1
                                        ; =>  This Inner Loop Header: Depth=2
	v_cmp_gt_u32_e32 vcc, s60, v5
	v_mov_b32_e32 v30, 0
	s_and_saveexec_b64 s[50:51], vcc
	s_cbranch_execz .LBB20_175
; %bb.174:                              ;   in Loop: Header=BB20_173 Depth=2
	global_load_ubyte v30, v4, s[64:65]
.LBB20_175:                             ;   in Loop: Header=BB20_173 Depth=2
	s_or_b64 exec, exec, s[50:51]
	s_and_saveexec_b64 s[50:51], vcc
	s_cbranch_execz .LBB20_172
; %bb.176:                              ;   in Loop: Header=BB20_173 Depth=2
	s_waitcnt vmcnt(0)
	v_add_u32_sdwa v32, sext(v30), s80 dst_sel:DWORD dst_unused:UNUSED_PAD src0_sel:BYTE_0 src1_sel:DWORD
	v_and_b32_e32 v32, v32, v3
	v_cmp_eq_u32_e32 vcc, v32, v2
	s_and_b64 exec, exec, vcc
	s_cbranch_execz .LBB20_172
; %bb.177:                              ;   in Loop: Header=BB20_173 Depth=2
	v_lshlrev_b16_e32 v30, 8, v30
	v_or_b32_e32 v30, 1, v30
	ds_write_b16 v24, v30 offset:3072
	s_branch .LBB20_172
.LBB20_178:                             ;   in Loop: Header=BB20_6 Depth=1
	s_or_b64 exec, exec, s[46:47]
	v_lshrrev_b16_e32 v4, 8, v30
	s_and_b64 s[50:51], s[48:49], exec
.LBB20_179:                             ;   in Loop: Header=BB20_6 Depth=1
	s_or_b64 exec, exec, s[44:45]
	s_mov_b64 s[48:49], -1
	s_mov_b64 s[44:45], 0
	s_mov_b64 s[46:47], 0
.LBB20_180:                             ;   in Loop: Header=BB20_6 Depth=1
	s_orn2_b64 s[54:55], s[50:51], exec
.LBB20_181:                             ;   in Loop: Header=BB20_6 Depth=1
	s_or_b64 exec, exec, s[16:17]
	s_mov_b64 s[16:17], 0
                                        ; implicit-def: $vgpr30
	s_and_saveexec_b64 s[50:51], s[54:55]
	s_cbranch_execz .LBB20_234
; %bb.182:                              ;   in Loop: Header=BB20_6 Depth=1
	s_xor_b64 s[4:5], s[52:53], -1
	s_mov_b64 s[54:55], 0
	v_mov_b32_e32 v5, 1
	v_mov_b32_e32 v30, 1
	s_and_saveexec_b64 s[16:17], s[4:5]
	s_cbranch_execz .LBB20_192
; %bb.183:                              ;   in Loop: Header=BB20_6 Depth=1
	v_cmp_ge_u32_e32 vcc, s57, v31
                                        ; implicit-def: $sgpr4
                                        ; implicit-def: $sgpr52_sgpr53
	s_and_saveexec_b64 s[54:55], vcc
	s_xor_b64 s[54:55], exec, s[54:55]
	s_cbranch_execz .LBB20_189
; %bb.184:                              ;   in Loop: Header=BB20_6 Depth=1
	ds_read_b32 v5, v24 offset:4096
	s_waitcnt lgkmcnt(0)
	v_cmp_ne_u32_e32 vcc, 0, v5
	s_cbranch_vccnz .LBB20_188
; %bb.185:                              ;   in Loop: Header=BB20_6 Depth=1
	s_mov_b64 s[52:53], exec
	v_readlane_b32 s4, v47, 16
	v_readlane_b32 s5, v47, 17
	s_and_b64 s[4:5], s[52:53], s[4:5]
	s_mov_b64 exec, s[4:5]
	s_cbranch_execz .LBB20_187
; %bb.186:                              ;   in Loop: Header=BB20_6 Depth=1
	v_mov_b32_e32 v5, s57
	ds_write_b32 v24, v5 offset:4100
.LBB20_187:                             ;   in Loop: Header=BB20_6 Depth=1
	s_or_b64 exec, exec, s[52:53]
	s_waitcnt lgkmcnt(0)
	s_barrier
.LBB20_188:                             ;   in Loop: Header=BB20_6 Depth=1
	v_and_b32_e32 v2, s6, v2
	v_lshl_or_b32 v2, 2, s56, v2
	v_or_b32_e32 v3, s75, v3
	s_mov_b64 s[52:53], 0
	s_mov_b32 s4, 8
.LBB20_189:                             ;   in Loop: Header=BB20_6 Depth=1
	s_or_saveexec_b64 s[54:55], s[54:55]
	v_mov_b32_e32 v30, s4
	s_xor_b64 exec, exec, s[54:55]
; %bb.190:                              ;   in Loop: Header=BB20_6 Depth=1
	v_subrev_u32_e32 v31, s57, v31
	v_mov_b32_e32 v30, 0
	s_or_b64 s[52:53], s[52:53], exec
; %bb.191:                              ;   in Loop: Header=BB20_6 Depth=1
	s_or_b64 exec, exec, s[54:55]
	s_and_b64 s[54:55], s[52:53], exec
	v_mov_b32_e32 v5, v31
.LBB20_192:                             ;   in Loop: Header=BB20_6 Depth=1
	s_or_b64 exec, exec, s[16:17]
	s_mov_b64 s[16:17], -1
                                        ; implicit-def: $sgpr84_sgpr85
                                        ; implicit-def: $sgpr58_sgpr59
                                        ; implicit-def: $sgpr4_sgpr5
                                        ; kill: killed $sgpr4_sgpr5
	s_and_saveexec_b64 s[52:53], s[54:55]
	s_cbranch_execz .LBB20_233
; %bb.193:                              ;   in Loop: Header=BB20_6 Depth=1
	s_cmp_eq_u32 s10, 1
	s_cselect_b64 s[4:5], -1, 0
	v_cmp_eq_u32_e32 vcc, 1, v5
	s_mov_b64 s[54:55], -1
	s_and_b64 s[4:5], s[4:5], vcc
                                        ; implicit-def: $sgpr84_sgpr85
                                        ; implicit-def: $sgpr58_sgpr59
                                        ; implicit-def: $sgpr16_sgpr17
                                        ; kill: killed $sgpr16_sgpr17
	s_mov_b64 s[16:17], exec
	v_writelane_b32 v47, s4, 53
	v_writelane_b32 v47, s5, 54
	;; [unrolled: 1-line block ×3, first 2 shown]
	s_and_b64 s[4:5], s[16:17], s[4:5]
	v_writelane_b32 v47, s17, 56
	s_mov_b64 exec, s[4:5]
	s_cbranch_execz .LBB20_220
; %bb.194:                              ;   in Loop: Header=BB20_6 Depth=1
	ds_read_b32 v4, v24 offset:4096
	v_readlane_b32 s16, v47, 32
	v_readlane_b32 s17, v47, 33
	s_waitcnt lgkmcnt(0)
	s_barrier
	v_readfirstlane_b32 s4, v4
	s_and_saveexec_b64 s[54:55], s[16:17]
	s_cbranch_execz .LBB20_196
; %bb.195:                              ;   in Loop: Header=BB20_6 Depth=1
	ds_write_b8 v0, v1 offset:3072
.LBB20_196:                             ;   in Loop: Header=BB20_6 Depth=1
	s_or_b64 exec, exec, s[54:55]
	v_or_b32_e32 v2, s75, v2
	v_or_b32_e32 v3, s75, v3
	s_cmp_eq_u32 s4, 0
	s_waitcnt lgkmcnt(0)
	s_barrier
	s_cbranch_scc1 .LBB20_205
; %bb.197:                              ;   in Loop: Header=BB20_6 Depth=1
	v_readlane_b32 s5, v47, 25
	s_add_i32 s5, s4, s5
	v_readlane_b32 s11, v47, 47
	s_mul_hi_u32 s11, s5, s11
	s_mul_i32 s11, s11, s33
	s_sub_i32 s11, s5, s11
	s_sub_i32 s16, s11, s33
	s_cmp_ge_u32 s11, s33
	s_cselect_b32 s11, s16, s11
	s_sub_i32 s16, s11, s33
	s_cmp_ge_u32 s11, s33
	s_cselect_b32 s11, s16, s11
	s_sub_i32 s5, s5, s11
	s_mov_b64 s[54:55], 0
	v_cmp_gt_u32_e32 vcc, s5, v0
                                        ; implicit-def: $vgpr4
	s_mov_b64 s[16:17], exec
	v_writelane_b32 v47, s16, 59
	s_and_b64 s[58:59], s[16:17], vcc
	v_writelane_b32 v47, s17, 60
	s_mov_b64 exec, s[58:59]
	s_cbranch_execz .LBB20_207
; %bb.198:                              ;   in Loop: Header=BB20_6 Depth=1
	v_mov_b32_e32 v4, v0
                                        ; implicit-def: $sgpr58_sgpr59
	s_branch .LBB20_200
.LBB20_199:                             ;   in Loop: Header=BB20_200 Depth=2
	s_or_b64 exec, exec, s[84:85]
	s_waitcnt lgkmcnt(0)
	s_barrier
	ds_read_u16 v30, v24 offset:3072
	v_add_u32_e32 v4, s33, v4
	v_cmp_le_u32_e32 vcc, s5, v4
	s_waitcnt lgkmcnt(0)
	s_barrier
	v_cmp_ne_u16_sdwa s[16:17], v30, v1 src0_sel:BYTE_0 src1_sel:DWORD
	s_or_b64 s[84:85], vcc, s[16:17]
	s_and_b64 s[84:85], exec, s[84:85]
	s_or_b64 s[54:55], s[84:85], s[54:55]
	s_andn2_b64 s[58:59], s[58:59], exec
	s_and_b64 s[16:17], s[16:17], exec
	s_or_b64 s[58:59], s[58:59], s[16:17]
	s_andn2_b64 exec, exec, s[54:55]
	s_cbranch_execz .LBB20_206
.LBB20_200:                             ;   Parent Loop BB20_6 Depth=1
                                        ; =>  This Inner Loop Header: Depth=2
	v_cmp_gt_u32_e32 vcc, s4, v4
	v_mov_b32_e32 v30, 0
	s_and_saveexec_b64 s[84:85], vcc
	s_cbranch_execz .LBB20_202
; %bb.201:                              ;   in Loop: Header=BB20_200 Depth=2
	ds_read_u8 v30, v4
.LBB20_202:                             ;   in Loop: Header=BB20_200 Depth=2
	s_or_b64 exec, exec, s[84:85]
	s_and_saveexec_b64 s[84:85], vcc
	s_cbranch_execz .LBB20_199
; %bb.203:                              ;   in Loop: Header=BB20_200 Depth=2
	s_waitcnt lgkmcnt(0)
	v_add_u32_sdwa v31, sext(v30), s80 dst_sel:DWORD dst_unused:UNUSED_PAD src0_sel:BYTE_0 src1_sel:DWORD
	v_and_b32_e32 v31, v31, v3
	v_cmp_eq_u32_e32 vcc, v31, v2
	s_and_b64 exec, exec, vcc
	s_cbranch_execz .LBB20_199
; %bb.204:                              ;   in Loop: Header=BB20_200 Depth=2
	v_lshlrev_b16_e32 v30, 8, v30
	v_or_b32_e32 v30, 1, v30
	ds_write_b16 v24, v30 offset:3072
	s_branch .LBB20_199
.LBB20_205:                             ;   in Loop: Header=BB20_6 Depth=1
	s_mov_b64 s[84:85], -1
	s_mov_b64 s[54:55], 0
                                        ; implicit-def: $sgpr4_sgpr5
                                        ; implicit-def: $vgpr4
	s_branch .LBB20_208
.LBB20_206:                             ;   in Loop: Header=BB20_6 Depth=1
	s_or_b64 exec, exec, s[54:55]
	v_lshrrev_b16_e32 v4, 8, v30
	s_and_b64 s[54:55], s[58:59], exec
.LBB20_207:                             ;   in Loop: Header=BB20_6 Depth=1
	v_readlane_b32 s4, v47, 59
	v_readlane_b32 s5, v47, 60
	s_or_b64 exec, exec, s[4:5]
	s_mov_b64 s[4:5], -1
	s_mov_b64 s[84:85], 0
.LBB20_208:                             ;   in Loop: Header=BB20_6 Depth=1
	s_and_b64 vcc, exec, s[84:85]
	s_mov_b64 s[58:59], s[84:85]
	s_cbranch_vccz .LBB20_219
; %bb.209:                              ;   in Loop: Header=BB20_6 Depth=1
	s_mov_b64 s[54:55], 0
                                        ; implicit-def: $vgpr4
	s_mov_b64 s[16:17], exec
	v_readlane_b32 s4, v47, 48
	v_readlane_b32 s5, v47, 49
	v_writelane_b32 v47, s16, 61
	s_and_b64 s[4:5], s[16:17], s[4:5]
	v_writelane_b32 v47, s17, 62
	s_mov_b64 exec, s[4:5]
	s_cbranch_execz .LBB20_218
; %bb.210:                              ;   in Loop: Header=BB20_6 Depth=1
	v_mov_b32_e32 v4, v15
	v_mov_b32_e32 v30, v0
                                        ; implicit-def: $sgpr58_sgpr59
	s_branch .LBB20_212
.LBB20_211:                             ;   in Loop: Header=BB20_212 Depth=2
	s_or_b64 exec, exec, s[84:85]
	s_waitcnt lgkmcnt(0)
	s_barrier
	s_waitcnt vmcnt(0)
	ds_read_u16 v31, v24 offset:3072
	v_add_u32_e32 v30, s33, v30
	v_cmp_le_u32_e32 vcc, s7, v30
	v_add_u32_e32 v4, s8, v4
	s_waitcnt lgkmcnt(0)
	v_cmp_ne_u16_sdwa s[4:5], v31, v1 src0_sel:BYTE_0 src1_sel:DWORD
	s_or_b64 s[16:17], vcc, s[4:5]
	s_and_b64 s[16:17], exec, s[16:17]
	s_or_b64 s[54:55], s[16:17], s[54:55]
	s_andn2_b64 s[16:17], s[58:59], exec
	s_and_b64 s[4:5], s[4:5], exec
	s_or_b64 s[58:59], s[16:17], s[4:5]
	s_barrier
	s_andn2_b64 exec, exec, s[54:55]
	s_cbranch_execz .LBB20_217
.LBB20_212:                             ;   Parent Loop BB20_6 Depth=1
                                        ; =>  This Inner Loop Header: Depth=2
	v_cmp_gt_u32_e32 vcc, s60, v30
	v_mov_b32_e32 v31, 0
	s_and_saveexec_b64 s[84:85], vcc
	s_cbranch_execz .LBB20_214
; %bb.213:                              ;   in Loop: Header=BB20_212 Depth=2
	global_load_ubyte v31, v4, s[64:65]
.LBB20_214:                             ;   in Loop: Header=BB20_212 Depth=2
	s_or_b64 exec, exec, s[84:85]
	s_and_saveexec_b64 s[84:85], vcc
	s_cbranch_execz .LBB20_211
; %bb.215:                              ;   in Loop: Header=BB20_212 Depth=2
	s_waitcnt vmcnt(0)
	v_add_u32_sdwa v32, sext(v31), s80 dst_sel:DWORD dst_unused:UNUSED_PAD src0_sel:BYTE_0 src1_sel:DWORD
	v_and_b32_e32 v32, v32, v3
	v_cmp_eq_u32_e32 vcc, v32, v2
	s_and_b64 exec, exec, vcc
	s_cbranch_execz .LBB20_211
; %bb.216:                              ;   in Loop: Header=BB20_212 Depth=2
	v_lshlrev_b16_e32 v31, 8, v31
	v_or_b32_e32 v31, 1, v31
	ds_write_b16 v24, v31 offset:3072
	s_branch .LBB20_211
.LBB20_217:                             ;   in Loop: Header=BB20_6 Depth=1
	s_or_b64 exec, exec, s[54:55]
	v_lshrrev_b16_e32 v4, 8, v31
	s_and_b64 s[54:55], s[58:59], exec
.LBB20_218:                             ;   in Loop: Header=BB20_6 Depth=1
	v_readlane_b32 s4, v47, 61
	v_readlane_b32 s5, v47, 62
	s_or_b64 exec, exec, s[4:5]
	s_mov_b64 s[58:59], -1
	s_mov_b64 s[84:85], 0
	s_mov_b64 s[4:5], 0
.LBB20_219:                             ;   in Loop: Header=BB20_6 Depth=1
	v_writelane_b32 v47, s4, 57
	s_orn2_b64 s[54:55], s[54:55], exec
	v_writelane_b32 v47, s5, 58
.LBB20_220:                             ;   in Loop: Header=BB20_6 Depth=1
	v_readlane_b32 s4, v47, 55
	v_readlane_b32 s5, v47, 56
	s_or_b64 exec, exec, s[4:5]
	s_mov_b64 vcc, 0
                                        ; implicit-def: $vgpr30
                                        ; implicit-def: $vgpr31
	s_and_saveexec_b64 s[16:17], s[54:55]
	s_cbranch_execz .LBB20_232
; %bb.221:                              ;   in Loop: Header=BB20_6 Depth=1
	v_readlane_b32 s4, v47, 53
	v_readlane_b32 s5, v47, 54
	s_xor_b64 s[4:5], s[4:5], -1
	v_mov_b32_e32 v30, 1
	v_mov_b32_e32 v31, 1
	s_and_saveexec_b64 s[54:55], s[4:5]
	s_cbranch_execz .LBB20_231
; %bb.222:                              ;   in Loop: Header=BB20_6 Depth=1
	v_cmp_ge_u32_e32 vcc, s10, v5
                                        ; implicit-def: $sgpr11
	s_and_saveexec_b64 s[4:5], vcc
	s_xor_b64 s[4:5], exec, s[4:5]
	s_cbranch_execz .LBB20_228
; %bb.223:                              ;   in Loop: Header=BB20_6 Depth=1
	ds_read_b32 v30, v24 offset:4096
	s_waitcnt lgkmcnt(0)
	v_cmp_ne_u32_e32 vcc, 0, v30
	s_cbranch_vccnz .LBB20_227
; %bb.224:                              ;   in Loop: Header=BB20_6 Depth=1
                                        ; implicit-def: $vgpr46 : SGPR spill to VGPR lane
	v_writelane_b32 v47, s4, 63
	v_writelane_b32 v46, s5, 0
	s_mov_b64 vcc, exec
	v_readlane_b32 s4, v47, 16
	v_readlane_b32 s5, v47, 17
	s_and_b64 s[4:5], vcc, s[4:5]
	s_mov_b64 exec, s[4:5]
	s_cbranch_execz .LBB20_226
; %bb.225:                              ;   in Loop: Header=BB20_6 Depth=1
	v_mov_b32_e32 v30, s10
	ds_write_b32 v24, v30 offset:4100
.LBB20_226:                             ;   in Loop: Header=BB20_6 Depth=1
	s_or_b64 exec, exec, vcc
	v_readlane_b32 s4, v47, 63
	v_readlane_b32 s5, v46, 0
	s_waitcnt lgkmcnt(0)
	s_barrier
.LBB20_227:                             ;   in Loop: Header=BB20_6 Depth=1
	v_or_b32_e32 v2, s75, v2
	v_or_b32_e32 v3, s75, v3
	s_mov_b32 s11, 8
.LBB20_228:                             ;   in Loop: Header=BB20_6 Depth=1
	s_or_saveexec_b64 vcc, s[4:5]
	v_mov_b32_e32 v30, s11
	s_xor_b64 exec, exec, vcc
; %bb.229:                              ;   in Loop: Header=BB20_6 Depth=1
	v_subrev_u32_e32 v5, s10, v5
	v_mov_b32_e32 v30, 8
; %bb.230:                              ;   in Loop: Header=BB20_6 Depth=1
	s_or_b64 exec, exec, vcc
	v_mov_b32_e32 v31, v5
.LBB20_231:                             ;   in Loop: Header=BB20_6 Depth=1
	s_or_b64 exec, exec, s[54:55]
	s_mov_b64 vcc, exec
.LBB20_232:                             ;   in Loop: Header=BB20_6 Depth=1
	s_or_b64 exec, exec, s[16:17]
	s_orn2_b64 s[16:17], vcc, exec
	v_mov_b32_e32 v5, v31
.LBB20_233:                             ;   in Loop: Header=BB20_6 Depth=1
	s_or_b64 exec, exec, s[52:53]
	s_andn2_b64 s[4:5], s[44:45], exec
	s_and_b64 s[44:45], s[84:85], exec
	s_or_b64 s[44:45], s[4:5], s[44:45]
	s_andn2_b64 s[4:5], s[48:49], exec
	s_and_b64 s[48:49], s[58:59], exec
	s_or_b64 s[48:49], s[4:5], s[48:49]
	s_andn2_b64 s[4:5], s[46:47], exec
	v_readlane_b32 s46, v47, 57
	v_readlane_b32 s47, v47, 58
	s_and_b64 s[46:47], s[46:47], exec
	s_or_b64 s[46:47], s[4:5], s[46:47]
	s_and_b64 s[16:17], s[16:17], exec
	v_mov_b32_e32 v31, v5
.LBB20_234:                             ;   in Loop: Header=BB20_6 Depth=1
	s_or_b64 exec, exec, s[50:51]
	s_and_b64 s[50:51], s[44:45], exec
	s_and_b64 s[48:49], s[48:49], exec
	;; [unrolled: 1-line block ×3, first 2 shown]
	s_orn2_b64 s[16:17], s[16:17], exec
.LBB20_235:                             ;   in Loop: Header=BB20_6 Depth=1
	s_or_b64 exec, exec, s[42:43]
	s_andn2_b64 s[4:5], s[24:25], exec
	s_and_b64 s[24:25], s[50:51], exec
	s_or_b64 s[24:25], s[4:5], s[24:25]
	s_andn2_b64 s[4:5], s[38:39], exec
	s_and_b64 s[38:39], s[48:49], exec
	s_or_b64 s[38:39], s[4:5], s[38:39]
	;; [unrolled: 3-line block ×3, first 2 shown]
	s_and_b64 s[44:45], s[16:17], exec
	v_mov_b32_e32 v5, v31
.LBB20_236:                             ;   in Loop: Header=BB20_6 Depth=1
	s_or_b64 exec, exec, s[40:41]
	s_and_b64 s[40:41], s[24:25], exec
	s_and_b64 s[24:25], s[38:39], exec
	;; [unrolled: 1-line block ×3, first 2 shown]
	s_orn2_b64 s[38:39], s[44:45], exec
.LBB20_237:                             ;   in Loop: Header=BB20_6 Depth=1
	s_or_b64 exec, exec, s[20:21]
	s_mov_b64 s[36:37], 0
	s_mov_b64 s[20:21], 0
	s_and_saveexec_b64 s[4:5], s[38:39]
	s_xor_b64 s[38:39], exec, s[4:5]
; %bb.238:                              ;   in Loop: Header=BB20_6 Depth=1
	v_cmp_eq_u32_e32 vcc, 8, v30
	v_cmp_ne_u32_e64 s[20:21], 8, v30
	s_andn2_b64 s[40:41], s[40:41], exec
	s_andn2_b64 s[24:25], s[24:25], exec
	;; [unrolled: 1-line block ×3, first 2 shown]
	s_and_b64 s[20:21], s[20:21], exec
	s_and_b64 s[36:37], vcc, exec
; %bb.239:                              ;   in Loop: Header=BB20_6 Depth=1
	s_or_b64 exec, exec, s[38:39]
	s_andn2_b64 s[4:5], s[22:23], exec
	s_and_b64 s[22:23], s[40:41], exec
	s_or_b64 s[22:23], s[4:5], s[22:23]
	s_andn2_b64 s[4:5], s[28:29], exec
	s_and_b64 s[24:25], s[24:25], exec
	s_or_b64 s[28:29], s[4:5], s[24:25]
	;; [unrolled: 3-line block ×3, first 2 shown]
	s_and_b64 s[20:21], s[20:21], exec
	s_and_b64 s[24:25], s[36:37], exec
.LBB20_240:                             ;   in Loop: Header=BB20_6 Depth=1
	s_or_b64 exec, exec, s[34:35]
	s_and_b64 vcc, exec, s[30:31]
	s_cbranch_vccz .LBB20_90
.LBB20_241:                             ;   in Loop: Header=BB20_6 Depth=1
	s_cmp_eq_u32 s10, 1
	s_cselect_b64 s[4:5], -1, 0
	s_and_b64 s[18:19], s[4:5], s[18:19]
	s_mov_b64 s[28:29], -1
                                        ; implicit-def: $sgpr30_sgpr31
                                        ; implicit-def: $sgpr34_sgpr35
                                        ; implicit-def: $sgpr22_sgpr23
	s_and_saveexec_b64 s[16:17], s[18:19]
	s_cbranch_execz .LBB20_267
; %bb.242:                              ;   in Loop: Header=BB20_6 Depth=1
	ds_read_b32 v2, v24 offset:4096
	s_waitcnt lgkmcnt(0)
	s_barrier
	v_readfirstlane_b32 s4, v2
	s_mov_b64 s[22:23], exec
	v_readlane_b32 s26, v47, 32
	v_readlane_b32 s27, v47, 33
	s_and_b64 s[26:27], s[22:23], s[26:27]
	s_mov_b64 exec, s[26:27]
	s_cbranch_execz .LBB20_244
; %bb.243:                              ;   in Loop: Header=BB20_6 Depth=1
	ds_write_b8 v0, v1 offset:3072
.LBB20_244:                             ;   in Loop: Header=BB20_6 Depth=1
	s_or_b64 exec, exec, s[22:23]
	v_or_b32_e32 v27, s75, v27
	v_or_b32_e32 v26, s75, v26
	s_cmp_eq_u32 s4, 0
	s_waitcnt lgkmcnt(0)
	s_barrier
	s_cbranch_scc1 .LBB20_253
; %bb.245:                              ;   in Loop: Header=BB20_6 Depth=1
	v_readlane_b32 s5, v47, 25
	s_add_i32 s5, s4, s5
	v_readlane_b32 s11, v47, 47
	s_mul_hi_u32 s11, s5, s11
	s_mul_i32 s11, s11, s33
	s_sub_i32 s11, s5, s11
	s_sub_i32 s22, s11, s33
	s_cmp_ge_u32 s11, s33
	s_cselect_b32 s11, s22, s11
	s_sub_i32 s22, s11, s33
	s_cmp_ge_u32 s11, s33
	s_cselect_b32 s11, s22, s11
	s_sub_i32 s5, s5, s11
	v_cmp_gt_u32_e32 vcc, s5, v0
	s_mov_b64 s[26:27], 0
                                        ; implicit-def: $vgpr28
	s_and_saveexec_b64 s[22:23], vcc
	s_cbranch_execz .LBB20_255
; %bb.246:                              ;   in Loop: Header=BB20_6 Depth=1
	v_mov_b32_e32 v2, v0
                                        ; implicit-def: $sgpr28_sgpr29
	s_branch .LBB20_248
.LBB20_247:                             ;   in Loop: Header=BB20_248 Depth=2
	s_or_b64 exec, exec, s[30:31]
	s_waitcnt lgkmcnt(0)
	s_barrier
	ds_read_u16 v3, v24 offset:3072
	v_add_u32_e32 v2, s33, v2
	v_cmp_le_u32_e32 vcc, s5, v2
	s_waitcnt lgkmcnt(0)
	s_barrier
	v_cmp_ne_u16_sdwa s[30:31], v3, v1 src0_sel:BYTE_0 src1_sel:DWORD
	s_or_b64 s[34:35], vcc, s[30:31]
	s_and_b64 s[34:35], exec, s[34:35]
	s_or_b64 s[26:27], s[34:35], s[26:27]
	s_andn2_b64 s[28:29], s[28:29], exec
	s_and_b64 s[30:31], s[30:31], exec
	s_or_b64 s[28:29], s[28:29], s[30:31]
	s_andn2_b64 exec, exec, s[26:27]
	s_cbranch_execz .LBB20_254
.LBB20_248:                             ;   Parent Loop BB20_6 Depth=1
                                        ; =>  This Inner Loop Header: Depth=2
	v_cmp_gt_u32_e32 vcc, s4, v2
	v_mov_b32_e32 v3, 0
	s_and_saveexec_b64 s[30:31], vcc
	s_cbranch_execz .LBB20_250
; %bb.249:                              ;   in Loop: Header=BB20_248 Depth=2
	ds_read_u8 v3, v2
.LBB20_250:                             ;   in Loop: Header=BB20_248 Depth=2
	s_or_b64 exec, exec, s[30:31]
	s_and_saveexec_b64 s[30:31], vcc
	s_cbranch_execz .LBB20_247
; %bb.251:                              ;   in Loop: Header=BB20_248 Depth=2
	s_waitcnt lgkmcnt(0)
	v_add_u32_sdwa v4, sext(v3), s80 dst_sel:DWORD dst_unused:UNUSED_PAD src0_sel:BYTE_0 src1_sel:DWORD
	v_and_b32_e32 v4, v4, v26
	v_cmp_eq_u32_e32 vcc, v4, v27
	s_and_b64 exec, exec, vcc
	s_cbranch_execz .LBB20_247
; %bb.252:                              ;   in Loop: Header=BB20_248 Depth=2
	v_lshlrev_b16_e32 v3, 8, v3
	v_or_b32_e32 v3, 1, v3
	ds_write_b16 v24, v3 offset:3072
	s_branch .LBB20_247
.LBB20_253:                             ;   in Loop: Header=BB20_6 Depth=1
	s_mov_b64 s[30:31], -1
	s_mov_b64 s[26:27], 0
                                        ; implicit-def: $sgpr34_sgpr35
                                        ; implicit-def: $vgpr28
	s_mov_b64 s[22:23], s[30:31]
	s_cbranch_execnz .LBB20_256
	s_branch .LBB20_266
.LBB20_254:                             ;   in Loop: Header=BB20_6 Depth=1
	s_or_b64 exec, exec, s[26:27]
	v_lshrrev_b16_e32 v28, 8, v3
	s_and_b64 s[26:27], s[28:29], exec
.LBB20_255:                             ;   in Loop: Header=BB20_6 Depth=1
	s_or_b64 exec, exec, s[22:23]
	s_mov_b64 s[30:31], 0
	s_mov_b64 s[34:35], -1
	s_mov_b64 s[22:23], s[30:31]
	s_branch .LBB20_266
.LBB20_256:                             ;   in Loop: Header=BB20_6 Depth=1
	s_mov_b64 s[26:27], 0
                                        ; implicit-def: $vgpr28
	s_mov_b64 s[22:23], exec
	v_readlane_b32 s4, v47, 48
	v_readlane_b32 s5, v47, 49
	s_and_b64 s[4:5], s[22:23], s[4:5]
	s_mov_b64 exec, s[4:5]
	s_cbranch_execz .LBB20_265
; %bb.257:                              ;   in Loop: Header=BB20_6 Depth=1
	v_mov_b32_e32 v2, v15
	v_mov_b32_e32 v3, v0
                                        ; implicit-def: $sgpr28_sgpr29
	s_branch .LBB20_259
.LBB20_258:                             ;   in Loop: Header=BB20_259 Depth=2
	s_or_b64 exec, exec, s[30:31]
	s_waitcnt lgkmcnt(0)
	s_barrier
	s_waitcnt vmcnt(0)
	ds_read_u16 v4, v24 offset:3072
	v_add_u32_e32 v3, s33, v3
	v_cmp_le_u32_e32 vcc, s7, v3
	v_add_u32_e32 v2, s8, v2
	s_waitcnt lgkmcnt(0)
	v_cmp_ne_u16_sdwa s[4:5], v4, v1 src0_sel:BYTE_0 src1_sel:DWORD
	s_or_b64 s[30:31], vcc, s[4:5]
	s_and_b64 s[30:31], exec, s[30:31]
	s_or_b64 s[26:27], s[30:31], s[26:27]
	s_andn2_b64 s[28:29], s[28:29], exec
	s_and_b64 s[4:5], s[4:5], exec
	s_or_b64 s[28:29], s[28:29], s[4:5]
	s_barrier
	s_andn2_b64 exec, exec, s[26:27]
	s_cbranch_execz .LBB20_264
.LBB20_259:                             ;   Parent Loop BB20_6 Depth=1
                                        ; =>  This Inner Loop Header: Depth=2
	v_cmp_gt_u32_e32 vcc, s60, v3
	v_mov_b32_e32 v4, 0
	s_and_saveexec_b64 s[30:31], vcc
	s_cbranch_execz .LBB20_261
; %bb.260:                              ;   in Loop: Header=BB20_259 Depth=2
	global_load_ubyte v4, v2, s[64:65]
.LBB20_261:                             ;   in Loop: Header=BB20_259 Depth=2
	s_or_b64 exec, exec, s[30:31]
	s_and_saveexec_b64 s[30:31], vcc
	s_cbranch_execz .LBB20_258
; %bb.262:                              ;   in Loop: Header=BB20_259 Depth=2
	s_waitcnt vmcnt(0)
	v_add_u32_sdwa v5, sext(v4), s80 dst_sel:DWORD dst_unused:UNUSED_PAD src0_sel:BYTE_0 src1_sel:DWORD
	v_and_b32_e32 v5, v5, v26
	v_cmp_eq_u32_e32 vcc, v5, v27
	s_and_b64 exec, exec, vcc
	s_cbranch_execz .LBB20_258
; %bb.263:                              ;   in Loop: Header=BB20_259 Depth=2
	v_lshlrev_b16_e32 v4, 8, v4
	v_or_b32_e32 v4, 1, v4
	ds_write_b16 v24, v4 offset:3072
	s_branch .LBB20_258
.LBB20_264:                             ;   in Loop: Header=BB20_6 Depth=1
	s_or_b64 exec, exec, s[26:27]
	v_lshrrev_b16_e32 v28, 8, v4
	s_and_b64 s[26:27], s[28:29], exec
.LBB20_265:                             ;   in Loop: Header=BB20_6 Depth=1
	s_or_b64 exec, exec, s[22:23]
	s_mov_b64 s[34:35], 0
	s_mov_b64 s[30:31], -1
	s_mov_b64 s[22:23], 0
.LBB20_266:                             ;   in Loop: Header=BB20_6 Depth=1
	s_orn2_b64 s[28:29], s[26:27], exec
.LBB20_267:                             ;   in Loop: Header=BB20_6 Depth=1
	s_or_b64 exec, exec, s[16:17]
                                        ; implicit-def: $vgpr30
                                        ; implicit-def: $vgpr5
                                        ; implicit-def: $vgpr2
                                        ; implicit-def: $vgpr3
                                        ; implicit-def: $vgpr4
	s_and_saveexec_b64 s[26:27], s[28:29]
	s_cbranch_execz .LBB20_402
; %bb.268:                              ;   in Loop: Header=BB20_6 Depth=1
	s_xor_b64 s[4:5], s[18:19], -1
	s_mov_b64 s[18:19], 0
	v_mov_b32_e32 v5, 1
	v_mov_b32_e32 v30, 1
	s_and_saveexec_b64 s[16:17], s[4:5]
	s_cbranch_execz .LBB20_278
; %bb.269:                              ;   in Loop: Header=BB20_6 Depth=1
	v_cmp_ge_u32_e32 vcc, s10, v29
                                        ; implicit-def: $sgpr4
                                        ; implicit-def: $sgpr18_sgpr19
	s_and_saveexec_b64 s[28:29], vcc
	s_xor_b64 s[28:29], exec, s[28:29]
	s_cbranch_execz .LBB20_275
; %bb.270:                              ;   in Loop: Header=BB20_6 Depth=1
	ds_read_b32 v2, v24 offset:4096
	s_waitcnt lgkmcnt(0)
	v_cmp_ne_u32_e32 vcc, 0, v2
	s_cbranch_vccnz .LBB20_274
; %bb.271:                              ;   in Loop: Header=BB20_6 Depth=1
	s_mov_b64 s[18:19], exec
	v_readlane_b32 s4, v47, 16
	v_readlane_b32 s5, v47, 17
	s_and_b64 s[4:5], s[18:19], s[4:5]
	s_mov_b64 exec, s[4:5]
	s_cbranch_execz .LBB20_273
; %bb.272:                              ;   in Loop: Header=BB20_6 Depth=1
	v_mov_b32_e32 v2, s10
	ds_write_b32 v24, v2 offset:4100
.LBB20_273:                             ;   in Loop: Header=BB20_6 Depth=1
	s_or_b64 exec, exec, s[18:19]
	s_waitcnt lgkmcnt(0)
	s_barrier
.LBB20_274:                             ;   in Loop: Header=BB20_6 Depth=1
	v_or_b32_e32 v27, s75, v27
	v_or_b32_e32 v26, s75, v26
	s_mov_b64 s[18:19], 0
	s_mov_b32 s4, 5
.LBB20_275:                             ;   in Loop: Header=BB20_6 Depth=1
	s_or_saveexec_b64 s[28:29], s[28:29]
	v_mov_b32_e32 v30, s4
	s_xor_b64 exec, exec, s[28:29]
; %bb.276:                              ;   in Loop: Header=BB20_6 Depth=1
	v_subrev_u32_e32 v29, s10, v29
	v_mov_b32_e32 v30, 0
	s_or_b64 s[18:19], s[18:19], exec
; %bb.277:                              ;   in Loop: Header=BB20_6 Depth=1
	s_or_b64 exec, exec, s[28:29]
	s_and_b64 s[18:19], s[18:19], exec
	v_mov_b32_e32 v5, v29
.LBB20_278:                             ;   in Loop: Header=BB20_6 Depth=1
	s_or_b64 exec, exec, s[16:17]
	s_mov_b64 s[38:39], -1
                                        ; implicit-def: $sgpr16_sgpr17
                                        ; implicit-def: $sgpr28_sgpr29
                                        ; implicit-def: $sgpr40_sgpr41
	s_and_saveexec_b64 s[4:5], s[18:19]
	s_xor_b64 s[18:19], exec, s[4:5]
	s_cbranch_execz .LBB20_399
; %bb.279:                              ;   in Loop: Header=BB20_6 Depth=1
	s_cmp_eq_u32 s57, 1
	s_cselect_b64 s[4:5], -1, 0
	v_cmp_eq_u32_e32 vcc, 1, v5
	s_and_b64 s[42:43], s[4:5], vcc
	s_mov_b64 s[46:47], -1
                                        ; implicit-def: $sgpr28_sgpr29
                                        ; implicit-def: $sgpr36_sgpr37
                                        ; implicit-def: $sgpr38_sgpr39
	s_and_saveexec_b64 s[16:17], s[42:43]
	s_cbranch_execz .LBB20_305
; %bb.280:                              ;   in Loop: Header=BB20_6 Depth=1
	ds_read_b32 v2, v24 offset:4096
	s_waitcnt lgkmcnt(0)
	s_barrier
	v_readfirstlane_b32 s4, v2
	s_mov_b64 s[28:29], exec
	v_readlane_b32 s10, v47, 32
	v_readlane_b32 s11, v47, 33
	s_and_b64 s[10:11], s[28:29], s[10:11]
	s_mov_b64 exec, s[10:11]
	s_cbranch_execz .LBB20_282
; %bb.281:                              ;   in Loop: Header=BB20_6 Depth=1
	ds_write_b8 v0, v1 offset:3072
.LBB20_282:                             ;   in Loop: Header=BB20_6 Depth=1
	s_or_b64 exec, exec, s[28:29]
	v_and_b32_e32 v2, s6, v27
	v_lshl_or_b32 v27, 2, s56, v2
	v_or_b32_e32 v26, s75, v26
	s_cmp_eq_u32 s4, 0
	s_waitcnt lgkmcnt(0)
	s_barrier
	s_cbranch_scc1 .LBB20_291
; %bb.283:                              ;   in Loop: Header=BB20_6 Depth=1
	v_readlane_b32 s5, v47, 25
	s_add_i32 s5, s4, s5
	v_readlane_b32 s10, v47, 47
	s_mul_hi_u32 s10, s5, s10
	s_mul_i32 s10, s10, s33
	s_sub_i32 s10, s5, s10
	s_sub_i32 s11, s10, s33
	s_cmp_ge_u32 s10, s33
	s_cselect_b32 s10, s11, s10
	s_sub_i32 s11, s10, s33
	s_cmp_ge_u32 s10, s33
	s_cselect_b32 s10, s11, s10
	s_sub_i32 s5, s5, s10
	v_cmp_gt_u32_e32 vcc, s5, v0
	s_mov_b64 s[40:41], 0
                                        ; implicit-def: $vgpr28
	s_and_saveexec_b64 s[28:29], vcc
	s_cbranch_execz .LBB20_293
; %bb.284:                              ;   in Loop: Header=BB20_6 Depth=1
	s_mov_b64 s[36:37], 0
	v_mov_b32_e32 v2, v0
                                        ; implicit-def: $sgpr38_sgpr39
	s_branch .LBB20_286
.LBB20_285:                             ;   in Loop: Header=BB20_286 Depth=2
	s_or_b64 exec, exec, s[40:41]
	s_waitcnt lgkmcnt(0)
	s_barrier
	ds_read_u16 v3, v24 offset:3072
	v_add_u32_e32 v2, s33, v2
	v_cmp_le_u32_e32 vcc, s5, v2
	s_waitcnt lgkmcnt(0)
	s_barrier
	v_cmp_ne_u16_sdwa s[10:11], v3, v1 src0_sel:BYTE_0 src1_sel:DWORD
	s_or_b64 s[40:41], vcc, s[10:11]
	s_and_b64 s[40:41], exec, s[40:41]
	s_or_b64 s[36:37], s[40:41], s[36:37]
	s_andn2_b64 s[38:39], s[38:39], exec
	s_and_b64 s[10:11], s[10:11], exec
	s_or_b64 s[38:39], s[38:39], s[10:11]
	s_andn2_b64 exec, exec, s[36:37]
	s_cbranch_execz .LBB20_292
.LBB20_286:                             ;   Parent Loop BB20_6 Depth=1
                                        ; =>  This Inner Loop Header: Depth=2
	v_cmp_gt_u32_e32 vcc, s4, v2
	v_mov_b32_e32 v3, 0
	s_and_saveexec_b64 s[40:41], vcc
	s_cbranch_execz .LBB20_288
; %bb.287:                              ;   in Loop: Header=BB20_286 Depth=2
	ds_read_u8 v3, v2
.LBB20_288:                             ;   in Loop: Header=BB20_286 Depth=2
	s_or_b64 exec, exec, s[40:41]
	s_and_saveexec_b64 s[40:41], vcc
	s_cbranch_execz .LBB20_285
; %bb.289:                              ;   in Loop: Header=BB20_286 Depth=2
	s_waitcnt lgkmcnt(0)
	v_add_u32_sdwa v4, sext(v3), s80 dst_sel:DWORD dst_unused:UNUSED_PAD src0_sel:BYTE_0 src1_sel:DWORD
	v_and_b32_e32 v4, v4, v26
	v_cmp_eq_u32_e32 vcc, v4, v27
	s_and_b64 exec, exec, vcc
	s_cbranch_execz .LBB20_285
; %bb.290:                              ;   in Loop: Header=BB20_286 Depth=2
	v_lshlrev_b16_e32 v3, 8, v3
	v_or_b32_e32 v3, 1, v3
	ds_write_b16 v24, v3 offset:3072
	s_branch .LBB20_285
.LBB20_291:                             ;   in Loop: Header=BB20_6 Depth=1
	s_mov_b64 s[28:29], -1
	s_mov_b64 s[40:41], 0
                                        ; implicit-def: $sgpr36_sgpr37
                                        ; implicit-def: $vgpr28
	s_mov_b64 s[38:39], s[28:29]
	s_cbranch_execnz .LBB20_294
	s_branch .LBB20_304
.LBB20_292:                             ;   in Loop: Header=BB20_6 Depth=1
	s_or_b64 exec, exec, s[36:37]
	v_lshrrev_b16_e32 v28, 8, v3
	s_and_b64 s[40:41], s[38:39], exec
.LBB20_293:                             ;   in Loop: Header=BB20_6 Depth=1
	s_or_b64 exec, exec, s[28:29]
	s_mov_b64 s[28:29], 0
	s_mov_b64 s[36:37], -1
	s_mov_b64 s[38:39], s[28:29]
	s_branch .LBB20_304
.LBB20_294:                             ;   in Loop: Header=BB20_6 Depth=1
	s_mov_b64 s[40:41], 0
                                        ; implicit-def: $vgpr28
	s_mov_b64 s[28:29], exec
	v_readlane_b32 s4, v47, 48
	v_readlane_b32 s5, v47, 49
	s_and_b64 s[4:5], s[28:29], s[4:5]
	s_mov_b64 exec, s[4:5]
	s_cbranch_execz .LBB20_303
; %bb.295:                              ;   in Loop: Header=BB20_6 Depth=1
	s_mov_b64 s[36:37], 0
	v_mov_b32_e32 v2, v15
	v_mov_b32_e32 v3, v0
                                        ; implicit-def: $sgpr38_sgpr39
	s_branch .LBB20_297
.LBB20_296:                             ;   in Loop: Header=BB20_297 Depth=2
	s_or_b64 exec, exec, s[40:41]
	s_waitcnt lgkmcnt(0)
	s_barrier
	s_waitcnt vmcnt(0)
	ds_read_u16 v4, v24 offset:3072
	v_add_u32_e32 v3, s33, v3
	v_cmp_le_u32_e32 vcc, s7, v3
	v_add_u32_e32 v2, s8, v2
	s_waitcnt lgkmcnt(0)
	v_cmp_ne_u16_sdwa s[4:5], v4, v1 src0_sel:BYTE_0 src1_sel:DWORD
	s_or_b64 s[10:11], vcc, s[4:5]
	s_and_b64 s[10:11], exec, s[10:11]
	s_or_b64 s[36:37], s[10:11], s[36:37]
	s_andn2_b64 s[10:11], s[38:39], exec
	s_and_b64 s[4:5], s[4:5], exec
	s_or_b64 s[38:39], s[10:11], s[4:5]
	s_barrier
	s_andn2_b64 exec, exec, s[36:37]
	s_cbranch_execz .LBB20_302
.LBB20_297:                             ;   Parent Loop BB20_6 Depth=1
                                        ; =>  This Inner Loop Header: Depth=2
	v_cmp_gt_u32_e32 vcc, s60, v3
	v_mov_b32_e32 v4, 0
	s_and_saveexec_b64 s[40:41], vcc
	s_cbranch_execz .LBB20_299
; %bb.298:                              ;   in Loop: Header=BB20_297 Depth=2
	global_load_ubyte v4, v2, s[64:65]
.LBB20_299:                             ;   in Loop: Header=BB20_297 Depth=2
	s_or_b64 exec, exec, s[40:41]
	s_and_saveexec_b64 s[40:41], vcc
	s_cbranch_execz .LBB20_296
; %bb.300:                              ;   in Loop: Header=BB20_297 Depth=2
	s_waitcnt vmcnt(0)
	v_add_u32_sdwa v28, sext(v4), s80 dst_sel:DWORD dst_unused:UNUSED_PAD src0_sel:BYTE_0 src1_sel:DWORD
	v_and_b32_e32 v28, v28, v26
	v_cmp_eq_u32_e32 vcc, v28, v27
	s_and_b64 exec, exec, vcc
	s_cbranch_execz .LBB20_296
; %bb.301:                              ;   in Loop: Header=BB20_297 Depth=2
	v_lshlrev_b16_e32 v4, 8, v4
	v_or_b32_e32 v4, 1, v4
	ds_write_b16 v24, v4 offset:3072
	s_branch .LBB20_296
.LBB20_302:                             ;   in Loop: Header=BB20_6 Depth=1
	s_or_b64 exec, exec, s[36:37]
	v_lshrrev_b16_e32 v28, 8, v4
	s_and_b64 s[40:41], s[38:39], exec
.LBB20_303:                             ;   in Loop: Header=BB20_6 Depth=1
	s_or_b64 exec, exec, s[28:29]
	s_mov_b64 s[36:37], 0
	s_mov_b64 s[28:29], -1
	s_mov_b64 s[38:39], 0
.LBB20_304:                             ;   in Loop: Header=BB20_6 Depth=1
	s_orn2_b64 s[46:47], s[40:41], exec
.LBB20_305:                             ;   in Loop: Header=BB20_6 Depth=1
	s_or_b64 exec, exec, s[16:17]
	s_mov_b64 s[44:45], 0
                                        ; implicit-def: $vgpr30
	s_and_saveexec_b64 s[40:41], s[46:47]
	s_cbranch_execz .LBB20_398
; %bb.306:                              ;   in Loop: Header=BB20_6 Depth=1
	s_xor_b64 s[4:5], s[42:43], -1
	s_mov_b64 s[48:49], 0
	v_mov_b32_e32 v2, 1
	v_mov_b32_e32 v30, 1
	s_and_saveexec_b64 s[16:17], s[4:5]
	s_cbranch_execz .LBB20_316
; %bb.307:                              ;   in Loop: Header=BB20_6 Depth=1
	v_cmp_ge_u32_e32 vcc, s57, v5
                                        ; implicit-def: $sgpr4
                                        ; implicit-def: $sgpr42_sgpr43
	s_and_saveexec_b64 s[10:11], vcc
	s_xor_b64 s[44:45], exec, s[10:11]
	s_cbranch_execz .LBB20_313
; %bb.308:                              ;   in Loop: Header=BB20_6 Depth=1
	ds_read_b32 v2, v24 offset:4096
	s_waitcnt lgkmcnt(0)
	v_cmp_ne_u32_e32 vcc, 0, v2
	s_cbranch_vccnz .LBB20_312
; %bb.309:                              ;   in Loop: Header=BB20_6 Depth=1
	s_mov_b64 s[42:43], exec
	v_readlane_b32 s4, v47, 16
	v_readlane_b32 s5, v47, 17
	s_and_b64 s[4:5], s[42:43], s[4:5]
	s_mov_b64 exec, s[4:5]
	s_cbranch_execz .LBB20_311
; %bb.310:                              ;   in Loop: Header=BB20_6 Depth=1
	v_mov_b32_e32 v2, s57
	ds_write_b32 v24, v2 offset:4100
.LBB20_311:                             ;   in Loop: Header=BB20_6 Depth=1
	s_or_b64 exec, exec, s[42:43]
	s_waitcnt lgkmcnt(0)
	s_barrier
.LBB20_312:                             ;   in Loop: Header=BB20_6 Depth=1
	v_and_b32_e32 v2, s6, v27
	v_lshl_or_b32 v27, 2, s56, v2
	v_or_b32_e32 v26, s75, v26
	s_mov_b64 s[42:43], 0
	s_mov_b32 s4, 5
.LBB20_313:                             ;   in Loop: Header=BB20_6 Depth=1
	s_or_saveexec_b64 s[44:45], s[44:45]
	v_mov_b32_e32 v30, s4
	s_xor_b64 exec, exec, s[44:45]
; %bb.314:                              ;   in Loop: Header=BB20_6 Depth=1
	v_subrev_u32_e32 v5, s57, v5
	v_mov_b32_e32 v30, 0
	s_or_b64 s[42:43], s[42:43], exec
; %bb.315:                              ;   in Loop: Header=BB20_6 Depth=1
	s_or_b64 exec, exec, s[44:45]
	s_and_b64 s[48:49], s[42:43], exec
	v_mov_b32_e32 v2, v5
.LBB20_316:                             ;   in Loop: Header=BB20_6 Depth=1
	s_or_b64 exec, exec, s[16:17]
	s_mov_b64 s[16:17], -1
                                        ; implicit-def: $sgpr44_sgpr45
                                        ; implicit-def: $sgpr46_sgpr47
                                        ; implicit-def: $sgpr50_sgpr51
	s_and_saveexec_b64 s[42:43], s[48:49]
	s_cbranch_execz .LBB20_397
; %bb.317:                              ;   in Loop: Header=BB20_6 Depth=1
	s_cmp_eq_u32 s74, 1
	s_cselect_b64 s[4:5], -1, 0
	v_cmp_eq_u32_e32 vcc, 1, v2
	s_and_b64 s[52:53], s[4:5], vcc
	s_mov_b64 s[54:55], -1
                                        ; implicit-def: $sgpr44_sgpr45
                                        ; implicit-def: $sgpr46_sgpr47
                                        ; implicit-def: $sgpr48_sgpr49
	s_and_saveexec_b64 s[16:17], s[52:53]
	s_cbranch_execz .LBB20_343
; %bb.318:                              ;   in Loop: Header=BB20_6 Depth=1
	ds_read_b32 v3, v24 offset:4096
	s_waitcnt lgkmcnt(0)
	s_barrier
	v_readfirstlane_b32 s4, v3
	s_mov_b64 s[44:45], exec
	v_readlane_b32 s10, v47, 32
	v_readlane_b32 s11, v47, 33
	s_and_b64 s[10:11], s[44:45], s[10:11]
	s_mov_b64 exec, s[10:11]
	s_cbranch_execz .LBB20_320
; %bb.319:                              ;   in Loop: Header=BB20_6 Depth=1
	ds_write_b8 v0, v1 offset:3072
.LBB20_320:                             ;   in Loop: Header=BB20_6 Depth=1
	s_or_b64 exec, exec, s[44:45]
	v_and_b32_e32 v3, s6, v27
	v_lshl_or_b32 v27, 1, s56, v3
	v_or_b32_e32 v26, s75, v26
	s_cmp_eq_u32 s4, 0
	s_waitcnt lgkmcnt(0)
	s_barrier
	s_cbranch_scc1 .LBB20_329
; %bb.321:                              ;   in Loop: Header=BB20_6 Depth=1
	v_readlane_b32 s5, v47, 25
	s_add_i32 s5, s4, s5
	v_readlane_b32 s10, v47, 47
	s_mul_hi_u32 s10, s5, s10
	s_mul_i32 s10, s10, s33
	s_sub_i32 s10, s5, s10
	s_sub_i32 s11, s10, s33
	s_cmp_ge_u32 s10, s33
	s_cselect_b32 s10, s11, s10
	s_sub_i32 s11, s10, s33
	s_cmp_ge_u32 s10, s33
	s_cselect_b32 s10, s11, s10
	s_sub_i32 s5, s5, s10
	v_cmp_gt_u32_e32 vcc, s5, v0
	s_mov_b64 s[50:51], 0
                                        ; implicit-def: $vgpr28
	s_and_saveexec_b64 s[44:45], vcc
	s_cbranch_execz .LBB20_331
; %bb.322:                              ;   in Loop: Header=BB20_6 Depth=1
	s_mov_b64 s[46:47], 0
	v_mov_b32_e32 v3, v0
                                        ; implicit-def: $sgpr48_sgpr49
	s_branch .LBB20_324
.LBB20_323:                             ;   in Loop: Header=BB20_324 Depth=2
	s_or_b64 exec, exec, s[50:51]
	s_waitcnt lgkmcnt(0)
	s_barrier
	ds_read_u16 v4, v24 offset:3072
	v_add_u32_e32 v3, s33, v3
	v_cmp_le_u32_e32 vcc, s5, v3
	s_waitcnt lgkmcnt(0)
	s_barrier
	v_cmp_ne_u16_sdwa s[10:11], v4, v1 src0_sel:BYTE_0 src1_sel:DWORD
	s_or_b64 s[50:51], vcc, s[10:11]
	s_and_b64 s[50:51], exec, s[50:51]
	s_or_b64 s[46:47], s[50:51], s[46:47]
	s_andn2_b64 s[48:49], s[48:49], exec
	s_and_b64 s[10:11], s[10:11], exec
	s_or_b64 s[48:49], s[48:49], s[10:11]
	s_andn2_b64 exec, exec, s[46:47]
	s_cbranch_execz .LBB20_330
.LBB20_324:                             ;   Parent Loop BB20_6 Depth=1
                                        ; =>  This Inner Loop Header: Depth=2
	v_cmp_gt_u32_e32 vcc, s4, v3
	v_mov_b32_e32 v4, 0
	s_and_saveexec_b64 s[50:51], vcc
	s_cbranch_execz .LBB20_326
; %bb.325:                              ;   in Loop: Header=BB20_324 Depth=2
	ds_read_u8 v4, v3
.LBB20_326:                             ;   in Loop: Header=BB20_324 Depth=2
	s_or_b64 exec, exec, s[50:51]
	s_and_saveexec_b64 s[50:51], vcc
	s_cbranch_execz .LBB20_323
; %bb.327:                              ;   in Loop: Header=BB20_324 Depth=2
	s_waitcnt lgkmcnt(0)
	v_add_u32_sdwa v5, sext(v4), s80 dst_sel:DWORD dst_unused:UNUSED_PAD src0_sel:BYTE_0 src1_sel:DWORD
	v_and_b32_e32 v5, v5, v26
	v_cmp_eq_u32_e32 vcc, v5, v27
	s_and_b64 exec, exec, vcc
	s_cbranch_execz .LBB20_323
; %bb.328:                              ;   in Loop: Header=BB20_324 Depth=2
	v_lshlrev_b16_e32 v4, 8, v4
	v_or_b32_e32 v4, 1, v4
	ds_write_b16 v24, v4 offset:3072
	s_branch .LBB20_323
.LBB20_329:                             ;   in Loop: Header=BB20_6 Depth=1
	s_mov_b64 s[44:45], -1
	s_mov_b64 s[50:51], 0
                                        ; implicit-def: $sgpr46_sgpr47
                                        ; implicit-def: $vgpr28
	s_mov_b64 s[48:49], s[44:45]
	s_cbranch_execnz .LBB20_332
	s_branch .LBB20_342
.LBB20_330:                             ;   in Loop: Header=BB20_6 Depth=1
	s_or_b64 exec, exec, s[46:47]
	v_lshrrev_b16_e32 v28, 8, v4
	s_and_b64 s[50:51], s[48:49], exec
.LBB20_331:                             ;   in Loop: Header=BB20_6 Depth=1
	s_or_b64 exec, exec, s[44:45]
	s_mov_b64 s[44:45], 0
	s_mov_b64 s[46:47], -1
	s_mov_b64 s[48:49], s[44:45]
	s_branch .LBB20_342
.LBB20_332:                             ;   in Loop: Header=BB20_6 Depth=1
	s_mov_b64 s[50:51], 0
                                        ; implicit-def: $vgpr28
	s_mov_b64 s[44:45], exec
	v_readlane_b32 s4, v47, 48
	v_readlane_b32 s5, v47, 49
	s_and_b64 s[4:5], s[44:45], s[4:5]
	s_mov_b64 exec, s[4:5]
	s_cbranch_execz .LBB20_341
; %bb.333:                              ;   in Loop: Header=BB20_6 Depth=1
	s_mov_b64 s[46:47], 0
	v_mov_b32_e32 v3, v15
	v_mov_b32_e32 v4, v0
                                        ; implicit-def: $sgpr48_sgpr49
	s_branch .LBB20_335
.LBB20_334:                             ;   in Loop: Header=BB20_335 Depth=2
	s_or_b64 exec, exec, s[50:51]
	s_waitcnt lgkmcnt(0)
	s_barrier
	s_waitcnt vmcnt(0)
	ds_read_u16 v5, v24 offset:3072
	v_add_u32_e32 v4, s33, v4
	v_cmp_le_u32_e32 vcc, s7, v4
	v_add_u32_e32 v3, s8, v3
	s_waitcnt lgkmcnt(0)
	v_cmp_ne_u16_sdwa s[4:5], v5, v1 src0_sel:BYTE_0 src1_sel:DWORD
	s_or_b64 s[10:11], vcc, s[4:5]
	s_and_b64 s[10:11], exec, s[10:11]
	s_or_b64 s[46:47], s[10:11], s[46:47]
	s_andn2_b64 s[10:11], s[48:49], exec
	s_and_b64 s[4:5], s[4:5], exec
	s_or_b64 s[48:49], s[10:11], s[4:5]
	s_barrier
	s_andn2_b64 exec, exec, s[46:47]
	s_cbranch_execz .LBB20_340
.LBB20_335:                             ;   Parent Loop BB20_6 Depth=1
                                        ; =>  This Inner Loop Header: Depth=2
	v_cmp_gt_u32_e32 vcc, s60, v4
	v_mov_b32_e32 v5, 0
	s_and_saveexec_b64 s[50:51], vcc
	s_cbranch_execz .LBB20_337
; %bb.336:                              ;   in Loop: Header=BB20_335 Depth=2
	global_load_ubyte v5, v3, s[64:65]
.LBB20_337:                             ;   in Loop: Header=BB20_335 Depth=2
	s_or_b64 exec, exec, s[50:51]
	s_and_saveexec_b64 s[50:51], vcc
	s_cbranch_execz .LBB20_334
; %bb.338:                              ;   in Loop: Header=BB20_335 Depth=2
	s_waitcnt vmcnt(0)
	v_add_u32_sdwa v28, sext(v5), s80 dst_sel:DWORD dst_unused:UNUSED_PAD src0_sel:BYTE_0 src1_sel:DWORD
	v_and_b32_e32 v28, v28, v26
	v_cmp_eq_u32_e32 vcc, v28, v27
	s_and_b64 exec, exec, vcc
	s_cbranch_execz .LBB20_334
; %bb.339:                              ;   in Loop: Header=BB20_335 Depth=2
	v_lshlrev_b16_e32 v5, 8, v5
	v_or_b32_e32 v5, 1, v5
	ds_write_b16 v24, v5 offset:3072
	s_branch .LBB20_334
.LBB20_340:                             ;   in Loop: Header=BB20_6 Depth=1
	s_or_b64 exec, exec, s[46:47]
	v_lshrrev_b16_e32 v28, 8, v5
	s_and_b64 s[50:51], s[48:49], exec
.LBB20_341:                             ;   in Loop: Header=BB20_6 Depth=1
	s_or_b64 exec, exec, s[44:45]
	s_mov_b64 s[46:47], 0
	s_mov_b64 s[44:45], -1
	s_mov_b64 s[48:49], 0
.LBB20_342:                             ;   in Loop: Header=BB20_6 Depth=1
	s_orn2_b64 s[54:55], s[50:51], exec
.LBB20_343:                             ;   in Loop: Header=BB20_6 Depth=1
	s_or_b64 exec, exec, s[16:17]
	s_mov_b64 s[16:17], 0
                                        ; implicit-def: $vgpr30
	s_and_saveexec_b64 s[50:51], s[54:55]
	s_cbranch_execz .LBB20_396
; %bb.344:                              ;   in Loop: Header=BB20_6 Depth=1
	s_xor_b64 s[4:5], s[52:53], -1
	s_mov_b64 s[54:55], 0
	v_mov_b32_e32 v3, 1
	v_mov_b32_e32 v30, 1
	s_and_saveexec_b64 s[16:17], s[4:5]
	s_cbranch_execz .LBB20_354
; %bb.345:                              ;   in Loop: Header=BB20_6 Depth=1
	v_cmp_ge_u32_e32 vcc, s74, v2
                                        ; implicit-def: $sgpr4
                                        ; implicit-def: $sgpr52_sgpr53
	s_and_saveexec_b64 s[10:11], vcc
	s_xor_b64 s[54:55], exec, s[10:11]
	s_cbranch_execz .LBB20_351
; %bb.346:                              ;   in Loop: Header=BB20_6 Depth=1
	ds_read_b32 v3, v24 offset:4096
	s_waitcnt lgkmcnt(0)
	v_cmp_ne_u32_e32 vcc, 0, v3
	s_cbranch_vccnz .LBB20_350
; %bb.347:                              ;   in Loop: Header=BB20_6 Depth=1
	s_mov_b64 s[52:53], exec
	v_readlane_b32 s4, v47, 16
	v_readlane_b32 s5, v47, 17
	s_and_b64 s[4:5], s[52:53], s[4:5]
	s_mov_b64 exec, s[4:5]
	s_cbranch_execz .LBB20_349
; %bb.348:                              ;   in Loop: Header=BB20_6 Depth=1
	v_mov_b32_e32 v3, s74
	ds_write_b32 v24, v3 offset:4100
.LBB20_349:                             ;   in Loop: Header=BB20_6 Depth=1
	s_or_b64 exec, exec, s[52:53]
	s_waitcnt lgkmcnt(0)
	s_barrier
.LBB20_350:                             ;   in Loop: Header=BB20_6 Depth=1
	v_and_b32_e32 v3, s6, v27
	v_lshl_or_b32 v27, 1, s56, v3
	v_or_b32_e32 v26, s75, v26
	s_mov_b64 s[52:53], 0
	s_mov_b32 s4, 5
.LBB20_351:                             ;   in Loop: Header=BB20_6 Depth=1
	s_or_saveexec_b64 s[54:55], s[54:55]
	v_mov_b32_e32 v30, s4
	s_xor_b64 exec, exec, s[54:55]
; %bb.352:                              ;   in Loop: Header=BB20_6 Depth=1
	v_subrev_u32_e32 v2, s74, v2
	v_mov_b32_e32 v30, 0
	s_or_b64 s[52:53], s[52:53], exec
; %bb.353:                              ;   in Loop: Header=BB20_6 Depth=1
	s_or_b64 exec, exec, s[54:55]
	s_and_b64 s[54:55], s[52:53], exec
	v_mov_b32_e32 v3, v2
.LBB20_354:                             ;   in Loop: Header=BB20_6 Depth=1
	s_or_b64 exec, exec, s[16:17]
	s_mov_b64 s[16:17], -1
                                        ; implicit-def: $sgpr56_sgpr57
                                        ; implicit-def: $sgpr58_sgpr59
                                        ; implicit-def: $sgpr84_sgpr85
	s_and_saveexec_b64 s[52:53], s[54:55]
	s_cbranch_execz .LBB20_395
; %bb.355:                              ;   in Loop: Header=BB20_6 Depth=1
	s_cmp_eq_u32 s13, 1
	s_cselect_b64 s[4:5], -1, 0
	v_cmp_eq_u32_e32 vcc, 1, v3
	s_mov_b64 s[54:55], -1
	s_and_b64 s[4:5], s[4:5], vcc
                                        ; implicit-def: $sgpr56_sgpr57
                                        ; implicit-def: $sgpr58_sgpr59
                                        ; implicit-def: $sgpr84_sgpr85
	s_mov_b64 s[16:17], exec
	v_writelane_b32 v47, s4, 51
	v_writelane_b32 v47, s5, 52
	s_and_b64 s[4:5], s[16:17], s[4:5]
	s_mov_b64 exec, s[4:5]
	s_cbranch_execz .LBB20_382
; %bb.356:                              ;   in Loop: Header=BB20_6 Depth=1
	ds_read_b32 v2, v24 offset:4096
	s_waitcnt lgkmcnt(0)
	s_barrier
	v_readfirstlane_b32 s4, v2
	s_mov_b64 s[54:55], exec
	v_readlane_b32 s10, v47, 32
	v_readlane_b32 s11, v47, 33
	s_and_b64 s[10:11], s[54:55], s[10:11]
	s_mov_b64 exec, s[10:11]
	s_cbranch_execz .LBB20_358
; %bb.357:                              ;   in Loop: Header=BB20_6 Depth=1
	ds_write_b8 v0, v1 offset:3072
.LBB20_358:                             ;   in Loop: Header=BB20_6 Depth=1
	s_or_b64 exec, exec, s[54:55]
	v_and_b32_e32 v27, s6, v27
	v_or_b32_e32 v26, s75, v26
	s_cmp_eq_u32 s4, 0
	s_waitcnt lgkmcnt(0)
	s_barrier
	s_cbranch_scc1 .LBB20_367
; %bb.359:                              ;   in Loop: Header=BB20_6 Depth=1
	v_readlane_b32 s5, v47, 25
	s_add_i32 s5, s4, s5
	v_readlane_b32 s10, v47, 47
	s_mul_hi_u32 s10, s5, s10
	s_mul_i32 s10, s10, s33
	s_sub_i32 s10, s5, s10
	s_sub_i32 s11, s10, s33
	s_cmp_ge_u32 s10, s33
	s_cselect_b32 s10, s11, s10
	s_sub_i32 s11, s10, s33
	s_cmp_ge_u32 s10, s33
	s_cselect_b32 s10, s11, s10
	s_sub_i32 s5, s5, s10
	v_cmp_gt_u32_e32 vcc, s5, v0
	s_mov_b64 s[54:55], 0
                                        ; implicit-def: $vgpr28
	s_and_saveexec_b64 s[56:57], vcc
	s_cbranch_execz .LBB20_369
; %bb.360:                              ;   in Loop: Header=BB20_6 Depth=1
	v_mov_b32_e32 v2, v0
                                        ; implicit-def: $sgpr58_sgpr59
	s_branch .LBB20_362
.LBB20_361:                             ;   in Loop: Header=BB20_362 Depth=2
	s_or_b64 exec, exec, s[84:85]
	s_waitcnt lgkmcnt(0)
	s_barrier
	ds_read_u16 v4, v24 offset:3072
	v_add_u32_e32 v2, s33, v2
	v_cmp_le_u32_e32 vcc, s5, v2
	s_waitcnt lgkmcnt(0)
	s_barrier
	v_cmp_ne_u16_sdwa s[10:11], v4, v1 src0_sel:BYTE_0 src1_sel:DWORD
	s_or_b64 s[84:85], vcc, s[10:11]
	s_and_b64 s[84:85], exec, s[84:85]
	s_or_b64 s[54:55], s[84:85], s[54:55]
	s_andn2_b64 s[58:59], s[58:59], exec
	s_and_b64 s[10:11], s[10:11], exec
	s_or_b64 s[58:59], s[58:59], s[10:11]
	s_andn2_b64 exec, exec, s[54:55]
	s_cbranch_execz .LBB20_368
.LBB20_362:                             ;   Parent Loop BB20_6 Depth=1
                                        ; =>  This Inner Loop Header: Depth=2
	v_cmp_gt_u32_e32 vcc, s4, v2
	v_mov_b32_e32 v4, 0
	s_and_saveexec_b64 s[84:85], vcc
	s_cbranch_execz .LBB20_364
; %bb.363:                              ;   in Loop: Header=BB20_362 Depth=2
	ds_read_u8 v4, v2
.LBB20_364:                             ;   in Loop: Header=BB20_362 Depth=2
	s_or_b64 exec, exec, s[84:85]
	s_and_saveexec_b64 s[84:85], vcc
	s_cbranch_execz .LBB20_361
; %bb.365:                              ;   in Loop: Header=BB20_362 Depth=2
	s_waitcnt lgkmcnt(0)
	v_add_u32_sdwa v5, sext(v4), s80 dst_sel:DWORD dst_unused:UNUSED_PAD src0_sel:BYTE_0 src1_sel:DWORD
	v_and_b32_e32 v5, v5, v26
	v_cmp_eq_u32_e32 vcc, v5, v27
	s_and_b64 exec, exec, vcc
	s_cbranch_execz .LBB20_361
; %bb.366:                              ;   in Loop: Header=BB20_362 Depth=2
	v_lshlrev_b16_e32 v4, 8, v4
	v_or_b32_e32 v4, 1, v4
	ds_write_b16 v24, v4 offset:3072
	s_branch .LBB20_361
.LBB20_367:                             ;   in Loop: Header=BB20_6 Depth=1
	s_mov_b64 s[56:57], -1
	s_mov_b64 s[54:55], 0
                                        ; implicit-def: $sgpr58_sgpr59
                                        ; implicit-def: $vgpr28
	s_branch .LBB20_370
.LBB20_368:                             ;   in Loop: Header=BB20_6 Depth=1
	s_or_b64 exec, exec, s[54:55]
	v_lshrrev_b16_e32 v28, 8, v4
	s_and_b64 s[54:55], s[58:59], exec
.LBB20_369:                             ;   in Loop: Header=BB20_6 Depth=1
	s_or_b64 exec, exec, s[56:57]
	s_mov_b64 s[56:57], 0
	s_mov_b64 s[58:59], -1
.LBB20_370:                             ;   in Loop: Header=BB20_6 Depth=1
	s_and_b64 vcc, exec, s[56:57]
	s_mov_b64 s[84:85], s[56:57]
	s_cbranch_vccz .LBB20_381
; %bb.371:                              ;   in Loop: Header=BB20_6 Depth=1
	s_mov_b64 s[54:55], 0
                                        ; implicit-def: $vgpr28
	s_mov_b64 s[56:57], exec
	v_readlane_b32 s4, v47, 48
	v_readlane_b32 s5, v47, 49
	s_and_b64 s[4:5], s[56:57], s[4:5]
	s_mov_b64 exec, s[4:5]
	s_cbranch_execz .LBB20_380
; %bb.372:                              ;   in Loop: Header=BB20_6 Depth=1
	v_mov_b32_e32 v2, v15
	v_mov_b32_e32 v4, v0
                                        ; implicit-def: $sgpr58_sgpr59
	s_branch .LBB20_374
.LBB20_373:                             ;   in Loop: Header=BB20_374 Depth=2
	s_or_b64 exec, exec, s[84:85]
	s_waitcnt lgkmcnt(0)
	s_barrier
	s_waitcnt vmcnt(0)
	ds_read_u16 v5, v24 offset:3072
	v_add_u32_e32 v4, s33, v4
	v_cmp_le_u32_e32 vcc, s7, v4
	v_add_u32_e32 v2, s8, v2
	s_waitcnt lgkmcnt(0)
	v_cmp_ne_u16_sdwa s[4:5], v5, v1 src0_sel:BYTE_0 src1_sel:DWORD
	s_or_b64 s[10:11], vcc, s[4:5]
	s_and_b64 s[10:11], exec, s[10:11]
	s_or_b64 s[54:55], s[10:11], s[54:55]
	s_andn2_b64 s[10:11], s[58:59], exec
	s_and_b64 s[4:5], s[4:5], exec
	s_or_b64 s[58:59], s[10:11], s[4:5]
	s_barrier
	s_andn2_b64 exec, exec, s[54:55]
	s_cbranch_execz .LBB20_379
.LBB20_374:                             ;   Parent Loop BB20_6 Depth=1
                                        ; =>  This Inner Loop Header: Depth=2
	v_cmp_gt_u32_e32 vcc, s60, v4
	v_mov_b32_e32 v5, 0
	s_and_saveexec_b64 s[84:85], vcc
	s_cbranch_execz .LBB20_376
; %bb.375:                              ;   in Loop: Header=BB20_374 Depth=2
	global_load_ubyte v5, v2, s[64:65]
.LBB20_376:                             ;   in Loop: Header=BB20_374 Depth=2
	s_or_b64 exec, exec, s[84:85]
	s_and_saveexec_b64 s[84:85], vcc
	s_cbranch_execz .LBB20_373
; %bb.377:                              ;   in Loop: Header=BB20_374 Depth=2
	s_waitcnt vmcnt(0)
	v_add_u32_sdwa v28, sext(v5), s80 dst_sel:DWORD dst_unused:UNUSED_PAD src0_sel:BYTE_0 src1_sel:DWORD
	v_and_b32_e32 v28, v28, v26
	v_cmp_eq_u32_e32 vcc, v28, v27
	s_and_b64 exec, exec, vcc
	s_cbranch_execz .LBB20_373
; %bb.378:                              ;   in Loop: Header=BB20_374 Depth=2
	v_lshlrev_b16_e32 v5, 8, v5
	v_or_b32_e32 v5, 1, v5
	ds_write_b16 v24, v5 offset:3072
	s_branch .LBB20_373
.LBB20_379:                             ;   in Loop: Header=BB20_6 Depth=1
	s_or_b64 exec, exec, s[54:55]
	v_lshrrev_b16_e32 v28, 8, v5
	s_and_b64 s[54:55], s[58:59], exec
.LBB20_380:                             ;   in Loop: Header=BB20_6 Depth=1
	s_or_b64 exec, exec, s[56:57]
	s_mov_b64 s[58:59], 0
	s_mov_b64 s[56:57], -1
	s_mov_b64 s[84:85], 0
.LBB20_381:                             ;   in Loop: Header=BB20_6 Depth=1
	s_orn2_b64 s[54:55], s[54:55], exec
.LBB20_382:                             ;   in Loop: Header=BB20_6 Depth=1
	s_or_b64 exec, exec, s[16:17]
	s_mov_b64 vcc, 0
                                        ; implicit-def: $vgpr30
                                        ; implicit-def: $vgpr2
	s_and_saveexec_b64 s[16:17], s[54:55]
	s_cbranch_execz .LBB20_394
; %bb.383:                              ;   in Loop: Header=BB20_6 Depth=1
	v_readlane_b32 s4, v47, 51
	v_readlane_b32 s5, v47, 52
	s_xor_b64 s[4:5], s[4:5], -1
	v_mov_b32_e32 v30, 1
	v_mov_b32_e32 v2, 1
	s_and_saveexec_b64 s[54:55], s[4:5]
	s_cbranch_execz .LBB20_393
; %bb.384:                              ;   in Loop: Header=BB20_6 Depth=1
	v_cmp_ge_u32_e32 vcc, s13, v3
                                        ; implicit-def: $sgpr4
	s_and_saveexec_b64 s[10:11], vcc
	s_xor_b64 s[10:11], exec, s[10:11]
	s_cbranch_execz .LBB20_390
; %bb.385:                              ;   in Loop: Header=BB20_6 Depth=1
	ds_read_b32 v2, v24 offset:4096
	s_waitcnt lgkmcnt(0)
	v_cmp_ne_u32_e32 vcc, 0, v2
	s_cbranch_vccnz .LBB20_389
; %bb.386:                              ;   in Loop: Header=BB20_6 Depth=1
	s_mov_b64 vcc, exec
	v_readlane_b32 s4, v47, 16
	v_readlane_b32 s5, v47, 17
	s_and_b64 s[4:5], vcc, s[4:5]
	s_mov_b64 exec, s[4:5]
	s_cbranch_execz .LBB20_388
; %bb.387:                              ;   in Loop: Header=BB20_6 Depth=1
	v_mov_b32_e32 v2, s13
	ds_write_b32 v24, v2 offset:4100
.LBB20_388:                             ;   in Loop: Header=BB20_6 Depth=1
	s_or_b64 exec, exec, vcc
	s_waitcnt lgkmcnt(0)
	s_barrier
.LBB20_389:                             ;   in Loop: Header=BB20_6 Depth=1
	v_and_b32_e32 v27, s6, v27
	v_or_b32_e32 v26, s75, v26
	s_mov_b32 s4, 5
.LBB20_390:                             ;   in Loop: Header=BB20_6 Depth=1
	s_or_saveexec_b64 vcc, s[10:11]
	v_mov_b32_e32 v30, s4
	s_xor_b64 exec, exec, vcc
; %bb.391:                              ;   in Loop: Header=BB20_6 Depth=1
	v_subrev_u32_e32 v3, s13, v3
	v_mov_b32_e32 v30, 5
; %bb.392:                              ;   in Loop: Header=BB20_6 Depth=1
	s_or_b64 exec, exec, vcc
	v_mov_b32_e32 v2, v3
.LBB20_393:                             ;   in Loop: Header=BB20_6 Depth=1
	s_or_b64 exec, exec, s[54:55]
	s_mov_b64 vcc, exec
.LBB20_394:                             ;   in Loop: Header=BB20_6 Depth=1
	s_or_b64 exec, exec, s[16:17]
	s_orn2_b64 s[16:17], vcc, exec
	v_mov_b32_e32 v3, v2
.LBB20_395:                             ;   in Loop: Header=BB20_6 Depth=1
	s_or_b64 exec, exec, s[52:53]
	s_andn2_b64 s[4:5], s[44:45], exec
	s_and_b64 s[10:11], s[56:57], exec
	s_or_b64 s[44:45], s[4:5], s[10:11]
	s_andn2_b64 s[4:5], s[46:47], exec
	s_and_b64 s[10:11], s[58:59], exec
	s_or_b64 s[46:47], s[4:5], s[10:11]
	;; [unrolled: 3-line block ×3, first 2 shown]
	s_and_b64 s[16:17], s[16:17], exec
	v_mov_b32_e32 v2, v3
.LBB20_396:                             ;   in Loop: Header=BB20_6 Depth=1
	s_or_b64 exec, exec, s[50:51]
	s_and_b64 s[50:51], s[44:45], exec
	s_and_b64 s[46:47], s[46:47], exec
	s_and_b64 s[44:45], s[48:49], exec
	s_orn2_b64 s[16:17], s[16:17], exec
.LBB20_397:                             ;   in Loop: Header=BB20_6 Depth=1
	s_or_b64 exec, exec, s[42:43]
	s_andn2_b64 s[4:5], s[28:29], exec
	s_and_b64 s[10:11], s[50:51], exec
	s_or_b64 s[28:29], s[4:5], s[10:11]
	s_andn2_b64 s[4:5], s[36:37], exec
	s_and_b64 s[10:11], s[46:47], exec
	s_or_b64 s[36:37], s[4:5], s[10:11]
	s_andn2_b64 s[4:5], s[38:39], exec
	s_and_b64 s[10:11], s[44:45], exec
	s_or_b64 s[38:39], s[4:5], s[10:11]
	s_and_b64 s[44:45], s[16:17], exec
	v_mov_b32_e32 v5, v2
.LBB20_398:                             ;   in Loop: Header=BB20_6 Depth=1
	s_or_b64 exec, exec, s[40:41]
	s_and_b64 s[40:41], s[28:29], exec
	s_and_b64 s[28:29], s[36:37], exec
	;; [unrolled: 1-line block ×3, first 2 shown]
	s_orn2_b64 s[38:39], s[44:45], exec
.LBB20_399:                             ;   in Loop: Header=BB20_6 Depth=1
	s_or_b64 exec, exec, s[18:19]
	s_mov_b64 s[18:19], s[24:25]
	s_mov_b64 s[36:37], s[20:21]
	s_and_saveexec_b64 s[42:43], s[38:39]
; %bb.400:                              ;   in Loop: Header=BB20_6 Depth=1
	v_cmp_ne_u32_e64 s[18:19], 5, v30
	v_cmp_eq_u32_e32 vcc, 5, v30
	s_andn2_b64 s[4:5], s[20:21], exec
	s_and_b64 s[10:11], s[18:19], exec
	s_or_b64 s[36:37], s[4:5], s[10:11]
	s_andn2_b64 s[4:5], s[24:25], exec
	s_and_b64 s[10:11], vcc, exec
	s_andn2_b64 s[40:41], s[40:41], exec
	s_andn2_b64 s[28:29], s[28:29], exec
	;; [unrolled: 1-line block ×3, first 2 shown]
	s_or_b64 s[18:19], s[4:5], s[10:11]
; %bb.401:                              ;   in Loop: Header=BB20_6 Depth=1
	s_or_b64 exec, exec, s[42:43]
	s_andn2_b64 s[4:5], s[30:31], exec
	s_and_b64 s[10:11], s[40:41], exec
	s_or_b64 s[30:31], s[4:5], s[10:11]
	s_andn2_b64 s[4:5], s[34:35], exec
	s_and_b64 s[10:11], s[28:29], exec
	s_or_b64 s[34:35], s[4:5], s[10:11]
	;; [unrolled: 3-line block ×5, first 2 shown]
	v_mov_b32_e32 v2, v27
	v_mov_b32_e32 v3, v26
	v_mov_b32_e32 v4, v28
.LBB20_402:                             ;   in Loop: Header=BB20_6 Depth=1
	s_or_b64 exec, exec, s[26:27]
	s_mov_b64 s[28:29], s[22:23]
	s_mov_b64 s[26:27], s[22:23]
	s_and_saveexec_b64 s[16:17], s[24:25]
.LBB20_403:                             ;   in Loop: Header=BB20_6 Depth=1
	v_mov_b32_e32 v30, 0
	s_andn2_b64 s[22:23], s[22:23], exec
	s_andn2_b64 s[30:31], s[30:31], exec
	;; [unrolled: 1-line block ×5, first 2 shown]
	s_or_b64 s[20:21], s[20:21], exec
.LBB20_404:                             ;   in Loop: Header=BB20_6 Depth=1
	s_or_b64 exec, exec, s[16:17]
	s_andn2_b64 s[4:5], s[82:83], exec
	s_and_b64 s[10:11], s[22:23], exec
	s_or_b64 s[82:83], s[4:5], s[10:11]
	s_andn2_b64 s[4:5], s[90:91], exec
	s_and_b64 s[10:11], s[30:31], exec
	s_or_b64 s[90:91], s[4:5], s[10:11]
	;; [unrolled: 3-line block ×4, first 2 shown]
	s_andn2_b64 s[2:3], s[2:3], exec
	s_and_b64 s[4:5], s[26:27], exec
	s_mov_b64 s[18:19], -1
	s_or_b64 s[2:3], s[2:3], s[4:5]
                                        ; implicit-def: $vgpr26
                                        ; implicit-def: $vgpr27
                                        ; implicit-def: $vgpr29
                                        ; implicit-def: $vgpr28
	s_and_saveexec_b64 s[4:5], s[20:21]
	s_xor_b64 s[16:17], exec, s[4:5]
	s_cbranch_execz .LBB20_5
; %bb.405:                              ;   in Loop: Header=BB20_6 Depth=1
	v_cmp_eq_u32_e32 vcc, 0, v30
	s_mov_b64 s[20:21], -1
	s_and_saveexec_b64 s[22:23], vcc
	s_cbranch_execz .LBB20_4
; %bb.406:                              ;   in Loop: Header=BB20_6 Depth=1
	s_xor_b32 s12, s12, 1
	s_add_i32 s6, s81, -2
	s_cmp_eq_u32 s81, 0
	s_cselect_b64 s[4:5], -1, 0
	s_xor_b64 s[20:21], exec, -1
	s_orn2_b64 s[18:19], s[4:5], exec
	s_mov_b32 s81, s6
	s_branch .LBB20_4
.LBB20_407:
	s_or_b64 exec, exec, s[92:93]
	s_xor_b64 s[16:17], s[72:73], -1
	s_xor_b64 s[20:21], s[70:71], -1
	;; [unrolled: 1-line block ×5, first 2 shown]
	s_mov_b64 s[12:13], 0
	s_and_saveexec_b64 s[6:7], s[4:5]
	s_xor_b64 s[10:11], exec, s[6:7]
	s_cbranch_execnz .LBB20_412
; %bb.408:
	s_andn2_saveexec_b64 s[0:1], s[10:11]
	s_cbranch_execnz .LBB20_431
.LBB20_409:
	s_or_b64 exec, exec, s[0:1]
	s_and_saveexec_b64 s[0:1], s[12:13]
.LBB20_410:
	; divergent unreachable
.LBB20_411:
	s_endpgm
.LBB20_412:
	s_mov_b64 s[14:15], 0
	s_and_saveexec_b64 s[4:5], s[18:19]
	s_xor_b64 s[12:13], exec, s[4:5]
	s_cbranch_execz .LBB20_429
; %bb.413:
	s_mov_b64 s[18:19], 0
	s_and_saveexec_b64 s[4:5], s[20:21]
	s_xor_b64 s[14:15], exec, s[4:5]
	s_cbranch_execz .LBB20_427
; %bb.414:
	s_and_saveexec_b64 s[4:5], s[16:17]
	s_xor_b64 s[16:17], exec, s[4:5]
	s_cbranch_execz .LBB20_425
; %bb.415:
	s_and_saveexec_b64 s[4:5], s[2:3]
	s_xor_b64 s[2:3], exec, s[4:5]
; %bb.416:
	v_xor_b32_e32 v4, 0xffffff80, v2
; %bb.417:
	s_or_b64 exec, exec, s[2:3]
	s_mov_b64 s[2:3], exec
	v_readlane_b32 s4, v47, 16
	v_readlane_b32 s5, v47, 17
	;; [unrolled: 1-line block ×3, first 2 shown]
	s_and_b64 s[4:5], s[2:3], s[4:5]
	v_readlane_b32 s35, v47, 20
	v_readlane_b32 s22, v47, 50
	s_mov_b64 exec, s[4:5]
	s_cbranch_execz .LBB20_419
; %bb.418:
	v_mov_b32_e32 v1, 0
	ds_write_b32 v1, v1 offset:4108
.LBB20_419:
	s_or_b64 exec, exec, s[2:3]
	v_mov_b32_e32 v1, 0
	s_waitcnt lgkmcnt(0)
	s_barrier
	s_mov_b64 s[2:3], exec
	v_readlane_b32 s4, v47, 30
	v_readlane_b32 s5, v47, 31
	s_and_b64 s[4:5], s[2:3], s[4:5]
	s_mov_b64 exec, s[4:5]
	s_cbranch_execz .LBB20_421
; %bb.420:
	global_load_ubyte v1, v[8:9], off
.LBB20_421:
	s_or_b64 exec, exec, s[2:3]
	v_readlane_b32 s5, v47, 12
	v_readlane_b32 s7, v47, 13
	s_mul_i32 s2, s7, s5
	v_readlane_b32 s6, v47, 18
	s_add_i32 s9, s60, 63
	s_sub_i32 s2, s6, s2
	s_andn2_b32 s9, s9, 63
	s_add_i32 s3, s7, 1
	s_sub_i32 s4, s2, s5
	s_cmp_ge_u32 s2, s5
	s_cselect_b32 s3, s3, s7
	s_cselect_b32 s2, s4, s2
	s_add_i32 s4, s3, 1
	s_cmp_ge_u32 s2, s5
	s_cselect_b32 s2, s4, s3
	s_mul_i32 s3, s2, s5
	v_readlane_b32 s4, v47, 2
	s_sub_i32 s3, s6, s3
	v_readlane_b32 s5, v47, 3
	s_mul_i32 s3, s3, s5
	s_mul_i32 s2, s2, s4
	v_readlane_b32 s7, v47, 14
	v_readlane_b32 s18, v47, 15
	s_add_i32 s4, s2, s3
	s_mul_i32 s2, s18, s7
	s_sub_i32 s2, s6, s2
	s_add_i32 s3, s18, 1
	s_sub_i32 s5, s2, s7
	s_cmp_ge_u32 s2, s7
	s_cselect_b32 s3, s3, s18
	s_cselect_b32 s2, s5, s2
	s_add_i32 s5, s3, 1
	s_cmp_ge_u32 s2, s7
	s_cselect_b32 s2, s5, s3
	s_mul_i32 s3, s2, s7
	s_sub_i32 s3, s6, s3
	v_readlane_b32 s6, v47, 4
	v_readlane_b32 s7, v47, 5
	s_mul_i32 s3, s3, s7
	s_mul_i32 s2, s2, s6
	s_add_i32 s2, s2, s3
	v_readlane_b32 s6, v47, 8
	s_mov_b32 s3, 0
	v_readlane_b32 s7, v47, 9
	s_add_u32 s42, s6, s4
	s_addc_u32 s43, s7, 0
	s_lshl_b64 s[2:3], s[2:3], 3
	v_readlane_b32 s4, v47, 0
	v_readlane_b32 s5, v47, 1
	s_add_u32 s44, s4, s2
	s_addc_u32 s45, s5, s3
	v_readlane_b32 s2, v47, 6
	v_readlane_b32 s3, v47, 7
	s_load_dword s46, s[2:3], 0x1c8
	s_load_dword s47, s[2:3], 0x2a8
	v_add_u32_e32 v2, s33, v0
	v_cmp_gt_u32_e32 vcc, s9, v0
	s_mov_b64 s[20:21], -1
	s_mov_b64 s[2:3], 0
	v_mul_lo_u32 v5, s22, v2
	s_mov_b64 s[4:5], 0
	s_and_saveexec_b64 s[18:19], vcc
	s_cbranch_execnz .LBB20_432
; %bb.422:
	s_or_b64 exec, exec, s[18:19]
	s_and_saveexec_b64 s[18:19], s[20:21]
	s_cbranch_execnz .LBB20_447
.LBB20_423:
	s_or_b64 exec, exec, s[18:19]
	s_and_saveexec_b64 s[0:1], s[4:5]
	s_xor_b64 s[0:1], exec, s[0:1]
	s_cbranch_execnz .LBB20_469
.LBB20_424:
	s_or_b64 exec, exec, s[0:1]
	s_and_b64 s[18:19], s[2:3], exec
.LBB20_425:
	s_andn2_saveexec_b64 s[0:1], s[16:17]
	s_cbranch_execnz .LBB20_472
.LBB20_426:
	s_or_b64 exec, exec, s[0:1]
	s_and_b64 s[18:19], s[18:19], exec
.LBB20_427:
	s_andn2_saveexec_b64 s[0:1], s[14:15]
	s_cbranch_execnz .LBB20_471
.LBB20_428:
	s_or_b64 exec, exec, s[0:1]
	s_and_b64 s[14:15], s[18:19], exec
.LBB20_429:
	s_andn2_saveexec_b64 s[0:1], s[12:13]
	s_cbranch_execnz .LBB20_470
.LBB20_430:
	s_or_b64 exec, exec, s[0:1]
	s_and_b64 s[12:13], s[14:15], exec
	s_andn2_saveexec_b64 s[0:1], s[10:11]
	s_cbranch_execz .LBB20_409
.LBB20_431:
	s_or_b64 s[12:13], s[12:13], exec
	s_trap 2
	s_or_b64 exec, exec, s[0:1]
	s_and_saveexec_b64 s[0:1], s[12:13]
	s_cbranch_execnz .LBB20_410
	s_branch .LBB20_411
.LBB20_432:
	s_movk_i32 s6, 0x80
	v_add_u32_sdwa v10, sext(v4), s6 dst_sel:DWORD dst_unused:UNUSED_PAD src0_sel:BYTE_0 src1_sel:DWORD
	v_mul_lo_u32 v11, s22, v2
	s_mov_b64 s[20:21], 0
	v_mov_b32_e32 v3, 0
	v_mov_b32_e32 v2, v0
                                        ; implicit-def: $sgpr22_sgpr23
                                        ; implicit-def: $vgpr15
	s_branch .LBB20_434
.LBB20_433:                             ;   in Loop: Header=BB20_434 Depth=1
	s_or_b64 exec, exec, s[24:25]
	s_xor_b64 s[24:25], s[28:29], -1
	s_and_b64 s[4:5], exec, s[4:5]
	s_or_b64 s[20:21], s[4:5], s[20:21]
	s_andn2_b64 s[4:5], s[22:23], exec
	s_and_b64 s[22:23], s[24:25], exec
	s_or_b64 s[22:23], s[4:5], s[22:23]
	v_mov_b32_e32 v1, v14
	v_mov_b32_e32 v2, v13
	s_andn2_b64 exec, exec, s[20:21]
	s_cbranch_execz .LBB20_446
.LBB20_434:                             ; =>This Inner Loop Header: Depth=1
	v_add_u32_e32 v13, s33, v2
	v_cmp_gt_u32_e32 vcc, s60, v13
	v_mov_b32_e32 v14, 0
	s_and_saveexec_b64 s[4:5], vcc
	s_cbranch_execz .LBB20_436
; %bb.435:                              ;   in Loop: Header=BB20_434 Depth=1
	global_load_ubyte v14, v11, s[64:65]
.LBB20_436:                             ;   in Loop: Header=BB20_434 Depth=1
	s_or_b64 exec, exec, s[4:5]
	s_waitcnt vmcnt(0)
	v_add_u32_sdwa v16, sext(v1), s6 dst_sel:DWORD dst_unused:UNUSED_PAD src0_sel:BYTE_0 src1_sel:DWORD
	v_cmp_gt_u32_e64 s[4:5], v16, v10
	v_cndmask_b32_e64 v17, 0, 1, s[4:5]
	v_cmp_lt_u32_e64 s[4:5], v16, v10
	v_cndmask_b32_e64 v16, 0, 1, s[4:5]
	v_cndmask_b32_e64 v16, v16, v17, s[34:35]
	v_and_b32_e32 v16, 1, v16
	v_cmp_gt_u32_e32 vcc, s60, v2
	v_cmp_eq_u32_e64 s[4:5], 1, v16
	s_and_b64 s[24:25], vcc, s[4:5]
	v_cndmask_b32_e64 v16, 0, 1, s[24:25]
	v_cmp_ne_u32_e32 vcc, 0, v16
	s_cmp_lg_u64 vcc, 0
	s_cselect_b64 s[4:5], -1, 0
	s_and_b64 s[4:5], s[0:1], s[4:5]
	s_and_saveexec_b64 s[26:27], s[4:5]
	s_cbranch_execz .LBB20_440
; %bb.437:                              ;   in Loop: Header=BB20_434 Depth=1
	s_mov_b64 s[30:31], exec
	s_waitcnt lgkmcnt(0)
	v_mbcnt_lo_u32_b32 v15, s30, 0
	v_mbcnt_hi_u32_b32 v15, s31, v15
	s_bcnt1_i32_b64 s7, vcc
	v_cmp_eq_u32_e64 s[4:5], 0, v15
                                        ; implicit-def: $vgpr16
	s_and_saveexec_b64 s[28:29], s[4:5]
	s_cbranch_execz .LBB20_439
; %bb.438:                              ;   in Loop: Header=BB20_434 Depth=1
	s_bcnt1_i32_b64 s4, s[30:31]
	s_mul_i32 s4, s7, s4
	v_mov_b32_e32 v16, s4
	ds_add_rtn_u32 v16, v3, v16 offset:4108
.LBB20_439:                             ;   in Loop: Header=BB20_434 Depth=1
	s_or_b64 exec, exec, s[28:29]
	s_waitcnt lgkmcnt(0)
	v_readfirstlane_b32 s4, v16
	v_mov_b32_e32 v16, s4
	v_mad_u32_u24 v15, s7, v15, v16
.LBB20_440:                             ;   in Loop: Header=BB20_434 Depth=1
	s_or_b64 exec, exec, s[26:27]
	s_waitcnt lgkmcnt(0)
	ds_bpermute_b32 v15, v12, v15
	s_mov_b64 s[4:5], -1
	s_mov_b64 s[30:31], -1
                                        ; implicit-def: $sgpr28_sgpr29
	s_and_saveexec_b64 s[26:27], s[24:25]
	s_cbranch_execz .LBB20_444
; %bb.441:                              ;   in Loop: Header=BB20_434 Depth=1
	v_and_b32_e32 v17, vcc_lo, v6
	v_and_b32_e32 v16, vcc_hi, v7
	v_bcnt_u32_b32 v17, v17, 0
	v_bcnt_u32_b32 v16, v16, v17
	s_waitcnt lgkmcnt(0)
	v_add_u32_e32 v16, v15, v16
	v_cmp_gt_u32_e32 vcc, s61, v16
	s_mov_b64 s[24:25], 0
	s_and_saveexec_b64 s[28:29], vcc
	s_cbranch_execz .LBB20_443
; %bb.442:                              ;   in Loop: Header=BB20_434 Depth=1
	v_mul_lo_u32 v17, v16, s46
	v_mul_lo_u32 v16, v16, s47
	global_store_byte v17, v1, s[42:43]
	v_mov_b32_e32 v17, v3
	v_lshlrev_b64 v[16:17], 3, v[16:17]
	v_mov_b32_e32 v1, s45
	v_add_co_u32_e32 v16, vcc, s44, v16
	s_mov_b64 s[24:25], exec
	v_addc_co_u32_e32 v17, vcc, v1, v17, vcc
	global_store_dwordx2 v[16:17], v[2:3], off
.LBB20_443:                             ;   in Loop: Header=BB20_434 Depth=1
	s_or_b64 exec, exec, s[28:29]
	s_mov_b64 s[28:29], -1
	s_orn2_b64 s[30:31], s[24:25], exec
.LBB20_444:                             ;   in Loop: Header=BB20_434 Depth=1
	s_or_b64 exec, exec, s[26:27]
	s_and_saveexec_b64 s[24:25], s[30:31]
	s_cbranch_execz .LBB20_433
; %bb.445:                              ;   in Loop: Header=BB20_434 Depth=1
	v_cmp_le_u32_e32 vcc, s9, v13
	v_add_u32_e32 v11, s8, v11
	s_andn2_b64 s[28:29], s[28:29], exec
	s_orn2_b64 s[4:5], vcc, exec
	s_branch .LBB20_433
.LBB20_446:
	s_or_b64 exec, exec, s[20:21]
	s_mov_b64 s[4:5], exec
	s_orn2_b64 s[20:21], s[22:23], exec
	s_or_b64 exec, exec, s[18:19]
	s_and_saveexec_b64 s[18:19], s[20:21]
	s_cbranch_execz .LBB20_423
.LBB20_447:
	s_waitcnt vmcnt(0)
	v_mov_b32_e32 v1, 0
	v_mov_b32_e32 v3, 0
	s_waitcnt lgkmcnt(0)
	s_barrier
	s_mov_b64 s[2:3], exec
	v_readlane_b32 s6, v47, 30
	v_readlane_b32 s7, v47, 31
	s_and_b64 s[6:7], s[2:3], s[6:7]
	s_mov_b64 exec, s[6:7]
	s_cbranch_execz .LBB20_449
; %bb.448:
	global_load_ubyte v3, v[8:9], off
.LBB20_449:
	s_or_b64 exec, exec, s[2:3]
	s_mov_b64 s[20:21], 0
                                        ; implicit-def: $sgpr6_sgpr7
                                        ; implicit-def: $sgpr22_sgpr23
                                        ; implicit-def: $sgpr24_sgpr25
                                        ; implicit-def: $vgpr2
	s_branch .LBB20_452
.LBB20_450:                             ;   in Loop: Header=BB20_452 Depth=1
	s_or_b64 exec, exec, s[30:31]
	s_andn2_b64 s[2:3], s[24:25], exec
	s_and_b64 s[24:25], s[36:37], exec
	s_or_b64 s[24:25], s[2:3], s[24:25]
	s_andn2_b64 s[2:3], s[22:23], exec
	s_and_b64 s[22:23], s[28:29], exec
	s_or_b64 s[22:23], s[2:3], s[22:23]
	v_mov_b32_e32 v0, v8
.LBB20_451:                             ;   in Loop: Header=BB20_452 Depth=1
	s_or_b64 exec, exec, s[26:27]
	s_xor_b64 s[2:3], s[24:25], -1
	s_and_b64 s[26:27], exec, s[22:23]
	s_or_b64 s[20:21], s[26:27], s[20:21]
	s_andn2_b64 s[6:7], s[6:7], exec
	s_and_b64 s[2:3], s[2:3], exec
	s_or_b64 s[6:7], s[6:7], s[2:3]
	s_andn2_b64 exec, exec, s[20:21]
	s_cbranch_execz .LBB20_467
.LBB20_452:                             ; =>This Inner Loop Header: Depth=1
	v_cmp_gt_u32_e32 vcc, s9, v0
	s_or_b64 s[24:25], s[24:25], exec
	s_or_b64 s[22:23], s[22:23], exec
	s_and_saveexec_b64 s[26:27], vcc
	s_cbranch_execz .LBB20_451
; %bb.453:                              ;   in Loop: Header=BB20_452 Depth=1
	v_add_u32_e32 v8, s33, v0
	v_cmp_gt_u32_e32 vcc, s60, v8
	v_mov_b32_e32 v9, 0
	s_and_saveexec_b64 s[2:3], vcc
	s_cbranch_execz .LBB20_455
; %bb.454:                              ;   in Loop: Header=BB20_452 Depth=1
	global_load_ubyte v9, v5, s[64:65]
.LBB20_455:                             ;   in Loop: Header=BB20_452 Depth=1
	s_or_b64 exec, exec, s[2:3]
	s_waitcnt vmcnt(0)
	v_and_b32_e32 v10, 0xff, v3
	v_cmp_gt_u32_e32 vcc, s60, v0
	v_cmp_eq_u16_sdwa s[2:3], v10, v4 src0_sel:DWORD src1_sel:BYTE_0
	s_and_b64 s[30:31], vcc, s[2:3]
	v_cndmask_b32_e64 v10, 0, 1, s[30:31]
	v_cmp_ne_u32_e32 vcc, 0, v10
	s_cmp_lg_u64 vcc, 0
	s_cselect_b64 s[2:3], -1, 0
	s_and_b64 s[2:3], s[0:1], s[2:3]
	s_and_saveexec_b64 s[28:29], s[2:3]
	s_cbranch_execz .LBB20_459
; %bb.456:                              ;   in Loop: Header=BB20_452 Depth=1
	s_mov_b64 s[36:37], exec
	v_mbcnt_lo_u32_b32 v2, s36, 0
	v_mbcnt_hi_u32_b32 v2, s37, v2
	s_bcnt1_i32_b64 s38, vcc
	v_cmp_eq_u32_e64 s[2:3], 0, v2
                                        ; implicit-def: $vgpr10
	s_and_saveexec_b64 s[34:35], s[2:3]
	s_cbranch_execz .LBB20_458
; %bb.457:                              ;   in Loop: Header=BB20_452 Depth=1
	s_bcnt1_i32_b64 s2, s[36:37]
	s_mul_i32 s2, s38, s2
	v_mov_b32_e32 v10, s2
	ds_add_rtn_u32 v10, v1, v10 offset:4108
.LBB20_458:                             ;   in Loop: Header=BB20_452 Depth=1
	s_or_b64 exec, exec, s[34:35]
	s_waitcnt lgkmcnt(0)
	v_readfirstlane_b32 s2, v10
	v_mov_b32_e32 v10, s2
	v_mad_u32_u24 v2, s38, v2, v10
.LBB20_459:                             ;   in Loop: Header=BB20_452 Depth=1
	s_or_b64 exec, exec, s[28:29]
	ds_bpermute_b32 v2, v12, v2
	s_cmp_eq_u64 vcc, 0
	s_cselect_b64 s[34:35], -1, 0
	s_mov_b64 s[28:29], -1
	s_mov_b64 s[36:37], -1
	s_waitcnt lgkmcnt(0)
	v_cmp_gt_u32_e64 s[2:3], s61, v2
	s_or_b64 s[2:3], s[34:35], s[2:3]
	v_cndmask_b32_e64 v3, v3, v9, s[2:3]
	s_and_b64 s[38:39], s[30:31], s[2:3]
	s_mov_b64 s[34:35], -1
	s_and_saveexec_b64 s[30:31], s[38:39]
	s_cbranch_execz .LBB20_465
; %bb.460:                              ;   in Loop: Header=BB20_452 Depth=1
	v_and_b32_e32 v10, vcc_lo, v6
	v_and_b32_e32 v3, vcc_hi, v7
	v_bcnt_u32_b32 v10, v10, 0
	v_bcnt_u32_b32 v3, v3, v10
	v_sub_u32_e32 v10, s61, v2
	v_cmp_le_u32_e64 s[34:35], v10, v3
	v_cmp_gt_u32_e32 vcc, v10, v3
	s_mov_b64 s[38:39], -1
	s_and_saveexec_b64 s[36:37], vcc
	s_cbranch_execz .LBB20_464
; %bb.461:                              ;   in Loop: Header=BB20_452 Depth=1
	v_add_u32_e32 v3, v2, v3
	v_cmp_gt_u32_e32 vcc, s61, v3
	s_mov_b64 s[40:41], s[34:35]
	s_and_saveexec_b64 s[38:39], vcc
	s_cbranch_execz .LBB20_463
; %bb.462:                              ;   in Loop: Header=BB20_452 Depth=1
	v_mul_lo_u32 v11, v3, s46
	v_mul_lo_u32 v10, v3, s47
	global_store_byte v11, v4, s[42:43]
	v_mov_b32_e32 v11, v1
	v_lshlrev_b64 v[10:11], 3, v[10:11]
	v_mov_b32_e32 v3, s45
	v_add_co_u32_e32 v10, vcc, s44, v10
	v_addc_co_u32_e32 v11, vcc, v3, v11, vcc
	s_or_b64 s[40:41], s[34:35], exec
	global_store_dwordx2 v[10:11], v[0:1], off
.LBB20_463:                             ;   in Loop: Header=BB20_452 Depth=1
	s_or_b64 exec, exec, s[38:39]
	s_andn2_b64 s[34:35], s[34:35], exec
	s_and_b64 s[40:41], s[40:41], exec
	s_xor_b64 s[38:39], exec, -1
	s_or_b64 s[34:35], s[34:35], s[40:41]
.LBB20_464:                             ;   in Loop: Header=BB20_452 Depth=1
	s_or_b64 exec, exec, s[36:37]
	s_orn2_b64 s[36:37], s[38:39], exec
	s_or_b64 s[2:3], s[2:3], exec
	s_orn2_b64 s[34:35], s[34:35], exec
	v_mov_b32_e32 v3, v9
.LBB20_465:                             ;   in Loop: Header=BB20_452 Depth=1
	s_or_b64 exec, exec, s[30:31]
	s_and_saveexec_b64 s[30:31], s[34:35]
	s_cbranch_execz .LBB20_450
; %bb.466:                              ;   in Loop: Header=BB20_452 Depth=1
	s_xor_b64 s[2:3], s[2:3], -1
	v_add_u32_e32 v5, s8, v5
	s_or_b64 s[36:37], s[36:37], exec
	s_orn2_b64 s[28:29], s[2:3], exec
	s_branch .LBB20_450
.LBB20_467:
	s_or_b64 exec, exec, s[20:21]
	s_mov_b64 s[0:1], 0
	s_and_saveexec_b64 s[2:3], s[6:7]
	s_xor_b64 s[2:3], exec, s[2:3]
	s_cbranch_execnz .LBB20_473
.LBB20_468:
	s_or_b64 exec, exec, s[2:3]
	s_and_b64 s[2:3], s[0:1], exec
	s_andn2_b64 s[4:5], s[4:5], exec
	s_or_b64 exec, exec, s[18:19]
	s_and_saveexec_b64 s[0:1], s[4:5]
	s_xor_b64 s[0:1], exec, s[0:1]
	s_cbranch_execz .LBB20_424
.LBB20_469:
	s_or_b64 s[2:3], s[2:3], exec
	s_trap 2
	s_branch .LBB20_424
.LBB20_470:
	s_or_b64 s[14:15], s[14:15], exec
	s_trap 2
	s_branch .LBB20_430
.LBB20_471:
	s_or_b64 s[18:19], s[18:19], exec
	s_trap 2
	s_branch .LBB20_428
.LBB20_472:
	s_trap 2
	s_or_b64 s[18:19], s[18:19], exec
	s_branch .LBB20_426
.LBB20_473:
	s_mov_b64 s[0:1], exec
	s_trap 2
	s_branch .LBB20_468
	.section	.rodata,"a",@progbits
	.p2align	6, 0x0
	.amdhsa_kernel _ZN2at6native6sbtopk10gatherTopKIajLi2ELb0EEEvNS_4cuda6detail10TensorInfoIKT_T0_EES8_S8_bS8_S8_NS5_IS6_S8_EES8_NS5_IlS8_EES8_PS6_
		.amdhsa_group_segment_fixed_size 4112
		.amdhsa_private_segment_fixed_size 0
		.amdhsa_kernarg_size 952
		.amdhsa_user_sgpr_count 6
		.amdhsa_user_sgpr_private_segment_buffer 1
		.amdhsa_user_sgpr_dispatch_ptr 0
		.amdhsa_user_sgpr_queue_ptr 0
		.amdhsa_user_sgpr_kernarg_segment_ptr 1
		.amdhsa_user_sgpr_dispatch_id 0
		.amdhsa_user_sgpr_flat_scratch_init 0
		.amdhsa_user_sgpr_kernarg_preload_length 0
		.amdhsa_user_sgpr_kernarg_preload_offset 0
		.amdhsa_user_sgpr_private_segment_size 0
		.amdhsa_uses_dynamic_stack 0
		.amdhsa_system_sgpr_private_segment_wavefront_offset 0
		.amdhsa_system_sgpr_workgroup_id_x 1
		.amdhsa_system_sgpr_workgroup_id_y 1
		.amdhsa_system_sgpr_workgroup_id_z 1
		.amdhsa_system_sgpr_workgroup_info 0
		.amdhsa_system_vgpr_workitem_id 0
		.amdhsa_next_free_vgpr 48
		.amdhsa_next_free_sgpr 96
		.amdhsa_accum_offset 48
		.amdhsa_reserve_vcc 1
		.amdhsa_reserve_flat_scratch 0
		.amdhsa_float_round_mode_32 0
		.amdhsa_float_round_mode_16_64 0
		.amdhsa_float_denorm_mode_32 3
		.amdhsa_float_denorm_mode_16_64 3
		.amdhsa_dx10_clamp 1
		.amdhsa_ieee_mode 1
		.amdhsa_fp16_overflow 0
		.amdhsa_tg_split 0
		.amdhsa_exception_fp_ieee_invalid_op 0
		.amdhsa_exception_fp_denorm_src 0
		.amdhsa_exception_fp_ieee_div_zero 0
		.amdhsa_exception_fp_ieee_overflow 0
		.amdhsa_exception_fp_ieee_underflow 0
		.amdhsa_exception_fp_ieee_inexact 0
		.amdhsa_exception_int_div_zero 0
	.end_amdhsa_kernel
	.section	.text._ZN2at6native6sbtopk10gatherTopKIajLi2ELb0EEEvNS_4cuda6detail10TensorInfoIKT_T0_EES8_S8_bS8_S8_NS5_IS6_S8_EES8_NS5_IlS8_EES8_PS6_,"axG",@progbits,_ZN2at6native6sbtopk10gatherTopKIajLi2ELb0EEEvNS_4cuda6detail10TensorInfoIKT_T0_EES8_S8_bS8_S8_NS5_IS6_S8_EES8_NS5_IlS8_EES8_PS6_,comdat
.Lfunc_end20:
	.size	_ZN2at6native6sbtopk10gatherTopKIajLi2ELb0EEEvNS_4cuda6detail10TensorInfoIKT_T0_EES8_S8_bS8_S8_NS5_IS6_S8_EES8_NS5_IlS8_EES8_PS6_, .Lfunc_end20-_ZN2at6native6sbtopk10gatherTopKIajLi2ELb0EEEvNS_4cuda6detail10TensorInfoIKT_T0_EES8_S8_bS8_S8_NS5_IS6_S8_EES8_NS5_IlS8_EES8_PS6_
                                        ; -- End function
	.section	.AMDGPU.csdata,"",@progbits
; Kernel info:
; codeLenInByte = 15352
; NumSgprs: 100
; NumVgprs: 48
; NumAgprs: 0
; TotalNumVgprs: 48
; ScratchSize: 0
; MemoryBound: 0
; FloatMode: 240
; IeeeMode: 1
; LDSByteSize: 4112 bytes/workgroup (compile time only)
; SGPRBlocks: 12
; VGPRBlocks: 5
; NumSGPRsForWavesPerEU: 100
; NumVGPRsForWavesPerEU: 48
; AccumOffset: 48
; Occupancy: 8
; WaveLimiterHint : 1
; COMPUTE_PGM_RSRC2:SCRATCH_EN: 0
; COMPUTE_PGM_RSRC2:USER_SGPR: 6
; COMPUTE_PGM_RSRC2:TRAP_HANDLER: 0
; COMPUTE_PGM_RSRC2:TGID_X_EN: 1
; COMPUTE_PGM_RSRC2:TGID_Y_EN: 1
; COMPUTE_PGM_RSRC2:TGID_Z_EN: 1
; COMPUTE_PGM_RSRC2:TIDIG_COMP_CNT: 0
; COMPUTE_PGM_RSRC3_GFX90A:ACCUM_OFFSET: 11
; COMPUTE_PGM_RSRC3_GFX90A:TG_SPLIT: 0
	.section	.text._ZN2at6native6mbtopk23computeBlockDigitCountsIajjLi3EEEvNS_4cuda6detail10TensorInfoIKT_T0_EEjPjjS8_iijT1_PSB_Ps,"axG",@progbits,_ZN2at6native6mbtopk23computeBlockDigitCountsIajjLi3EEEvNS_4cuda6detail10TensorInfoIKT_T0_EEjPjjS8_iijT1_PSB_Ps,comdat
	.protected	_ZN2at6native6mbtopk23computeBlockDigitCountsIajjLi3EEEvNS_4cuda6detail10TensorInfoIKT_T0_EEjPjjS8_iijT1_PSB_Ps ; -- Begin function _ZN2at6native6mbtopk23computeBlockDigitCountsIajjLi3EEEvNS_4cuda6detail10TensorInfoIKT_T0_EEjPjjS8_iijT1_PSB_Ps
	.globl	_ZN2at6native6mbtopk23computeBlockDigitCountsIajjLi3EEEvNS_4cuda6detail10TensorInfoIKT_T0_EEjPjjS8_iijT1_PSB_Ps
	.p2align	8
	.type	_ZN2at6native6mbtopk23computeBlockDigitCountsIajjLi3EEEvNS_4cuda6detail10TensorInfoIKT_T0_EEjPjjS8_iijT1_PSB_Ps,@function
_ZN2at6native6mbtopk23computeBlockDigitCountsIajjLi3EEEvNS_4cuda6detail10TensorInfoIKT_T0_EEjPjjS8_iijT1_PSB_Ps: ; @_ZN2at6native6mbtopk23computeBlockDigitCountsIajjLi3EEEvNS_4cuda6detail10TensorInfoIKT_T0_EEjPjjS8_iijT1_PSB_Ps
; %bb.0:
	s_load_dwordx2 s[10:11], s[4:5], 0xf8
	s_load_dwordx4 s[12:15], s[4:5], 0xe8
	s_load_dwordx2 s[0:1], s[4:5], 0x110
	s_mov_b32 s9, 0
	s_waitcnt lgkmcnt(0)
	v_cvt_f32_u32_e32 v1, s10
	s_sub_i32 s2, 0, s10
	s_mul_i32 s1, s1, s8
	s_add_i32 s1, s1, s7
	v_rcp_iflag_f32_e32 v1, v1
	s_mul_i32 s18, s1, s0
	s_add_i32 s18, s18, s6
	v_mul_f32_e32 v1, 0x4f7ffffe, v1
	v_cvt_u32_f32_e32 v1, v1
	v_readfirstlane_b32 s0, v1
	s_mul_i32 s2, s2, s0
	s_mul_hi_u32 s1, s0, s2
	s_add_i32 s0, s0, s1
	s_mul_hi_u32 s0, s18, s0
	s_mul_i32 s1, s0, s10
	s_sub_i32 s1, s18, s1
	s_add_i32 s2, s0, 1
	s_sub_i32 s3, s1, s10
	s_cmp_ge_u32 s1, s10
	s_cselect_b32 s0, s2, s0
	s_cselect_b32 s1, s3, s1
	s_add_i32 s2, s0, 1
	s_cmp_ge_u32 s1, s10
	s_cselect_b32 s8, s2, s0
	s_cmp_ge_u32 s8, s12
	s_cbranch_scc1 .LBB21_29
; %bb.1:
	s_load_dwordx2 s[6:7], s[4:5], 0xc
	s_load_dwordx4 s[0:3], s[4:5], 0x100
	s_lshl_b64 s[16:17], s[8:9], 2
	s_movk_i32 s9, 0x100
	v_cmp_gt_u32_e32 vcc, s9, v0
	s_waitcnt lgkmcnt(0)
	v_cvt_f32_u32_e32 v1, s7
	v_cvt_f32_u32_e32 v2, s6
	s_add_u32 s0, s0, s16
	s_addc_u32 s1, s1, s17
	v_rcp_iflag_f32_e32 v1, v1
	s_sub_i32 s12, 0, s7
	v_rcp_iflag_f32_e32 v2, v2
	v_mul_f32_e32 v1, 0x4f7ffffe, v1
	v_cvt_u32_f32_e32 v1, v1
	v_mul_f32_e32 v2, 0x4f7ffffe, v2
	v_cvt_u32_f32_e32 v2, v2
	v_readfirstlane_b32 s16, v1
	s_mul_i32 s12, s12, s16
	s_mul_hi_u32 s12, s16, s12
	s_add_i32 s16, s16, s12
	s_mul_hi_u32 s12, s8, s16
	s_mul_i32 s16, s12, s7
	s_sub_i32 s16, s8, s16
	s_add_i32 s17, s12, 1
	s_sub_i32 s19, s16, s7
	s_cmp_ge_u32 s16, s7
	s_cselect_b32 s12, s17, s12
	s_cselect_b32 s16, s19, s16
	s_add_i32 s17, s12, 1
	s_cmp_ge_u32 s16, s7
	v_readfirstlane_b32 s20, v2
	s_cselect_b32 s19, s17, s12
	v_lshlrev_b32_e32 v1, 2, v0
	s_and_saveexec_b64 s[16:17], vcc
	s_cbranch_execz .LBB21_3
; %bb.2:
	v_mov_b32_e32 v2, 0
	ds_write_b32 v1, v2
.LBB21_3:
	s_or_b64 exec, exec, s[16:17]
	s_load_dword s9, s[4:5], 0xd8
	s_mul_i32 s12, s8, s10
	s_sub_i32 s12, s18, s12
	s_add_i32 s16, s12, 1
	s_mul_i32 s12, s15, s12
	s_lshl_b32 s12, s12, 8
	s_waitcnt lgkmcnt(0)
	s_sub_i32 s17, s9, s12
	s_add_u32 s17, s17, 0xff
	s_addc_u32 s21, 0, 0
	v_mov_b32_e32 v2, s17
	v_alignbit_b32 v2, s21, v2, 8
	s_cmp_lt_u32 s16, s10
	v_readfirstlane_b32 s10, v2
	s_cselect_b32 s16, s15, s10
	s_cmp_lt_i32 s16, 1
	s_mov_b32 s15, 0
	s_barrier
	s_cbranch_scc1 .LBB21_25
; %bb.4:
	s_sub_i32 s10, 0, s6
	s_mul_i32 s10, s10, s20
	s_mul_hi_u32 s10, s20, s10
	s_add_i32 s10, s20, s10
	s_load_dwordx4 s[20:23], s[4:5], 0x6c
	s_load_dwordx2 s[24:25], s[4:5], 0x0
	s_mul_hi_u32 s4, s19, s10
	s_load_dword s10, s[0:1], 0x0
	s_mul_i32 s1, s4, s6
	s_mul_i32 s0, s19, s7
	s_sub_i32 s1, s19, s1
	s_sub_i32 s0, s8, s0
	s_add_i32 s5, s4, 1
	s_sub_i32 s7, s1, s6
	s_cmp_ge_u32 s1, s6
	s_cselect_b32 s4, s5, s4
	s_cselect_b32 s1, s7, s1
	s_add_i32 s5, s4, 1
	s_cmp_ge_u32 s1, s6
	s_cselect_b32 s1, s5, s4
	s_mul_i32 s4, s1, s6
	s_sub_i32 s4, s19, s4
	s_waitcnt lgkmcnt(0)
	s_mul_i32 s0, s0, s22
	s_mul_i32 s4, s4, s21
	s_add_i32 s0, s4, s0
	s_mul_i32 s1, s1, s20
	s_add_i32 s0, s0, s1
	s_add_u32 s4, s24, s0
	s_addc_u32 s5, s25, 0
	s_and_b32 s8, s14, 0xff
	s_cmp_lt_u32 s16, 4
	s_cbranch_scc1 .LBB21_19
; %bb.5:
	v_add_u32_e32 v6, s12, v0
	v_add_u32_e32 v2, 0x300, v6
	;; [unrolled: 1-line block ×4, first 2 shown]
	s_and_b32 s15, s16, 0x7ffffffc
	v_mul_lo_u32 v3, s13, v2
	s_lshl_b32 s14, s13, 10
	v_mul_lo_u32 v4, s13, v4
	v_mul_lo_u32 v5, s13, v5
	;; [unrolled: 1-line block ×3, first 2 shown]
	s_mov_b32 s17, 0
	v_mov_b32_e32 v7, 1
	s_mov_b32 s19, 0
	s_branch .LBB21_7
.LBB21_6:                               ;   in Loop: Header=BB21_7 Depth=1
	s_or_b64 exec, exec, s[6:7]
	s_add_i32 s19, s19, 4
	s_add_i32 s17, s17, s14
	s_cmp_eq_u32 s15, s19
	v_add_u32_e32 v2, 0x400, v2
	s_cbranch_scc1 .LBB21_19
.LBB21_7:                               ; =>This Inner Loop Header: Depth=1
	v_add_u32_e32 v8, 0xfffffd00, v2
	v_cmp_gt_u32_e64 s[0:1], s9, v8
	s_and_saveexec_b64 s[6:7], s[0:1]
	s_cbranch_execz .LBB21_10
; %bb.8:                                ;   in Loop: Header=BB21_7 Depth=1
	v_add_u32_e32 v8, s17, v6
	global_load_sbyte v8, v8, s[4:5]
	s_waitcnt vmcnt(0)
	v_add_u32_e32 v8, 0x80, v8
	v_xor_b32_e32 v9, s10, v8
	v_and_b32_e32 v9, s11, v9
	v_cmp_eq_u32_e64 s[0:1], 0, v9
	s_and_b64 exec, exec, s[0:1]
	s_cbranch_execz .LBB21_10
; %bb.9:                                ;   in Loop: Header=BB21_7 Depth=1
	v_lshrrev_b32_e32 v8, s8, v8
	v_lshlrev_b32_e32 v8, 2, v8
	ds_add_u32 v8, v7
.LBB21_10:                              ;   in Loop: Header=BB21_7 Depth=1
	s_or_b64 exec, exec, s[6:7]
	v_add_u32_e32 v8, 0xfffffe00, v2
	v_cmp_gt_u32_e64 s[0:1], s9, v8
	s_and_saveexec_b64 s[6:7], s[0:1]
	s_cbranch_execz .LBB21_13
; %bb.11:                               ;   in Loop: Header=BB21_7 Depth=1
	v_add_u32_e32 v8, s17, v5
	global_load_sbyte v8, v8, s[4:5]
	s_waitcnt vmcnt(0)
	v_add_u32_e32 v8, 0x80, v8
	v_xor_b32_e32 v9, s10, v8
	v_and_b32_e32 v9, s11, v9
	v_cmp_eq_u32_e64 s[0:1], 0, v9
	s_and_b64 exec, exec, s[0:1]
	s_cbranch_execz .LBB21_13
; %bb.12:                               ;   in Loop: Header=BB21_7 Depth=1
	v_lshrrev_b32_e32 v8, s8, v8
	v_lshlrev_b32_e32 v8, 2, v8
	ds_add_u32 v8, v7
.LBB21_13:                              ;   in Loop: Header=BB21_7 Depth=1
	s_or_b64 exec, exec, s[6:7]
	v_add_u32_e32 v8, 0xffffff00, v2
	v_cmp_gt_u32_e64 s[0:1], s9, v8
	s_and_saveexec_b64 s[6:7], s[0:1]
	s_cbranch_execz .LBB21_16
; %bb.14:                               ;   in Loop: Header=BB21_7 Depth=1
	v_add_u32_e32 v8, s17, v4
	global_load_sbyte v8, v8, s[4:5]
	s_waitcnt vmcnt(0)
	v_add_u32_e32 v8, 0x80, v8
	v_xor_b32_e32 v9, s10, v8
	v_and_b32_e32 v9, s11, v9
	v_cmp_eq_u32_e64 s[0:1], 0, v9
	s_and_b64 exec, exec, s[0:1]
	s_cbranch_execz .LBB21_16
; %bb.15:                               ;   in Loop: Header=BB21_7 Depth=1
	v_lshrrev_b32_e32 v8, s8, v8
	v_lshlrev_b32_e32 v8, 2, v8
	ds_add_u32 v8, v7
.LBB21_16:                              ;   in Loop: Header=BB21_7 Depth=1
	s_or_b64 exec, exec, s[6:7]
	v_cmp_gt_u32_e64 s[0:1], s9, v2
	s_and_saveexec_b64 s[6:7], s[0:1]
	s_cbranch_execz .LBB21_6
; %bb.17:                               ;   in Loop: Header=BB21_7 Depth=1
	v_add_u32_e32 v8, s17, v3
	global_load_sbyte v8, v8, s[4:5]
	s_waitcnt vmcnt(0)
	v_add_u32_e32 v8, 0x80, v8
	v_xor_b32_e32 v9, s10, v8
	v_and_b32_e32 v9, s11, v9
	v_cmp_eq_u32_e64 s[0:1], 0, v9
	s_and_b64 exec, exec, s[0:1]
	s_cbranch_execz .LBB21_6
; %bb.18:                               ;   in Loop: Header=BB21_7 Depth=1
	v_lshrrev_b32_e32 v8, s8, v8
	v_lshlrev_b32_e32 v8, 2, v8
	ds_add_u32 v8, v7
	s_branch .LBB21_6
.LBB21_19:
	s_and_b32 s14, s16, 3
	s_cmp_eq_u32 s14, 0
	s_cbranch_scc1 .LBB21_25
; %bb.20:
	s_lshl_b32 s0, s15, 8
	s_add_i32 s0, s0, s12
	v_add_u32_e32 v2, s0, v0
	v_mul_lo_u32 v3, s13, v2
	s_lshl_b32 s12, s13, 8
	v_mov_b32_e32 v4, 1
	s_branch .LBB21_22
.LBB21_21:                              ;   in Loop: Header=BB21_22 Depth=1
	s_or_b64 exec, exec, s[6:7]
	s_add_i32 s14, s14, -1
	v_add_u32_e32 v3, s12, v3
	s_cmp_lg_u32 s14, 0
	v_add_u32_e32 v2, 0x100, v2
	s_cbranch_scc0 .LBB21_25
.LBB21_22:                              ; =>This Inner Loop Header: Depth=1
	v_cmp_gt_u32_e64 s[0:1], s9, v2
	s_and_saveexec_b64 s[6:7], s[0:1]
	s_cbranch_execz .LBB21_21
; %bb.23:                               ;   in Loop: Header=BB21_22 Depth=1
	global_load_sbyte v5, v3, s[4:5]
	s_waitcnt vmcnt(0)
	v_add_u32_e32 v5, 0x80, v5
	v_xor_b32_e32 v6, s10, v5
	v_and_b32_e32 v6, s11, v6
	v_cmp_eq_u32_e64 s[0:1], 0, v6
	s_and_b64 exec, exec, s[0:1]
	s_cbranch_execz .LBB21_21
; %bb.24:                               ;   in Loop: Header=BB21_22 Depth=1
	v_lshrrev_b32_e32 v5, s8, v5
	v_lshlrev_b32_e32 v5, 2, v5
	ds_add_u32 v5, v4
	s_branch .LBB21_21
.LBB21_25:
	v_mov_b32_e32 v2, 0
	s_waitcnt lgkmcnt(0)
	s_barrier
	s_and_saveexec_b64 s[0:1], vcc
	s_cbranch_execz .LBB21_27
; %bb.26:
	ds_read_b32 v2, v1
.LBB21_27:
	s_or_b64 exec, exec, s[0:1]
	s_and_saveexec_b64 s[0:1], vcc
	s_cbranch_execz .LBB21_29
; %bb.28:
	v_lshl_or_b32 v0, s18, 8, v0
	v_mov_b32_e32 v1, 0
	v_lshlrev_b64 v[0:1], 1, v[0:1]
	v_mov_b32_e32 v3, s3
	v_add_co_u32_e32 v0, vcc, s2, v0
	v_addc_co_u32_e32 v1, vcc, v3, v1, vcc
	s_waitcnt lgkmcnt(0)
	global_store_short v[0:1], v2, off
.LBB21_29:
	s_endpgm
	.section	.rodata,"a",@progbits
	.p2align	6, 0x0
	.amdhsa_kernel _ZN2at6native6mbtopk23computeBlockDigitCountsIajjLi3EEEvNS_4cuda6detail10TensorInfoIKT_T0_EEjPjjS8_iijT1_PSB_Ps
		.amdhsa_group_segment_fixed_size 1024
		.amdhsa_private_segment_fixed_size 0
		.amdhsa_kernarg_size 528
		.amdhsa_user_sgpr_count 6
		.amdhsa_user_sgpr_private_segment_buffer 1
		.amdhsa_user_sgpr_dispatch_ptr 0
		.amdhsa_user_sgpr_queue_ptr 0
		.amdhsa_user_sgpr_kernarg_segment_ptr 1
		.amdhsa_user_sgpr_dispatch_id 0
		.amdhsa_user_sgpr_flat_scratch_init 0
		.amdhsa_user_sgpr_kernarg_preload_length 0
		.amdhsa_user_sgpr_kernarg_preload_offset 0
		.amdhsa_user_sgpr_private_segment_size 0
		.amdhsa_uses_dynamic_stack 0
		.amdhsa_system_sgpr_private_segment_wavefront_offset 0
		.amdhsa_system_sgpr_workgroup_id_x 1
		.amdhsa_system_sgpr_workgroup_id_y 1
		.amdhsa_system_sgpr_workgroup_id_z 1
		.amdhsa_system_sgpr_workgroup_info 0
		.amdhsa_system_vgpr_workitem_id 0
		.amdhsa_next_free_vgpr 10
		.amdhsa_next_free_sgpr 26
		.amdhsa_accum_offset 12
		.amdhsa_reserve_vcc 1
		.amdhsa_reserve_flat_scratch 0
		.amdhsa_float_round_mode_32 0
		.amdhsa_float_round_mode_16_64 0
		.amdhsa_float_denorm_mode_32 3
		.amdhsa_float_denorm_mode_16_64 3
		.amdhsa_dx10_clamp 1
		.amdhsa_ieee_mode 1
		.amdhsa_fp16_overflow 0
		.amdhsa_tg_split 0
		.amdhsa_exception_fp_ieee_invalid_op 0
		.amdhsa_exception_fp_denorm_src 0
		.amdhsa_exception_fp_ieee_div_zero 0
		.amdhsa_exception_fp_ieee_overflow 0
		.amdhsa_exception_fp_ieee_underflow 0
		.amdhsa_exception_fp_ieee_inexact 0
		.amdhsa_exception_int_div_zero 0
	.end_amdhsa_kernel
	.section	.text._ZN2at6native6mbtopk23computeBlockDigitCountsIajjLi3EEEvNS_4cuda6detail10TensorInfoIKT_T0_EEjPjjS8_iijT1_PSB_Ps,"axG",@progbits,_ZN2at6native6mbtopk23computeBlockDigitCountsIajjLi3EEEvNS_4cuda6detail10TensorInfoIKT_T0_EEjPjjS8_iijT1_PSB_Ps,comdat
.Lfunc_end21:
	.size	_ZN2at6native6mbtopk23computeBlockDigitCountsIajjLi3EEEvNS_4cuda6detail10TensorInfoIKT_T0_EEjPjjS8_iijT1_PSB_Ps, .Lfunc_end21-_ZN2at6native6mbtopk23computeBlockDigitCountsIajjLi3EEEvNS_4cuda6detail10TensorInfoIKT_T0_EEjPjjS8_iijT1_PSB_Ps
                                        ; -- End function
	.section	.AMDGPU.csdata,"",@progbits
; Kernel info:
; codeLenInByte = 1268
; NumSgprs: 30
; NumVgprs: 10
; NumAgprs: 0
; TotalNumVgprs: 10
; ScratchSize: 0
; MemoryBound: 0
; FloatMode: 240
; IeeeMode: 1
; LDSByteSize: 1024 bytes/workgroup (compile time only)
; SGPRBlocks: 3
; VGPRBlocks: 1
; NumSGPRsForWavesPerEU: 30
; NumVGPRsForWavesPerEU: 10
; AccumOffset: 12
; Occupancy: 8
; WaveLimiterHint : 1
; COMPUTE_PGM_RSRC2:SCRATCH_EN: 0
; COMPUTE_PGM_RSRC2:USER_SGPR: 6
; COMPUTE_PGM_RSRC2:TRAP_HANDLER: 0
; COMPUTE_PGM_RSRC2:TGID_X_EN: 1
; COMPUTE_PGM_RSRC2:TGID_Y_EN: 1
; COMPUTE_PGM_RSRC2:TGID_Z_EN: 1
; COMPUTE_PGM_RSRC2:TIDIG_COMP_CNT: 0
; COMPUTE_PGM_RSRC3_GFX90A:ACCUM_OFFSET: 2
; COMPUTE_PGM_RSRC3_GFX90A:TG_SPLIT: 0
	.section	.text._ZN2at6native6mbtopk10gatherTopKIajLi3EEEvNS_4cuda6detail10TensorInfoIKT_T0_EES8_S8_bjS8_NS5_IS6_S8_EES8_NS5_IlS8_EES8_jjPS6_PjSD_j,"axG",@progbits,_ZN2at6native6mbtopk10gatherTopKIajLi3EEEvNS_4cuda6detail10TensorInfoIKT_T0_EES8_S8_bjS8_NS5_IS6_S8_EES8_NS5_IlS8_EES8_jjPS6_PjSD_j,comdat
	.protected	_ZN2at6native6mbtopk10gatherTopKIajLi3EEEvNS_4cuda6detail10TensorInfoIKT_T0_EES8_S8_bjS8_NS5_IS6_S8_EES8_NS5_IlS8_EES8_jjPS6_PjSD_j ; -- Begin function _ZN2at6native6mbtopk10gatherTopKIajLi3EEEvNS_4cuda6detail10TensorInfoIKT_T0_EES8_S8_bjS8_NS5_IS6_S8_EES8_NS5_IlS8_EES8_jjPS6_PjSD_j
	.globl	_ZN2at6native6mbtopk10gatherTopKIajLi3EEEvNS_4cuda6detail10TensorInfoIKT_T0_EES8_S8_bjS8_NS5_IS6_S8_EES8_NS5_IlS8_EES8_jjPS6_PjSD_j
	.p2align	8
	.type	_ZN2at6native6mbtopk10gatherTopKIajLi3EEEvNS_4cuda6detail10TensorInfoIKT_T0_EES8_S8_bjS8_NS5_IS6_S8_EES8_NS5_IlS8_EES8_jjPS6_PjSD_j,@function
_ZN2at6native6mbtopk10gatherTopKIajLi3EEEvNS_4cuda6detail10TensorInfoIKT_T0_EES8_S8_bjS8_NS5_IS6_S8_EES8_NS5_IlS8_EES8_jjPS6_PjSD_j: ; @_ZN2at6native6mbtopk10gatherTopKIajLi3EEEvNS_4cuda6detail10TensorInfoIKT_T0_EES8_S8_bjS8_NS5_IS6_S8_EES8_NS5_IlS8_EES8_jjPS6_PjSD_j
; %bb.0:
	s_load_dwordx2 s[0:1], s[4:5], 0x2d8
	s_load_dword s2, s[4:5], 0x2d0
	s_waitcnt lgkmcnt(0)
	s_mul_i32 s1, s1, s8
	s_add_i32 s1, s1, s7
	s_mul_i32 s0, s1, s0
	s_add_i32 s0, s0, s6
	s_cmp_ge_u32 s0, s2
	s_cbranch_scc1 .LBB22_40
; %bb.1:
	s_load_dwordx8 s[8:15], s[4:5], 0x2a8
	s_load_dwordx4 s[16:19], s[4:5], 0x23c
	s_load_dwordx2 s[36:37], s[4:5], 0x1dc
	s_load_dwordx2 s[6:7], s[4:5], 0x1d0
	s_load_dwordx4 s[20:23], s[4:5], 0x15c
	s_load_dwordx2 s[40:41], s[4:5], 0xfc
	s_load_dwordx2 s[34:35], s[4:5], 0xf0
	s_load_dwordx4 s[24:27], s[4:5], 0x6c
	s_load_dwordx2 s[38:39], s[4:5], 0x0
	s_load_dwordx2 s[42:43], s[4:5], 0xc
	s_mov_b32 s45, 0
	s_waitcnt lgkmcnt(0)
	v_cvt_f32_u32_e32 v1, s10
	s_sub_i32 s1, 0, s10
	v_cvt_f32_u32_e32 v2, s43
	v_rcp_iflag_f32_e32 v1, v1
	v_mul_f32_e32 v1, 0x4f7ffffe, v1
	v_cvt_u32_f32_e32 v1, v1
	v_readfirstlane_b32 s2, v1
	s_mul_i32 s1, s1, s2
	s_mul_hi_u32 s1, s2, s1
	s_add_i32 s2, s2, s1
	s_mul_hi_u32 s1, s0, s2
	v_rcp_iflag_f32_e32 v1, v2
	s_mul_i32 s2, s1, s10
	s_sub_i32 s2, s0, s2
	s_add_i32 s3, s1, 1
	s_sub_i32 s11, s2, s10
	s_cmp_ge_u32 s2, s10
	v_mul_f32_e32 v1, 0x4f7ffffe, v1
	s_cselect_b32 s1, s3, s1
	v_cvt_u32_f32_e32 v1, v1
	s_cselect_b32 s2, s11, s2
	s_add_i32 s3, s1, 1
	s_cmp_ge_u32 s2, s10
	s_cselect_b32 s11, s3, s1
	v_readfirstlane_b32 s1, v1
	v_mov_b32_e32 v1, s11
	global_load_ubyte v5, v1, s[12:13]
	v_cvt_f32_u32_e32 v1, s42
	s_mul_i32 s44, s11, s10
	s_sub_i32 s19, s0, s44
	s_sub_i32 s0, 0, s43
	s_mul_i32 s0, s0, s1
	s_mul_hi_u32 s0, s1, s0
	v_rcp_iflag_f32_e32 v1, v1
	s_add_i32 s1, s1, s0
	v_cvt_f32_u32_e32 v2, s41
	s_mul_hi_u32 s0, s11, s1
	s_mul_i32 s1, s0, s43
	s_sub_i32 s1, s11, s1
	v_mul_f32_e32 v1, 0x4f7ffffe, v1
	s_add_i32 s2, s0, 1
	s_sub_i32 s3, s1, s43
	v_cvt_u32_f32_e32 v1, v1
	v_rcp_iflag_f32_e32 v2, v2
	s_cmp_ge_u32 s1, s43
	s_cselect_b32 s0, s2, s0
	s_cselect_b32 s1, s3, s1
	s_add_i32 s2, s0, 1
	s_cmp_ge_u32 s1, s43
	v_readfirstlane_b32 s1, v1
	v_mul_f32_e32 v1, 0x4f7ffffe, v2
	s_cselect_b32 s23, s2, s0
	s_sub_i32 s0, 0, s42
	v_cvt_u32_f32_e32 v1, v1
	s_mul_i32 s0, s0, s1
	s_mul_hi_u32 s0, s1, s0
	s_add_i32 s1, s1, s0
	s_mul_hi_u32 s33, s23, s1
	v_readfirstlane_b32 s1, v1
	v_cvt_f32_u32_e32 v1, s40
	s_sub_i32 s0, 0, s41
	s_mul_i32 s0, s0, s1
	s_mul_hi_u32 s0, s1, s0
	v_rcp_iflag_f32_e32 v1, v1
	s_add_i32 s1, s1, s0
	v_cvt_f32_u32_e32 v2, s37
	s_mul_hi_u32 s0, s11, s1
	s_mul_i32 s1, s0, s41
	s_sub_i32 s1, s11, s1
	v_mul_f32_e32 v1, 0x4f7ffffe, v1
	s_add_i32 s2, s0, 1
	s_sub_i32 s3, s1, s41
	v_cvt_u32_f32_e32 v1, v1
	v_rcp_iflag_f32_e32 v2, v2
	s_cmp_ge_u32 s1, s41
	s_cselect_b32 s0, s2, s0
	s_cselect_b32 s1, s3, s1
	s_add_i32 s2, s0, 1
	s_cmp_ge_u32 s1, s41
	v_readfirstlane_b32 s1, v1
	v_mul_f32_e32 v1, 0x4f7ffffe, v2
	s_cselect_b32 s27, s2, s0
	s_sub_i32 s0, 0, s40
	v_cvt_u32_f32_e32 v1, v1
	s_mul_i32 s0, s0, s1
	s_mul_hi_u32 s0, s1, s0
	s_add_i32 s1, s1, s0
	s_mul_hi_u32 s53, s27, s1
	v_readfirstlane_b32 s1, v1
	v_cvt_f32_u32_e32 v1, s36
	s_sub_i32 s0, 0, s37
	s_mul_i32 s0, s0, s1
	s_mul_hi_u32 s0, s1, s0
	s_add_i32 s1, s1, s0
	v_rcp_iflag_f32_e32 v1, v1
	s_mul_hi_u32 s0, s11, s1
	s_mul_i32 s1, s0, s37
	s_sub_i32 s1, s11, s1
	s_add_i32 s2, s0, 1
	s_sub_i32 s3, s1, s37
	v_mul_f32_e32 v1, 0x4f7ffffe, v1
	s_cmp_ge_u32 s1, s37
	v_cvt_u32_f32_e32 v1, v1
	s_cselect_b32 s0, s2, s0
	s_cselect_b32 s1, s3, s1
	s_add_i32 s2, s0, 1
	s_cmp_ge_u32 s1, s37
	s_cselect_b32 s52, s2, s0
	s_sub_i32 s0, 0, s36
	v_readfirstlane_b32 s1, v1
	s_mul_i32 s0, s0, s1
	s_mul_hi_u32 s0, s1, s0
	s_add_i32 s1, s1, s0
	s_mul_hi_u32 s54, s52, s1
	v_cmp_ne_u32_e64 s[0:1], 0, v0
	v_cmp_eq_u32_e64 s[2:3], 0, v0
	s_and_saveexec_b64 s[12:13], s[2:3]
	s_cbranch_execz .LBB22_17
; %bb.2:
	s_load_dwordx2 s[46:47], s[4:5], 0x2c8
	s_lshl_b64 s[48:49], s[44:45], 2
	s_add_u32 s28, s14, s48
	s_addc_u32 s29, s15, s49
	s_mov_b32 s44, 0
	s_waitcnt lgkmcnt(0)
	s_add_u32 s30, s46, s48
	s_addc_u32 s31, s47, s49
	s_mov_b32 s55, 0
	s_cmp_lt_u32 s10, 4
	s_cbranch_scc1 .LBB22_14
; %bb.3:
	s_mov_b32 s56, 0
.LBB22_4:                               ; =>This Inner Loop Header: Depth=1
	s_add_u32 s28, s14, s48
	s_addc_u32 s29, s15, s49
	s_load_dwordx4 s[28:31], s[28:29], 0x0
	s_add_u32 s50, s46, s48
	s_addc_u32 s51, s47, s49
	s_cmp_ge_u32 s56, s19
	s_cbranch_scc0 .LBB22_11
; %bb.5:                                ;   in Loop: Header=BB22_4 Depth=1
	s_add_i32 s57, s56, 1
	s_cmp_ge_u32 s57, s19
	s_cbranch_scc0 .LBB22_12
.LBB22_6:                               ;   in Loop: Header=BB22_4 Depth=1
	s_add_i32 s57, s57, 1
	s_cmp_ge_u32 s57, s19
	s_cbranch_scc0 .LBB22_13
.LBB22_7:                               ;   in Loop: Header=BB22_4 Depth=1
	s_add_i32 s57, s57, 1
	s_cmp_ge_u32 s57, s19
	s_cbranch_scc1 .LBB22_9
.LBB22_8:                               ;   in Loop: Header=BB22_4 Depth=1
	s_load_dword s50, s[50:51], 0xc
	s_waitcnt lgkmcnt(0)
	s_add_i32 s45, s45, s31
	s_add_i32 s44, s50, s44
.LBB22_9:                               ;   in Loop: Header=BB22_4 Depth=1
	s_waitcnt lgkmcnt(0)
	s_add_i32 s28, s28, s55
	s_add_i32 s28, s28, s29
	;; [unrolled: 1-line block ×4, first 2 shown]
	s_add_u32 s14, s14, 16
	s_addc_u32 s15, s15, 0
	s_add_u32 s46, s46, 16
	s_addc_u32 s47, s47, 0
	s_add_i32 s51, s57, 4
	s_add_u32 s30, s46, s48
	s_addc_u32 s31, s47, s49
	s_add_u32 s28, s14, s48
	s_addc_u32 s29, s15, s49
	s_add_i32 s50, s57, 1
	s_cmp_ge_u32 s51, s10
	s_cbranch_scc1 .LBB22_15
; %bb.10:                               ;   in Loop: Header=BB22_4 Depth=1
	s_mov_b32 s56, s50
	s_branch .LBB22_4
.LBB22_11:                              ;   in Loop: Header=BB22_4 Depth=1
	s_load_dword s57, s[50:51], 0x0
	s_waitcnt lgkmcnt(0)
	s_add_i32 s45, s28, s45
	s_add_i32 s44, s57, s44
	;; [unrolled: 1-line block ×3, first 2 shown]
	s_cmp_ge_u32 s57, s19
	s_cbranch_scc1 .LBB22_6
.LBB22_12:                              ;   in Loop: Header=BB22_4 Depth=1
	s_load_dword s58, s[50:51], 0x4
	s_waitcnt lgkmcnt(0)
	s_add_i32 s45, s45, s29
	s_add_i32 s44, s58, s44
	;; [unrolled: 1-line block ×3, first 2 shown]
	s_cmp_ge_u32 s57, s19
	s_cbranch_scc1 .LBB22_7
.LBB22_13:                              ;   in Loop: Header=BB22_4 Depth=1
	s_load_dword s58, s[50:51], 0x8
	s_waitcnt lgkmcnt(0)
	s_add_i32 s45, s45, s30
	s_add_i32 s44, s58, s44
	;; [unrolled: 1-line block ×3, first 2 shown]
	s_cmp_ge_u32 s57, s19
	s_cbranch_scc0 .LBB22_8
	s_branch .LBB22_9
.LBB22_14:
	s_mov_b32 s14, 0
	s_cmp_ge_u32 s14, s10
	s_cbranch_scc0 .LBB22_38
	s_branch .LBB22_16
.LBB22_15:
	s_add_i32 s14, s56, 4
	s_cmp_ge_u32 s14, s10
	s_cbranch_scc0 .LBB22_38
.LBB22_16:
	v_mov_b32_e32 v2, s44
	v_mov_b32_e32 v3, s55
	;; [unrolled: 1-line block ×4, first 2 shown]
	ds_write_b96 v1, v[2:4] offset:1056
.LBB22_17:
	s_or_b64 exec, exec, s[12:13]
	s_load_dwordx4 s[12:15], s[4:5], 0xd8
	s_waitcnt lgkmcnt(0)
	s_mul_i32 s15, s9, s19
	s_lshl_b32 s15, s15, 8
	s_add_i32 s28, s19, 1
	s_mov_b32 s19, 0
	s_sub_i32 s29, s12, s15
	s_add_u32 s29, s29, 0xff
	s_addc_u32 s30, 0, 0
	v_mov_b32_e32 v1, s29
	v_alignbit_b32 v1, s30, v1, 8
	s_cmp_lt_u32 s28, s10
	v_readfirstlane_b32 s10, v1
	s_cselect_b32 s9, s9, s10
	s_cmp_eq_u32 s9, 0
	s_barrier
	s_cbranch_scc1 .LBB22_40
; %bb.18:
	s_mul_i32 s10, s23, s43
	s_sub_i32 s10, s11, s10
	s_mul_i32 s10, s10, s26
	s_mul_i32 s26, s33, s42
	s_sub_i32 s26, s23, s26
	s_add_i32 s28, s33, 1
	s_sub_i32 s29, s26, s42
	s_cmp_ge_u32 s26, s42
	s_cselect_b32 s28, s28, s33
	s_cselect_b32 s26, s29, s26
	s_add_i32 s29, s28, 1
	s_cmp_ge_u32 s26, s42
	s_cselect_b32 s26, s29, s28
	s_mul_i32 s28, s26, s42
	s_sub_i32 s23, s23, s28
	s_mul_i32 s23, s23, s25
	s_add_i32 s10, s23, s10
	s_mul_i32 s23, s27, s41
	s_sub_i32 s23, s11, s23
	s_mul_i32 s23, s23, s22
	s_mul_i32 s22, s53, s40
	;; [unrolled: 1-line block ×3, first 2 shown]
	s_sub_i32 s22, s27, s22
	s_add_i32 s10, s10, s26
	s_add_i32 s24, s53, 1
	s_sub_i32 s25, s22, s40
	s_cmp_ge_u32 s22, s40
	s_cselect_b32 s24, s24, s53
	s_cselect_b32 s22, s25, s22
	s_add_i32 s25, s24, 1
	s_cmp_ge_u32 s22, s40
	s_cselect_b32 s22, s25, s24
	s_mul_i32 s24, s22, s40
	s_mul_i32 s22, s22, s20
	;; [unrolled: 1-line block ×3, first 2 shown]
	s_sub_i32 s24, s27, s24
	s_sub_i32 s11, s11, s20
	s_mul_i32 s21, s24, s21
	s_mul_i32 s11, s11, s18
	;; [unrolled: 1-line block ×3, first 2 shown]
	s_add_i32 s21, s21, s23
	s_sub_i32 s18, s52, s18
	s_add_i32 s21, s21, s22
	s_add_i32 s20, s54, 1
	s_sub_i32 s22, s18, s36
	s_cmp_ge_u32 s18, s36
	s_cselect_b32 s20, s20, s54
	s_cselect_b32 s18, s22, s18
	s_add_i32 s22, s20, 1
	s_cmp_ge_u32 s18, s36
	s_cselect_b32 s18, s22, s20
	s_mul_i32 s20, s18, s36
	s_sub_i32 s20, s52, s20
	s_mul_i32 s17, s20, s17
	s_add_i32 s11, s17, s11
	s_mul_i32 s18, s18, s16
	s_add_i32 s18, s11, s18
	s_add_u32 s10, s38, s10
	s_addc_u32 s11, s39, 0
	s_add_u32 s16, s34, s21
	v_mov_b32_e32 v1, 0
	s_addc_u32 s17, s35, 0
	s_lshl_b64 s[18:19], s[18:19], 3
	ds_read_b96 v[2:4], v1 offset:1056
	s_add_u32 s18, s6, s18
	s_addc_u32 s19, s7, s19
	s_bitcmp1_b32 s14, 0
	s_load_dword s14, s[4:5], 0xe8
	s_load_dword s21, s[4:5], 0x1c8
	v_lshlrev_b32_e32 v7, 2, v0
	v_lshrrev_b32_e32 v8, 3, v0
	s_waitcnt lgkmcnt(0)
	v_add_u32_e32 v2, v2, v3
	v_lshrrev_b32_e32 v3, 5, v0
	v_add_lshl_u32 v7, v8, v7, 2
	v_add_u32_e32 v8, -1, v0
	v_mbcnt_lo_u32_b32 v10, -1, 0
	s_movk_i32 s20, 0x80
	v_add_lshl_u32 v3, v3, v0, 2
	v_cmp_gt_u32_e64 s[4:5], 64, v0
	v_lshrrev_b32_e32 v9, 5, v8
	v_add_u32_e32 v0, s15, v0
	v_mbcnt_hi_u32_b32 v10, -1, v10
	s_waitcnt vmcnt(0)
	v_add_u32_sdwa v6, sext(v5), s20 dst_sel:DWORD dst_unused:UNUSED_PAD src0_sel:BYTE_0 src1_sel:DWORD
	s_cselect_b64 s[6:7], -1, 0
	v_add_lshl_u32 v8, v9, v8, 2
	v_mul_lo_u32 v9, s14, v0
	s_lshl_b32 s22, s14, 8
	v_and_b32_e32 v11, 15, v10
	v_bfe_i32 v12, v10, 4, 1
	v_add_u32_e32 v13, -1, v10
	v_and_b32_e32 v14, 64, v10
                                        ; implicit-def: $vgpr15
	s_branch .LBB22_21
.LBB22_19:                              ;   in Loop: Header=BB22_21 Depth=1
	s_or_b64 exec, exec, s[14:15]
	v_add_u32_e32 v2, v18, v2
.LBB22_20:                              ;   in Loop: Header=BB22_21 Depth=1
	s_add_i32 s9, s9, -1
	v_add_u32_e32 v4, v17, v4
	v_add_u32_e32 v9, s22, v9
	s_cmp_lg_u32 s9, 0
	v_add_u32_e32 v0, 0x100, v0
	s_cbranch_scc0 .LBB22_40
.LBB22_21:                              ; =>This Inner Loop Header: Depth=1
	v_cmp_gt_u32_e32 vcc, s12, v0
	v_mov_b32_e32 v18, 0
	v_mov_b32_e32 v16, 0
	s_and_saveexec_b64 s[14:15], vcc
	s_cbranch_execz .LBB22_23
; %bb.22:                               ;   in Loop: Header=BB22_21 Depth=1
	global_load_ubyte v15, v9, s[10:11]
	s_waitcnt vmcnt(0)
	v_add_u32_sdwa v16, sext(v15), s20 dst_sel:DWORD dst_unused:UNUSED_PAD src0_sel:BYTE_0 src1_sel:DWORD
	v_cmp_gt_u32_e32 vcc, v16, v6
	v_cndmask_b32_e64 v17, 0, 1, vcc
	v_cmp_lt_u32_e32 vcc, v16, v6
	v_cndmask_b32_e64 v16, 0, 1, vcc
	v_cndmask_b32_e64 v16, v16, v17, s[6:7]
	v_cmp_eq_u16_sdwa s[24:25], v15, v5 src0_sel:DWORD src1_sel:BYTE_0
	v_and_b32_e32 v18, 1, v16
	v_cndmask_b32_e64 v16, 0, 1, s[24:25]
.LBB22_23:                              ;   in Loop: Header=BB22_21 Depth=1
	s_or_b64 exec, exec, s[14:15]
	ds_write_b32 v3, v18
	s_waitcnt lgkmcnt(0)
	s_barrier
	s_and_saveexec_b64 s[14:15], s[4:5]
	s_cbranch_execz .LBB22_25
; %bb.24:                               ;   in Loop: Header=BB22_21 Depth=1
	ds_read2_b32 v[20:21], v7 offset1:1
	ds_read2_b32 v[22:23], v7 offset0:2 offset1:3
	v_cmp_ne_u32_e32 vcc, 0, v11
	; wave barrier
	s_waitcnt lgkmcnt(1)
	v_add_u32_e32 v17, v21, v20
	s_waitcnt lgkmcnt(0)
	v_add3_u32 v17, v17, v22, v23
	s_nop 1
	v_mov_b32_dpp v19, v17 row_shr:1 row_mask:0xf bank_mask:0xf
	v_cndmask_b32_e32 v19, 0, v19, vcc
	v_add_u32_e32 v17, v19, v17
	v_cmp_lt_u32_e32 vcc, 1, v11
	s_nop 0
	v_mov_b32_dpp v19, v17 row_shr:2 row_mask:0xf bank_mask:0xf
	v_cndmask_b32_e32 v19, 0, v19, vcc
	v_add_u32_e32 v17, v17, v19
	v_cmp_lt_u32_e32 vcc, 3, v11
	;; [unrolled: 5-line block ×4, first 2 shown]
	s_nop 0
	v_mov_b32_dpp v19, v17 row_bcast:15 row_mask:0xf bank_mask:0xf
	v_and_b32_e32 v19, v12, v19
	v_add_u32_e32 v17, v17, v19
	s_nop 1
	v_mov_b32_dpp v19, v17 row_bcast:31 row_mask:0xf bank_mask:0xf
	v_cndmask_b32_e32 v19, 0, v19, vcc
	v_cmp_lt_i32_e32 vcc, v13, v14
	v_add_u32_e32 v17, v17, v19
	v_cndmask_b32_e32 v19, v13, v10, vcc
	v_lshlrev_b32_e32 v19, 2, v19
	ds_bpermute_b32 v17, v19, v17
	s_waitcnt lgkmcnt(0)
	v_add_u32_e32 v17, v17, v20
	v_cndmask_b32_e64 v17, v17, v18, s[2:3]
	ds_write_b32 v7, v17
	; wave barrier
	ds_read2_b32 v[20:21], v7 offset0:1 offset1:2
	ds_read_b32 v19, v7 offset:12
	s_waitcnt lgkmcnt(1)
	v_add_u32_e32 v17, v20, v17
	v_add_u32_e32 v20, v21, v17
	ds_write2_b32 v7, v17, v20 offset0:1 offset1:2
	s_waitcnt lgkmcnt(1)
	v_add_u32_e32 v17, v19, v20
	ds_write_b32 v7, v17 offset:12
.LBB22_25:                              ;   in Loop: Header=BB22_21 Depth=1
	s_or_b64 exec, exec, s[14:15]
	v_mov_b32_e32 v19, 0
	s_waitcnt lgkmcnt(0)
	s_barrier
	s_and_saveexec_b64 s[14:15], s[0:1]
	s_cbranch_execz .LBB22_27
; %bb.26:                               ;   in Loop: Header=BB22_21 Depth=1
	ds_read_b32 v19, v8
.LBB22_27:                              ;   in Loop: Header=BB22_21 Depth=1
	s_or_b64 exec, exec, s[14:15]
	ds_read_b32 v17, v1 offset:1048
	v_cmp_ne_u32_e32 vcc, 0, v18
	s_waitcnt lgkmcnt(0)
	s_barrier
	s_and_saveexec_b64 s[14:15], vcc
	s_cbranch_execz .LBB22_29
; %bb.28:                               ;   in Loop: Header=BB22_21 Depth=1
	v_add_u32_e32 v18, v19, v4
	v_mul_lo_u32 v19, v18, s21
	global_store_byte v19, v15, s[16:17]
	v_mul_lo_u32 v18, v18, s8
	v_mov_b32_e32 v19, v1
	v_lshlrev_b64 v[18:19], 3, v[18:19]
	v_mov_b32_e32 v20, s19
	v_add_co_u32_e32 v18, vcc, s18, v18
	v_addc_co_u32_e32 v19, vcc, v20, v19, vcc
	global_store_dwordx2 v[18:19], v[0:1], off
.LBB22_29:                              ;   in Loop: Header=BB22_21 Depth=1
	s_or_b64 exec, exec, s[14:15]
	v_cmp_le_u32_e32 vcc, s13, v2
	s_cbranch_vccnz .LBB22_20
; %bb.30:                               ;   in Loop: Header=BB22_21 Depth=1
	ds_write_b32 v3, v16
	s_waitcnt lgkmcnt(0)
	s_barrier
	s_and_saveexec_b64 s[14:15], s[4:5]
	s_cbranch_execz .LBB22_32
; %bb.31:                               ;   in Loop: Header=BB22_21 Depth=1
	ds_read2_b32 v[18:19], v7 offset1:1
	ds_read2_b32 v[20:21], v7 offset0:2 offset1:3
	v_cmp_ne_u32_e32 vcc, 0, v11
	; wave barrier
	s_waitcnt lgkmcnt(1)
	v_add_u32_e32 v19, v19, v18
	s_waitcnt lgkmcnt(0)
	v_add3_u32 v19, v19, v20, v21
	s_nop 1
	v_mov_b32_dpp v20, v19 row_shr:1 row_mask:0xf bank_mask:0xf
	v_cndmask_b32_e32 v20, 0, v20, vcc
	v_add_u32_e32 v19, v20, v19
	v_cmp_lt_u32_e32 vcc, 1, v11
	s_nop 0
	v_mov_b32_dpp v20, v19 row_shr:2 row_mask:0xf bank_mask:0xf
	v_cndmask_b32_e32 v20, 0, v20, vcc
	v_add_u32_e32 v19, v19, v20
	v_cmp_lt_u32_e32 vcc, 3, v11
	s_nop 0
	v_mov_b32_dpp v20, v19 row_shr:4 row_mask:0xf bank_mask:0xf
	v_cndmask_b32_e32 v20, 0, v20, vcc
	v_add_u32_e32 v19, v19, v20
	v_cmp_lt_u32_e32 vcc, 7, v11
	s_nop 0
	v_mov_b32_dpp v20, v19 row_shr:8 row_mask:0xf bank_mask:0xf
	v_cndmask_b32_e32 v20, 0, v20, vcc
	v_add_u32_e32 v19, v19, v20
	v_cmp_lt_u32_e32 vcc, 31, v10
	s_nop 0
	v_mov_b32_dpp v20, v19 row_bcast:15 row_mask:0xf bank_mask:0xf
	v_and_b32_e32 v20, v12, v20
	v_add_u32_e32 v19, v19, v20
	s_nop 1
	v_mov_b32_dpp v20, v19 row_bcast:31 row_mask:0xf bank_mask:0xf
	v_cndmask_b32_e32 v20, 0, v20, vcc
	v_cmp_lt_i32_e32 vcc, v13, v14
	v_add_u32_e32 v19, v19, v20
	v_cndmask_b32_e32 v20, v13, v10, vcc
	v_lshlrev_b32_e32 v20, 2, v20
	ds_bpermute_b32 v19, v20, v19
	s_waitcnt lgkmcnt(0)
	v_add_u32_e32 v18, v19, v18
	v_cndmask_b32_e64 v20, v18, v16, s[2:3]
	ds_write_b32 v7, v20
	; wave barrier
	ds_read2_b32 v[18:19], v7 offset0:1 offset1:2
	ds_read_b32 v21, v7 offset:12
	s_waitcnt lgkmcnt(1)
	v_add_u32_e32 v18, v18, v20
	v_add_u32_e32 v19, v19, v18
	ds_write2_b32 v7, v18, v19 offset0:1 offset1:2
	s_waitcnt lgkmcnt(1)
	v_add_u32_e32 v18, v21, v19
	ds_write_b32 v7, v18 offset:12
.LBB22_32:                              ;   in Loop: Header=BB22_21 Depth=1
	s_or_b64 exec, exec, s[14:15]
	v_mov_b32_e32 v19, 0
	s_waitcnt lgkmcnt(0)
	s_barrier
	s_and_saveexec_b64 s[14:15], s[0:1]
	s_cbranch_execz .LBB22_34
; %bb.33:                               ;   in Loop: Header=BB22_21 Depth=1
	ds_read_b32 v19, v8
.LBB22_34:                              ;   in Loop: Header=BB22_21 Depth=1
	s_or_b64 exec, exec, s[14:15]
	ds_read_b32 v18, v1 offset:1048
	v_cmp_ne_u32_e32 vcc, 0, v16
	s_waitcnt lgkmcnt(0)
	s_barrier
	s_and_saveexec_b64 s[14:15], vcc
	s_cbranch_execz .LBB22_19
; %bb.35:                               ;   in Loop: Header=BB22_21 Depth=1
	v_add_u32_e32 v16, v19, v2
	v_cmp_gt_u32_e32 vcc, s13, v16
	s_and_b64 exec, exec, vcc
	s_cbranch_execz .LBB22_19
; %bb.36:                               ;   in Loop: Header=BB22_21 Depth=1
	v_mul_lo_u32 v20, v16, s8
	v_mov_b32_e32 v21, v1
	v_lshlrev_b64 v[20:21], 3, v[20:21]
	v_mul_lo_u32 v19, v16, s21
	v_mov_b32_e32 v16, s19
	v_add_co_u32_e32 v20, vcc, s18, v20
	v_addc_co_u32_e32 v21, vcc, v16, v21, vcc
	global_store_byte v19, v15, s[16:17]
	global_store_dwordx2 v[20:21], v[0:1], off
	s_branch .LBB22_19
.LBB22_37:                              ;   in Loop: Header=BB22_38 Depth=1
	s_add_u32 s28, s28, 4
	s_addc_u32 s29, s29, 0
	s_waitcnt lgkmcnt(0)
	s_add_i32 s55, s15, s55
	s_add_u32 s30, s30, 4
	s_addc_u32 s31, s31, 0
	s_add_i32 s14, s14, 1
	s_cmp_lt_u32 s14, s10
	s_cbranch_scc0 .LBB22_16
.LBB22_38:                              ; =>This Inner Loop Header: Depth=1
	s_load_dword s15, s[28:29], 0x0
	s_cmp_ge_u32 s14, s19
	s_cbranch_scc1 .LBB22_37
; %bb.39:                               ;   in Loop: Header=BB22_38 Depth=1
	s_load_dword s46, s[30:31], 0x0
	s_waitcnt lgkmcnt(0)
	s_add_i32 s45, s15, s45
	s_add_i32 s44, s46, s44
	s_branch .LBB22_37
.LBB22_40:
	s_endpgm
	.section	.rodata,"a",@progbits
	.p2align	6, 0x0
	.amdhsa_kernel _ZN2at6native6mbtopk10gatherTopKIajLi3EEEvNS_4cuda6detail10TensorInfoIKT_T0_EES8_S8_bjS8_NS5_IS6_S8_EES8_NS5_IlS8_EES8_jjPS6_PjSD_j
		.amdhsa_group_segment_fixed_size 1068
		.amdhsa_private_segment_fixed_size 0
		.amdhsa_kernarg_size 984
		.amdhsa_user_sgpr_count 6
		.amdhsa_user_sgpr_private_segment_buffer 1
		.amdhsa_user_sgpr_dispatch_ptr 0
		.amdhsa_user_sgpr_queue_ptr 0
		.amdhsa_user_sgpr_kernarg_segment_ptr 1
		.amdhsa_user_sgpr_dispatch_id 0
		.amdhsa_user_sgpr_flat_scratch_init 0
		.amdhsa_user_sgpr_kernarg_preload_length 0
		.amdhsa_user_sgpr_kernarg_preload_offset 0
		.amdhsa_user_sgpr_private_segment_size 0
		.amdhsa_uses_dynamic_stack 0
		.amdhsa_system_sgpr_private_segment_wavefront_offset 0
		.amdhsa_system_sgpr_workgroup_id_x 1
		.amdhsa_system_sgpr_workgroup_id_y 1
		.amdhsa_system_sgpr_workgroup_id_z 1
		.amdhsa_system_sgpr_workgroup_info 0
		.amdhsa_system_vgpr_workitem_id 0
		.amdhsa_next_free_vgpr 24
		.amdhsa_next_free_sgpr 59
		.amdhsa_accum_offset 24
		.amdhsa_reserve_vcc 1
		.amdhsa_reserve_flat_scratch 0
		.amdhsa_float_round_mode_32 0
		.amdhsa_float_round_mode_16_64 0
		.amdhsa_float_denorm_mode_32 3
		.amdhsa_float_denorm_mode_16_64 3
		.amdhsa_dx10_clamp 1
		.amdhsa_ieee_mode 1
		.amdhsa_fp16_overflow 0
		.amdhsa_tg_split 0
		.amdhsa_exception_fp_ieee_invalid_op 0
		.amdhsa_exception_fp_denorm_src 0
		.amdhsa_exception_fp_ieee_div_zero 0
		.amdhsa_exception_fp_ieee_overflow 0
		.amdhsa_exception_fp_ieee_underflow 0
		.amdhsa_exception_fp_ieee_inexact 0
		.amdhsa_exception_int_div_zero 0
	.end_amdhsa_kernel
	.section	.text._ZN2at6native6mbtopk10gatherTopKIajLi3EEEvNS_4cuda6detail10TensorInfoIKT_T0_EES8_S8_bjS8_NS5_IS6_S8_EES8_NS5_IlS8_EES8_jjPS6_PjSD_j,"axG",@progbits,_ZN2at6native6mbtopk10gatherTopKIajLi3EEEvNS_4cuda6detail10TensorInfoIKT_T0_EES8_S8_bjS8_NS5_IS6_S8_EES8_NS5_IlS8_EES8_jjPS6_PjSD_j,comdat
.Lfunc_end22:
	.size	_ZN2at6native6mbtopk10gatherTopKIajLi3EEEvNS_4cuda6detail10TensorInfoIKT_T0_EES8_S8_bjS8_NS5_IS6_S8_EES8_NS5_IlS8_EES8_jjPS6_PjSD_j, .Lfunc_end22-_ZN2at6native6mbtopk10gatherTopKIajLi3EEEvNS_4cuda6detail10TensorInfoIKT_T0_EES8_S8_bjS8_NS5_IS6_S8_EES8_NS5_IlS8_EES8_jjPS6_PjSD_j
                                        ; -- End function
	.section	.AMDGPU.csdata,"",@progbits
; Kernel info:
; codeLenInByte = 2600
; NumSgprs: 63
; NumVgprs: 24
; NumAgprs: 0
; TotalNumVgprs: 24
; ScratchSize: 0
; MemoryBound: 0
; FloatMode: 240
; IeeeMode: 1
; LDSByteSize: 1068 bytes/workgroup (compile time only)
; SGPRBlocks: 7
; VGPRBlocks: 2
; NumSGPRsForWavesPerEU: 63
; NumVGPRsForWavesPerEU: 24
; AccumOffset: 24
; Occupancy: 8
; WaveLimiterHint : 1
; COMPUTE_PGM_RSRC2:SCRATCH_EN: 0
; COMPUTE_PGM_RSRC2:USER_SGPR: 6
; COMPUTE_PGM_RSRC2:TRAP_HANDLER: 0
; COMPUTE_PGM_RSRC2:TGID_X_EN: 1
; COMPUTE_PGM_RSRC2:TGID_Y_EN: 1
; COMPUTE_PGM_RSRC2:TGID_Z_EN: 1
; COMPUTE_PGM_RSRC2:TIDIG_COMP_CNT: 0
; COMPUTE_PGM_RSRC3_GFX90A:ACCUM_OFFSET: 5
; COMPUTE_PGM_RSRC3_GFX90A:TG_SPLIT: 0
	.section	.text._ZN2at6native6sbtopk10gatherTopKIajLi3ELb0EEEvNS_4cuda6detail10TensorInfoIKT_T0_EES8_S8_bS8_S8_NS5_IS6_S8_EES8_NS5_IlS8_EES8_PS6_,"axG",@progbits,_ZN2at6native6sbtopk10gatherTopKIajLi3ELb0EEEvNS_4cuda6detail10TensorInfoIKT_T0_EES8_S8_bS8_S8_NS5_IS6_S8_EES8_NS5_IlS8_EES8_PS6_,comdat
	.protected	_ZN2at6native6sbtopk10gatherTopKIajLi3ELb0EEEvNS_4cuda6detail10TensorInfoIKT_T0_EES8_S8_bS8_S8_NS5_IS6_S8_EES8_NS5_IlS8_EES8_PS6_ ; -- Begin function _ZN2at6native6sbtopk10gatherTopKIajLi3ELb0EEEvNS_4cuda6detail10TensorInfoIKT_T0_EES8_S8_bS8_S8_NS5_IS6_S8_EES8_NS5_IlS8_EES8_PS6_
	.globl	_ZN2at6native6sbtopk10gatherTopKIajLi3ELb0EEEvNS_4cuda6detail10TensorInfoIKT_T0_EES8_S8_bS8_S8_NS5_IS6_S8_EES8_NS5_IlS8_EES8_PS6_
	.p2align	8
	.type	_ZN2at6native6sbtopk10gatherTopKIajLi3ELb0EEEvNS_4cuda6detail10TensorInfoIKT_T0_EES8_S8_bS8_S8_NS5_IS6_S8_EES8_NS5_IlS8_EES8_PS6_,@function
_ZN2at6native6sbtopk10gatherTopKIajLi3ELb0EEEvNS_4cuda6detail10TensorInfoIKT_T0_EES8_S8_bS8_S8_NS5_IS6_S8_EES8_NS5_IlS8_EES8_PS6_: ; @_ZN2at6native6sbtopk10gatherTopKIajLi3ELb0EEEvNS_4cuda6detail10TensorInfoIKT_T0_EES8_S8_bS8_S8_NS5_IS6_S8_EES8_NS5_IlS8_EES8_PS6_
; %bb.0:
	s_load_dwordx2 s[12:13], s[4:5], 0x2b8
	s_load_dwordx4 s[60:63], s[4:5], 0xd8
	s_add_u32 s10, s4, 0x2b8
	s_addc_u32 s11, s5, 0
	s_waitcnt lgkmcnt(0)
	s_mul_i32 s0, s13, s8
	s_add_i32 s0, s0, s7
	s_mul_i32 s0, s0, s12
	s_add_i32 s20, s0, s6
	s_cmp_ge_u32 s20, s63
	s_cbranch_scc1 .LBB23_411
; %bb.1:
	s_load_dwordx4 s[0:3], s[4:5], 0x23c
                                        ; implicit-def: $vgpr47 : SGPR spill to VGPR lane
	s_load_dwordx2 s[16:17], s[4:5], 0xc
	s_load_dwordx2 s[14:15], s[4:5], 0x0
	s_load_dword s13, s[4:5], 0xe8
	s_waitcnt lgkmcnt(0)
	v_writelane_b32 v47, s0, 0
	v_writelane_b32 v47, s1, 1
	;; [unrolled: 1-line block ×4, first 2 shown]
	s_load_dwordx2 s[18:19], s[4:5], 0x1dc
	s_load_dwordx2 s[0:1], s[4:5], 0x1d0
	v_cvt_f32_u32_e32 v1, s17
	s_waitcnt lgkmcnt(0)
	v_writelane_b32 v47, s0, 4
	v_writelane_b32 v47, s1, 5
	s_load_dwordx4 s[0:3], s[4:5], 0x15c
	v_rcp_iflag_f32_e32 v1, v1
	v_mul_f32_e32 v1, 0x4f7ffffe, v1
	s_waitcnt lgkmcnt(0)
	v_writelane_b32 v47, s0, 6
	v_writelane_b32 v47, s1, 7
	;; [unrolled: 1-line block ×4, first 2 shown]
	s_load_dwordx2 s[22:23], s[4:5], 0xfc
	s_load_dwordx2 s[0:1], s[4:5], 0xf0
	v_cvt_u32_f32_e32 v1, v1
	s_waitcnt lgkmcnt(0)
	v_cvt_f32_u32_e32 v2, s23
	v_writelane_b32 v47, s0, 10
	v_writelane_b32 v47, s1, 11
	;; [unrolled: 1-line block ×4, first 2 shown]
	s_load_dwordx4 s[0:3], s[4:5], 0x6c
	s_mov_b32 s4, 0
	v_writelane_b32 v47, s4, 14
	v_writelane_b32 v47, s5, 15
	v_readfirstlane_b32 s4, v1
	v_cvt_f32_u32_e32 v1, s16
	s_waitcnt lgkmcnt(0)
	s_sub_i32 s3, 0, s17
	s_mul_i32 s3, s3, s4
	s_mul_hi_u32 s3, s4, s3
	s_add_i32 s4, s4, s3
	v_rcp_iflag_f32_e32 v1, v1
	s_mul_hi_u32 s3, s20, s4
	s_mul_i32 s4, s3, s17
	s_sub_i32 s4, s20, s4
	s_add_i32 s5, s3, 1
	s_sub_i32 s7, s4, s17
	v_mul_f32_e32 v1, 0x4f7ffffe, v1
	s_cmp_ge_u32 s4, s17
	v_cvt_u32_f32_e32 v1, v1
	v_rcp_iflag_f32_e32 v2, v2
	s_cselect_b32 s3, s5, s3
	s_cselect_b32 s4, s7, s4
	s_add_i32 s5, s3, 1
	s_cmp_ge_u32 s4, s17
	s_cselect_b32 s3, s5, s3
	v_readfirstlane_b32 s5, v1
	v_mul_f32_e32 v1, 0x4f7ffffe, v2
	v_cvt_u32_f32_e32 v1, v1
	s_sub_i32 s4, 0, s16
	s_mul_i32 s4, s4, s5
	s_mul_hi_u32 s4, s5, s4
	v_readfirstlane_b32 s7, v1
	v_cvt_f32_u32_e32 v1, s22
	s_add_i32 s5, s5, s4
	s_mul_hi_u32 s4, s3, s5
	s_sub_i32 s5, 0, s23
	s_mul_i32 s5, s5, s7
	s_mul_hi_u32 s5, s7, s5
	v_rcp_iflag_f32_e32 v1, v1
	s_add_i32 s7, s7, s5
	v_cvt_f32_u32_e32 v2, s19
	s_mul_hi_u32 s5, s20, s7
	s_mul_i32 s7, s5, s23
	s_sub_i32 s7, s20, s7
	v_mul_f32_e32 v1, 0x4f7ffffe, v1
	s_add_i32 s8, s5, 1
	s_sub_i32 s9, s7, s23
	v_cvt_u32_f32_e32 v1, v1
	v_rcp_iflag_f32_e32 v2, v2
	s_cmp_ge_u32 s7, s23
	s_cselect_b32 s5, s8, s5
	s_cselect_b32 s7, s9, s7
	s_add_i32 s8, s5, 1
	s_cmp_ge_u32 s7, s23
	v_readfirstlane_b32 s7, v1
	v_mul_f32_e32 v1, 0x4f7ffffe, v2
	s_cselect_b32 s8, s8, s5
	v_writelane_b32 v47, s22, 16
	s_sub_i32 s5, 0, s22
	v_cvt_u32_f32_e32 v1, v1
	s_mul_i32 s5, s5, s7
	s_mul_hi_u32 s5, s7, s5
	v_writelane_b32 v47, s23, 17
	s_add_i32 s7, s7, s5
	v_writelane_b32 v47, s8, 18
	s_mul_hi_u32 s5, s8, s7
	v_readfirstlane_b32 s7, v1
	v_cvt_f32_u32_e32 v1, s18
	v_writelane_b32 v47, s5, 19
	s_sub_i32 s5, 0, s19
	s_mul_i32 s5, s5, s7
	s_mul_hi_u32 s5, s7, s5
	s_add_i32 s7, s7, s5
	v_rcp_iflag_f32_e32 v1, v1
	s_mul_hi_u32 s5, s20, s7
	s_mul_i32 s7, s5, s19
	s_sub_i32 s7, s20, s7
	s_add_i32 s8, s5, 1
	s_sub_i32 s9, s7, s19
	v_mul_f32_e32 v1, 0x4f7ffffe, v1
	s_cmp_ge_u32 s7, s19
	v_cvt_u32_f32_e32 v1, v1
	s_cselect_b32 s5, s8, s5
	s_cselect_b32 s7, s9, s7
	s_add_i32 s8, s5, 1
	s_cmp_ge_u32 s7, s19
	s_cselect_b32 s8, s8, s5
	v_writelane_b32 v47, s18, 20
	s_sub_i32 s5, 0, s18
	v_readfirstlane_b32 s7, v1
	s_mul_i32 s5, s5, s7
	s_mul_hi_u32 s5, s7, s5
	v_writelane_b32 v47, s19, 21
	s_add_i32 s7, s7, s5
	v_writelane_b32 v47, s8, 22
	s_mul_hi_u32 s5, s8, s7
	v_writelane_b32 v47, s5, 23
	v_cmp_eq_u32_e64 s[8:9], 0, v0
	s_mov_b64 s[18:19], exec
	v_writelane_b32 v47, s8, 24
	v_writelane_b32 v47, s9, 25
	s_and_b64 s[8:9], s[18:19], s[8:9]
	s_mov_b64 exec, s[8:9]
	s_cbranch_execz .LBB23_3
; %bb.2:
	v_mov_b32_e32 v2, 0
	v_mov_b32_e32 v3, s60
	;; [unrolled: 1-line block ×3, first 2 shown]
	ds_write_b96 v2, v[2:4] offset:4096
.LBB23_3:
	s_or_b64 exec, exec, s[18:19]
	s_mul_i32 s5, s3, s17
	s_sub_i32 s5, s20, s5
	s_mul_i32 s5, s5, s2
	s_mul_i32 s2, s4, s16
	s_sub_i32 s2, s3, s2
	s_add_i32 s7, s4, 1
	s_sub_i32 s8, s2, s16
	s_cmp_ge_u32 s2, s16
	s_cselect_b32 s4, s7, s4
	s_cselect_b32 s2, s8, s2
	s_add_i32 s7, s4, 1
	s_cmp_ge_u32 s2, s16
	s_cselect_b32 s2, s7, s4
	s_mul_i32 s4, s2, s16
	s_sub_i32 s3, s3, s4
	s_mul_i32 s1, s3, s1
	s_add_i32 s1, s1, s5
	s_mul_i32 s2, s2, s0
	s_waitcnt lgkmcnt(0)
	s_barrier
	s_load_dword s0, s[10:11], 0xc
	s_add_i32 s1, s1, s2
	s_add_u32 s72, s14, s1
	s_addc_u32 s73, s15, 0
	v_mbcnt_lo_u32_b32 v2, -1, 0
	s_bitcmp1_b32 s62, 0
	v_mbcnt_hi_u32_b32 v13, -1, v2
	v_writelane_b32 v47, s20, 26
	s_cselect_b64 s[2:3], -1, 0
	s_waitcnt lgkmcnt(0)
	s_and_b32 s33, s0, 0xffff
	s_bfe_u32 s5, s0, 0xa0006
	v_cmp_gt_u32_e32 vcc, 64, v0
	v_cmp_gt_i32_e64 s[0:1], 4, v13
	v_writelane_b32 v47, s2, 27
	s_xor_b64 s[62:63], s[2:3], -1
	s_lshl_b32 s9, s33, 2
	s_and_b64 s[84:85], vcc, s[0:1]
	s_cmpk_gt_u32 s60, 0xc00
	v_writelane_b32 v47, s3, 28
	s_cselect_b64 s[0:1], -1, 0
	v_writelane_b32 v47, s0, 29
	s_cmp_gt_u32 s33, 63
	v_writelane_b32 v47, s1, 30
	s_cselect_b64 s[0:1], -1, 0
	v_writelane_b32 v47, s0, 31
	v_writelane_b32 v47, s1, 32
	s_add_i32 s0, s33, -1
	s_add_i32 s2, s0, s60
	s_cmp_lt_u32 s6, s12
	v_writelane_b32 v47, s0, 33
	s_cselect_b32 s0, 12, 18
	s_add_u32 s0, s10, s0
	s_addc_u32 s1, s11, 0
	v_writelane_b32 v47, s0, 34
	s_add_i32 s3, s5, -2
	v_writelane_b32 v47, s1, 35
	s_lshr_b32 s0, s3, 1
	s_add_i32 s4, s0, 1
	s_cmpk_gt_u32 s33, 0x7f
	s_cselect_b64 s[0:1], -1, 0
	v_writelane_b32 v47, s0, 36
	v_mul_lo_u32 v15, v0, s13
	v_writelane_b32 v47, s1, 37
	v_mov_b32_e32 v2, s73
	v_add_co_u32_e32 v8, vcc, s72, v15
	v_cmp_gt_u32_e64 s[6:7], s60, v0
	v_addc_co_u32_e32 v9, vcc, 0, v2, vcc
	v_writelane_b32 v47, s6, 38
	v_lshrrev_b32_e32 v2, 4, v0
	v_writelane_b32 v47, s7, 39
	v_and_b32_e32 v16, 60, v2
	v_cmp_gt_u32_e64 s[6:7], 2, v0
	v_lshlrev_b64 v[2:3], v13, -1
	v_writelane_b32 v47, s6, 40
	v_not_b32_e32 v6, v2
	v_cvt_f32_u32_e32 v2, s9
	v_writelane_b32 v47, s7, 41
	s_and_b32 s6, s5, 0x3fe
	s_and_b32 s7, s4, 7
	s_cmp_gt_u32 s3, 13
	s_cselect_b64 s[10:11], -1, 0
	v_writelane_b32 v47, s10, 42
	v_rcp_iflag_f32_e32 v2, v2
	v_writelane_b32 v47, s11, 43
	s_and_b32 s3, s4, -8
	v_writelane_b32 v47, s3, 44
	s_cmp_lg_u32 s7, 0
	v_writelane_b32 v47, s7, 45
	s_cselect_b64 s[10:11], -1, 0
	v_writelane_b32 v47, s10, 46
	v_mul_f32_e32 v2, 0x4f7ffffe, v2
	v_writelane_b32 v47, s11, 47
	v_cvt_u32_f32_e32 v2, v2
	v_writelane_b32 v47, s5, 48
	s_cmp_lg_u32 s6, s5
	v_writelane_b32 v47, s6, 49
	s_cselect_b64 s[4:5], -1, 0
	v_writelane_b32 v47, s4, 50
	v_writelane_b32 v47, s5, 51
	s_sub_i32 s3, 0, s9
	v_readfirstlane_b32 s4, v2
	s_mul_i32 s3, s3, s4
	s_mul_hi_u32 s3, s4, s3
	s_add_i32 s3, s4, s3
	v_cvt_f32_u32_e32 v2, s33
	v_writelane_b32 v47, s3, 52
	s_mul_hi_u32 s3, s60, s3
	s_mul_i32 s3, s3, s9
	s_sub_i32 s3, s60, s3
	s_sub_i32 s4, s3, s9
	v_rcp_iflag_f32_e32 v2, v2
	s_cmp_ge_u32 s3, s9
	s_cselect_b32 s3, s4, s3
	s_sub_i32 s4, s3, s9
	s_cmp_ge_u32 s3, s9
	v_mul_f32_e32 v2, 0x4f7ffffe, v2
	s_cselect_b32 s3, s4, s3
	v_cvt_u32_f32_e32 v2, v2
	v_lshlrev_b32_e32 v14, 2, v0
	s_sub_i32 s86, s60, s3
	v_cmp_gt_u32_e64 s[4:5], s86, v14
	v_writelane_b32 v47, s4, 53
	v_writelane_b32 v47, s5, 54
	s_sub_i32 s4, 0, s33
	v_readfirstlane_b32 s5, v2
	s_mul_i32 s4, s4, s5
	s_mul_hi_u32 s4, s5, s4
	s_add_i32 s4, s5, s4
	v_writelane_b32 v47, s4, 55
	s_mul_hi_u32 s4, s2, s4
	s_mul_i32 s4, s4, s33
	s_sub_i32 s4, s2, s4
	s_sub_i32 s5, s4, s33
	s_cmp_ge_u32 s4, s33
	s_cselect_b32 s4, s5, s4
	s_sub_i32 s5, s4, s33
	s_cmp_ge_u32 s4, s33
	v_mul_lo_u32 v2, s13, v14
	s_cselect_b32 s4, s5, s4
	v_add_u32_e32 v18, s13, v2
	v_or_b32_e32 v2, 2, v14
	v_add_u32_e32 v17, s86, v0
	s_sub_i32 s7, s2, s4
	v_mul_lo_u32 v19, s13, v2
	v_or_b32_e32 v2, 3, v14
	s_add_i32 s2, s33, s60
	v_not_b32_e32 v7, v3
	v_mul_lo_u32 v3, v17, s13
	v_cmp_gt_u32_e64 s[4:5], s7, v0
	v_mul_lo_u32 v20, s13, v2
	v_add_u32_e32 v2, s2, v0
	v_lshlrev_b32_e32 v4, 2, v13
	v_mov_b32_e32 v5, s73
	v_add_co_u32_e32 v10, vcc, s72, v3
	v_writelane_b32 v47, s4, 56
	s_mul_i32 s8, s13, s33
	v_subrev_u32_e32 v2, s3, v2
	v_mov_b32_e32 v1, 0
	v_cmp_eq_u32_e64 s[0:1], 0, v13
	v_and_b32_e32 v12, 0x100, v4
	v_cmp_gt_u32_e64 s[14:15], s60, v17
	v_addc_co_u32_e32 v11, vcc, 0, v5, vcc
	v_writelane_b32 v47, s5, 57
	s_lshl_b32 s87, s8, 2
	v_lshlrev_b32_e32 v21, 2, v15
	v_mul_lo_u32 v22, s13, v2
	v_or_b32_e32 v23, 0xc00, v4
	s_mov_b32 s89, 6
	s_mov_b64 s[64:65], 0
	v_mov_b32_e32 v24, 0
	v_mov_b32_e32 v29, s61
	s_movk_i32 s88, 0x80
	v_mov_b32_e32 v25, 0xc00
	v_mov_b32_e32 v28, 0
	;; [unrolled: 1-line block ×4, first 2 shown]
	s_mov_b32 s12, 0
	v_writelane_b32 v47, s13, 58
                                        ; implicit-def: $sgpr66_sgpr67
                                        ; implicit-def: $sgpr68_sgpr69
                                        ; implicit-def: $sgpr2_sgpr3
                                        ; implicit-def: $sgpr78_sgpr79
                                        ; implicit-def: $sgpr70_sgpr71
                                        ; implicit-def: $sgpr80_sgpr81
                                        ; implicit-def: $sgpr94_sgpr95
                                        ; implicit-def: $sgpr74_sgpr75
                                        ; implicit-def: $sgpr76_sgpr77
                                        ; implicit-def: $sgpr90_sgpr91
	s_branch .LBB23_6
.LBB23_4:                               ;   in Loop: Header=BB23_6 Depth=1
	s_or_b64 exec, exec, s[22:23]
	s_andn2_b64 s[4:5], s[90:91], exec
	s_and_b64 s[10:11], s[20:21], exec
	s_or_b64 s[90:91], s[4:5], s[10:11]
	s_andn2_b64 s[76:77], s[76:77], exec
	s_andn2_b64 s[74:75], s[74:75], exec
	;; [unrolled: 1-line block ×4, first 2 shown]
	s_orn2_b64 s[18:19], s[18:19], exec
	v_mov_b32_e32 v26, v3
	v_mov_b32_e32 v27, v2
	v_mov_b32_e32 v29, v5
	v_mov_b32_e32 v28, v4
.LBB23_5:                               ;   in Loop: Header=BB23_6 Depth=1
	s_or_b64 exec, exec, s[16:17]
	s_and_b64 s[4:5], exec, s[18:19]
	s_or_b64 s[64:65], s[4:5], s[64:65]
	s_andn2_b64 s[4:5], s[70:71], exec
	s_and_b64 s[10:11], s[90:91], exec
	s_or_b64 s[70:71], s[4:5], s[10:11]
	s_andn2_b64 s[4:5], s[78:79], exec
	s_and_b64 s[10:11], s[76:77], exec
	s_or_b64 s[78:79], s[4:5], s[10:11]
	s_andn2_b64 s[2:3], s[2:3], exec
	s_and_b64 s[4:5], s[74:75], exec
	s_or_b64 s[2:3], s[2:3], s[4:5]
	s_andn2_b64 s[4:5], s[68:69], exec
	s_and_b64 s[10:11], s[94:95], exec
	s_or_b64 s[68:69], s[4:5], s[10:11]
	s_andn2_b64 s[4:5], s[66:67], exec
	s_and_b64 s[10:11], s[80:81], exec
	s_or_b64 s[66:67], s[4:5], s[10:11]
	s_andn2_b64 exec, exec, s[64:65]
	s_cbranch_execz .LBB23_407
.LBB23_6:                               ; =>This Loop Header: Depth=1
                                        ;     Child Loop BB23_11 Depth 2
                                        ;     Child Loop BB23_29 Depth 2
	;; [unrolled: 1-line block ×25, first 2 shown]
	ds_read_b64 v[2:3], v24 offset:4096
	s_waitcnt lgkmcnt(0)
	v_readfirstlane_b32 s6, v2
	s_cmp_lg_u32 s6, 0
	s_cbranch_scc1 .LBB23_36
; %bb.7:                                ;   in Loop: Header=BB23_6 Depth=1
	v_readlane_b32 s4, v47, 29
	v_readlane_b32 s5, v47, 30
	s_and_b64 vcc, exec, s[4:5]
	s_cbranch_vccz .LBB23_19
; %bb.8:                                ;   in Loop: Header=BB23_6 Depth=1
	s_movk_i32 s4, 0xc01
	v_cmp_gt_u32_e32 vcc, s4, v3
	s_mov_b64 s[16:17], 0
	s_mov_b64 s[18:19], 0
	s_cbranch_vccz .LBB23_20
; %bb.9:                                ;   in Loop: Header=BB23_6 Depth=1
	v_readlane_b32 s4, v47, 34
	v_readlane_b32 s5, v47, 35
	s_nop 4
	global_load_ushort v2, v24, s[4:5]
	global_load_ubyte v3, v[8:9], off
	v_readlane_b32 s4, v47, 58
	s_mov_b64 s[22:23], 0
	v_mov_b32_e32 v30, v0
	s_waitcnt vmcnt(1)
	v_add_u32_e32 v5, v0, v2
	v_mul_lo_u32 v4, s4, v2
	v_mul_lo_u32 v5, s4, v5
	s_branch .LBB23_11
.LBB23_10:                              ;   in Loop: Header=BB23_11 Depth=2
	s_or_b64 exec, exec, s[20:21]
	v_add_u32_e32 v5, v5, v4
	v_mov_b32_e32 v3, v31
	s_andn2_b64 exec, exec, s[22:23]
	s_cbranch_execz .LBB23_21
.LBB23_11:                              ;   Parent Loop BB23_6 Depth=1
                                        ; =>  This Inner Loop Header: Depth=2
	v_add_u32_e32 v30, v30, v2
	v_cmp_gt_u32_e64 s[18:19], s60, v30
	v_cmp_le_u32_e32 vcc, s60, v30
	s_waitcnt lgkmcnt(0)
	v_mov_b32_e32 v32, 0
	v_mov_b32_e32 v31, 0
	s_and_saveexec_b64 s[20:21], s[18:19]
	s_cbranch_execz .LBB23_13
; %bb.12:                               ;   in Loop: Header=BB23_11 Depth=2
	global_load_ubyte v31, v5, s[72:73]
.LBB23_13:                              ;   in Loop: Header=BB23_11 Depth=2
	s_or_b64 exec, exec, s[20:21]
	s_waitcnt vmcnt(0)
	v_add_u32_sdwa v33, sext(v3), s88 dst_sel:DWORD dst_unused:UNUSED_PAD src0_sel:BYTE_0 src1_sel:DWORD
	v_and_b32_e32 v33, v33, v26
	v_cmp_eq_u32_e64 s[18:19], v33, v27
	s_cmp_lg_u64 s[18:19], 0
	s_cselect_b64 s[4:5], -1, 0
	s_and_b64 s[4:5], s[0:1], s[4:5]
	s_and_saveexec_b64 s[24:25], s[4:5]
	s_cbranch_execz .LBB23_17
; %bb.14:                               ;   in Loop: Header=BB23_11 Depth=2
	s_mov_b64 s[28:29], exec
	v_mbcnt_lo_u32_b32 v32, s28, 0
	v_mbcnt_hi_u32_b32 v32, s29, v32
	s_bcnt1_i32_b64 s4, s[18:19]
	v_cmp_eq_u32_e64 s[20:21], 0, v32
                                        ; implicit-def: $vgpr33
	s_and_saveexec_b64 s[26:27], s[20:21]
	s_cbranch_execz .LBB23_16
; %bb.15:                               ;   in Loop: Header=BB23_11 Depth=2
	s_bcnt1_i32_b64 s5, s[28:29]
	s_mul_i32 s5, s4, s5
	v_mov_b32_e32 v33, s5
	ds_add_rtn_u32 v33, v24, v33 offset:4104
.LBB23_16:                              ;   in Loop: Header=BB23_11 Depth=2
	s_or_b64 exec, exec, s[26:27]
	s_waitcnt lgkmcnt(0)
	v_readfirstlane_b32 s5, v33
	v_mov_b32_e32 v33, s5
	v_mad_u32_u24 v32, s4, v32, v33
.LBB23_17:                              ;   in Loop: Header=BB23_11 Depth=2
	s_or_b64 exec, exec, s[24:25]
	ds_bpermute_b32 v32, v12, v32
	s_and_b64 s[4:5], exec, vcc
	s_or_b64 s[22:23], s[4:5], s[22:23]
	s_and_saveexec_b64 s[20:21], s[18:19]
	s_cbranch_execz .LBB23_10
; %bb.18:                               ;   in Loop: Header=BB23_11 Depth=2
	v_and_b32_e32 v34, s18, v6
	v_and_b32_e32 v33, s19, v7
	v_bcnt_u32_b32 v34, v34, 0
	v_bcnt_u32_b32 v33, v33, v34
	s_waitcnt lgkmcnt(0)
	v_add_u32_e32 v32, v32, v33
	ds_write_b8 v32, v3
	s_branch .LBB23_10
.LBB23_19:                              ;   in Loop: Header=BB23_6 Depth=1
	s_mov_b64 s[18:19], 0
                                        ; implicit-def: $sgpr6
	s_cbranch_execnz .LBB23_24
	s_branch .LBB23_34
.LBB23_20:                              ;   in Loop: Header=BB23_6 Depth=1
	s_mov_b32 s6, 0
	s_and_b64 vcc, exec, s[16:17]
	s_cbranch_vccnz .LBB23_24
	s_branch .LBB23_34
.LBB23_21:                              ;   in Loop: Header=BB23_6 Depth=1
	s_or_b64 exec, exec, s[22:23]
	s_waitcnt lgkmcnt(0)
	s_barrier
	s_mov_b64 s[18:19], exec
	v_readlane_b32 s4, v47, 24
	v_readlane_b32 s5, v47, 25
	s_and_b64 s[4:5], s[18:19], s[4:5]
	s_mov_b64 exec, s[4:5]
	s_cbranch_execz .LBB23_23
; %bb.22:                               ;   in Loop: Header=BB23_6 Depth=1
	ds_read_b32 v2, v24 offset:4104
	s_waitcnt lgkmcnt(0)
	ds_write_b32 v24, v2 offset:4096
.LBB23_23:                              ;   in Loop: Header=BB23_6 Depth=1
	s_or_b64 exec, exec, s[18:19]
	s_waitcnt lgkmcnt(0)
	s_barrier
	s_mov_b64 s[18:19], -1
	s_mov_b32 s6, 0
	s_and_b64 vcc, exec, s[16:17]
	s_cbranch_vccz .LBB23_34
.LBB23_24:                              ;   in Loop: Header=BB23_6 Depth=1
	v_mov_b32_e32 v2, 0
	s_mov_b64 s[16:17], exec
	v_readlane_b32 s4, v47, 38
	v_readlane_b32 s5, v47, 39
	s_and_b64 s[4:5], s[16:17], s[4:5]
	s_mov_b64 exec, s[4:5]
	s_cbranch_execz .LBB23_26
; %bb.25:                               ;   in Loop: Header=BB23_6 Depth=1
	global_load_ubyte v2, v[8:9], off
.LBB23_26:                              ;   in Loop: Header=BB23_6 Depth=1
	s_or_b64 exec, exec, s[16:17]
	s_mov_b64 s[16:17], exec
	v_readlane_b32 s4, v47, 38
	v_readlane_b32 s5, v47, 39
	s_and_b64 s[4:5], s[16:17], s[4:5]
	s_mov_b64 exec, s[4:5]
	s_cbranch_execz .LBB23_31
; %bb.27:                               ;   in Loop: Header=BB23_6 Depth=1
	v_readlane_b32 s4, v47, 34
	v_readlane_b32 s5, v47, 35
	s_mov_b64 s[20:21], 0
	v_mov_b32_e32 v30, v0
	s_nop 2
	global_load_ushort v3, v24, s[4:5]
	v_readlane_b32 s4, v47, 58
	s_waitcnt vmcnt(0)
	v_add_u32_e32 v5, v0, v3
	v_mul_lo_u32 v4, s4, v3
	v_mul_lo_u32 v5, s4, v5
	s_branch .LBB23_29
.LBB23_28:                              ;   in Loop: Header=BB23_29 Depth=2
	s_or_b64 exec, exec, s[22:23]
	s_and_b64 s[4:5], exec, vcc
	s_or_b64 s[20:21], s[4:5], s[20:21]
	ds_write_b8 v30, v2
	v_add_u32_e32 v5, v5, v4
	s_waitcnt vmcnt(0)
	v_mov_b32_e32 v2, v32
	v_mov_b32_e32 v30, v31
	s_andn2_b64 exec, exec, s[20:21]
	s_cbranch_execz .LBB23_31
.LBB23_29:                              ;   Parent Loop BB23_6 Depth=1
                                        ; =>  This Inner Loop Header: Depth=2
	v_add_u32_e32 v31, v30, v3
	v_cmp_gt_u32_e64 s[18:19], s60, v31
	v_cmp_le_u32_e32 vcc, s60, v31
	v_mov_b32_e32 v32, 0
	s_and_saveexec_b64 s[22:23], s[18:19]
	s_cbranch_execz .LBB23_28
; %bb.30:                               ;   in Loop: Header=BB23_29 Depth=2
	global_load_ubyte v32, v5, s[72:73]
	s_branch .LBB23_28
.LBB23_31:                              ;   in Loop: Header=BB23_6 Depth=1
	s_or_b64 exec, exec, s[16:17]
	s_waitcnt lgkmcnt(0)
	s_barrier
	s_mov_b64 s[16:17], exec
	v_readlane_b32 s4, v47, 24
	v_readlane_b32 s5, v47, 25
	s_and_b64 s[4:5], s[16:17], s[4:5]
	s_mov_b64 exec, s[4:5]
	s_cbranch_execz .LBB23_33
; %bb.32:                               ;   in Loop: Header=BB23_6 Depth=1
	s_waitcnt vmcnt(0)
	v_mov_b32_e32 v2, s60
	ds_write_b32 v24, v2 offset:4096
.LBB23_33:                              ;   in Loop: Header=BB23_6 Depth=1
	s_or_b64 exec, exec, s[16:17]
	s_mov_b64 s[18:19], -1
	s_waitcnt lgkmcnt(0)
	s_barrier
                                        ; implicit-def: $sgpr6
.LBB23_34:                              ;   in Loop: Header=BB23_6 Depth=1
	s_and_b64 vcc, exec, s[18:19]
	s_cbranch_vccz .LBB23_36
; %bb.35:                               ;   in Loop: Header=BB23_6 Depth=1
	s_waitcnt vmcnt(0)
	ds_read_b32 v2, v24 offset:4096
	s_waitcnt lgkmcnt(0)
	v_readfirstlane_b32 s6, v2
.LBB23_36:                              ;   in Loop: Header=BB23_6 Depth=1
	s_cmp_lt_i32 s6, 1
	s_cbranch_scc0 .LBB23_40
; %bb.37:                               ;   in Loop: Header=BB23_6 Depth=1
	s_waitcnt vmcnt(0)
	v_mov_b32_e32 v2, 0
	s_mov_b32 s10, 0
	v_mov_b32_e32 v3, 0
	v_mov_b32_e32 v4, v2
	;; [unrolled: 1-line block ×3, first 2 shown]
	s_mov_b64 s[92:93], exec
	v_readlane_b32 s4, v47, 53
	v_readlane_b32 s5, v47, 54
	s_and_b64 s[4:5], s[92:93], s[4:5]
	s_mov_b64 exec, s[4:5]
	s_cbranch_execnz .LBB23_41
; %bb.38:                               ;   in Loop: Header=BB23_6 Depth=1
	s_or_b64 exec, exec, s[92:93]
	v_mov_b32_e32 v32, 0
	s_and_saveexec_b64 s[16:17], s[14:15]
	s_cbranch_execnz .LBB23_44
.LBB23_39:                              ;   in Loop: Header=BB23_6 Depth=1
	s_or_b64 exec, exec, s[16:17]
	s_and_saveexec_b64 s[16:17], s[14:15]
	s_cbranch_execnz .LBB23_45
	s_branch .LBB23_50
.LBB23_40:                              ;   in Loop: Header=BB23_6 Depth=1
                                        ; implicit-def: $vgpr5
	s_cbranch_execnz .LBB23_51
	s_branch .LBB23_60
.LBB23_41:                              ;   in Loop: Header=BB23_6 Depth=1
	s_and_b32 s11, s89, 0xfe
	s_mov_b64 s[16:17], 0
	s_mov_b32 s13, 0
	s_mov_b32 s82, 0
	s_mov_b32 s83, 0
	s_mov_b32 s4, 0
	v_mov_b32_e32 v30, v14
.LBB23_42:                              ;   Parent Loop BB23_6 Depth=1
                                        ; =>  This Inner Loop Header: Depth=2
	v_add_u32_e32 v2, s10, v21
	v_add_u32_e32 v3, s10, v18
	;; [unrolled: 1-line block ×4, first 2 shown]
	global_load_sbyte v2, v2, s[72:73]
	s_nop 0
	global_load_sbyte v3, v3, s[72:73]
	s_nop 0
	;; [unrolled: 2-line block ×3, first 2 shown]
	global_load_sbyte v5, v5, s[72:73]
	v_add_u32_e32 v30, s9, v30
	s_add_i32 s10, s10, s87
	v_cmp_le_u32_e32 vcc, s86, v30
	s_waitcnt vmcnt(3)
	v_add_u32_e32 v2, 0x80, v2
	s_waitcnt vmcnt(2)
	v_add_u32_e32 v3, 0x80, v3
	v_and_b32_e32 v31, v2, v26
	v_bfe_u32 v2, v2, s11, 2
	s_waitcnt vmcnt(1)
	v_add_u32_e32 v4, 0x80, v4
	v_and_b32_e32 v32, v3, v26
	v_bfe_u32 v3, v3, s11, 2
	v_cmp_eq_u32_e64 s[18:19], v31, v27
	v_cmp_eq_u32_e64 s[26:27], 0, v2
	s_waitcnt vmcnt(0)
	v_add_u32_e32 v5, 0x80, v5
	v_and_b32_e32 v33, v4, v26
	v_bfe_u32 v4, v4, s11, 2
	v_cmp_eq_u32_e64 s[20:21], v32, v27
	v_cmp_eq_u32_e64 s[28:29], 0, v3
	s_and_b64 s[26:27], s[18:19], s[26:27]
	v_and_b32_e32 v34, v5, v26
	v_bfe_u32 v5, v5, s11, 2
	v_cmp_eq_u32_e64 s[22:23], v33, v27
	v_cmp_eq_u32_e64 s[30:31], 0, v4
	;; [unrolled: 1-line block ×5, first 2 shown]
	v_cndmask_b32_e64 v2, 0, 1, s[26:27]
	s_and_b64 s[26:27], s[20:21], s[28:29]
	v_cmp_eq_u32_e64 s[24:25], v34, v27
	v_cmp_eq_u32_e64 s[34:35], 0, v5
	;; [unrolled: 1-line block ×5, first 2 shown]
	v_cndmask_b32_e64 v3, 0, 1, s[26:27]
	s_and_b64 s[26:27], s[22:23], s[30:31]
	v_cmp_eq_u32_e64 s[40:41], 1, v4
	v_cmp_eq_u32_e64 s[48:49], 2, v4
	;; [unrolled: 1-line block ×3, first 2 shown]
	v_cndmask_b32_e64 v4, 0, 1, s[26:27]
	s_and_b64 s[26:27], s[24:25], s[34:35]
	v_cmp_eq_u32_e64 s[42:43], 1, v5
	v_cmp_eq_u32_e64 s[50:51], 2, v5
	;; [unrolled: 1-line block ×3, first 2 shown]
	v_cndmask_b32_e64 v5, 0, 1, s[26:27]
	s_and_b64 s[26:27], s[18:19], s[36:37]
	v_cndmask_b32_e64 v31, 0, 1, s[26:27]
	s_and_b64 s[26:27], s[20:21], s[38:39]
	;; [unrolled: 2-line block ×5, first 2 shown]
	s_and_b64 s[18:19], s[18:19], s[52:53]
	v_cndmask_b32_e64 v35, 0, 1, s[26:27]
	s_and_b64 s[26:27], s[20:21], s[46:47]
	v_cndmask_b32_e64 v39, 0, 1, s[18:19]
	;; [unrolled: 2-line block ×7, first 2 shown]
	v_cndmask_b32_e64 v42, 0, 1, s[18:19]
	v_cmp_ne_u32_e64 s[18:19], 0, v2
	v_cmp_ne_u32_e64 s[20:21], 0, v3
	;; [unrolled: 1-line block ×11, first 2 shown]
	s_bcnt1_i32_b64 s5, s[18:19]
	s_bcnt1_i32_b64 s18, s[20:21]
	;; [unrolled: 1-line block ×8, first 2 shown]
	v_cmp_ne_u32_e64 s[40:41], 0, v37
	v_cmp_ne_u32_e64 s[48:49], 0, v41
	s_bcnt1_i32_b64 s23, s[30:31]
	s_bcnt1_i32_b64 s26, s[38:39]
	;; [unrolled: 1-line block ×3, first 2 shown]
	s_add_i32 s4, s4, s5
	s_add_i32 s5, s83, s21
	;; [unrolled: 1-line block ×4, first 2 shown]
	v_cmp_ne_u32_e64 s[34:35], 0, v34
	v_cmp_ne_u32_e64 s[42:43], 0, v38
	;; [unrolled: 1-line block ×3, first 2 shown]
	s_bcnt1_i32_b64 s27, s[40:41]
	s_bcnt1_i32_b64 s31, s[48:49]
	s_add_i32 s4, s4, s18
	s_add_i32 s5, s5, s22
	s_add_i32 s18, s21, s26
	s_add_i32 s13, s13, s30
	s_bcnt1_i32_b64 s24, s[34:35]
	s_bcnt1_i32_b64 s28, s[42:43]
	;; [unrolled: 1-line block ×3, first 2 shown]
	s_add_i32 s4, s4, s19
	s_add_i32 s5, s5, s23
	;; [unrolled: 1-line block ×8, first 2 shown]
	s_or_b64 s[16:17], vcc, s[16:17]
	v_mov_b32_e32 v2, s4
	v_mov_b32_e32 v3, s83
	;; [unrolled: 1-line block ×4, first 2 shown]
	s_andn2_b64 exec, exec, s[16:17]
	s_cbranch_execnz .LBB23_42
; %bb.43:                               ;   in Loop: Header=BB23_6 Depth=1
	s_or_b64 exec, exec, s[16:17]
	s_or_b64 exec, exec, s[92:93]
	v_mov_b32_e32 v32, 0
	s_and_saveexec_b64 s[16:17], s[14:15]
	s_cbranch_execz .LBB23_39
.LBB23_44:                              ;   in Loop: Header=BB23_6 Depth=1
	global_load_ubyte v32, v[10:11], off
	s_or_b64 exec, exec, s[16:17]
	s_and_saveexec_b64 s[16:17], s[14:15]
	s_cbranch_execz .LBB23_50
.LBB23_45:                              ;   in Loop: Header=BB23_6 Depth=1
	s_and_b32 s4, s89, 0xfe
	s_mov_b64 s[20:21], 0
	v_mov_b32_e32 v30, v22
	v_mov_b32_e32 v31, v17
	s_branch .LBB23_47
.LBB23_46:                              ;   in Loop: Header=BB23_47 Depth=2
	s_or_b64 exec, exec, s[22:23]
	s_waitcnt vmcnt(0)
	v_add_u32_sdwa v32, sext(v32), s88 dst_sel:DWORD dst_unused:UNUSED_PAD src0_sel:BYTE_0 src1_sel:DWORD
	s_and_b64 s[10:11], exec, vcc
	v_and_b32_e32 v34, v32, v26
	v_bfe_u32 v32, v32, s4, 2
	s_or_b64 s[20:21], s[10:11], s[20:21]
	v_cmp_eq_u32_e32 vcc, v34, v27
	v_cmp_eq_u32_e64 s[18:19], 0, v32
	s_and_b64 s[10:11], vcc, s[18:19]
	v_cndmask_b32_e64 v34, 0, 1, s[10:11]
	v_cmp_ne_u32_e64 s[18:19], 0, v34
	s_bcnt1_i32_b64 s5, s[18:19]
	v_cmp_eq_u32_e64 s[18:19], 1, v32
	s_and_b64 s[10:11], vcc, s[18:19]
	v_cndmask_b32_e64 v34, 0, 1, s[10:11]
	v_cmp_ne_u32_e64 s[18:19], 0, v34
	v_add_u32_e32 v2, s5, v2
	s_bcnt1_i32_b64 s5, s[18:19]
	v_cmp_eq_u32_e64 s[18:19], 2, v32
	s_and_b64 s[10:11], vcc, s[18:19]
	v_cndmask_b32_e64 v34, 0, 1, s[10:11]
	v_cmp_ne_u32_e64 s[18:19], 0, v34
	v_add_u32_e32 v3, s5, v3
	s_bcnt1_i32_b64 s5, s[18:19]
	v_cmp_eq_u32_e64 s[18:19], 3, v32
	s_and_b64 s[10:11], vcc, s[18:19]
	v_cndmask_b32_e64 v32, 0, 1, s[10:11]
	v_cmp_ne_u32_e32 vcc, 0, v32
	v_add_u32_e32 v4, s5, v4
	s_bcnt1_i32_b64 s5, vcc
	v_add_u32_e32 v5, s5, v5
	v_add_u32_e32 v30, s8, v30
	v_mov_b32_e32 v32, v33
	s_andn2_b64 exec, exec, s[20:21]
	s_cbranch_execz .LBB23_49
.LBB23_47:                              ;   Parent Loop BB23_6 Depth=1
                                        ; =>  This Inner Loop Header: Depth=2
	v_add_u32_e32 v31, s33, v31
	v_cmp_gt_u32_e64 s[18:19], s60, v31
	v_cmp_le_u32_e32 vcc, s60, v31
	v_mov_b32_e32 v33, 0
	s_and_saveexec_b64 s[22:23], s[18:19]
	s_cbranch_execz .LBB23_46
; %bb.48:                               ;   in Loop: Header=BB23_47 Depth=2
	global_load_ubyte v33, v30, s[72:73]
	s_branch .LBB23_46
.LBB23_49:                              ;   in Loop: Header=BB23_6 Depth=1
	s_or_b64 exec, exec, s[20:21]
.LBB23_50:                              ;   in Loop: Header=BB23_6 Depth=1
	s_or_b64 exec, exec, s[16:17]
	s_branch .LBB23_60
.LBB23_51:                              ;   in Loop: Header=BB23_6 Depth=1
	v_readlane_b32 s4, v47, 52
	s_mul_hi_u32 s4, s6, s4
	s_mul_i32 s4, s4, s9
	s_sub_i32 s4, s6, s4
	s_sub_i32 s5, s4, s9
	s_cmp_ge_u32 s4, s9
	s_cselect_b32 s4, s5, s4
	s_sub_i32 s5, s4, s9
	s_cmp_ge_u32 s4, s9
	s_cselect_b32 s4, s5, s4
	s_sub_i32 s10, s6, s4
	v_cmp_gt_u32_e32 vcc, s10, v14
	s_mov_b32 s13, 0
	s_waitcnt vmcnt(0)
	v_mov_b32_e32 v2, 0
	v_mov_b32_e32 v3, 0
	;; [unrolled: 1-line block ×4, first 2 shown]
	s_and_saveexec_b64 s[16:17], vcc
	s_cbranch_execz .LBB23_55
; %bb.52:                               ;   in Loop: Header=BB23_6 Depth=1
	s_and_b32 s11, s89, 0xfe
	s_mov_b64 s[92:93], 0
	s_mov_b32 s4, 0
	s_mov_b32 s5, 0
	;; [unrolled: 1-line block ×3, first 2 shown]
	v_mov_b32_e32 v30, v14
.LBB23_53:                              ;   Parent Loop BB23_6 Depth=1
                                        ; =>  This Inner Loop Header: Depth=2
	ds_read_b32 v2, v30
	v_add_u32_e32 v30, s9, v30
	v_cmp_le_u32_e32 vcc, s10, v30
	s_waitcnt lgkmcnt(0)
	v_add_u32_sdwa v3, sext(v2), s88 dst_sel:DWORD dst_unused:UNUSED_PAD src0_sel:BYTE_0 src1_sel:DWORD
	v_add_u32_sdwa v4, sext(v2), s88 dst_sel:DWORD dst_unused:UNUSED_PAD src0_sel:BYTE_1 src1_sel:DWORD
	v_and_b32_e32 v31, v3, v26
	v_bfe_u32 v3, v3, s11, 2
	v_add_u32_sdwa v5, sext(v2), s88 dst_sel:DWORD dst_unused:UNUSED_PAD src0_sel:BYTE_2 src1_sel:DWORD
	v_add_u32_sdwa v2, sext(v2), s88 dst_sel:DWORD dst_unused:UNUSED_PAD src0_sel:BYTE_3 src1_sel:DWORD
	v_and_b32_e32 v32, v4, v26
	v_bfe_u32 v4, v4, s11, 2
	v_cmp_eq_u32_e64 s[18:19], v31, v27
	v_cmp_eq_u32_e64 s[26:27], 0, v3
	v_and_b32_e32 v33, v5, v26
	v_and_b32_e32 v34, v2, v26
	v_bfe_u32 v5, v5, s11, 2
	v_bfe_u32 v2, v2, s11, 2
	v_cmp_eq_u32_e64 s[20:21], v32, v27
	v_cmp_eq_u32_e64 s[28:29], 0, v4
	s_and_b64 s[26:27], s[18:19], s[26:27]
	v_cmp_eq_u32_e64 s[22:23], v33, v27
	v_cmp_eq_u32_e64 s[30:31], 0, v5
	;; [unrolled: 1-line block ×6, first 2 shown]
	v_cndmask_b32_e64 v2, 0, 1, s[26:27]
	s_and_b64 s[26:27], s[20:21], s[28:29]
	v_cmp_eq_u32_e64 s[24:25], v34, v27
	v_cmp_eq_u32_e64 s[36:37], 1, v3
	;; [unrolled: 1-line block ×4, first 2 shown]
	v_cndmask_b32_e64 v3, 0, 1, s[26:27]
	s_and_b64 s[26:27], s[22:23], s[30:31]
	v_cmp_eq_u32_e64 s[38:39], 1, v4
	v_cmp_eq_u32_e64 s[46:47], 2, v4
	;; [unrolled: 1-line block ×3, first 2 shown]
	v_cndmask_b32_e64 v4, 0, 1, s[26:27]
	s_and_b64 s[26:27], s[24:25], s[34:35]
	v_cmp_eq_u32_e64 s[40:41], 1, v5
	v_cmp_eq_u32_e64 s[48:49], 2, v5
	;; [unrolled: 1-line block ×3, first 2 shown]
	v_cndmask_b32_e64 v5, 0, 1, s[26:27]
	s_and_b64 s[26:27], s[18:19], s[36:37]
	v_cndmask_b32_e64 v31, 0, 1, s[26:27]
	s_and_b64 s[26:27], s[20:21], s[38:39]
	;; [unrolled: 2-line block ×5, first 2 shown]
	s_and_b64 s[18:19], s[18:19], s[52:53]
	v_cndmask_b32_e64 v35, 0, 1, s[26:27]
	s_and_b64 s[26:27], s[20:21], s[46:47]
	v_cndmask_b32_e64 v39, 0, 1, s[18:19]
	;; [unrolled: 2-line block ×7, first 2 shown]
	v_cndmask_b32_e64 v42, 0, 1, s[18:19]
	v_cmp_ne_u32_e64 s[18:19], 0, v2
	v_cmp_ne_u32_e64 s[20:21], 0, v3
	v_cmp_ne_u32_e64 s[22:23], 0, v4
	v_cmp_ne_u32_e64 s[24:25], 0, v5
	v_cmp_ne_u32_e64 s[26:27], 0, v31
	v_cmp_ne_u32_e64 s[30:31], 0, v33
	v_cmp_ne_u32_e64 s[36:37], 0, v35
	v_cmp_ne_u32_e64 s[44:45], 0, v39
	v_cmp_ne_u32_e64 s[28:29], 0, v32
	v_cmp_ne_u32_e64 s[38:39], 0, v36
	v_cmp_ne_u32_e64 s[46:47], 0, v40
	s_bcnt1_i32_b64 s18, s[18:19]
	s_bcnt1_i32_b64 s19, s[20:21]
	;; [unrolled: 1-line block ×8, first 2 shown]
	v_cmp_ne_u32_e64 s[34:35], 0, v34
	v_cmp_ne_u32_e64 s[40:41], 0, v37
	;; [unrolled: 1-line block ×3, first 2 shown]
	s_bcnt1_i32_b64 s23, s[28:29]
	s_bcnt1_i32_b64 s27, s[38:39]
	;; [unrolled: 1-line block ×3, first 2 shown]
	s_add_i32 s18, s82, s18
	s_add_i32 s5, s5, s22
	;; [unrolled: 1-line block ×4, first 2 shown]
	v_cmp_ne_u32_e64 s[42:43], 0, v38
	v_cmp_ne_u32_e64 s[50:51], 0, v42
	s_bcnt1_i32_b64 s25, s[34:35]
	s_bcnt1_i32_b64 s28, s[40:41]
	;; [unrolled: 1-line block ×3, first 2 shown]
	s_add_i32 s18, s18, s19
	s_add_i32 s5, s5, s23
	;; [unrolled: 1-line block ×4, first 2 shown]
	s_bcnt1_i32_b64 s29, s[42:43]
	s_bcnt1_i32_b64 s35, s[50:51]
	s_add_i32 s18, s18, s20
	s_add_i32 s5, s5, s24
	;; [unrolled: 1-line block ×8, first 2 shown]
	s_or_b64 s[92:93], vcc, s[92:93]
	v_mov_b32_e32 v2, s82
	v_mov_b32_e32 v3, s5
	;; [unrolled: 1-line block ×4, first 2 shown]
	s_andn2_b64 exec, exec, s[92:93]
	s_cbranch_execnz .LBB23_53
; %bb.54:                               ;   in Loop: Header=BB23_6 Depth=1
	s_or_b64 exec, exec, s[92:93]
.LBB23_55:                              ;   in Loop: Header=BB23_6 Depth=1
	s_or_b64 exec, exec, s[16:17]
	v_add_u32_e32 v30, s10, v0
	v_cmp_gt_u32_e32 vcc, s6, v30
	s_and_saveexec_b64 s[16:17], vcc
	s_cbranch_execz .LBB23_59
; %bb.56:                               ;   in Loop: Header=BB23_6 Depth=1
	s_and_b32 s4, s89, 0xfe
	s_mov_b64 s[28:29], 0
.LBB23_57:                              ;   Parent Loop BB23_6 Depth=1
                                        ; =>  This Inner Loop Header: Depth=2
	ds_read_i8 v31, v30
	v_add_u32_e32 v30, s33, v30
	v_cmp_le_u32_e32 vcc, s6, v30
	s_waitcnt lgkmcnt(0)
	v_add_u32_e32 v31, 0x80, v31
	v_and_b32_e32 v32, v31, v26
	v_bfe_u32 v31, v31, s4, 2
	v_cmp_eq_u32_e64 s[18:19], v32, v27
	v_cmp_eq_u32_e64 s[20:21], 0, v31
	;; [unrolled: 1-line block ×3, first 2 shown]
	s_and_b64 s[10:11], s[18:19], s[20:21]
	v_cmp_eq_u32_e64 s[24:25], 2, v31
	v_cmp_eq_u32_e64 s[26:27], 3, v31
	v_cndmask_b32_e64 v31, 0, 1, s[10:11]
	s_and_b64 s[10:11], s[18:19], s[22:23]
	v_cndmask_b32_e64 v32, 0, 1, s[10:11]
	s_and_b64 s[10:11], s[18:19], s[24:25]
	;; [unrolled: 2-line block ×3, first 2 shown]
	v_cndmask_b32_e64 v34, 0, 1, s[10:11]
	v_cmp_ne_u32_e64 s[18:19], 0, v31
	v_cmp_ne_u32_e64 s[20:21], 0, v32
	;; [unrolled: 1-line block ×4, first 2 shown]
	s_bcnt1_i32_b64 s5, s[18:19]
	s_bcnt1_i32_b64 s10, s[20:21]
	;; [unrolled: 1-line block ×4, first 2 shown]
	v_add_u32_e32 v2, s5, v2
	v_add_u32_e32 v3, s10, v3
	;; [unrolled: 1-line block ×3, first 2 shown]
	s_or_b64 s[28:29], vcc, s[28:29]
	v_add_u32_e32 v5, s13, v5
	s_andn2_b64 exec, exec, s[28:29]
	s_cbranch_execnz .LBB23_57
; %bb.58:                               ;   in Loop: Header=BB23_6 Depth=1
	s_or_b64 exec, exec, s[28:29]
.LBB23_59:                              ;   in Loop: Header=BB23_6 Depth=1
	s_or_b64 exec, exec, s[16:17]
.LBB23_60:                              ;   in Loop: Header=BB23_6 Depth=1
	s_lshl_b32 s4, s12, 6
	s_and_saveexec_b64 s[16:17], s[0:1]
	s_cbranch_execz .LBB23_62
; %bb.61:                               ;   in Loop: Header=BB23_6 Depth=1
	v_or_b32_e32 v30, s4, v16
	v_lshlrev_b32_e32 v30, 2, v30
	s_waitcnt vmcnt(0)
	ds_write_b128 v30, v[2:5] offset:3072
.LBB23_62:                              ;   in Loop: Header=BB23_6 Depth=1
	s_or_b64 exec, exec, s[16:17]
	s_waitcnt lgkmcnt(0)
	s_barrier
	s_and_saveexec_b64 s[16:17], s[84:85]
	s_cbranch_execz .LBB23_76
; %bb.63:                               ;   in Loop: Header=BB23_6 Depth=1
	v_readlane_b32 s10, v47, 31
	v_readlane_b32 s11, v47, 32
	v_add_u32_e32 v4, s4, v13
	s_andn2_b64 vcc, exec, s[10:11]
	s_waitcnt vmcnt(0)
	v_mov_b32_e32 v2, 0
	s_cbranch_vccnz .LBB23_75
; %bb.64:                               ;   in Loop: Header=BB23_6 Depth=1
	v_readlane_b32 s10, v47, 36
	v_readlane_b32 s11, v47, 37
	s_mov_b32 s5, 0
	s_and_b64 vcc, exec, s[10:11]
	v_mov_b32_e32 v2, 0
	s_cbranch_vccz .LBB23_68
; %bb.65:                               ;   in Loop: Header=BB23_6 Depth=1
	v_readlane_b32 s10, v47, 42
	v_readlane_b32 s18, v47, 14
	;; [unrolled: 1-line block ×3, first 2 shown]
	v_lshl_add_u32 v5, v4, 2, v25
	v_readlane_b32 s19, v47, 15
	s_andn2_b64 vcc, exec, s[10:11]
	s_cbranch_vccnz .LBB23_69
; %bb.66:                               ;   in Loop: Header=BB23_6 Depth=1
	v_writelane_b32 v47, s18, 14
	v_writelane_b32 v47, s19, 15
	s_mov_b32 s19, 1
	s_mov_b32 s18, 0
	v_mov_b32_e32 v2, 0
	v_readlane_b32 s5, v47, 44
	v_mov_b32_e32 v3, 0
.LBB23_67:                              ;   Parent Loop BB23_6 Depth=1
                                        ; =>  This Inner Loop Header: Depth=2
	v_lshl_add_u32 v42, s18, 4, v5
	v_lshl_add_u32 v44, s19, 4, v5
	ds_read2_b32 v[30:31], v42 offset1:8
	ds_read2_b32 v[32:33], v44 offset1:8
	ds_read2_b32 v[34:35], v42 offset0:16 offset1:24
	ds_read2_b32 v[36:37], v44 offset0:16 offset1:24
	;; [unrolled: 1-line block ×6, first 2 shown]
	s_waitcnt lgkmcnt(7)
	v_add3_u32 v2, v30, v2, v31
	s_waitcnt lgkmcnt(6)
	v_add3_u32 v3, v32, v3, v33
	;; [unrolled: 2-line block ×3, first 2 shown]
	v_add3_u32 v2, v34, v2, v35
	s_add_i32 s19, s19, 16
	s_add_i32 s18, s18, 16
	s_add_i32 s5, s5, -8
	s_waitcnt lgkmcnt(3)
	v_add3_u32 v2, v38, v2, v39
	s_waitcnt lgkmcnt(2)
	v_add3_u32 v3, v40, v3, v41
	s_cmp_lg_u32 s5, 0
	s_waitcnt lgkmcnt(0)
	v_add3_u32 v3, v44, v3, v45
	v_add3_u32 v2, v42, v2, v43
	s_cbranch_scc1 .LBB23_67
	s_branch .LBB23_70
.LBB23_68:                              ;   in Loop: Header=BB23_6 Depth=1
	s_cbranch_execnz .LBB23_73
	s_branch .LBB23_75
.LBB23_69:                              ;   in Loop: Header=BB23_6 Depth=1
	s_mov_b32 s6, s18
	s_mov_b32 s19, s18
	v_writelane_b32 v47, s6, 14
	v_pk_mov_b32 v[2:3], s[18:19], s[18:19] op_sel:[0,1]
	s_mov_b32 s19, 1
	v_writelane_b32 v47, s7, 15
.LBB23_70:                              ;   in Loop: Header=BB23_6 Depth=1
	v_readlane_b32 s10, v47, 46
	v_readlane_b32 s11, v47, 47
	s_andn2_b64 vcc, exec, s[10:11]
	v_readlane_b32 s5, v47, 45
	s_cbranch_vccnz .LBB23_72
.LBB23_71:                              ;   Parent Loop BB23_6 Depth=1
                                        ; =>  This Inner Loop Header: Depth=2
	v_lshl_add_u32 v30, s18, 4, v5
	v_lshl_add_u32 v31, s19, 4, v5
	ds_read_b32 v31, v31
	ds_read_b32 v30, v30
	s_add_i32 s19, s19, 2
	s_add_i32 s18, s18, 2
	s_add_i32 s5, s5, -1
	s_cmp_lg_u32 s5, 0
	s_waitcnt lgkmcnt(1)
	v_add_u32_e32 v3, v31, v3
	s_waitcnt lgkmcnt(0)
	v_add_u32_e32 v2, v30, v2
	s_cbranch_scc1 .LBB23_71
.LBB23_72:                              ;   in Loop: Header=BB23_6 Depth=1
	v_readlane_b32 s18, v47, 50
	v_add_u32_e32 v2, v2, v3
	v_readlane_b32 s5, v47, 49
	v_readlane_b32 s19, v47, 51
	s_and_b64 vcc, exec, s[18:19]
	s_cbranch_vccz .LBB23_75
.LBB23_73:                              ;   in Loop: Header=BB23_6 Depth=1
	s_lshl_b32 s6, s12, 8
	s_lshl_b32 s10, s5, 4
	s_add_i32 s6, s6, s10
	v_add_u32_e32 v3, s6, v23
	v_readlane_b32 s6, v47, 48
	s_sub_i32 s5, s6, s5
.LBB23_74:                              ;   Parent Loop BB23_6 Depth=1
                                        ; =>  This Inner Loop Header: Depth=2
	ds_read_b32 v5, v3
	s_add_i32 s5, s5, -1
	v_add_u32_e32 v3, 16, v3
	s_cmp_eq_u32 s5, 0
	s_waitcnt lgkmcnt(0)
	v_add_u32_e32 v2, v5, v2
	s_cbranch_scc0 .LBB23_74
.LBB23_75:                              ;   in Loop: Header=BB23_6 Depth=1
	v_lshlrev_b32_e32 v3, 2, v4
	ds_write_b32 v3, v2 offset:3072
.LBB23_76:                              ;   in Loop: Header=BB23_6 Depth=1
	s_or_b64 exec, exec, s[16:17]
	s_lshl_b32 s4, s4, 2
	s_waitcnt vmcnt(0)
	v_mov_b32_e32 v2, s4
	s_waitcnt lgkmcnt(0)
	s_barrier
	ds_read_b128 v[2:5], v2 offset:3072
	s_and_b32 s56, s89, 0xfe
	s_lshl_b32 s83, 3, s56
	s_not_b32 s6, s83
	s_andn2_b64 vcc, exec, s[62:63]
	s_waitcnt lgkmcnt(0)
	v_readfirstlane_b32 s13, v2
	v_readfirstlane_b32 s82, v3
	;; [unrolled: 1-line block ×4, first 2 shown]
	v_cmp_eq_u32_e64 s[18:19], 1, v29
	s_cbranch_vccnz .LBB23_89
; %bb.77:                               ;   in Loop: Header=BB23_6 Depth=1
	s_cmp_eq_u32 s13, 1
	s_cselect_b64 s[4:5], -1, 0
	s_and_b64 s[36:37], s[4:5], s[18:19]
	s_mov_b64 s[38:39], -1
	v_mov_b32_e32 v2, v27
	v_mov_b32_e32 v3, v26
	;; [unrolled: 1-line block ×3, first 2 shown]
                                        ; implicit-def: $sgpr22_sgpr23
                                        ; implicit-def: $sgpr28_sgpr29
                                        ; implicit-def: $sgpr26_sgpr27
	s_and_saveexec_b64 s[16:17], s[36:37]
	s_cbranch_execz .LBB23_105
; %bb.78:                               ;   in Loop: Header=BB23_6 Depth=1
	ds_read_b32 v2, v24 offset:4096
	s_waitcnt lgkmcnt(0)
	s_barrier
	v_readfirstlane_b32 s4, v2
	s_mov_b64 s[20:21], exec
	v_readlane_b32 s22, v47, 40
	v_readlane_b32 s23, v47, 41
	s_and_b64 s[22:23], s[20:21], s[22:23]
	s_mov_b64 exec, s[22:23]
	s_cbranch_execz .LBB23_80
; %bb.79:                               ;   in Loop: Header=BB23_6 Depth=1
	ds_write_b8 v0, v1 offset:3072
.LBB23_80:                              ;   in Loop: Header=BB23_6 Depth=1
	s_or_b64 exec, exec, s[20:21]
	v_and_b32_e32 v2, s6, v27
	v_or_b32_e32 v3, s83, v26
	s_cmp_eq_u32 s4, 0
	s_waitcnt lgkmcnt(0)
	s_barrier
	s_cbranch_scc1 .LBB23_91
; %bb.81:                               ;   in Loop: Header=BB23_6 Depth=1
	v_readlane_b32 s5, v47, 33
	s_add_i32 s5, s4, s5
	v_readlane_b32 s11, v47, 55
	s_mul_hi_u32 s11, s5, s11
	s_mul_i32 s11, s11, s33
	s_sub_i32 s11, s5, s11
	s_sub_i32 s20, s11, s33
	s_cmp_ge_u32 s11, s33
	s_cselect_b32 s11, s20, s11
	s_sub_i32 s20, s11, s33
	s_cmp_ge_u32 s11, s33
	s_cselect_b32 s11, s20, s11
	s_sub_i32 s5, s5, s11
	v_cmp_gt_u32_e32 vcc, s5, v0
	s_mov_b64 s[20:21], 0
                                        ; implicit-def: $vgpr4
	s_and_saveexec_b64 s[22:23], vcc
	s_cbranch_execz .LBB23_93
; %bb.82:                               ;   in Loop: Header=BB23_6 Depth=1
	v_mov_b32_e32 v4, v0
                                        ; implicit-def: $sgpr24_sgpr25
	s_branch .LBB23_84
.LBB23_83:                              ;   in Loop: Header=BB23_84 Depth=2
	s_or_b64 exec, exec, s[26:27]
	s_waitcnt lgkmcnt(0)
	s_barrier
	ds_read_u16 v5, v24 offset:3072
	v_add_u32_e32 v4, s33, v4
	v_cmp_le_u32_e32 vcc, s5, v4
	s_waitcnt lgkmcnt(0)
	s_barrier
	v_cmp_ne_u16_sdwa s[26:27], v5, v1 src0_sel:BYTE_0 src1_sel:DWORD
	s_or_b64 s[28:29], vcc, s[26:27]
	s_and_b64 s[28:29], exec, s[28:29]
	s_or_b64 s[20:21], s[28:29], s[20:21]
	s_andn2_b64 s[24:25], s[24:25], exec
	s_and_b64 s[26:27], s[26:27], exec
	s_or_b64 s[24:25], s[24:25], s[26:27]
	s_andn2_b64 exec, exec, s[20:21]
	s_cbranch_execz .LBB23_92
.LBB23_84:                              ;   Parent Loop BB23_6 Depth=1
                                        ; =>  This Inner Loop Header: Depth=2
	v_cmp_gt_u32_e32 vcc, s4, v4
	v_mov_b32_e32 v5, 0
	s_and_saveexec_b64 s[26:27], vcc
	s_cbranch_execz .LBB23_86
; %bb.85:                               ;   in Loop: Header=BB23_84 Depth=2
	ds_read_u8 v5, v4
.LBB23_86:                              ;   in Loop: Header=BB23_84 Depth=2
	s_or_b64 exec, exec, s[26:27]
	s_and_saveexec_b64 s[26:27], vcc
	s_cbranch_execz .LBB23_83
; %bb.87:                               ;   in Loop: Header=BB23_84 Depth=2
	s_waitcnt lgkmcnt(0)
	v_add_u32_sdwa v30, sext(v5), s88 dst_sel:DWORD dst_unused:UNUSED_PAD src0_sel:BYTE_0 src1_sel:DWORD
	v_and_b32_e32 v30, v30, v3
	v_cmp_eq_u32_e32 vcc, v30, v2
	s_and_b64 exec, exec, vcc
	s_cbranch_execz .LBB23_83
; %bb.88:                               ;   in Loop: Header=BB23_84 Depth=2
	v_lshlrev_b16_e32 v5, 8, v5
	v_or_b32_e32 v5, 1, v5
	ds_write_b16 v24, v5 offset:3072
	s_branch .LBB23_83
.LBB23_89:                              ;   in Loop: Header=BB23_6 Depth=1
	s_mov_b64 s[24:25], 0
	s_mov_b64 s[20:21], 0
                                        ; implicit-def: $sgpr26_sgpr27
                                        ; implicit-def: $sgpr28_sgpr29
                                        ; implicit-def: $sgpr22_sgpr23
                                        ; implicit-def: $vgpr30
                                        ; implicit-def: $vgpr5
                                        ; implicit-def: $vgpr2
                                        ; implicit-def: $vgpr3
                                        ; implicit-def: $vgpr4
	s_cbranch_execnz .LBB23_241
.LBB23_90:                              ;   in Loop: Header=BB23_6 Depth=1
	s_mov_b64 s[30:31], s[22:23]
	s_mov_b64 s[34:35], s[22:23]
	s_and_saveexec_b64 s[16:17], s[24:25]
	s_cbranch_execnz .LBB23_403
	s_branch .LBB23_404
.LBB23_91:                              ;   in Loop: Header=BB23_6 Depth=1
	s_mov_b64 s[22:23], -1
	s_mov_b64 s[20:21], 0
                                        ; implicit-def: $sgpr26_sgpr27
                                        ; implicit-def: $vgpr4
	s_mov_b64 s[28:29], s[22:23]
	s_cbranch_execnz .LBB23_94
	s_branch .LBB23_104
.LBB23_92:                              ;   in Loop: Header=BB23_6 Depth=1
	s_or_b64 exec, exec, s[20:21]
	v_lshrrev_b16_e32 v4, 8, v5
	s_and_b64 s[20:21], s[24:25], exec
.LBB23_93:                              ;   in Loop: Header=BB23_6 Depth=1
	s_or_b64 exec, exec, s[22:23]
	s_mov_b64 s[26:27], -1
	s_mov_b64 s[22:23], 0
	s_mov_b64 s[28:29], s[22:23]
	s_branch .LBB23_104
.LBB23_94:                              ;   in Loop: Header=BB23_6 Depth=1
	s_mov_b64 s[20:21], 0
                                        ; implicit-def: $vgpr4
	s_mov_b64 s[22:23], exec
	v_readlane_b32 s4, v47, 56
	v_readlane_b32 s5, v47, 57
	s_and_b64 s[4:5], s[22:23], s[4:5]
	s_mov_b64 exec, s[4:5]
	s_cbranch_execz .LBB23_103
; %bb.95:                               ;   in Loop: Header=BB23_6 Depth=1
	v_mov_b32_e32 v4, v15
	v_mov_b32_e32 v5, v0
                                        ; implicit-def: $sgpr24_sgpr25
	s_branch .LBB23_97
.LBB23_96:                              ;   in Loop: Header=BB23_97 Depth=2
	s_or_b64 exec, exec, s[26:27]
	s_waitcnt lgkmcnt(0)
	s_barrier
	s_waitcnt vmcnt(0)
	ds_read_u16 v30, v24 offset:3072
	v_add_u32_e32 v5, s33, v5
	v_cmp_le_u32_e32 vcc, s7, v5
	v_add_u32_e32 v4, s8, v4
	s_waitcnt lgkmcnt(0)
	v_cmp_ne_u16_sdwa s[4:5], v30, v1 src0_sel:BYTE_0 src1_sel:DWORD
	s_or_b64 s[26:27], vcc, s[4:5]
	s_and_b64 s[26:27], exec, s[26:27]
	s_or_b64 s[20:21], s[26:27], s[20:21]
	s_andn2_b64 s[24:25], s[24:25], exec
	s_and_b64 s[4:5], s[4:5], exec
	s_or_b64 s[24:25], s[24:25], s[4:5]
	s_barrier
	s_andn2_b64 exec, exec, s[20:21]
	s_cbranch_execz .LBB23_102
.LBB23_97:                              ;   Parent Loop BB23_6 Depth=1
                                        ; =>  This Inner Loop Header: Depth=2
	v_cmp_gt_u32_e32 vcc, s60, v5
	v_mov_b32_e32 v30, 0
	s_and_saveexec_b64 s[26:27], vcc
	s_cbranch_execz .LBB23_99
; %bb.98:                               ;   in Loop: Header=BB23_97 Depth=2
	global_load_ubyte v30, v4, s[72:73]
.LBB23_99:                              ;   in Loop: Header=BB23_97 Depth=2
	s_or_b64 exec, exec, s[26:27]
	s_and_saveexec_b64 s[26:27], vcc
	s_cbranch_execz .LBB23_96
; %bb.100:                              ;   in Loop: Header=BB23_97 Depth=2
	s_waitcnt vmcnt(0)
	v_add_u32_sdwa v31, sext(v30), s88 dst_sel:DWORD dst_unused:UNUSED_PAD src0_sel:BYTE_0 src1_sel:DWORD
	v_and_b32_e32 v31, v31, v3
	v_cmp_eq_u32_e32 vcc, v31, v2
	s_and_b64 exec, exec, vcc
	s_cbranch_execz .LBB23_96
; %bb.101:                              ;   in Loop: Header=BB23_97 Depth=2
	v_lshlrev_b16_e32 v30, 8, v30
	v_or_b32_e32 v30, 1, v30
	ds_write_b16 v24, v30 offset:3072
	s_branch .LBB23_96
.LBB23_102:                             ;   in Loop: Header=BB23_6 Depth=1
	s_or_b64 exec, exec, s[20:21]
	v_lshrrev_b16_e32 v4, 8, v30
	s_and_b64 s[20:21], s[24:25], exec
.LBB23_103:                             ;   in Loop: Header=BB23_6 Depth=1
	s_or_b64 exec, exec, s[22:23]
	s_mov_b64 s[28:29], -1
	s_mov_b64 s[22:23], 0
	s_mov_b64 s[26:27], 0
.LBB23_104:                             ;   in Loop: Header=BB23_6 Depth=1
	s_orn2_b64 s[38:39], s[20:21], exec
.LBB23_105:                             ;   in Loop: Header=BB23_6 Depth=1
	s_or_b64 exec, exec, s[16:17]
	s_mov_b64 s[30:31], 0
	s_mov_b64 s[24:25], 0
	s_mov_b64 s[20:21], 0
                                        ; implicit-def: $vgpr30
                                        ; implicit-def: $vgpr5
	s_and_saveexec_b64 s[34:35], s[38:39]
	s_cbranch_execz .LBB23_240
; %bb.106:                              ;   in Loop: Header=BB23_6 Depth=1
	s_xor_b64 s[4:5], s[36:37], -1
	v_mov_b32_e32 v5, 1
	v_mov_b32_e32 v30, 1
	s_and_saveexec_b64 s[16:17], s[4:5]
	s_cbranch_execz .LBB23_116
; %bb.107:                              ;   in Loop: Header=BB23_6 Depth=1
	v_cmp_ge_u32_e32 vcc, s13, v29
                                        ; implicit-def: $sgpr4
                                        ; implicit-def: $sgpr20_sgpr21
	s_and_saveexec_b64 s[24:25], vcc
	s_xor_b64 s[24:25], exec, s[24:25]
	s_cbranch_execz .LBB23_113
; %bb.108:                              ;   in Loop: Header=BB23_6 Depth=1
	ds_read_b32 v5, v24 offset:4096
	s_waitcnt lgkmcnt(0)
	v_cmp_ne_u32_e32 vcc, 0, v5
	s_cbranch_vccnz .LBB23_112
; %bb.109:                              ;   in Loop: Header=BB23_6 Depth=1
	s_mov_b64 s[20:21], exec
	v_readlane_b32 s4, v47, 24
	v_readlane_b32 s5, v47, 25
	s_and_b64 s[4:5], s[20:21], s[4:5]
	s_mov_b64 exec, s[4:5]
	s_cbranch_execz .LBB23_111
; %bb.110:                              ;   in Loop: Header=BB23_6 Depth=1
	v_mov_b32_e32 v5, s13
	ds_write_b32 v24, v5 offset:4100
.LBB23_111:                             ;   in Loop: Header=BB23_6 Depth=1
	s_or_b64 exec, exec, s[20:21]
	s_waitcnt lgkmcnt(0)
	s_barrier
.LBB23_112:                             ;   in Loop: Header=BB23_6 Depth=1
	v_and_b32_e32 v2, s6, v2
	v_or_b32_e32 v3, s83, v3
	s_mov_b64 s[20:21], 0
	s_mov_b32 s4, 8
.LBB23_113:                             ;   in Loop: Header=BB23_6 Depth=1
	s_or_saveexec_b64 s[24:25], s[24:25]
	v_mov_b32_e32 v30, s4
	v_mov_b32_e32 v5, v29
	s_xor_b64 exec, exec, s[24:25]
; %bb.114:                              ;   in Loop: Header=BB23_6 Depth=1
	v_subrev_u32_e32 v5, s13, v29
	v_mov_b32_e32 v30, 0
	s_or_b64 s[20:21], s[20:21], exec
; %bb.115:                              ;   in Loop: Header=BB23_6 Depth=1
	s_or_b64 exec, exec, s[24:25]
	s_and_b64 s[20:21], s[20:21], exec
.LBB23_116:                             ;   in Loop: Header=BB23_6 Depth=1
	s_or_b64 exec, exec, s[16:17]
	s_mov_b64 s[38:39], -1
                                        ; implicit-def: $sgpr16_sgpr17
                                        ; implicit-def: $sgpr24_sgpr25
                                        ; implicit-def: $sgpr40_sgpr41
	s_and_saveexec_b64 s[4:5], s[20:21]
	s_xor_b64 s[20:21], exec, s[4:5]
	s_cbranch_execz .LBB23_237
; %bb.117:                              ;   in Loop: Header=BB23_6 Depth=1
	s_cmp_eq_u32 s82, 1
	s_cselect_b64 s[4:5], -1, 0
	v_cmp_eq_u32_e32 vcc, 1, v5
	s_and_b64 s[42:43], s[4:5], vcc
	s_mov_b64 s[46:47], -1
                                        ; implicit-def: $sgpr24_sgpr25
                                        ; implicit-def: $sgpr38_sgpr39
                                        ; implicit-def: $sgpr36_sgpr37
	s_and_saveexec_b64 s[16:17], s[42:43]
	s_cbranch_execz .LBB23_143
; %bb.118:                              ;   in Loop: Header=BB23_6 Depth=1
	ds_read_b32 v4, v24 offset:4096
	s_waitcnt lgkmcnt(0)
	s_barrier
	v_readfirstlane_b32 s4, v4
	s_mov_b64 s[24:25], exec
	v_readlane_b32 s36, v47, 40
	v_readlane_b32 s37, v47, 41
	s_and_b64 s[36:37], s[24:25], s[36:37]
	s_mov_b64 exec, s[36:37]
	s_cbranch_execz .LBB23_120
; %bb.119:                              ;   in Loop: Header=BB23_6 Depth=1
	ds_write_b8 v0, v1 offset:3072
.LBB23_120:                             ;   in Loop: Header=BB23_6 Depth=1
	s_or_b64 exec, exec, s[24:25]
	v_and_b32_e32 v2, s6, v2
	v_lshl_or_b32 v2, 1, s56, v2
	v_or_b32_e32 v3, s83, v3
	s_cmp_eq_u32 s4, 0
	s_waitcnt lgkmcnt(0)
	s_barrier
	s_cbranch_scc1 .LBB23_129
; %bb.121:                              ;   in Loop: Header=BB23_6 Depth=1
	v_readlane_b32 s5, v47, 33
	s_add_i32 s5, s4, s5
	v_readlane_b32 s11, v47, 55
	s_mul_hi_u32 s11, s5, s11
	s_mul_i32 s11, s11, s33
	s_sub_i32 s11, s5, s11
	s_sub_i32 s24, s11, s33
	s_cmp_ge_u32 s11, s33
	s_cselect_b32 s11, s24, s11
	s_sub_i32 s24, s11, s33
	s_cmp_ge_u32 s11, s33
	s_cselect_b32 s11, s24, s11
	s_sub_i32 s5, s5, s11
	v_cmp_gt_u32_e32 vcc, s5, v0
	s_mov_b64 s[40:41], 0
                                        ; implicit-def: $vgpr4
	s_and_saveexec_b64 s[24:25], vcc
	s_cbranch_execz .LBB23_131
; %bb.122:                              ;   in Loop: Header=BB23_6 Depth=1
	s_mov_b64 s[36:37], 0
	v_mov_b32_e32 v4, v0
                                        ; implicit-def: $sgpr38_sgpr39
	s_branch .LBB23_124
.LBB23_123:                             ;   in Loop: Header=BB23_124 Depth=2
	s_or_b64 exec, exec, s[40:41]
	s_waitcnt lgkmcnt(0)
	s_barrier
	ds_read_u16 v30, v24 offset:3072
	v_add_u32_e32 v4, s33, v4
	v_cmp_le_u32_e32 vcc, s5, v4
	s_waitcnt lgkmcnt(0)
	s_barrier
	v_cmp_ne_u16_sdwa s[40:41], v30, v1 src0_sel:BYTE_0 src1_sel:DWORD
	s_or_b64 s[44:45], vcc, s[40:41]
	s_and_b64 s[44:45], exec, s[44:45]
	s_or_b64 s[36:37], s[44:45], s[36:37]
	s_andn2_b64 s[38:39], s[38:39], exec
	s_and_b64 s[40:41], s[40:41], exec
	s_or_b64 s[38:39], s[38:39], s[40:41]
	s_andn2_b64 exec, exec, s[36:37]
	s_cbranch_execz .LBB23_130
.LBB23_124:                             ;   Parent Loop BB23_6 Depth=1
                                        ; =>  This Inner Loop Header: Depth=2
	v_cmp_gt_u32_e32 vcc, s4, v4
	v_mov_b32_e32 v30, 0
	s_and_saveexec_b64 s[40:41], vcc
	s_cbranch_execz .LBB23_126
; %bb.125:                              ;   in Loop: Header=BB23_124 Depth=2
	ds_read_u8 v30, v4
.LBB23_126:                             ;   in Loop: Header=BB23_124 Depth=2
	s_or_b64 exec, exec, s[40:41]
	s_and_saveexec_b64 s[40:41], vcc
	s_cbranch_execz .LBB23_123
; %bb.127:                              ;   in Loop: Header=BB23_124 Depth=2
	s_waitcnt lgkmcnt(0)
	v_add_u32_sdwa v31, sext(v30), s88 dst_sel:DWORD dst_unused:UNUSED_PAD src0_sel:BYTE_0 src1_sel:DWORD
	v_and_b32_e32 v31, v31, v3
	v_cmp_eq_u32_e32 vcc, v31, v2
	s_and_b64 exec, exec, vcc
	s_cbranch_execz .LBB23_123
; %bb.128:                              ;   in Loop: Header=BB23_124 Depth=2
	v_lshlrev_b16_e32 v30, 8, v30
	v_or_b32_e32 v30, 1, v30
	ds_write_b16 v24, v30 offset:3072
	s_branch .LBB23_123
.LBB23_129:                             ;   in Loop: Header=BB23_6 Depth=1
	s_mov_b64 s[24:25], -1
	s_mov_b64 s[40:41], 0
                                        ; implicit-def: $sgpr36_sgpr37
                                        ; implicit-def: $vgpr4
	s_mov_b64 s[38:39], s[24:25]
	s_cbranch_execnz .LBB23_132
	s_branch .LBB23_142
.LBB23_130:                             ;   in Loop: Header=BB23_6 Depth=1
	s_or_b64 exec, exec, s[36:37]
	v_lshrrev_b16_e32 v4, 8, v30
	s_and_b64 s[40:41], s[38:39], exec
.LBB23_131:                             ;   in Loop: Header=BB23_6 Depth=1
	s_or_b64 exec, exec, s[24:25]
	s_mov_b64 s[36:37], -1
	s_mov_b64 s[24:25], 0
	s_mov_b64 s[38:39], s[24:25]
	s_branch .LBB23_142
.LBB23_132:                             ;   in Loop: Header=BB23_6 Depth=1
	s_mov_b64 s[40:41], 0
                                        ; implicit-def: $vgpr4
	s_mov_b64 s[24:25], exec
	v_readlane_b32 s4, v47, 56
	v_readlane_b32 s5, v47, 57
	s_and_b64 s[4:5], s[24:25], s[4:5]
	s_mov_b64 exec, s[4:5]
	s_cbranch_execz .LBB23_141
; %bb.133:                              ;   in Loop: Header=BB23_6 Depth=1
	s_mov_b64 s[36:37], 0
	v_mov_b32_e32 v4, v15
	v_mov_b32_e32 v30, v0
                                        ; implicit-def: $sgpr38_sgpr39
	s_branch .LBB23_135
.LBB23_134:                             ;   in Loop: Header=BB23_135 Depth=2
	s_or_b64 exec, exec, s[40:41]
	s_waitcnt lgkmcnt(0)
	s_barrier
	s_waitcnt vmcnt(0)
	ds_read_u16 v31, v24 offset:3072
	v_add_u32_e32 v30, s33, v30
	v_cmp_le_u32_e32 vcc, s7, v30
	v_add_u32_e32 v4, s8, v4
	s_waitcnt lgkmcnt(0)
	v_cmp_ne_u16_sdwa s[4:5], v31, v1 src0_sel:BYTE_0 src1_sel:DWORD
	s_or_b64 s[40:41], vcc, s[4:5]
	s_and_b64 s[40:41], exec, s[40:41]
	s_or_b64 s[36:37], s[40:41], s[36:37]
	s_andn2_b64 s[38:39], s[38:39], exec
	s_and_b64 s[4:5], s[4:5], exec
	s_or_b64 s[38:39], s[38:39], s[4:5]
	s_barrier
	s_andn2_b64 exec, exec, s[36:37]
	s_cbranch_execz .LBB23_140
.LBB23_135:                             ;   Parent Loop BB23_6 Depth=1
                                        ; =>  This Inner Loop Header: Depth=2
	v_cmp_gt_u32_e32 vcc, s60, v30
	v_mov_b32_e32 v31, 0
	s_and_saveexec_b64 s[40:41], vcc
	s_cbranch_execz .LBB23_137
; %bb.136:                              ;   in Loop: Header=BB23_135 Depth=2
	global_load_ubyte v31, v4, s[72:73]
.LBB23_137:                             ;   in Loop: Header=BB23_135 Depth=2
	s_or_b64 exec, exec, s[40:41]
	s_and_saveexec_b64 s[40:41], vcc
	s_cbranch_execz .LBB23_134
; %bb.138:                              ;   in Loop: Header=BB23_135 Depth=2
	s_waitcnt vmcnt(0)
	v_add_u32_sdwa v32, sext(v31), s88 dst_sel:DWORD dst_unused:UNUSED_PAD src0_sel:BYTE_0 src1_sel:DWORD
	v_and_b32_e32 v32, v32, v3
	v_cmp_eq_u32_e32 vcc, v32, v2
	s_and_b64 exec, exec, vcc
	s_cbranch_execz .LBB23_134
; %bb.139:                              ;   in Loop: Header=BB23_135 Depth=2
	v_lshlrev_b16_e32 v31, 8, v31
	v_or_b32_e32 v31, 1, v31
	ds_write_b16 v24, v31 offset:3072
	s_branch .LBB23_134
.LBB23_140:                             ;   in Loop: Header=BB23_6 Depth=1
	s_or_b64 exec, exec, s[36:37]
	v_lshrrev_b16_e32 v4, 8, v31
	s_and_b64 s[40:41], s[38:39], exec
.LBB23_141:                             ;   in Loop: Header=BB23_6 Depth=1
	s_or_b64 exec, exec, s[24:25]
	s_mov_b64 s[38:39], -1
	s_mov_b64 s[24:25], 0
	s_mov_b64 s[36:37], 0
.LBB23_142:                             ;   in Loop: Header=BB23_6 Depth=1
	s_orn2_b64 s[46:47], s[40:41], exec
.LBB23_143:                             ;   in Loop: Header=BB23_6 Depth=1
	s_or_b64 exec, exec, s[16:17]
	s_mov_b64 s[44:45], 0
                                        ; implicit-def: $vgpr30
	s_and_saveexec_b64 s[40:41], s[46:47]
	s_cbranch_execz .LBB23_236
; %bb.144:                              ;   in Loop: Header=BB23_6 Depth=1
	s_xor_b64 s[4:5], s[42:43], -1
	s_mov_b64 s[46:47], 0
	v_mov_b32_e32 v31, 1
	v_mov_b32_e32 v30, 1
	s_and_saveexec_b64 s[16:17], s[4:5]
	s_cbranch_execz .LBB23_154
; %bb.145:                              ;   in Loop: Header=BB23_6 Depth=1
	v_cmp_ge_u32_e32 vcc, s82, v5
                                        ; implicit-def: $sgpr4
                                        ; implicit-def: $sgpr42_sgpr43
	s_and_saveexec_b64 s[44:45], vcc
	s_xor_b64 s[44:45], exec, s[44:45]
	s_cbranch_execz .LBB23_151
; %bb.146:                              ;   in Loop: Header=BB23_6 Depth=1
	ds_read_b32 v30, v24 offset:4096
	s_waitcnt lgkmcnt(0)
	v_cmp_ne_u32_e32 vcc, 0, v30
	s_cbranch_vccnz .LBB23_150
; %bb.147:                              ;   in Loop: Header=BB23_6 Depth=1
	s_mov_b64 s[42:43], exec
	v_readlane_b32 s4, v47, 24
	v_readlane_b32 s5, v47, 25
	s_and_b64 s[4:5], s[42:43], s[4:5]
	s_mov_b64 exec, s[4:5]
	s_cbranch_execz .LBB23_149
; %bb.148:                              ;   in Loop: Header=BB23_6 Depth=1
	v_mov_b32_e32 v30, s82
	ds_write_b32 v24, v30 offset:4100
.LBB23_149:                             ;   in Loop: Header=BB23_6 Depth=1
	s_or_b64 exec, exec, s[42:43]
	s_waitcnt lgkmcnt(0)
	s_barrier
.LBB23_150:                             ;   in Loop: Header=BB23_6 Depth=1
	v_and_b32_e32 v2, s6, v2
	v_lshl_or_b32 v2, 1, s56, v2
	v_or_b32_e32 v3, s83, v3
	s_mov_b64 s[42:43], 0
	s_mov_b32 s4, 8
.LBB23_151:                             ;   in Loop: Header=BB23_6 Depth=1
	s_or_saveexec_b64 s[44:45], s[44:45]
	v_mov_b32_e32 v30, s4
	s_xor_b64 exec, exec, s[44:45]
; %bb.152:                              ;   in Loop: Header=BB23_6 Depth=1
	v_subrev_u32_e32 v5, s82, v5
	v_mov_b32_e32 v30, 0
	s_or_b64 s[42:43], s[42:43], exec
; %bb.153:                              ;   in Loop: Header=BB23_6 Depth=1
	s_or_b64 exec, exec, s[44:45]
	s_and_b64 s[46:47], s[42:43], exec
	v_mov_b32_e32 v31, v5
.LBB23_154:                             ;   in Loop: Header=BB23_6 Depth=1
	s_or_b64 exec, exec, s[16:17]
	s_mov_b64 s[16:17], -1
                                        ; implicit-def: $sgpr44_sgpr45
                                        ; implicit-def: $sgpr48_sgpr49
                                        ; implicit-def: $sgpr50_sgpr51
	s_and_saveexec_b64 s[42:43], s[46:47]
	s_cbranch_execz .LBB23_235
; %bb.155:                              ;   in Loop: Header=BB23_6 Depth=1
	s_cmp_eq_u32 s57, 1
	s_cselect_b64 s[4:5], -1, 0
	v_cmp_eq_u32_e32 vcc, 1, v31
	s_and_b64 s[52:53], s[4:5], vcc
	s_mov_b64 s[54:55], -1
                                        ; implicit-def: $sgpr44_sgpr45
                                        ; implicit-def: $sgpr48_sgpr49
                                        ; implicit-def: $sgpr46_sgpr47
	s_and_saveexec_b64 s[16:17], s[52:53]
	s_cbranch_execz .LBB23_181
; %bb.156:                              ;   in Loop: Header=BB23_6 Depth=1
	ds_read_b32 v4, v24 offset:4096
	s_waitcnt lgkmcnt(0)
	s_barrier
	v_readfirstlane_b32 s4, v4
	s_mov_b64 s[44:45], exec
	v_readlane_b32 s46, v47, 40
	v_readlane_b32 s47, v47, 41
	s_and_b64 s[46:47], s[44:45], s[46:47]
	s_mov_b64 exec, s[46:47]
	s_cbranch_execz .LBB23_158
; %bb.157:                              ;   in Loop: Header=BB23_6 Depth=1
	ds_write_b8 v0, v1 offset:3072
.LBB23_158:                             ;   in Loop: Header=BB23_6 Depth=1
	s_or_b64 exec, exec, s[44:45]
	v_and_b32_e32 v2, s6, v2
	v_lshl_or_b32 v2, 2, s56, v2
	v_or_b32_e32 v3, s83, v3
	s_cmp_eq_u32 s4, 0
	s_waitcnt lgkmcnt(0)
	s_barrier
	s_cbranch_scc1 .LBB23_167
; %bb.159:                              ;   in Loop: Header=BB23_6 Depth=1
	v_readlane_b32 s5, v47, 33
	s_add_i32 s5, s4, s5
	v_readlane_b32 s11, v47, 55
	s_mul_hi_u32 s11, s5, s11
	s_mul_i32 s11, s11, s33
	s_sub_i32 s11, s5, s11
	s_sub_i32 s44, s11, s33
	s_cmp_ge_u32 s11, s33
	s_cselect_b32 s11, s44, s11
	s_sub_i32 s44, s11, s33
	s_cmp_ge_u32 s11, s33
	s_cselect_b32 s11, s44, s11
	s_sub_i32 s5, s5, s11
	v_cmp_gt_u32_e32 vcc, s5, v0
	s_mov_b64 s[50:51], 0
                                        ; implicit-def: $vgpr4
	s_and_saveexec_b64 s[44:45], vcc
	s_cbranch_execz .LBB23_169
; %bb.160:                              ;   in Loop: Header=BB23_6 Depth=1
	s_mov_b64 s[46:47], 0
	v_mov_b32_e32 v4, v0
                                        ; implicit-def: $sgpr48_sgpr49
	s_branch .LBB23_162
.LBB23_161:                             ;   in Loop: Header=BB23_162 Depth=2
	s_or_b64 exec, exec, s[50:51]
	s_waitcnt lgkmcnt(0)
	s_barrier
	ds_read_u16 v5, v24 offset:3072
	v_add_u32_e32 v4, s33, v4
	v_cmp_le_u32_e32 vcc, s5, v4
	s_waitcnt lgkmcnt(0)
	s_barrier
	v_cmp_ne_u16_sdwa s[50:51], v5, v1 src0_sel:BYTE_0 src1_sel:DWORD
	s_or_b64 s[54:55], vcc, s[50:51]
	s_and_b64 s[54:55], exec, s[54:55]
	s_or_b64 s[46:47], s[54:55], s[46:47]
	s_andn2_b64 s[48:49], s[48:49], exec
	s_and_b64 s[50:51], s[50:51], exec
	s_or_b64 s[48:49], s[48:49], s[50:51]
	s_andn2_b64 exec, exec, s[46:47]
	s_cbranch_execz .LBB23_168
.LBB23_162:                             ;   Parent Loop BB23_6 Depth=1
                                        ; =>  This Inner Loop Header: Depth=2
	v_cmp_gt_u32_e32 vcc, s4, v4
	v_mov_b32_e32 v5, 0
	s_and_saveexec_b64 s[50:51], vcc
	s_cbranch_execz .LBB23_164
; %bb.163:                              ;   in Loop: Header=BB23_162 Depth=2
	ds_read_u8 v5, v4
.LBB23_164:                             ;   in Loop: Header=BB23_162 Depth=2
	s_or_b64 exec, exec, s[50:51]
	s_and_saveexec_b64 s[50:51], vcc
	s_cbranch_execz .LBB23_161
; %bb.165:                              ;   in Loop: Header=BB23_162 Depth=2
	s_waitcnt lgkmcnt(0)
	v_add_u32_sdwa v30, sext(v5), s88 dst_sel:DWORD dst_unused:UNUSED_PAD src0_sel:BYTE_0 src1_sel:DWORD
	v_and_b32_e32 v30, v30, v3
	v_cmp_eq_u32_e32 vcc, v30, v2
	s_and_b64 exec, exec, vcc
	s_cbranch_execz .LBB23_161
; %bb.166:                              ;   in Loop: Header=BB23_162 Depth=2
	v_lshlrev_b16_e32 v5, 8, v5
	v_or_b32_e32 v5, 1, v5
	ds_write_b16 v24, v5 offset:3072
	s_branch .LBB23_161
.LBB23_167:                             ;   in Loop: Header=BB23_6 Depth=1
	s_mov_b64 s[44:45], -1
	s_mov_b64 s[50:51], 0
                                        ; implicit-def: $sgpr46_sgpr47
                                        ; implicit-def: $vgpr4
	s_mov_b64 s[48:49], s[44:45]
	s_cbranch_execnz .LBB23_170
	s_branch .LBB23_180
.LBB23_168:                             ;   in Loop: Header=BB23_6 Depth=1
	s_or_b64 exec, exec, s[46:47]
	v_lshrrev_b16_e32 v4, 8, v5
	s_and_b64 s[50:51], s[48:49], exec
.LBB23_169:                             ;   in Loop: Header=BB23_6 Depth=1
	s_or_b64 exec, exec, s[44:45]
	s_mov_b64 s[46:47], -1
	s_mov_b64 s[44:45], 0
	s_mov_b64 s[48:49], s[44:45]
	s_branch .LBB23_180
.LBB23_170:                             ;   in Loop: Header=BB23_6 Depth=1
	s_mov_b64 s[50:51], 0
                                        ; implicit-def: $vgpr4
	s_mov_b64 s[44:45], exec
	v_readlane_b32 s4, v47, 56
	v_readlane_b32 s5, v47, 57
	s_and_b64 s[4:5], s[44:45], s[4:5]
	s_mov_b64 exec, s[4:5]
	s_cbranch_execz .LBB23_179
; %bb.171:                              ;   in Loop: Header=BB23_6 Depth=1
	s_mov_b64 s[46:47], 0
	v_mov_b32_e32 v4, v15
	v_mov_b32_e32 v5, v0
                                        ; implicit-def: $sgpr48_sgpr49
	s_branch .LBB23_173
.LBB23_172:                             ;   in Loop: Header=BB23_173 Depth=2
	s_or_b64 exec, exec, s[50:51]
	s_waitcnt lgkmcnt(0)
	s_barrier
	s_waitcnt vmcnt(0)
	ds_read_u16 v30, v24 offset:3072
	v_add_u32_e32 v5, s33, v5
	v_cmp_le_u32_e32 vcc, s7, v5
	v_add_u32_e32 v4, s8, v4
	s_waitcnt lgkmcnt(0)
	v_cmp_ne_u16_sdwa s[4:5], v30, v1 src0_sel:BYTE_0 src1_sel:DWORD
	s_or_b64 s[50:51], vcc, s[4:5]
	s_and_b64 s[50:51], exec, s[50:51]
	s_or_b64 s[46:47], s[50:51], s[46:47]
	s_andn2_b64 s[48:49], s[48:49], exec
	s_and_b64 s[4:5], s[4:5], exec
	s_or_b64 s[48:49], s[48:49], s[4:5]
	s_barrier
	s_andn2_b64 exec, exec, s[46:47]
	s_cbranch_execz .LBB23_178
.LBB23_173:                             ;   Parent Loop BB23_6 Depth=1
                                        ; =>  This Inner Loop Header: Depth=2
	v_cmp_gt_u32_e32 vcc, s60, v5
	v_mov_b32_e32 v30, 0
	s_and_saveexec_b64 s[50:51], vcc
	s_cbranch_execz .LBB23_175
; %bb.174:                              ;   in Loop: Header=BB23_173 Depth=2
	global_load_ubyte v30, v4, s[72:73]
.LBB23_175:                             ;   in Loop: Header=BB23_173 Depth=2
	s_or_b64 exec, exec, s[50:51]
	s_and_saveexec_b64 s[50:51], vcc
	s_cbranch_execz .LBB23_172
; %bb.176:                              ;   in Loop: Header=BB23_173 Depth=2
	s_waitcnt vmcnt(0)
	v_add_u32_sdwa v32, sext(v30), s88 dst_sel:DWORD dst_unused:UNUSED_PAD src0_sel:BYTE_0 src1_sel:DWORD
	v_and_b32_e32 v32, v32, v3
	v_cmp_eq_u32_e32 vcc, v32, v2
	s_and_b64 exec, exec, vcc
	s_cbranch_execz .LBB23_172
; %bb.177:                              ;   in Loop: Header=BB23_173 Depth=2
	v_lshlrev_b16_e32 v30, 8, v30
	v_or_b32_e32 v30, 1, v30
	ds_write_b16 v24, v30 offset:3072
	s_branch .LBB23_172
.LBB23_178:                             ;   in Loop: Header=BB23_6 Depth=1
	s_or_b64 exec, exec, s[46:47]
	v_lshrrev_b16_e32 v4, 8, v30
	s_and_b64 s[50:51], s[48:49], exec
.LBB23_179:                             ;   in Loop: Header=BB23_6 Depth=1
	s_or_b64 exec, exec, s[44:45]
	s_mov_b64 s[48:49], -1
	s_mov_b64 s[44:45], 0
	s_mov_b64 s[46:47], 0
.LBB23_180:                             ;   in Loop: Header=BB23_6 Depth=1
	s_orn2_b64 s[54:55], s[50:51], exec
.LBB23_181:                             ;   in Loop: Header=BB23_6 Depth=1
	s_or_b64 exec, exec, s[16:17]
	s_mov_b64 s[16:17], 0
                                        ; implicit-def: $vgpr30
	s_and_saveexec_b64 s[50:51], s[54:55]
	s_cbranch_execz .LBB23_234
; %bb.182:                              ;   in Loop: Header=BB23_6 Depth=1
	s_xor_b64 s[4:5], s[52:53], -1
	s_mov_b64 s[54:55], 0
	v_mov_b32_e32 v5, 1
	v_mov_b32_e32 v30, 1
	s_and_saveexec_b64 s[16:17], s[4:5]
	s_cbranch_execz .LBB23_192
; %bb.183:                              ;   in Loop: Header=BB23_6 Depth=1
	v_cmp_ge_u32_e32 vcc, s57, v31
                                        ; implicit-def: $sgpr4
                                        ; implicit-def: $sgpr52_sgpr53
	s_and_saveexec_b64 s[54:55], vcc
	s_xor_b64 s[54:55], exec, s[54:55]
	s_cbranch_execz .LBB23_189
; %bb.184:                              ;   in Loop: Header=BB23_6 Depth=1
	ds_read_b32 v5, v24 offset:4096
	s_waitcnt lgkmcnt(0)
	v_cmp_ne_u32_e32 vcc, 0, v5
	s_cbranch_vccnz .LBB23_188
; %bb.185:                              ;   in Loop: Header=BB23_6 Depth=1
	s_mov_b64 s[52:53], exec
	v_readlane_b32 s4, v47, 24
	v_readlane_b32 s5, v47, 25
	s_and_b64 s[4:5], s[52:53], s[4:5]
	s_mov_b64 exec, s[4:5]
	s_cbranch_execz .LBB23_187
; %bb.186:                              ;   in Loop: Header=BB23_6 Depth=1
	v_mov_b32_e32 v5, s57
	ds_write_b32 v24, v5 offset:4100
.LBB23_187:                             ;   in Loop: Header=BB23_6 Depth=1
	s_or_b64 exec, exec, s[52:53]
	s_waitcnt lgkmcnt(0)
	s_barrier
.LBB23_188:                             ;   in Loop: Header=BB23_6 Depth=1
	v_and_b32_e32 v2, s6, v2
	v_lshl_or_b32 v2, 2, s56, v2
	v_or_b32_e32 v3, s83, v3
	s_mov_b64 s[52:53], 0
	s_mov_b32 s4, 8
.LBB23_189:                             ;   in Loop: Header=BB23_6 Depth=1
	s_or_saveexec_b64 s[54:55], s[54:55]
	v_mov_b32_e32 v30, s4
	s_xor_b64 exec, exec, s[54:55]
; %bb.190:                              ;   in Loop: Header=BB23_6 Depth=1
	v_subrev_u32_e32 v31, s57, v31
	v_mov_b32_e32 v30, 0
	s_or_b64 s[52:53], s[52:53], exec
; %bb.191:                              ;   in Loop: Header=BB23_6 Depth=1
	s_or_b64 exec, exec, s[54:55]
	s_and_b64 s[54:55], s[52:53], exec
	v_mov_b32_e32 v5, v31
.LBB23_192:                             ;   in Loop: Header=BB23_6 Depth=1
	s_or_b64 exec, exec, s[16:17]
	s_mov_b64 s[16:17], -1
                                        ; implicit-def: $sgpr92_sgpr93
                                        ; implicit-def: $sgpr58_sgpr59
                                        ; implicit-def: $sgpr4_sgpr5
                                        ; kill: killed $sgpr4_sgpr5
	s_and_saveexec_b64 s[52:53], s[54:55]
                                        ; implicit-def: $vgpr46 : SGPR spill to VGPR lane
	s_cbranch_execz .LBB23_233
; %bb.193:                              ;   in Loop: Header=BB23_6 Depth=1
	s_cmp_eq_u32 s10, 1
	s_cselect_b64 s[4:5], -1, 0
	v_cmp_eq_u32_e32 vcc, 1, v5
	s_mov_b64 s[54:55], -1
	s_and_b64 s[4:5], s[4:5], vcc
                                        ; implicit-def: $sgpr92_sgpr93
                                        ; implicit-def: $sgpr58_sgpr59
                                        ; implicit-def: $sgpr16_sgpr17
                                        ; kill: killed $sgpr16_sgpr17
	s_mov_b64 s[16:17], exec
	v_writelane_b32 v47, s4, 61
	v_writelane_b32 v47, s5, 62
	;; [unrolled: 1-line block ×3, first 2 shown]
	s_and_b64 s[4:5], s[16:17], s[4:5]
	v_writelane_b32 v46, s17, 0
	s_mov_b64 exec, s[4:5]
	s_cbranch_execz .LBB23_220
; %bb.194:                              ;   in Loop: Header=BB23_6 Depth=1
	ds_read_b32 v4, v24 offset:4096
	v_readlane_b32 s16, v47, 40
	v_readlane_b32 s17, v47, 41
	s_waitcnt lgkmcnt(0)
	s_barrier
	v_readfirstlane_b32 s4, v4
	s_and_saveexec_b64 s[54:55], s[16:17]
	s_cbranch_execz .LBB23_196
; %bb.195:                              ;   in Loop: Header=BB23_6 Depth=1
	ds_write_b8 v0, v1 offset:3072
.LBB23_196:                             ;   in Loop: Header=BB23_6 Depth=1
	s_or_b64 exec, exec, s[54:55]
	v_or_b32_e32 v2, s83, v2
	v_or_b32_e32 v3, s83, v3
	s_cmp_eq_u32 s4, 0
	s_waitcnt lgkmcnt(0)
	s_barrier
	s_cbranch_scc1 .LBB23_205
; %bb.197:                              ;   in Loop: Header=BB23_6 Depth=1
	v_readlane_b32 s5, v47, 33
	s_add_i32 s5, s4, s5
	v_readlane_b32 s11, v47, 55
	s_mul_hi_u32 s11, s5, s11
	s_mul_i32 s11, s11, s33
	s_sub_i32 s11, s5, s11
	s_sub_i32 s16, s11, s33
	s_cmp_ge_u32 s11, s33
	s_cselect_b32 s11, s16, s11
	s_sub_i32 s16, s11, s33
	s_cmp_ge_u32 s11, s33
	s_cselect_b32 s11, s16, s11
	s_sub_i32 s5, s5, s11
	s_mov_b64 s[54:55], 0
	v_cmp_gt_u32_e32 vcc, s5, v0
                                        ; implicit-def: $vgpr4
	s_mov_b64 s[16:17], exec
	v_writelane_b32 v46, s16, 3
	s_and_b64 s[58:59], s[16:17], vcc
	v_writelane_b32 v46, s17, 4
	s_mov_b64 exec, s[58:59]
	s_cbranch_execz .LBB23_207
; %bb.198:                              ;   in Loop: Header=BB23_6 Depth=1
	v_mov_b32_e32 v4, v0
                                        ; implicit-def: $sgpr58_sgpr59
	s_branch .LBB23_200
.LBB23_199:                             ;   in Loop: Header=BB23_200 Depth=2
	s_or_b64 exec, exec, s[92:93]
	s_waitcnt lgkmcnt(0)
	s_barrier
	ds_read_u16 v30, v24 offset:3072
	v_add_u32_e32 v4, s33, v4
	v_cmp_le_u32_e32 vcc, s5, v4
	s_waitcnt lgkmcnt(0)
	s_barrier
	v_cmp_ne_u16_sdwa s[16:17], v30, v1 src0_sel:BYTE_0 src1_sel:DWORD
	s_or_b64 s[92:93], vcc, s[16:17]
	s_and_b64 s[92:93], exec, s[92:93]
	s_or_b64 s[54:55], s[92:93], s[54:55]
	s_andn2_b64 s[58:59], s[58:59], exec
	s_and_b64 s[16:17], s[16:17], exec
	s_or_b64 s[58:59], s[58:59], s[16:17]
	s_andn2_b64 exec, exec, s[54:55]
	s_cbranch_execz .LBB23_206
.LBB23_200:                             ;   Parent Loop BB23_6 Depth=1
                                        ; =>  This Inner Loop Header: Depth=2
	v_cmp_gt_u32_e32 vcc, s4, v4
	v_mov_b32_e32 v30, 0
	s_and_saveexec_b64 s[92:93], vcc
	s_cbranch_execz .LBB23_202
; %bb.201:                              ;   in Loop: Header=BB23_200 Depth=2
	ds_read_u8 v30, v4
.LBB23_202:                             ;   in Loop: Header=BB23_200 Depth=2
	s_or_b64 exec, exec, s[92:93]
	s_and_saveexec_b64 s[92:93], vcc
	s_cbranch_execz .LBB23_199
; %bb.203:                              ;   in Loop: Header=BB23_200 Depth=2
	s_waitcnt lgkmcnt(0)
	v_add_u32_sdwa v31, sext(v30), s88 dst_sel:DWORD dst_unused:UNUSED_PAD src0_sel:BYTE_0 src1_sel:DWORD
	v_and_b32_e32 v31, v31, v3
	v_cmp_eq_u32_e32 vcc, v31, v2
	s_and_b64 exec, exec, vcc
	s_cbranch_execz .LBB23_199
; %bb.204:                              ;   in Loop: Header=BB23_200 Depth=2
	v_lshlrev_b16_e32 v30, 8, v30
	v_or_b32_e32 v30, 1, v30
	ds_write_b16 v24, v30 offset:3072
	s_branch .LBB23_199
.LBB23_205:                             ;   in Loop: Header=BB23_6 Depth=1
	s_mov_b64 s[92:93], -1
	s_mov_b64 s[54:55], 0
                                        ; implicit-def: $sgpr4_sgpr5
                                        ; implicit-def: $vgpr4
	s_branch .LBB23_208
.LBB23_206:                             ;   in Loop: Header=BB23_6 Depth=1
	s_or_b64 exec, exec, s[54:55]
	v_lshrrev_b16_e32 v4, 8, v30
	s_and_b64 s[54:55], s[58:59], exec
.LBB23_207:                             ;   in Loop: Header=BB23_6 Depth=1
	v_readlane_b32 s4, v46, 3
	v_readlane_b32 s5, v46, 4
	s_or_b64 exec, exec, s[4:5]
	s_mov_b64 s[4:5], -1
	s_mov_b64 s[92:93], 0
.LBB23_208:                             ;   in Loop: Header=BB23_6 Depth=1
	s_and_b64 vcc, exec, s[92:93]
	s_mov_b64 s[58:59], s[92:93]
	s_cbranch_vccz .LBB23_219
; %bb.209:                              ;   in Loop: Header=BB23_6 Depth=1
	s_mov_b64 s[54:55], 0
                                        ; implicit-def: $vgpr4
	s_mov_b64 s[16:17], exec
	v_readlane_b32 s4, v47, 56
	v_readlane_b32 s5, v47, 57
	v_writelane_b32 v46, s16, 5
	s_and_b64 s[4:5], s[16:17], s[4:5]
	v_writelane_b32 v46, s17, 6
	s_mov_b64 exec, s[4:5]
	s_cbranch_execz .LBB23_218
; %bb.210:                              ;   in Loop: Header=BB23_6 Depth=1
	v_mov_b32_e32 v4, v15
	v_mov_b32_e32 v30, v0
                                        ; implicit-def: $sgpr58_sgpr59
	s_branch .LBB23_212
.LBB23_211:                             ;   in Loop: Header=BB23_212 Depth=2
	s_or_b64 exec, exec, s[92:93]
	s_waitcnt lgkmcnt(0)
	s_barrier
	s_waitcnt vmcnt(0)
	ds_read_u16 v31, v24 offset:3072
	v_add_u32_e32 v30, s33, v30
	v_cmp_le_u32_e32 vcc, s7, v30
	v_add_u32_e32 v4, s8, v4
	s_waitcnt lgkmcnt(0)
	v_cmp_ne_u16_sdwa s[4:5], v31, v1 src0_sel:BYTE_0 src1_sel:DWORD
	s_or_b64 s[16:17], vcc, s[4:5]
	s_and_b64 s[16:17], exec, s[16:17]
	s_or_b64 s[54:55], s[16:17], s[54:55]
	s_andn2_b64 s[16:17], s[58:59], exec
	s_and_b64 s[4:5], s[4:5], exec
	s_or_b64 s[58:59], s[16:17], s[4:5]
	s_barrier
	s_andn2_b64 exec, exec, s[54:55]
	s_cbranch_execz .LBB23_217
.LBB23_212:                             ;   Parent Loop BB23_6 Depth=1
                                        ; =>  This Inner Loop Header: Depth=2
	v_cmp_gt_u32_e32 vcc, s60, v30
	v_mov_b32_e32 v31, 0
	s_and_saveexec_b64 s[92:93], vcc
	s_cbranch_execz .LBB23_214
; %bb.213:                              ;   in Loop: Header=BB23_212 Depth=2
	global_load_ubyte v31, v4, s[72:73]
.LBB23_214:                             ;   in Loop: Header=BB23_212 Depth=2
	s_or_b64 exec, exec, s[92:93]
	s_and_saveexec_b64 s[92:93], vcc
	s_cbranch_execz .LBB23_211
; %bb.215:                              ;   in Loop: Header=BB23_212 Depth=2
	s_waitcnt vmcnt(0)
	v_add_u32_sdwa v32, sext(v31), s88 dst_sel:DWORD dst_unused:UNUSED_PAD src0_sel:BYTE_0 src1_sel:DWORD
	v_and_b32_e32 v32, v32, v3
	v_cmp_eq_u32_e32 vcc, v32, v2
	s_and_b64 exec, exec, vcc
	s_cbranch_execz .LBB23_211
; %bb.216:                              ;   in Loop: Header=BB23_212 Depth=2
	v_lshlrev_b16_e32 v31, 8, v31
	v_or_b32_e32 v31, 1, v31
	ds_write_b16 v24, v31 offset:3072
	s_branch .LBB23_211
.LBB23_217:                             ;   in Loop: Header=BB23_6 Depth=1
	s_or_b64 exec, exec, s[54:55]
	v_lshrrev_b16_e32 v4, 8, v31
	s_and_b64 s[54:55], s[58:59], exec
.LBB23_218:                             ;   in Loop: Header=BB23_6 Depth=1
	v_readlane_b32 s4, v46, 5
	v_readlane_b32 s5, v46, 6
	s_or_b64 exec, exec, s[4:5]
	s_mov_b64 s[58:59], -1
	s_mov_b64 s[92:93], 0
	s_mov_b64 s[4:5], 0
.LBB23_219:                             ;   in Loop: Header=BB23_6 Depth=1
	v_writelane_b32 v46, s4, 1
	s_orn2_b64 s[54:55], s[54:55], exec
	v_writelane_b32 v46, s5, 2
.LBB23_220:                             ;   in Loop: Header=BB23_6 Depth=1
	v_readlane_b32 s4, v47, 63
	v_readlane_b32 s5, v46, 0
	s_or_b64 exec, exec, s[4:5]
	s_mov_b64 vcc, 0
                                        ; implicit-def: $vgpr30
                                        ; implicit-def: $vgpr31
	s_and_saveexec_b64 s[16:17], s[54:55]
	s_cbranch_execz .LBB23_232
; %bb.221:                              ;   in Loop: Header=BB23_6 Depth=1
	v_readlane_b32 s4, v47, 61
	v_readlane_b32 s5, v47, 62
	s_xor_b64 s[4:5], s[4:5], -1
	v_mov_b32_e32 v30, 1
	v_mov_b32_e32 v31, 1
	s_and_saveexec_b64 s[54:55], s[4:5]
	s_cbranch_execz .LBB23_231
; %bb.222:                              ;   in Loop: Header=BB23_6 Depth=1
	v_cmp_ge_u32_e32 vcc, s10, v5
                                        ; implicit-def: $sgpr11
	s_and_saveexec_b64 s[4:5], vcc
	s_xor_b64 s[4:5], exec, s[4:5]
	s_cbranch_execz .LBB23_228
; %bb.223:                              ;   in Loop: Header=BB23_6 Depth=1
	ds_read_b32 v30, v24 offset:4096
	s_waitcnt lgkmcnt(0)
	v_cmp_ne_u32_e32 vcc, 0, v30
	s_cbranch_vccnz .LBB23_227
; %bb.224:                              ;   in Loop: Header=BB23_6 Depth=1
	v_writelane_b32 v46, s4, 7
	v_writelane_b32 v46, s5, 8
	s_mov_b64 vcc, exec
	v_readlane_b32 s4, v47, 24
	v_readlane_b32 s5, v47, 25
	s_and_b64 s[4:5], vcc, s[4:5]
	s_mov_b64 exec, s[4:5]
	s_cbranch_execz .LBB23_226
; %bb.225:                              ;   in Loop: Header=BB23_6 Depth=1
	v_mov_b32_e32 v30, s10
	ds_write_b32 v24, v30 offset:4100
.LBB23_226:                             ;   in Loop: Header=BB23_6 Depth=1
	s_or_b64 exec, exec, vcc
	v_readlane_b32 s4, v46, 7
	v_readlane_b32 s5, v46, 8
	s_waitcnt lgkmcnt(0)
	s_barrier
.LBB23_227:                             ;   in Loop: Header=BB23_6 Depth=1
	v_or_b32_e32 v2, s83, v2
	v_or_b32_e32 v3, s83, v3
	s_mov_b32 s11, 8
.LBB23_228:                             ;   in Loop: Header=BB23_6 Depth=1
	s_or_saveexec_b64 vcc, s[4:5]
	v_mov_b32_e32 v30, s11
	s_xor_b64 exec, exec, vcc
; %bb.229:                              ;   in Loop: Header=BB23_6 Depth=1
	v_subrev_u32_e32 v5, s10, v5
	v_mov_b32_e32 v30, 8
; %bb.230:                              ;   in Loop: Header=BB23_6 Depth=1
	s_or_b64 exec, exec, vcc
	v_mov_b32_e32 v31, v5
.LBB23_231:                             ;   in Loop: Header=BB23_6 Depth=1
	s_or_b64 exec, exec, s[54:55]
	s_mov_b64 vcc, exec
.LBB23_232:                             ;   in Loop: Header=BB23_6 Depth=1
	s_or_b64 exec, exec, s[16:17]
	s_orn2_b64 s[16:17], vcc, exec
	v_mov_b32_e32 v5, v31
.LBB23_233:                             ;   in Loop: Header=BB23_6 Depth=1
	s_or_b64 exec, exec, s[52:53]
	s_andn2_b64 s[4:5], s[44:45], exec
	s_and_b64 s[44:45], s[92:93], exec
	s_or_b64 s[44:45], s[4:5], s[44:45]
	s_andn2_b64 s[4:5], s[48:49], exec
	s_and_b64 s[48:49], s[58:59], exec
	s_or_b64 s[48:49], s[4:5], s[48:49]
	s_andn2_b64 s[4:5], s[46:47], exec
	v_readlane_b32 s46, v46, 1
	v_readlane_b32 s47, v46, 2
	s_and_b64 s[46:47], s[46:47], exec
	s_or_b64 s[46:47], s[4:5], s[46:47]
	s_and_b64 s[16:17], s[16:17], exec
	v_mov_b32_e32 v31, v5
.LBB23_234:                             ;   in Loop: Header=BB23_6 Depth=1
	s_or_b64 exec, exec, s[50:51]
	s_and_b64 s[50:51], s[44:45], exec
	s_and_b64 s[48:49], s[48:49], exec
	;; [unrolled: 1-line block ×3, first 2 shown]
	s_orn2_b64 s[16:17], s[16:17], exec
.LBB23_235:                             ;   in Loop: Header=BB23_6 Depth=1
	s_or_b64 exec, exec, s[42:43]
	s_andn2_b64 s[4:5], s[24:25], exec
	s_and_b64 s[24:25], s[50:51], exec
	s_or_b64 s[24:25], s[4:5], s[24:25]
	s_andn2_b64 s[4:5], s[38:39], exec
	s_and_b64 s[38:39], s[48:49], exec
	s_or_b64 s[38:39], s[4:5], s[38:39]
	;; [unrolled: 3-line block ×3, first 2 shown]
	s_and_b64 s[44:45], s[16:17], exec
	v_mov_b32_e32 v5, v31
.LBB23_236:                             ;   in Loop: Header=BB23_6 Depth=1
	s_or_b64 exec, exec, s[40:41]
	s_and_b64 s[40:41], s[24:25], exec
	s_and_b64 s[24:25], s[38:39], exec
	;; [unrolled: 1-line block ×3, first 2 shown]
	s_orn2_b64 s[38:39], s[44:45], exec
.LBB23_237:                             ;   in Loop: Header=BB23_6 Depth=1
	s_or_b64 exec, exec, s[20:21]
	s_mov_b64 s[36:37], 0
	s_mov_b64 s[20:21], 0
	s_and_saveexec_b64 s[4:5], s[38:39]
	s_xor_b64 s[38:39], exec, s[4:5]
; %bb.238:                              ;   in Loop: Header=BB23_6 Depth=1
	v_cmp_eq_u32_e32 vcc, 8, v30
	v_cmp_ne_u32_e64 s[20:21], 8, v30
	s_andn2_b64 s[40:41], s[40:41], exec
	s_andn2_b64 s[24:25], s[24:25], exec
	;; [unrolled: 1-line block ×3, first 2 shown]
	s_and_b64 s[20:21], s[20:21], exec
	s_and_b64 s[36:37], vcc, exec
; %bb.239:                              ;   in Loop: Header=BB23_6 Depth=1
	s_or_b64 exec, exec, s[38:39]
	s_andn2_b64 s[4:5], s[22:23], exec
	s_and_b64 s[22:23], s[40:41], exec
	s_or_b64 s[22:23], s[4:5], s[22:23]
	s_andn2_b64 s[4:5], s[28:29], exec
	s_and_b64 s[24:25], s[24:25], exec
	s_or_b64 s[28:29], s[4:5], s[24:25]
	;; [unrolled: 3-line block ×3, first 2 shown]
	s_and_b64 s[20:21], s[20:21], exec
	s_and_b64 s[24:25], s[36:37], exec
.LBB23_240:                             ;   in Loop: Header=BB23_6 Depth=1
	s_or_b64 exec, exec, s[34:35]
	s_and_b64 vcc, exec, s[30:31]
	s_cbranch_vccz .LBB23_90
.LBB23_241:                             ;   in Loop: Header=BB23_6 Depth=1
	s_cmp_eq_u32 s10, 1
	s_cselect_b64 s[4:5], -1, 0
	s_and_b64 s[18:19], s[4:5], s[18:19]
	s_mov_b64 s[28:29], -1
                                        ; implicit-def: $sgpr30_sgpr31
                                        ; implicit-def: $sgpr34_sgpr35
                                        ; implicit-def: $sgpr22_sgpr23
	s_and_saveexec_b64 s[16:17], s[18:19]
	s_cbranch_execz .LBB23_267
; %bb.242:                              ;   in Loop: Header=BB23_6 Depth=1
	ds_read_b32 v2, v24 offset:4096
	s_waitcnt lgkmcnt(0)
	s_barrier
	v_readfirstlane_b32 s4, v2
	s_mov_b64 s[22:23], exec
	v_readlane_b32 s26, v47, 40
	v_readlane_b32 s27, v47, 41
	s_and_b64 s[26:27], s[22:23], s[26:27]
	s_mov_b64 exec, s[26:27]
	s_cbranch_execz .LBB23_244
; %bb.243:                              ;   in Loop: Header=BB23_6 Depth=1
	ds_write_b8 v0, v1 offset:3072
.LBB23_244:                             ;   in Loop: Header=BB23_6 Depth=1
	s_or_b64 exec, exec, s[22:23]
	v_or_b32_e32 v27, s83, v27
	v_or_b32_e32 v26, s83, v26
	s_cmp_eq_u32 s4, 0
	s_waitcnt lgkmcnt(0)
	s_barrier
	s_cbranch_scc1 .LBB23_253
; %bb.245:                              ;   in Loop: Header=BB23_6 Depth=1
	v_readlane_b32 s5, v47, 33
	s_add_i32 s5, s4, s5
	v_readlane_b32 s11, v47, 55
	s_mul_hi_u32 s11, s5, s11
	s_mul_i32 s11, s11, s33
	s_sub_i32 s11, s5, s11
	s_sub_i32 s22, s11, s33
	s_cmp_ge_u32 s11, s33
	s_cselect_b32 s11, s22, s11
	s_sub_i32 s22, s11, s33
	s_cmp_ge_u32 s11, s33
	s_cselect_b32 s11, s22, s11
	s_sub_i32 s5, s5, s11
	v_cmp_gt_u32_e32 vcc, s5, v0
	s_mov_b64 s[26:27], 0
                                        ; implicit-def: $vgpr28
	s_and_saveexec_b64 s[22:23], vcc
	s_cbranch_execz .LBB23_255
; %bb.246:                              ;   in Loop: Header=BB23_6 Depth=1
	v_mov_b32_e32 v2, v0
                                        ; implicit-def: $sgpr28_sgpr29
	s_branch .LBB23_248
.LBB23_247:                             ;   in Loop: Header=BB23_248 Depth=2
	s_or_b64 exec, exec, s[30:31]
	s_waitcnt lgkmcnt(0)
	s_barrier
	ds_read_u16 v3, v24 offset:3072
	v_add_u32_e32 v2, s33, v2
	v_cmp_le_u32_e32 vcc, s5, v2
	s_waitcnt lgkmcnt(0)
	s_barrier
	v_cmp_ne_u16_sdwa s[30:31], v3, v1 src0_sel:BYTE_0 src1_sel:DWORD
	s_or_b64 s[34:35], vcc, s[30:31]
	s_and_b64 s[34:35], exec, s[34:35]
	s_or_b64 s[26:27], s[34:35], s[26:27]
	s_andn2_b64 s[28:29], s[28:29], exec
	s_and_b64 s[30:31], s[30:31], exec
	s_or_b64 s[28:29], s[28:29], s[30:31]
	s_andn2_b64 exec, exec, s[26:27]
	s_cbranch_execz .LBB23_254
.LBB23_248:                             ;   Parent Loop BB23_6 Depth=1
                                        ; =>  This Inner Loop Header: Depth=2
	v_cmp_gt_u32_e32 vcc, s4, v2
	v_mov_b32_e32 v3, 0
	s_and_saveexec_b64 s[30:31], vcc
	s_cbranch_execz .LBB23_250
; %bb.249:                              ;   in Loop: Header=BB23_248 Depth=2
	ds_read_u8 v3, v2
.LBB23_250:                             ;   in Loop: Header=BB23_248 Depth=2
	s_or_b64 exec, exec, s[30:31]
	s_and_saveexec_b64 s[30:31], vcc
	s_cbranch_execz .LBB23_247
; %bb.251:                              ;   in Loop: Header=BB23_248 Depth=2
	s_waitcnt lgkmcnt(0)
	v_add_u32_sdwa v4, sext(v3), s88 dst_sel:DWORD dst_unused:UNUSED_PAD src0_sel:BYTE_0 src1_sel:DWORD
	v_and_b32_e32 v4, v4, v26
	v_cmp_eq_u32_e32 vcc, v4, v27
	s_and_b64 exec, exec, vcc
	s_cbranch_execz .LBB23_247
; %bb.252:                              ;   in Loop: Header=BB23_248 Depth=2
	v_lshlrev_b16_e32 v3, 8, v3
	v_or_b32_e32 v3, 1, v3
	ds_write_b16 v24, v3 offset:3072
	s_branch .LBB23_247
.LBB23_253:                             ;   in Loop: Header=BB23_6 Depth=1
	s_mov_b64 s[30:31], -1
	s_mov_b64 s[26:27], 0
                                        ; implicit-def: $sgpr34_sgpr35
                                        ; implicit-def: $vgpr28
	s_mov_b64 s[22:23], s[30:31]
	s_cbranch_execnz .LBB23_256
	s_branch .LBB23_266
.LBB23_254:                             ;   in Loop: Header=BB23_6 Depth=1
	s_or_b64 exec, exec, s[26:27]
	v_lshrrev_b16_e32 v28, 8, v3
	s_and_b64 s[26:27], s[28:29], exec
.LBB23_255:                             ;   in Loop: Header=BB23_6 Depth=1
	s_or_b64 exec, exec, s[22:23]
	s_mov_b64 s[30:31], 0
	s_mov_b64 s[34:35], -1
	s_mov_b64 s[22:23], s[30:31]
	s_branch .LBB23_266
.LBB23_256:                             ;   in Loop: Header=BB23_6 Depth=1
	s_mov_b64 s[26:27], 0
                                        ; implicit-def: $vgpr28
	s_mov_b64 s[22:23], exec
	v_readlane_b32 s4, v47, 56
	v_readlane_b32 s5, v47, 57
	s_and_b64 s[4:5], s[22:23], s[4:5]
	s_mov_b64 exec, s[4:5]
	s_cbranch_execz .LBB23_265
; %bb.257:                              ;   in Loop: Header=BB23_6 Depth=1
	v_mov_b32_e32 v2, v15
	v_mov_b32_e32 v3, v0
                                        ; implicit-def: $sgpr28_sgpr29
	s_branch .LBB23_259
.LBB23_258:                             ;   in Loop: Header=BB23_259 Depth=2
	s_or_b64 exec, exec, s[30:31]
	s_waitcnt lgkmcnt(0)
	s_barrier
	s_waitcnt vmcnt(0)
	ds_read_u16 v4, v24 offset:3072
	v_add_u32_e32 v3, s33, v3
	v_cmp_le_u32_e32 vcc, s7, v3
	v_add_u32_e32 v2, s8, v2
	s_waitcnt lgkmcnt(0)
	v_cmp_ne_u16_sdwa s[4:5], v4, v1 src0_sel:BYTE_0 src1_sel:DWORD
	s_or_b64 s[30:31], vcc, s[4:5]
	s_and_b64 s[30:31], exec, s[30:31]
	s_or_b64 s[26:27], s[30:31], s[26:27]
	s_andn2_b64 s[28:29], s[28:29], exec
	s_and_b64 s[4:5], s[4:5], exec
	s_or_b64 s[28:29], s[28:29], s[4:5]
	s_barrier
	s_andn2_b64 exec, exec, s[26:27]
	s_cbranch_execz .LBB23_264
.LBB23_259:                             ;   Parent Loop BB23_6 Depth=1
                                        ; =>  This Inner Loop Header: Depth=2
	v_cmp_gt_u32_e32 vcc, s60, v3
	v_mov_b32_e32 v4, 0
	s_and_saveexec_b64 s[30:31], vcc
	s_cbranch_execz .LBB23_261
; %bb.260:                              ;   in Loop: Header=BB23_259 Depth=2
	global_load_ubyte v4, v2, s[72:73]
.LBB23_261:                             ;   in Loop: Header=BB23_259 Depth=2
	s_or_b64 exec, exec, s[30:31]
	s_and_saveexec_b64 s[30:31], vcc
	s_cbranch_execz .LBB23_258
; %bb.262:                              ;   in Loop: Header=BB23_259 Depth=2
	s_waitcnt vmcnt(0)
	v_add_u32_sdwa v5, sext(v4), s88 dst_sel:DWORD dst_unused:UNUSED_PAD src0_sel:BYTE_0 src1_sel:DWORD
	v_and_b32_e32 v5, v5, v26
	v_cmp_eq_u32_e32 vcc, v5, v27
	s_and_b64 exec, exec, vcc
	s_cbranch_execz .LBB23_258
; %bb.263:                              ;   in Loop: Header=BB23_259 Depth=2
	v_lshlrev_b16_e32 v4, 8, v4
	v_or_b32_e32 v4, 1, v4
	ds_write_b16 v24, v4 offset:3072
	s_branch .LBB23_258
.LBB23_264:                             ;   in Loop: Header=BB23_6 Depth=1
	s_or_b64 exec, exec, s[26:27]
	v_lshrrev_b16_e32 v28, 8, v4
	s_and_b64 s[26:27], s[28:29], exec
.LBB23_265:                             ;   in Loop: Header=BB23_6 Depth=1
	s_or_b64 exec, exec, s[22:23]
	s_mov_b64 s[34:35], 0
	s_mov_b64 s[30:31], -1
	s_mov_b64 s[22:23], 0
.LBB23_266:                             ;   in Loop: Header=BB23_6 Depth=1
	s_orn2_b64 s[28:29], s[26:27], exec
.LBB23_267:                             ;   in Loop: Header=BB23_6 Depth=1
	s_or_b64 exec, exec, s[16:17]
                                        ; implicit-def: $vgpr30
                                        ; implicit-def: $vgpr5
                                        ; implicit-def: $vgpr2
                                        ; implicit-def: $vgpr3
                                        ; implicit-def: $vgpr4
	s_and_saveexec_b64 s[26:27], s[28:29]
	s_cbranch_execz .LBB23_402
; %bb.268:                              ;   in Loop: Header=BB23_6 Depth=1
	s_xor_b64 s[4:5], s[18:19], -1
	s_mov_b64 s[18:19], 0
	v_mov_b32_e32 v5, 1
	v_mov_b32_e32 v30, 1
	s_and_saveexec_b64 s[16:17], s[4:5]
	s_cbranch_execz .LBB23_278
; %bb.269:                              ;   in Loop: Header=BB23_6 Depth=1
	v_cmp_ge_u32_e32 vcc, s10, v29
                                        ; implicit-def: $sgpr4
                                        ; implicit-def: $sgpr18_sgpr19
	s_and_saveexec_b64 s[28:29], vcc
	s_xor_b64 s[28:29], exec, s[28:29]
	s_cbranch_execz .LBB23_275
; %bb.270:                              ;   in Loop: Header=BB23_6 Depth=1
	ds_read_b32 v2, v24 offset:4096
	s_waitcnt lgkmcnt(0)
	v_cmp_ne_u32_e32 vcc, 0, v2
	s_cbranch_vccnz .LBB23_274
; %bb.271:                              ;   in Loop: Header=BB23_6 Depth=1
	s_mov_b64 s[18:19], exec
	v_readlane_b32 s4, v47, 24
	v_readlane_b32 s5, v47, 25
	s_and_b64 s[4:5], s[18:19], s[4:5]
	s_mov_b64 exec, s[4:5]
	s_cbranch_execz .LBB23_273
; %bb.272:                              ;   in Loop: Header=BB23_6 Depth=1
	v_mov_b32_e32 v2, s10
	ds_write_b32 v24, v2 offset:4100
.LBB23_273:                             ;   in Loop: Header=BB23_6 Depth=1
	s_or_b64 exec, exec, s[18:19]
	s_waitcnt lgkmcnt(0)
	s_barrier
.LBB23_274:                             ;   in Loop: Header=BB23_6 Depth=1
	v_or_b32_e32 v27, s83, v27
	v_or_b32_e32 v26, s83, v26
	s_mov_b64 s[18:19], 0
	s_mov_b32 s4, 5
.LBB23_275:                             ;   in Loop: Header=BB23_6 Depth=1
	s_or_saveexec_b64 s[28:29], s[28:29]
	v_mov_b32_e32 v30, s4
	s_xor_b64 exec, exec, s[28:29]
; %bb.276:                              ;   in Loop: Header=BB23_6 Depth=1
	v_subrev_u32_e32 v29, s10, v29
	v_mov_b32_e32 v30, 0
	s_or_b64 s[18:19], s[18:19], exec
; %bb.277:                              ;   in Loop: Header=BB23_6 Depth=1
	s_or_b64 exec, exec, s[28:29]
	s_and_b64 s[18:19], s[18:19], exec
	v_mov_b32_e32 v5, v29
.LBB23_278:                             ;   in Loop: Header=BB23_6 Depth=1
	s_or_b64 exec, exec, s[16:17]
	s_mov_b64 s[38:39], -1
                                        ; implicit-def: $sgpr16_sgpr17
                                        ; implicit-def: $sgpr28_sgpr29
                                        ; implicit-def: $sgpr40_sgpr41
	s_and_saveexec_b64 s[4:5], s[18:19]
	s_xor_b64 s[18:19], exec, s[4:5]
	s_cbranch_execz .LBB23_399
; %bb.279:                              ;   in Loop: Header=BB23_6 Depth=1
	s_cmp_eq_u32 s57, 1
	s_cselect_b64 s[4:5], -1, 0
	v_cmp_eq_u32_e32 vcc, 1, v5
	s_and_b64 s[42:43], s[4:5], vcc
	s_mov_b64 s[46:47], -1
                                        ; implicit-def: $sgpr28_sgpr29
                                        ; implicit-def: $sgpr36_sgpr37
                                        ; implicit-def: $sgpr38_sgpr39
	s_and_saveexec_b64 s[16:17], s[42:43]
	s_cbranch_execz .LBB23_305
; %bb.280:                              ;   in Loop: Header=BB23_6 Depth=1
	ds_read_b32 v2, v24 offset:4096
	s_waitcnt lgkmcnt(0)
	s_barrier
	v_readfirstlane_b32 s4, v2
	s_mov_b64 s[28:29], exec
	v_readlane_b32 s10, v47, 40
	v_readlane_b32 s11, v47, 41
	s_and_b64 s[10:11], s[28:29], s[10:11]
	s_mov_b64 exec, s[10:11]
	s_cbranch_execz .LBB23_282
; %bb.281:                              ;   in Loop: Header=BB23_6 Depth=1
	ds_write_b8 v0, v1 offset:3072
.LBB23_282:                             ;   in Loop: Header=BB23_6 Depth=1
	s_or_b64 exec, exec, s[28:29]
	v_and_b32_e32 v2, s6, v27
	v_lshl_or_b32 v27, 2, s56, v2
	v_or_b32_e32 v26, s83, v26
	s_cmp_eq_u32 s4, 0
	s_waitcnt lgkmcnt(0)
	s_barrier
	s_cbranch_scc1 .LBB23_291
; %bb.283:                              ;   in Loop: Header=BB23_6 Depth=1
	v_readlane_b32 s5, v47, 33
	s_add_i32 s5, s4, s5
	v_readlane_b32 s10, v47, 55
	s_mul_hi_u32 s10, s5, s10
	s_mul_i32 s10, s10, s33
	s_sub_i32 s10, s5, s10
	s_sub_i32 s11, s10, s33
	s_cmp_ge_u32 s10, s33
	s_cselect_b32 s10, s11, s10
	s_sub_i32 s11, s10, s33
	s_cmp_ge_u32 s10, s33
	s_cselect_b32 s10, s11, s10
	s_sub_i32 s5, s5, s10
	v_cmp_gt_u32_e32 vcc, s5, v0
	s_mov_b64 s[40:41], 0
                                        ; implicit-def: $vgpr28
	s_and_saveexec_b64 s[28:29], vcc
	s_cbranch_execz .LBB23_293
; %bb.284:                              ;   in Loop: Header=BB23_6 Depth=1
	s_mov_b64 s[36:37], 0
	v_mov_b32_e32 v2, v0
                                        ; implicit-def: $sgpr38_sgpr39
	s_branch .LBB23_286
.LBB23_285:                             ;   in Loop: Header=BB23_286 Depth=2
	s_or_b64 exec, exec, s[40:41]
	s_waitcnt lgkmcnt(0)
	s_barrier
	ds_read_u16 v3, v24 offset:3072
	v_add_u32_e32 v2, s33, v2
	v_cmp_le_u32_e32 vcc, s5, v2
	s_waitcnt lgkmcnt(0)
	s_barrier
	v_cmp_ne_u16_sdwa s[10:11], v3, v1 src0_sel:BYTE_0 src1_sel:DWORD
	s_or_b64 s[40:41], vcc, s[10:11]
	s_and_b64 s[40:41], exec, s[40:41]
	s_or_b64 s[36:37], s[40:41], s[36:37]
	s_andn2_b64 s[38:39], s[38:39], exec
	s_and_b64 s[10:11], s[10:11], exec
	s_or_b64 s[38:39], s[38:39], s[10:11]
	s_andn2_b64 exec, exec, s[36:37]
	s_cbranch_execz .LBB23_292
.LBB23_286:                             ;   Parent Loop BB23_6 Depth=1
                                        ; =>  This Inner Loop Header: Depth=2
	v_cmp_gt_u32_e32 vcc, s4, v2
	v_mov_b32_e32 v3, 0
	s_and_saveexec_b64 s[40:41], vcc
	s_cbranch_execz .LBB23_288
; %bb.287:                              ;   in Loop: Header=BB23_286 Depth=2
	ds_read_u8 v3, v2
.LBB23_288:                             ;   in Loop: Header=BB23_286 Depth=2
	s_or_b64 exec, exec, s[40:41]
	s_and_saveexec_b64 s[40:41], vcc
	s_cbranch_execz .LBB23_285
; %bb.289:                              ;   in Loop: Header=BB23_286 Depth=2
	s_waitcnt lgkmcnt(0)
	v_add_u32_sdwa v4, sext(v3), s88 dst_sel:DWORD dst_unused:UNUSED_PAD src0_sel:BYTE_0 src1_sel:DWORD
	v_and_b32_e32 v4, v4, v26
	v_cmp_eq_u32_e32 vcc, v4, v27
	s_and_b64 exec, exec, vcc
	s_cbranch_execz .LBB23_285
; %bb.290:                              ;   in Loop: Header=BB23_286 Depth=2
	v_lshlrev_b16_e32 v3, 8, v3
	v_or_b32_e32 v3, 1, v3
	ds_write_b16 v24, v3 offset:3072
	s_branch .LBB23_285
.LBB23_291:                             ;   in Loop: Header=BB23_6 Depth=1
	s_mov_b64 s[28:29], -1
	s_mov_b64 s[40:41], 0
                                        ; implicit-def: $sgpr36_sgpr37
                                        ; implicit-def: $vgpr28
	s_mov_b64 s[38:39], s[28:29]
	s_cbranch_execnz .LBB23_294
	s_branch .LBB23_304
.LBB23_292:                             ;   in Loop: Header=BB23_6 Depth=1
	s_or_b64 exec, exec, s[36:37]
	v_lshrrev_b16_e32 v28, 8, v3
	s_and_b64 s[40:41], s[38:39], exec
.LBB23_293:                             ;   in Loop: Header=BB23_6 Depth=1
	s_or_b64 exec, exec, s[28:29]
	s_mov_b64 s[28:29], 0
	s_mov_b64 s[36:37], -1
	s_mov_b64 s[38:39], s[28:29]
	s_branch .LBB23_304
.LBB23_294:                             ;   in Loop: Header=BB23_6 Depth=1
	s_mov_b64 s[40:41], 0
                                        ; implicit-def: $vgpr28
	s_mov_b64 s[28:29], exec
	v_readlane_b32 s4, v47, 56
	v_readlane_b32 s5, v47, 57
	s_and_b64 s[4:5], s[28:29], s[4:5]
	s_mov_b64 exec, s[4:5]
	s_cbranch_execz .LBB23_303
; %bb.295:                              ;   in Loop: Header=BB23_6 Depth=1
	s_mov_b64 s[36:37], 0
	v_mov_b32_e32 v2, v15
	v_mov_b32_e32 v3, v0
                                        ; implicit-def: $sgpr38_sgpr39
	s_branch .LBB23_297
.LBB23_296:                             ;   in Loop: Header=BB23_297 Depth=2
	s_or_b64 exec, exec, s[40:41]
	s_waitcnt lgkmcnt(0)
	s_barrier
	s_waitcnt vmcnt(0)
	ds_read_u16 v4, v24 offset:3072
	v_add_u32_e32 v3, s33, v3
	v_cmp_le_u32_e32 vcc, s7, v3
	v_add_u32_e32 v2, s8, v2
	s_waitcnt lgkmcnt(0)
	v_cmp_ne_u16_sdwa s[4:5], v4, v1 src0_sel:BYTE_0 src1_sel:DWORD
	s_or_b64 s[10:11], vcc, s[4:5]
	s_and_b64 s[10:11], exec, s[10:11]
	s_or_b64 s[36:37], s[10:11], s[36:37]
	s_andn2_b64 s[10:11], s[38:39], exec
	s_and_b64 s[4:5], s[4:5], exec
	s_or_b64 s[38:39], s[10:11], s[4:5]
	s_barrier
	s_andn2_b64 exec, exec, s[36:37]
	s_cbranch_execz .LBB23_302
.LBB23_297:                             ;   Parent Loop BB23_6 Depth=1
                                        ; =>  This Inner Loop Header: Depth=2
	v_cmp_gt_u32_e32 vcc, s60, v3
	v_mov_b32_e32 v4, 0
	s_and_saveexec_b64 s[40:41], vcc
	s_cbranch_execz .LBB23_299
; %bb.298:                              ;   in Loop: Header=BB23_297 Depth=2
	global_load_ubyte v4, v2, s[72:73]
.LBB23_299:                             ;   in Loop: Header=BB23_297 Depth=2
	s_or_b64 exec, exec, s[40:41]
	s_and_saveexec_b64 s[40:41], vcc
	s_cbranch_execz .LBB23_296
; %bb.300:                              ;   in Loop: Header=BB23_297 Depth=2
	s_waitcnt vmcnt(0)
	v_add_u32_sdwa v28, sext(v4), s88 dst_sel:DWORD dst_unused:UNUSED_PAD src0_sel:BYTE_0 src1_sel:DWORD
	v_and_b32_e32 v28, v28, v26
	v_cmp_eq_u32_e32 vcc, v28, v27
	s_and_b64 exec, exec, vcc
	s_cbranch_execz .LBB23_296
; %bb.301:                              ;   in Loop: Header=BB23_297 Depth=2
	v_lshlrev_b16_e32 v4, 8, v4
	v_or_b32_e32 v4, 1, v4
	ds_write_b16 v24, v4 offset:3072
	s_branch .LBB23_296
.LBB23_302:                             ;   in Loop: Header=BB23_6 Depth=1
	s_or_b64 exec, exec, s[36:37]
	v_lshrrev_b16_e32 v28, 8, v4
	s_and_b64 s[40:41], s[38:39], exec
.LBB23_303:                             ;   in Loop: Header=BB23_6 Depth=1
	s_or_b64 exec, exec, s[28:29]
	s_mov_b64 s[36:37], 0
	s_mov_b64 s[28:29], -1
	s_mov_b64 s[38:39], 0
.LBB23_304:                             ;   in Loop: Header=BB23_6 Depth=1
	s_orn2_b64 s[46:47], s[40:41], exec
.LBB23_305:                             ;   in Loop: Header=BB23_6 Depth=1
	s_or_b64 exec, exec, s[16:17]
	s_mov_b64 s[44:45], 0
                                        ; implicit-def: $vgpr30
	s_and_saveexec_b64 s[40:41], s[46:47]
	s_cbranch_execz .LBB23_398
; %bb.306:                              ;   in Loop: Header=BB23_6 Depth=1
	s_xor_b64 s[4:5], s[42:43], -1
	s_mov_b64 s[48:49], 0
	v_mov_b32_e32 v2, 1
	v_mov_b32_e32 v30, 1
	s_and_saveexec_b64 s[16:17], s[4:5]
	s_cbranch_execz .LBB23_316
; %bb.307:                              ;   in Loop: Header=BB23_6 Depth=1
	v_cmp_ge_u32_e32 vcc, s57, v5
                                        ; implicit-def: $sgpr4
                                        ; implicit-def: $sgpr42_sgpr43
	s_and_saveexec_b64 s[10:11], vcc
	s_xor_b64 s[44:45], exec, s[10:11]
	s_cbranch_execz .LBB23_313
; %bb.308:                              ;   in Loop: Header=BB23_6 Depth=1
	ds_read_b32 v2, v24 offset:4096
	s_waitcnt lgkmcnt(0)
	v_cmp_ne_u32_e32 vcc, 0, v2
	s_cbranch_vccnz .LBB23_312
; %bb.309:                              ;   in Loop: Header=BB23_6 Depth=1
	s_mov_b64 s[42:43], exec
	v_readlane_b32 s4, v47, 24
	v_readlane_b32 s5, v47, 25
	s_and_b64 s[4:5], s[42:43], s[4:5]
	s_mov_b64 exec, s[4:5]
	s_cbranch_execz .LBB23_311
; %bb.310:                              ;   in Loop: Header=BB23_6 Depth=1
	v_mov_b32_e32 v2, s57
	ds_write_b32 v24, v2 offset:4100
.LBB23_311:                             ;   in Loop: Header=BB23_6 Depth=1
	s_or_b64 exec, exec, s[42:43]
	s_waitcnt lgkmcnt(0)
	s_barrier
.LBB23_312:                             ;   in Loop: Header=BB23_6 Depth=1
	v_and_b32_e32 v2, s6, v27
	v_lshl_or_b32 v27, 2, s56, v2
	v_or_b32_e32 v26, s83, v26
	s_mov_b64 s[42:43], 0
	s_mov_b32 s4, 5
.LBB23_313:                             ;   in Loop: Header=BB23_6 Depth=1
	s_or_saveexec_b64 s[44:45], s[44:45]
	v_mov_b32_e32 v30, s4
	s_xor_b64 exec, exec, s[44:45]
; %bb.314:                              ;   in Loop: Header=BB23_6 Depth=1
	v_subrev_u32_e32 v5, s57, v5
	v_mov_b32_e32 v30, 0
	s_or_b64 s[42:43], s[42:43], exec
; %bb.315:                              ;   in Loop: Header=BB23_6 Depth=1
	s_or_b64 exec, exec, s[44:45]
	s_and_b64 s[48:49], s[42:43], exec
	v_mov_b32_e32 v2, v5
.LBB23_316:                             ;   in Loop: Header=BB23_6 Depth=1
	s_or_b64 exec, exec, s[16:17]
	s_mov_b64 s[16:17], -1
                                        ; implicit-def: $sgpr44_sgpr45
                                        ; implicit-def: $sgpr46_sgpr47
                                        ; implicit-def: $sgpr50_sgpr51
	s_and_saveexec_b64 s[42:43], s[48:49]
	s_cbranch_execz .LBB23_397
; %bb.317:                              ;   in Loop: Header=BB23_6 Depth=1
	s_cmp_eq_u32 s82, 1
	s_cselect_b64 s[4:5], -1, 0
	v_cmp_eq_u32_e32 vcc, 1, v2
	s_and_b64 s[52:53], s[4:5], vcc
	s_mov_b64 s[54:55], -1
                                        ; implicit-def: $sgpr44_sgpr45
                                        ; implicit-def: $sgpr46_sgpr47
                                        ; implicit-def: $sgpr48_sgpr49
	s_and_saveexec_b64 s[16:17], s[52:53]
	s_cbranch_execz .LBB23_343
; %bb.318:                              ;   in Loop: Header=BB23_6 Depth=1
	ds_read_b32 v3, v24 offset:4096
	s_waitcnt lgkmcnt(0)
	s_barrier
	v_readfirstlane_b32 s4, v3
	s_mov_b64 s[44:45], exec
	v_readlane_b32 s10, v47, 40
	v_readlane_b32 s11, v47, 41
	s_and_b64 s[10:11], s[44:45], s[10:11]
	s_mov_b64 exec, s[10:11]
	s_cbranch_execz .LBB23_320
; %bb.319:                              ;   in Loop: Header=BB23_6 Depth=1
	ds_write_b8 v0, v1 offset:3072
.LBB23_320:                             ;   in Loop: Header=BB23_6 Depth=1
	s_or_b64 exec, exec, s[44:45]
	v_and_b32_e32 v3, s6, v27
	v_lshl_or_b32 v27, 1, s56, v3
	v_or_b32_e32 v26, s83, v26
	s_cmp_eq_u32 s4, 0
	s_waitcnt lgkmcnt(0)
	s_barrier
	s_cbranch_scc1 .LBB23_329
; %bb.321:                              ;   in Loop: Header=BB23_6 Depth=1
	v_readlane_b32 s5, v47, 33
	s_add_i32 s5, s4, s5
	v_readlane_b32 s10, v47, 55
	s_mul_hi_u32 s10, s5, s10
	s_mul_i32 s10, s10, s33
	s_sub_i32 s10, s5, s10
	s_sub_i32 s11, s10, s33
	s_cmp_ge_u32 s10, s33
	s_cselect_b32 s10, s11, s10
	s_sub_i32 s11, s10, s33
	s_cmp_ge_u32 s10, s33
	s_cselect_b32 s10, s11, s10
	s_sub_i32 s5, s5, s10
	v_cmp_gt_u32_e32 vcc, s5, v0
	s_mov_b64 s[50:51], 0
                                        ; implicit-def: $vgpr28
	s_and_saveexec_b64 s[44:45], vcc
	s_cbranch_execz .LBB23_331
; %bb.322:                              ;   in Loop: Header=BB23_6 Depth=1
	s_mov_b64 s[46:47], 0
	v_mov_b32_e32 v3, v0
                                        ; implicit-def: $sgpr48_sgpr49
	s_branch .LBB23_324
.LBB23_323:                             ;   in Loop: Header=BB23_324 Depth=2
	s_or_b64 exec, exec, s[50:51]
	s_waitcnt lgkmcnt(0)
	s_barrier
	ds_read_u16 v4, v24 offset:3072
	v_add_u32_e32 v3, s33, v3
	v_cmp_le_u32_e32 vcc, s5, v3
	s_waitcnt lgkmcnt(0)
	s_barrier
	v_cmp_ne_u16_sdwa s[10:11], v4, v1 src0_sel:BYTE_0 src1_sel:DWORD
	s_or_b64 s[50:51], vcc, s[10:11]
	s_and_b64 s[50:51], exec, s[50:51]
	s_or_b64 s[46:47], s[50:51], s[46:47]
	s_andn2_b64 s[48:49], s[48:49], exec
	s_and_b64 s[10:11], s[10:11], exec
	s_or_b64 s[48:49], s[48:49], s[10:11]
	s_andn2_b64 exec, exec, s[46:47]
	s_cbranch_execz .LBB23_330
.LBB23_324:                             ;   Parent Loop BB23_6 Depth=1
                                        ; =>  This Inner Loop Header: Depth=2
	v_cmp_gt_u32_e32 vcc, s4, v3
	v_mov_b32_e32 v4, 0
	s_and_saveexec_b64 s[50:51], vcc
	s_cbranch_execz .LBB23_326
; %bb.325:                              ;   in Loop: Header=BB23_324 Depth=2
	ds_read_u8 v4, v3
.LBB23_326:                             ;   in Loop: Header=BB23_324 Depth=2
	s_or_b64 exec, exec, s[50:51]
	s_and_saveexec_b64 s[50:51], vcc
	s_cbranch_execz .LBB23_323
; %bb.327:                              ;   in Loop: Header=BB23_324 Depth=2
	s_waitcnt lgkmcnt(0)
	v_add_u32_sdwa v5, sext(v4), s88 dst_sel:DWORD dst_unused:UNUSED_PAD src0_sel:BYTE_0 src1_sel:DWORD
	v_and_b32_e32 v5, v5, v26
	v_cmp_eq_u32_e32 vcc, v5, v27
	s_and_b64 exec, exec, vcc
	s_cbranch_execz .LBB23_323
; %bb.328:                              ;   in Loop: Header=BB23_324 Depth=2
	v_lshlrev_b16_e32 v4, 8, v4
	v_or_b32_e32 v4, 1, v4
	ds_write_b16 v24, v4 offset:3072
	s_branch .LBB23_323
.LBB23_329:                             ;   in Loop: Header=BB23_6 Depth=1
	s_mov_b64 s[44:45], -1
	s_mov_b64 s[50:51], 0
                                        ; implicit-def: $sgpr46_sgpr47
                                        ; implicit-def: $vgpr28
	s_mov_b64 s[48:49], s[44:45]
	s_cbranch_execnz .LBB23_332
	s_branch .LBB23_342
.LBB23_330:                             ;   in Loop: Header=BB23_6 Depth=1
	s_or_b64 exec, exec, s[46:47]
	v_lshrrev_b16_e32 v28, 8, v4
	s_and_b64 s[50:51], s[48:49], exec
.LBB23_331:                             ;   in Loop: Header=BB23_6 Depth=1
	s_or_b64 exec, exec, s[44:45]
	s_mov_b64 s[44:45], 0
	s_mov_b64 s[46:47], -1
	s_mov_b64 s[48:49], s[44:45]
	s_branch .LBB23_342
.LBB23_332:                             ;   in Loop: Header=BB23_6 Depth=1
	s_mov_b64 s[50:51], 0
                                        ; implicit-def: $vgpr28
	s_mov_b64 s[44:45], exec
	v_readlane_b32 s4, v47, 56
	v_readlane_b32 s5, v47, 57
	s_and_b64 s[4:5], s[44:45], s[4:5]
	s_mov_b64 exec, s[4:5]
	s_cbranch_execz .LBB23_341
; %bb.333:                              ;   in Loop: Header=BB23_6 Depth=1
	s_mov_b64 s[46:47], 0
	v_mov_b32_e32 v3, v15
	v_mov_b32_e32 v4, v0
                                        ; implicit-def: $sgpr48_sgpr49
	s_branch .LBB23_335
.LBB23_334:                             ;   in Loop: Header=BB23_335 Depth=2
	s_or_b64 exec, exec, s[50:51]
	s_waitcnt lgkmcnt(0)
	s_barrier
	s_waitcnt vmcnt(0)
	ds_read_u16 v5, v24 offset:3072
	v_add_u32_e32 v4, s33, v4
	v_cmp_le_u32_e32 vcc, s7, v4
	v_add_u32_e32 v3, s8, v3
	s_waitcnt lgkmcnt(0)
	v_cmp_ne_u16_sdwa s[4:5], v5, v1 src0_sel:BYTE_0 src1_sel:DWORD
	s_or_b64 s[10:11], vcc, s[4:5]
	s_and_b64 s[10:11], exec, s[10:11]
	s_or_b64 s[46:47], s[10:11], s[46:47]
	s_andn2_b64 s[10:11], s[48:49], exec
	s_and_b64 s[4:5], s[4:5], exec
	s_or_b64 s[48:49], s[10:11], s[4:5]
	s_barrier
	s_andn2_b64 exec, exec, s[46:47]
	s_cbranch_execz .LBB23_340
.LBB23_335:                             ;   Parent Loop BB23_6 Depth=1
                                        ; =>  This Inner Loop Header: Depth=2
	v_cmp_gt_u32_e32 vcc, s60, v4
	v_mov_b32_e32 v5, 0
	s_and_saveexec_b64 s[50:51], vcc
	s_cbranch_execz .LBB23_337
; %bb.336:                              ;   in Loop: Header=BB23_335 Depth=2
	global_load_ubyte v5, v3, s[72:73]
.LBB23_337:                             ;   in Loop: Header=BB23_335 Depth=2
	s_or_b64 exec, exec, s[50:51]
	s_and_saveexec_b64 s[50:51], vcc
	s_cbranch_execz .LBB23_334
; %bb.338:                              ;   in Loop: Header=BB23_335 Depth=2
	s_waitcnt vmcnt(0)
	v_add_u32_sdwa v28, sext(v5), s88 dst_sel:DWORD dst_unused:UNUSED_PAD src0_sel:BYTE_0 src1_sel:DWORD
	v_and_b32_e32 v28, v28, v26
	v_cmp_eq_u32_e32 vcc, v28, v27
	s_and_b64 exec, exec, vcc
	s_cbranch_execz .LBB23_334
; %bb.339:                              ;   in Loop: Header=BB23_335 Depth=2
	v_lshlrev_b16_e32 v5, 8, v5
	v_or_b32_e32 v5, 1, v5
	ds_write_b16 v24, v5 offset:3072
	s_branch .LBB23_334
.LBB23_340:                             ;   in Loop: Header=BB23_6 Depth=1
	s_or_b64 exec, exec, s[46:47]
	v_lshrrev_b16_e32 v28, 8, v5
	s_and_b64 s[50:51], s[48:49], exec
.LBB23_341:                             ;   in Loop: Header=BB23_6 Depth=1
	s_or_b64 exec, exec, s[44:45]
	s_mov_b64 s[46:47], 0
	s_mov_b64 s[44:45], -1
	s_mov_b64 s[48:49], 0
.LBB23_342:                             ;   in Loop: Header=BB23_6 Depth=1
	s_orn2_b64 s[54:55], s[50:51], exec
.LBB23_343:                             ;   in Loop: Header=BB23_6 Depth=1
	s_or_b64 exec, exec, s[16:17]
	s_mov_b64 s[16:17], 0
                                        ; implicit-def: $vgpr30
	s_and_saveexec_b64 s[50:51], s[54:55]
	s_cbranch_execz .LBB23_396
; %bb.344:                              ;   in Loop: Header=BB23_6 Depth=1
	s_xor_b64 s[4:5], s[52:53], -1
	s_mov_b64 s[54:55], 0
	v_mov_b32_e32 v3, 1
	v_mov_b32_e32 v30, 1
	s_and_saveexec_b64 s[16:17], s[4:5]
	s_cbranch_execz .LBB23_354
; %bb.345:                              ;   in Loop: Header=BB23_6 Depth=1
	v_cmp_ge_u32_e32 vcc, s82, v2
                                        ; implicit-def: $sgpr4
                                        ; implicit-def: $sgpr52_sgpr53
	s_and_saveexec_b64 s[10:11], vcc
	s_xor_b64 s[54:55], exec, s[10:11]
	s_cbranch_execz .LBB23_351
; %bb.346:                              ;   in Loop: Header=BB23_6 Depth=1
	ds_read_b32 v3, v24 offset:4096
	s_waitcnt lgkmcnt(0)
	v_cmp_ne_u32_e32 vcc, 0, v3
	s_cbranch_vccnz .LBB23_350
; %bb.347:                              ;   in Loop: Header=BB23_6 Depth=1
	s_mov_b64 s[52:53], exec
	v_readlane_b32 s4, v47, 24
	v_readlane_b32 s5, v47, 25
	s_and_b64 s[4:5], s[52:53], s[4:5]
	s_mov_b64 exec, s[4:5]
	s_cbranch_execz .LBB23_349
; %bb.348:                              ;   in Loop: Header=BB23_6 Depth=1
	v_mov_b32_e32 v3, s82
	ds_write_b32 v24, v3 offset:4100
.LBB23_349:                             ;   in Loop: Header=BB23_6 Depth=1
	s_or_b64 exec, exec, s[52:53]
	s_waitcnt lgkmcnt(0)
	s_barrier
.LBB23_350:                             ;   in Loop: Header=BB23_6 Depth=1
	v_and_b32_e32 v3, s6, v27
	v_lshl_or_b32 v27, 1, s56, v3
	v_or_b32_e32 v26, s83, v26
	s_mov_b64 s[52:53], 0
	s_mov_b32 s4, 5
.LBB23_351:                             ;   in Loop: Header=BB23_6 Depth=1
	s_or_saveexec_b64 s[54:55], s[54:55]
	v_mov_b32_e32 v30, s4
	s_xor_b64 exec, exec, s[54:55]
; %bb.352:                              ;   in Loop: Header=BB23_6 Depth=1
	v_subrev_u32_e32 v2, s82, v2
	v_mov_b32_e32 v30, 0
	s_or_b64 s[52:53], s[52:53], exec
; %bb.353:                              ;   in Loop: Header=BB23_6 Depth=1
	s_or_b64 exec, exec, s[54:55]
	s_and_b64 s[54:55], s[52:53], exec
	v_mov_b32_e32 v3, v2
.LBB23_354:                             ;   in Loop: Header=BB23_6 Depth=1
	s_or_b64 exec, exec, s[16:17]
	s_mov_b64 s[16:17], -1
                                        ; implicit-def: $sgpr56_sgpr57
                                        ; implicit-def: $sgpr58_sgpr59
                                        ; implicit-def: $sgpr92_sgpr93
	s_and_saveexec_b64 s[52:53], s[54:55]
	s_cbranch_execz .LBB23_395
; %bb.355:                              ;   in Loop: Header=BB23_6 Depth=1
	s_cmp_eq_u32 s13, 1
	s_cselect_b64 s[4:5], -1, 0
	v_cmp_eq_u32_e32 vcc, 1, v3
	s_mov_b64 s[54:55], -1
	s_and_b64 s[4:5], s[4:5], vcc
                                        ; implicit-def: $sgpr56_sgpr57
                                        ; implicit-def: $sgpr58_sgpr59
                                        ; implicit-def: $sgpr92_sgpr93
	s_mov_b64 s[16:17], exec
	v_writelane_b32 v47, s4, 59
	v_writelane_b32 v47, s5, 60
	s_and_b64 s[4:5], s[16:17], s[4:5]
	s_mov_b64 exec, s[4:5]
	s_cbranch_execz .LBB23_382
; %bb.356:                              ;   in Loop: Header=BB23_6 Depth=1
	ds_read_b32 v2, v24 offset:4096
	s_waitcnt lgkmcnt(0)
	s_barrier
	v_readfirstlane_b32 s4, v2
	s_mov_b64 s[54:55], exec
	v_readlane_b32 s10, v47, 40
	v_readlane_b32 s11, v47, 41
	s_and_b64 s[10:11], s[54:55], s[10:11]
	s_mov_b64 exec, s[10:11]
	s_cbranch_execz .LBB23_358
; %bb.357:                              ;   in Loop: Header=BB23_6 Depth=1
	ds_write_b8 v0, v1 offset:3072
.LBB23_358:                             ;   in Loop: Header=BB23_6 Depth=1
	s_or_b64 exec, exec, s[54:55]
	v_and_b32_e32 v27, s6, v27
	v_or_b32_e32 v26, s83, v26
	s_cmp_eq_u32 s4, 0
	s_waitcnt lgkmcnt(0)
	s_barrier
	s_cbranch_scc1 .LBB23_367
; %bb.359:                              ;   in Loop: Header=BB23_6 Depth=1
	v_readlane_b32 s5, v47, 33
	s_add_i32 s5, s4, s5
	v_readlane_b32 s10, v47, 55
	s_mul_hi_u32 s10, s5, s10
	s_mul_i32 s10, s10, s33
	s_sub_i32 s10, s5, s10
	s_sub_i32 s11, s10, s33
	s_cmp_ge_u32 s10, s33
	s_cselect_b32 s10, s11, s10
	s_sub_i32 s11, s10, s33
	s_cmp_ge_u32 s10, s33
	s_cselect_b32 s10, s11, s10
	s_sub_i32 s5, s5, s10
	v_cmp_gt_u32_e32 vcc, s5, v0
	s_mov_b64 s[54:55], 0
                                        ; implicit-def: $vgpr28
	s_and_saveexec_b64 s[56:57], vcc
	s_cbranch_execz .LBB23_369
; %bb.360:                              ;   in Loop: Header=BB23_6 Depth=1
	v_mov_b32_e32 v2, v0
                                        ; implicit-def: $sgpr58_sgpr59
	s_branch .LBB23_362
.LBB23_361:                             ;   in Loop: Header=BB23_362 Depth=2
	s_or_b64 exec, exec, s[92:93]
	s_waitcnt lgkmcnt(0)
	s_barrier
	ds_read_u16 v4, v24 offset:3072
	v_add_u32_e32 v2, s33, v2
	v_cmp_le_u32_e32 vcc, s5, v2
	s_waitcnt lgkmcnt(0)
	s_barrier
	v_cmp_ne_u16_sdwa s[10:11], v4, v1 src0_sel:BYTE_0 src1_sel:DWORD
	s_or_b64 s[92:93], vcc, s[10:11]
	s_and_b64 s[92:93], exec, s[92:93]
	s_or_b64 s[54:55], s[92:93], s[54:55]
	s_andn2_b64 s[58:59], s[58:59], exec
	s_and_b64 s[10:11], s[10:11], exec
	s_or_b64 s[58:59], s[58:59], s[10:11]
	s_andn2_b64 exec, exec, s[54:55]
	s_cbranch_execz .LBB23_368
.LBB23_362:                             ;   Parent Loop BB23_6 Depth=1
                                        ; =>  This Inner Loop Header: Depth=2
	v_cmp_gt_u32_e32 vcc, s4, v2
	v_mov_b32_e32 v4, 0
	s_and_saveexec_b64 s[92:93], vcc
	s_cbranch_execz .LBB23_364
; %bb.363:                              ;   in Loop: Header=BB23_362 Depth=2
	ds_read_u8 v4, v2
.LBB23_364:                             ;   in Loop: Header=BB23_362 Depth=2
	s_or_b64 exec, exec, s[92:93]
	s_and_saveexec_b64 s[92:93], vcc
	s_cbranch_execz .LBB23_361
; %bb.365:                              ;   in Loop: Header=BB23_362 Depth=2
	s_waitcnt lgkmcnt(0)
	v_add_u32_sdwa v5, sext(v4), s88 dst_sel:DWORD dst_unused:UNUSED_PAD src0_sel:BYTE_0 src1_sel:DWORD
	v_and_b32_e32 v5, v5, v26
	v_cmp_eq_u32_e32 vcc, v5, v27
	s_and_b64 exec, exec, vcc
	s_cbranch_execz .LBB23_361
; %bb.366:                              ;   in Loop: Header=BB23_362 Depth=2
	v_lshlrev_b16_e32 v4, 8, v4
	v_or_b32_e32 v4, 1, v4
	ds_write_b16 v24, v4 offset:3072
	s_branch .LBB23_361
.LBB23_367:                             ;   in Loop: Header=BB23_6 Depth=1
	s_mov_b64 s[56:57], -1
	s_mov_b64 s[54:55], 0
                                        ; implicit-def: $sgpr58_sgpr59
                                        ; implicit-def: $vgpr28
	s_branch .LBB23_370
.LBB23_368:                             ;   in Loop: Header=BB23_6 Depth=1
	s_or_b64 exec, exec, s[54:55]
	v_lshrrev_b16_e32 v28, 8, v4
	s_and_b64 s[54:55], s[58:59], exec
.LBB23_369:                             ;   in Loop: Header=BB23_6 Depth=1
	s_or_b64 exec, exec, s[56:57]
	s_mov_b64 s[56:57], 0
	s_mov_b64 s[58:59], -1
.LBB23_370:                             ;   in Loop: Header=BB23_6 Depth=1
	s_and_b64 vcc, exec, s[56:57]
	s_mov_b64 s[92:93], s[56:57]
	s_cbranch_vccz .LBB23_381
; %bb.371:                              ;   in Loop: Header=BB23_6 Depth=1
	s_mov_b64 s[54:55], 0
                                        ; implicit-def: $vgpr28
	s_mov_b64 s[56:57], exec
	v_readlane_b32 s4, v47, 56
	v_readlane_b32 s5, v47, 57
	s_and_b64 s[4:5], s[56:57], s[4:5]
	s_mov_b64 exec, s[4:5]
	s_cbranch_execz .LBB23_380
; %bb.372:                              ;   in Loop: Header=BB23_6 Depth=1
	v_mov_b32_e32 v2, v15
	v_mov_b32_e32 v4, v0
                                        ; implicit-def: $sgpr58_sgpr59
	s_branch .LBB23_374
.LBB23_373:                             ;   in Loop: Header=BB23_374 Depth=2
	s_or_b64 exec, exec, s[92:93]
	s_waitcnt lgkmcnt(0)
	s_barrier
	s_waitcnt vmcnt(0)
	ds_read_u16 v5, v24 offset:3072
	v_add_u32_e32 v4, s33, v4
	v_cmp_le_u32_e32 vcc, s7, v4
	v_add_u32_e32 v2, s8, v2
	s_waitcnt lgkmcnt(0)
	v_cmp_ne_u16_sdwa s[4:5], v5, v1 src0_sel:BYTE_0 src1_sel:DWORD
	s_or_b64 s[10:11], vcc, s[4:5]
	s_and_b64 s[10:11], exec, s[10:11]
	s_or_b64 s[54:55], s[10:11], s[54:55]
	s_andn2_b64 s[10:11], s[58:59], exec
	s_and_b64 s[4:5], s[4:5], exec
	s_or_b64 s[58:59], s[10:11], s[4:5]
	s_barrier
	s_andn2_b64 exec, exec, s[54:55]
	s_cbranch_execz .LBB23_379
.LBB23_374:                             ;   Parent Loop BB23_6 Depth=1
                                        ; =>  This Inner Loop Header: Depth=2
	v_cmp_gt_u32_e32 vcc, s60, v4
	v_mov_b32_e32 v5, 0
	s_and_saveexec_b64 s[92:93], vcc
	s_cbranch_execz .LBB23_376
; %bb.375:                              ;   in Loop: Header=BB23_374 Depth=2
	global_load_ubyte v5, v2, s[72:73]
.LBB23_376:                             ;   in Loop: Header=BB23_374 Depth=2
	s_or_b64 exec, exec, s[92:93]
	s_and_saveexec_b64 s[92:93], vcc
	s_cbranch_execz .LBB23_373
; %bb.377:                              ;   in Loop: Header=BB23_374 Depth=2
	s_waitcnt vmcnt(0)
	v_add_u32_sdwa v28, sext(v5), s88 dst_sel:DWORD dst_unused:UNUSED_PAD src0_sel:BYTE_0 src1_sel:DWORD
	v_and_b32_e32 v28, v28, v26
	v_cmp_eq_u32_e32 vcc, v28, v27
	s_and_b64 exec, exec, vcc
	s_cbranch_execz .LBB23_373
; %bb.378:                              ;   in Loop: Header=BB23_374 Depth=2
	v_lshlrev_b16_e32 v5, 8, v5
	v_or_b32_e32 v5, 1, v5
	ds_write_b16 v24, v5 offset:3072
	s_branch .LBB23_373
.LBB23_379:                             ;   in Loop: Header=BB23_6 Depth=1
	s_or_b64 exec, exec, s[54:55]
	v_lshrrev_b16_e32 v28, 8, v5
	s_and_b64 s[54:55], s[58:59], exec
.LBB23_380:                             ;   in Loop: Header=BB23_6 Depth=1
	s_or_b64 exec, exec, s[56:57]
	s_mov_b64 s[58:59], 0
	s_mov_b64 s[56:57], -1
	s_mov_b64 s[92:93], 0
.LBB23_381:                             ;   in Loop: Header=BB23_6 Depth=1
	s_orn2_b64 s[54:55], s[54:55], exec
.LBB23_382:                             ;   in Loop: Header=BB23_6 Depth=1
	s_or_b64 exec, exec, s[16:17]
	s_mov_b64 vcc, 0
                                        ; implicit-def: $vgpr30
                                        ; implicit-def: $vgpr2
	s_and_saveexec_b64 s[16:17], s[54:55]
	s_cbranch_execz .LBB23_394
; %bb.383:                              ;   in Loop: Header=BB23_6 Depth=1
	v_readlane_b32 s4, v47, 59
	v_readlane_b32 s5, v47, 60
	s_xor_b64 s[4:5], s[4:5], -1
	v_mov_b32_e32 v30, 1
	v_mov_b32_e32 v2, 1
	s_and_saveexec_b64 s[54:55], s[4:5]
	s_cbranch_execz .LBB23_393
; %bb.384:                              ;   in Loop: Header=BB23_6 Depth=1
	v_cmp_ge_u32_e32 vcc, s13, v3
                                        ; implicit-def: $sgpr4
	s_and_saveexec_b64 s[10:11], vcc
	s_xor_b64 s[10:11], exec, s[10:11]
	s_cbranch_execz .LBB23_390
; %bb.385:                              ;   in Loop: Header=BB23_6 Depth=1
	ds_read_b32 v2, v24 offset:4096
	s_waitcnt lgkmcnt(0)
	v_cmp_ne_u32_e32 vcc, 0, v2
	s_cbranch_vccnz .LBB23_389
; %bb.386:                              ;   in Loop: Header=BB23_6 Depth=1
	s_mov_b64 vcc, exec
	v_readlane_b32 s4, v47, 24
	v_readlane_b32 s5, v47, 25
	s_and_b64 s[4:5], vcc, s[4:5]
	s_mov_b64 exec, s[4:5]
	s_cbranch_execz .LBB23_388
; %bb.387:                              ;   in Loop: Header=BB23_6 Depth=1
	v_mov_b32_e32 v2, s13
	ds_write_b32 v24, v2 offset:4100
.LBB23_388:                             ;   in Loop: Header=BB23_6 Depth=1
	s_or_b64 exec, exec, vcc
	s_waitcnt lgkmcnt(0)
	s_barrier
.LBB23_389:                             ;   in Loop: Header=BB23_6 Depth=1
	v_and_b32_e32 v27, s6, v27
	v_or_b32_e32 v26, s83, v26
	s_mov_b32 s4, 5
.LBB23_390:                             ;   in Loop: Header=BB23_6 Depth=1
	s_or_saveexec_b64 vcc, s[10:11]
	v_mov_b32_e32 v30, s4
	s_xor_b64 exec, exec, vcc
; %bb.391:                              ;   in Loop: Header=BB23_6 Depth=1
	v_subrev_u32_e32 v3, s13, v3
	v_mov_b32_e32 v30, 5
; %bb.392:                              ;   in Loop: Header=BB23_6 Depth=1
	s_or_b64 exec, exec, vcc
	v_mov_b32_e32 v2, v3
.LBB23_393:                             ;   in Loop: Header=BB23_6 Depth=1
	s_or_b64 exec, exec, s[54:55]
	s_mov_b64 vcc, exec
.LBB23_394:                             ;   in Loop: Header=BB23_6 Depth=1
	s_or_b64 exec, exec, s[16:17]
	s_orn2_b64 s[16:17], vcc, exec
	v_mov_b32_e32 v3, v2
.LBB23_395:                             ;   in Loop: Header=BB23_6 Depth=1
	s_or_b64 exec, exec, s[52:53]
	s_andn2_b64 s[4:5], s[44:45], exec
	s_and_b64 s[10:11], s[56:57], exec
	s_or_b64 s[44:45], s[4:5], s[10:11]
	s_andn2_b64 s[4:5], s[46:47], exec
	s_and_b64 s[10:11], s[58:59], exec
	s_or_b64 s[46:47], s[4:5], s[10:11]
	;; [unrolled: 3-line block ×3, first 2 shown]
	s_and_b64 s[16:17], s[16:17], exec
	v_mov_b32_e32 v2, v3
.LBB23_396:                             ;   in Loop: Header=BB23_6 Depth=1
	s_or_b64 exec, exec, s[50:51]
	s_and_b64 s[50:51], s[44:45], exec
	s_and_b64 s[46:47], s[46:47], exec
	;; [unrolled: 1-line block ×3, first 2 shown]
	s_orn2_b64 s[16:17], s[16:17], exec
.LBB23_397:                             ;   in Loop: Header=BB23_6 Depth=1
	s_or_b64 exec, exec, s[42:43]
	s_andn2_b64 s[4:5], s[28:29], exec
	s_and_b64 s[10:11], s[50:51], exec
	s_or_b64 s[28:29], s[4:5], s[10:11]
	s_andn2_b64 s[4:5], s[36:37], exec
	s_and_b64 s[10:11], s[46:47], exec
	s_or_b64 s[36:37], s[4:5], s[10:11]
	;; [unrolled: 3-line block ×3, first 2 shown]
	s_and_b64 s[44:45], s[16:17], exec
	v_mov_b32_e32 v5, v2
.LBB23_398:                             ;   in Loop: Header=BB23_6 Depth=1
	s_or_b64 exec, exec, s[40:41]
	s_and_b64 s[40:41], s[28:29], exec
	s_and_b64 s[28:29], s[36:37], exec
	;; [unrolled: 1-line block ×3, first 2 shown]
	s_orn2_b64 s[38:39], s[44:45], exec
.LBB23_399:                             ;   in Loop: Header=BB23_6 Depth=1
	s_or_b64 exec, exec, s[18:19]
	s_mov_b64 s[18:19], s[24:25]
	s_mov_b64 s[36:37], s[20:21]
	s_and_saveexec_b64 s[42:43], s[38:39]
; %bb.400:                              ;   in Loop: Header=BB23_6 Depth=1
	v_cmp_ne_u32_e64 s[18:19], 5, v30
	v_cmp_eq_u32_e32 vcc, 5, v30
	s_andn2_b64 s[4:5], s[20:21], exec
	s_and_b64 s[10:11], s[18:19], exec
	s_or_b64 s[36:37], s[4:5], s[10:11]
	s_andn2_b64 s[4:5], s[24:25], exec
	s_and_b64 s[10:11], vcc, exec
	s_andn2_b64 s[40:41], s[40:41], exec
	s_andn2_b64 s[28:29], s[28:29], exec
	;; [unrolled: 1-line block ×3, first 2 shown]
	s_or_b64 s[18:19], s[4:5], s[10:11]
; %bb.401:                              ;   in Loop: Header=BB23_6 Depth=1
	s_or_b64 exec, exec, s[42:43]
	s_andn2_b64 s[4:5], s[30:31], exec
	s_and_b64 s[10:11], s[40:41], exec
	s_or_b64 s[30:31], s[4:5], s[10:11]
	s_andn2_b64 s[4:5], s[34:35], exec
	s_and_b64 s[10:11], s[28:29], exec
	s_or_b64 s[34:35], s[4:5], s[10:11]
	;; [unrolled: 3-line block ×5, first 2 shown]
	v_mov_b32_e32 v2, v27
	v_mov_b32_e32 v3, v26
	;; [unrolled: 1-line block ×3, first 2 shown]
.LBB23_402:                             ;   in Loop: Header=BB23_6 Depth=1
	s_or_b64 exec, exec, s[26:27]
	s_mov_b64 s[28:29], s[22:23]
	s_mov_b64 s[26:27], s[22:23]
	s_and_saveexec_b64 s[16:17], s[24:25]
.LBB23_403:                             ;   in Loop: Header=BB23_6 Depth=1
	v_mov_b32_e32 v30, 0
	s_andn2_b64 s[22:23], s[22:23], exec
	s_andn2_b64 s[30:31], s[30:31], exec
	;; [unrolled: 1-line block ×5, first 2 shown]
	s_or_b64 s[20:21], s[20:21], exec
.LBB23_404:                             ;   in Loop: Header=BB23_6 Depth=1
	s_or_b64 exec, exec, s[16:17]
	s_andn2_b64 s[4:5], s[90:91], exec
	s_and_b64 s[10:11], s[22:23], exec
	s_or_b64 s[90:91], s[4:5], s[10:11]
	s_andn2_b64 s[4:5], s[76:77], exec
	s_and_b64 s[10:11], s[30:31], exec
	s_or_b64 s[76:77], s[4:5], s[10:11]
	;; [unrolled: 3-line block ×4, first 2 shown]
	s_andn2_b64 s[4:5], s[80:81], exec
	s_and_b64 s[10:11], s[26:27], exec
	s_mov_b64 s[18:19], -1
	s_or_b64 s[80:81], s[4:5], s[10:11]
                                        ; implicit-def: $vgpr26
                                        ; implicit-def: $vgpr27
                                        ; implicit-def: $vgpr29
                                        ; implicit-def: $vgpr28
	s_and_saveexec_b64 s[4:5], s[20:21]
	s_xor_b64 s[16:17], exec, s[4:5]
	s_cbranch_execz .LBB23_5
; %bb.405:                              ;   in Loop: Header=BB23_6 Depth=1
	v_cmp_eq_u32_e32 vcc, 0, v30
	s_mov_b64 s[20:21], -1
	s_and_saveexec_b64 s[22:23], vcc
	s_cbranch_execz .LBB23_4
; %bb.406:                              ;   in Loop: Header=BB23_6 Depth=1
	s_xor_b32 s12, s12, 1
	s_add_i32 s6, s89, -2
	s_cmp_eq_u32 s89, 0
	s_cselect_b64 s[4:5], -1, 0
	s_xor_b64 s[20:21], exec, -1
	s_orn2_b64 s[18:19], s[4:5], exec
	s_mov_b32 s89, s6
	s_branch .LBB23_4
.LBB23_407:
	s_or_b64 exec, exec, s[64:65]
	s_xor_b64 s[16:17], s[78:79], -1
	s_xor_b64 s[20:21], s[2:3], -1
	;; [unrolled: 1-line block ×5, first 2 shown]
	s_mov_b64 s[12:13], 0
	s_and_saveexec_b64 s[6:7], s[4:5]
	s_xor_b64 s[10:11], exec, s[6:7]
	s_cbranch_execnz .LBB23_412
; %bb.408:
	s_andn2_saveexec_b64 s[0:1], s[10:11]
	s_cbranch_execnz .LBB23_431
.LBB23_409:
	s_or_b64 exec, exec, s[0:1]
	s_and_saveexec_b64 s[0:1], s[12:13]
.LBB23_410:
	; divergent unreachable
.LBB23_411:
	s_endpgm
.LBB23_412:
	s_mov_b64 s[14:15], 0
	s_and_saveexec_b64 s[4:5], s[18:19]
	s_xor_b64 s[12:13], exec, s[4:5]
	s_cbranch_execz .LBB23_429
; %bb.413:
	s_mov_b64 s[18:19], 0
	s_and_saveexec_b64 s[4:5], s[20:21]
	s_xor_b64 s[14:15], exec, s[4:5]
	s_cbranch_execz .LBB23_427
; %bb.414:
	s_and_saveexec_b64 s[4:5], s[16:17]
	s_xor_b64 s[16:17], exec, s[4:5]
	s_cbranch_execz .LBB23_425
; %bb.415:
	s_and_saveexec_b64 s[4:5], s[2:3]
	s_xor_b64 s[2:3], exec, s[4:5]
; %bb.416:
	v_xor_b32_e32 v4, 0xffffff80, v2
; %bb.417:
	s_or_b64 exec, exec, s[2:3]
	s_mov_b64 s[2:3], exec
	v_readlane_b32 s4, v47, 24
	v_readlane_b32 s5, v47, 25
	;; [unrolled: 1-line block ×3, first 2 shown]
	s_and_b64 s[4:5], s[2:3], s[4:5]
	v_readlane_b32 s35, v47, 28
	v_readlane_b32 s22, v47, 58
	s_mov_b64 exec, s[4:5]
	s_cbranch_execz .LBB23_419
; %bb.418:
	v_mov_b32_e32 v1, 0
	ds_write_b32 v1, v1 offset:4108
.LBB23_419:
	s_or_b64 exec, exec, s[2:3]
	v_mov_b32_e32 v1, 0
	s_waitcnt lgkmcnt(0)
	s_barrier
	s_mov_b64 s[2:3], exec
	v_readlane_b32 s4, v47, 38
	v_readlane_b32 s5, v47, 39
	s_and_b64 s[4:5], s[2:3], s[4:5]
	s_mov_b64 exec, s[4:5]
	s_cbranch_execz .LBB23_421
; %bb.420:
	global_load_ubyte v1, v[8:9], off
.LBB23_421:
	s_or_b64 exec, exec, s[2:3]
	v_readlane_b32 s18, v47, 16
	v_readlane_b32 s19, v47, 17
	;; [unrolled: 1-line block ×3, first 2 shown]
	s_mul_i32 s2, s7, s19
	v_readlane_b32 s19, v47, 19
	s_mul_i32 s3, s19, s18
	s_add_i32 s9, s60, 63
	v_readlane_b32 s6, v47, 26
	s_sub_i32 s3, s7, s3
	s_andn2_b32 s9, s9, 63
	s_sub_i32 s2, s6, s2
	s_add_i32 s4, s19, 1
	s_sub_i32 s5, s3, s18
	s_cmp_ge_u32 s3, s18
	s_cselect_b32 s4, s4, s19
	s_cselect_b32 s3, s5, s3
	s_add_i32 s5, s4, 1
	s_cmp_ge_u32 s3, s18
	s_cselect_b32 s3, s5, s4
	v_readlane_b32 s24, v47, 6
	s_mul_i32 s4, s3, s18
	v_readlane_b32 s25, v47, 7
	v_readlane_b32 s26, v47, 8
	s_sub_i32 s4, s7, s4
	s_mul_i32 s2, s2, s26
	s_mul_i32 s4, s4, s25
	v_readlane_b32 s18, v47, 20
	s_add_i32 s2, s4, s2
	s_mul_i32 s3, s3, s24
	v_readlane_b32 s19, v47, 21
	v_readlane_b32 s7, v47, 22
	s_add_i32 s4, s2, s3
	s_mul_i32 s2, s7, s19
	v_readlane_b32 s19, v47, 23
	s_mul_i32 s3, s19, s18
	s_sub_i32 s3, s7, s3
	s_sub_i32 s2, s6, s2
	s_add_i32 s5, s19, 1
	s_sub_i32 s6, s3, s18
	s_cmp_ge_u32 s3, s18
	s_cselect_b32 s5, s5, s19
	s_cselect_b32 s3, s6, s3
	s_add_i32 s6, s5, 1
	s_cmp_ge_u32 s3, s18
	v_readlane_b32 s27, v47, 9
	s_cselect_b32 s3, s6, s5
	v_readlane_b32 s24, v47, 0
	s_mul_i32 s5, s3, s18
	v_readlane_b32 s25, v47, 1
	v_readlane_b32 s26, v47, 2
	s_sub_i32 s5, s7, s5
	s_mul_i32 s2, s2, s26
	s_mul_i32 s5, s5, s25
	s_add_i32 s2, s5, s2
	s_mul_i32 s3, s3, s24
	s_add_i32 s2, s2, s3
	v_readlane_b32 s6, v47, 10
	s_mov_b32 s3, 0
	v_readlane_b32 s7, v47, 11
	s_add_u32 s42, s6, s4
	s_addc_u32 s43, s7, 0
	s_lshl_b64 s[2:3], s[2:3], 3
	v_readlane_b32 s4, v47, 4
	v_readlane_b32 s5, v47, 5
	s_add_u32 s44, s4, s2
	s_addc_u32 s45, s5, s3
	v_readlane_b32 s2, v47, 12
	v_readlane_b32 s3, v47, 13
	s_load_dword s46, s[2:3], 0x1c8
	s_load_dword s47, s[2:3], 0x2a8
	v_add_u32_e32 v2, s33, v0
	v_cmp_gt_u32_e32 vcc, s9, v0
	s_mov_b64 s[20:21], -1
	s_mov_b64 s[2:3], 0
	v_mul_lo_u32 v5, s22, v2
	s_mov_b64 s[4:5], 0
	v_readlane_b32 s27, v47, 3
	s_and_saveexec_b64 s[18:19], vcc
	s_cbranch_execnz .LBB23_432
; %bb.422:
	s_or_b64 exec, exec, s[18:19]
	s_and_saveexec_b64 s[18:19], s[20:21]
	s_cbranch_execnz .LBB23_447
.LBB23_423:
	s_or_b64 exec, exec, s[18:19]
	s_and_saveexec_b64 s[0:1], s[4:5]
	s_xor_b64 s[0:1], exec, s[0:1]
	s_cbranch_execnz .LBB23_469
.LBB23_424:
	s_or_b64 exec, exec, s[0:1]
	s_and_b64 s[18:19], s[2:3], exec
.LBB23_425:
	s_andn2_saveexec_b64 s[0:1], s[16:17]
	s_cbranch_execnz .LBB23_472
.LBB23_426:
	s_or_b64 exec, exec, s[0:1]
	s_and_b64 s[18:19], s[18:19], exec
.LBB23_427:
	s_andn2_saveexec_b64 s[0:1], s[14:15]
	s_cbranch_execnz .LBB23_471
.LBB23_428:
	s_or_b64 exec, exec, s[0:1]
	s_and_b64 s[14:15], s[18:19], exec
.LBB23_429:
	s_andn2_saveexec_b64 s[0:1], s[12:13]
	s_cbranch_execnz .LBB23_470
.LBB23_430:
	s_or_b64 exec, exec, s[0:1]
	s_and_b64 s[12:13], s[14:15], exec
	s_andn2_saveexec_b64 s[0:1], s[10:11]
	s_cbranch_execz .LBB23_409
.LBB23_431:
	s_or_b64 s[12:13], s[12:13], exec
	s_trap 2
	s_or_b64 exec, exec, s[0:1]
	s_and_saveexec_b64 s[0:1], s[12:13]
	s_cbranch_execnz .LBB23_410
	s_branch .LBB23_411
.LBB23_432:
	s_movk_i32 s6, 0x80
	v_add_u32_sdwa v10, sext(v4), s6 dst_sel:DWORD dst_unused:UNUSED_PAD src0_sel:BYTE_0 src1_sel:DWORD
	v_mul_lo_u32 v11, s22, v2
	s_mov_b64 s[20:21], 0
	v_mov_b32_e32 v3, 0
	v_mov_b32_e32 v2, v0
                                        ; implicit-def: $sgpr22_sgpr23
                                        ; implicit-def: $vgpr15
	s_branch .LBB23_434
.LBB23_433:                             ;   in Loop: Header=BB23_434 Depth=1
	s_or_b64 exec, exec, s[24:25]
	s_xor_b64 s[24:25], s[28:29], -1
	s_and_b64 s[4:5], exec, s[4:5]
	s_or_b64 s[20:21], s[4:5], s[20:21]
	s_andn2_b64 s[4:5], s[22:23], exec
	s_and_b64 s[22:23], s[24:25], exec
	s_or_b64 s[22:23], s[4:5], s[22:23]
	v_mov_b32_e32 v1, v14
	v_mov_b32_e32 v2, v13
	s_andn2_b64 exec, exec, s[20:21]
	s_cbranch_execz .LBB23_446
.LBB23_434:                             ; =>This Inner Loop Header: Depth=1
	v_add_u32_e32 v13, s33, v2
	v_cmp_gt_u32_e32 vcc, s60, v13
	v_mov_b32_e32 v14, 0
	s_and_saveexec_b64 s[4:5], vcc
	s_cbranch_execz .LBB23_436
; %bb.435:                              ;   in Loop: Header=BB23_434 Depth=1
	global_load_ubyte v14, v11, s[72:73]
.LBB23_436:                             ;   in Loop: Header=BB23_434 Depth=1
	s_or_b64 exec, exec, s[4:5]
	s_waitcnt vmcnt(0)
	v_add_u32_sdwa v16, sext(v1), s6 dst_sel:DWORD dst_unused:UNUSED_PAD src0_sel:BYTE_0 src1_sel:DWORD
	v_cmp_gt_u32_e64 s[4:5], v16, v10
	v_cndmask_b32_e64 v17, 0, 1, s[4:5]
	v_cmp_lt_u32_e64 s[4:5], v16, v10
	v_cndmask_b32_e64 v16, 0, 1, s[4:5]
	v_cndmask_b32_e64 v16, v16, v17, s[34:35]
	v_and_b32_e32 v16, 1, v16
	v_cmp_gt_u32_e32 vcc, s60, v2
	v_cmp_eq_u32_e64 s[4:5], 1, v16
	s_and_b64 s[24:25], vcc, s[4:5]
	v_cndmask_b32_e64 v16, 0, 1, s[24:25]
	v_cmp_ne_u32_e32 vcc, 0, v16
	s_cmp_lg_u64 vcc, 0
	s_cselect_b64 s[4:5], -1, 0
	s_and_b64 s[4:5], s[0:1], s[4:5]
	s_and_saveexec_b64 s[26:27], s[4:5]
	s_cbranch_execz .LBB23_440
; %bb.437:                              ;   in Loop: Header=BB23_434 Depth=1
	s_mov_b64 s[30:31], exec
	s_waitcnt lgkmcnt(0)
	v_mbcnt_lo_u32_b32 v15, s30, 0
	v_mbcnt_hi_u32_b32 v15, s31, v15
	s_bcnt1_i32_b64 s7, vcc
	v_cmp_eq_u32_e64 s[4:5], 0, v15
                                        ; implicit-def: $vgpr16
	s_and_saveexec_b64 s[28:29], s[4:5]
	s_cbranch_execz .LBB23_439
; %bb.438:                              ;   in Loop: Header=BB23_434 Depth=1
	s_bcnt1_i32_b64 s4, s[30:31]
	s_mul_i32 s4, s7, s4
	v_mov_b32_e32 v16, s4
	ds_add_rtn_u32 v16, v3, v16 offset:4108
.LBB23_439:                             ;   in Loop: Header=BB23_434 Depth=1
	s_or_b64 exec, exec, s[28:29]
	s_waitcnt lgkmcnt(0)
	v_readfirstlane_b32 s4, v16
	v_mov_b32_e32 v16, s4
	v_mad_u32_u24 v15, s7, v15, v16
.LBB23_440:                             ;   in Loop: Header=BB23_434 Depth=1
	s_or_b64 exec, exec, s[26:27]
	s_waitcnt lgkmcnt(0)
	ds_bpermute_b32 v15, v12, v15
	s_mov_b64 s[4:5], -1
	s_mov_b64 s[30:31], -1
                                        ; implicit-def: $sgpr28_sgpr29
	s_and_saveexec_b64 s[26:27], s[24:25]
	s_cbranch_execz .LBB23_444
; %bb.441:                              ;   in Loop: Header=BB23_434 Depth=1
	v_and_b32_e32 v17, vcc_lo, v6
	v_and_b32_e32 v16, vcc_hi, v7
	v_bcnt_u32_b32 v17, v17, 0
	v_bcnt_u32_b32 v16, v16, v17
	s_waitcnt lgkmcnt(0)
	v_add_u32_e32 v16, v15, v16
	v_cmp_gt_u32_e32 vcc, s61, v16
	s_mov_b64 s[24:25], 0
	s_and_saveexec_b64 s[28:29], vcc
	s_cbranch_execz .LBB23_443
; %bb.442:                              ;   in Loop: Header=BB23_434 Depth=1
	v_mul_lo_u32 v17, v16, s46
	v_mul_lo_u32 v16, v16, s47
	global_store_byte v17, v1, s[42:43]
	v_mov_b32_e32 v17, v3
	v_lshlrev_b64 v[16:17], 3, v[16:17]
	v_mov_b32_e32 v1, s45
	v_add_co_u32_e32 v16, vcc, s44, v16
	s_mov_b64 s[24:25], exec
	v_addc_co_u32_e32 v17, vcc, v1, v17, vcc
	global_store_dwordx2 v[16:17], v[2:3], off
.LBB23_443:                             ;   in Loop: Header=BB23_434 Depth=1
	s_or_b64 exec, exec, s[28:29]
	s_mov_b64 s[28:29], -1
	s_orn2_b64 s[30:31], s[24:25], exec
.LBB23_444:                             ;   in Loop: Header=BB23_434 Depth=1
	s_or_b64 exec, exec, s[26:27]
	s_and_saveexec_b64 s[24:25], s[30:31]
	s_cbranch_execz .LBB23_433
; %bb.445:                              ;   in Loop: Header=BB23_434 Depth=1
	v_cmp_le_u32_e32 vcc, s9, v13
	v_add_u32_e32 v11, s8, v11
	s_andn2_b64 s[28:29], s[28:29], exec
	s_orn2_b64 s[4:5], vcc, exec
	s_branch .LBB23_433
.LBB23_446:
	s_or_b64 exec, exec, s[20:21]
	s_mov_b64 s[4:5], exec
	s_orn2_b64 s[20:21], s[22:23], exec
	s_or_b64 exec, exec, s[18:19]
	s_and_saveexec_b64 s[18:19], s[20:21]
	s_cbranch_execz .LBB23_423
.LBB23_447:
	s_waitcnt vmcnt(0)
	v_mov_b32_e32 v1, 0
	v_mov_b32_e32 v3, 0
	s_waitcnt lgkmcnt(0)
	s_barrier
	s_mov_b64 s[2:3], exec
	v_readlane_b32 s6, v47, 38
	v_readlane_b32 s7, v47, 39
	s_and_b64 s[6:7], s[2:3], s[6:7]
	s_mov_b64 exec, s[6:7]
	s_cbranch_execz .LBB23_449
; %bb.448:
	global_load_ubyte v3, v[8:9], off
.LBB23_449:
	s_or_b64 exec, exec, s[2:3]
	s_mov_b64 s[20:21], 0
                                        ; implicit-def: $sgpr6_sgpr7
                                        ; implicit-def: $sgpr22_sgpr23
                                        ; implicit-def: $sgpr24_sgpr25
                                        ; implicit-def: $vgpr2
	s_branch .LBB23_452
.LBB23_450:                             ;   in Loop: Header=BB23_452 Depth=1
	s_or_b64 exec, exec, s[30:31]
	s_andn2_b64 s[2:3], s[24:25], exec
	s_and_b64 s[24:25], s[36:37], exec
	s_or_b64 s[24:25], s[2:3], s[24:25]
	s_andn2_b64 s[2:3], s[22:23], exec
	s_and_b64 s[22:23], s[28:29], exec
	s_or_b64 s[22:23], s[2:3], s[22:23]
	v_mov_b32_e32 v0, v8
.LBB23_451:                             ;   in Loop: Header=BB23_452 Depth=1
	s_or_b64 exec, exec, s[26:27]
	s_xor_b64 s[2:3], s[24:25], -1
	s_and_b64 s[26:27], exec, s[22:23]
	s_or_b64 s[20:21], s[26:27], s[20:21]
	s_andn2_b64 s[6:7], s[6:7], exec
	s_and_b64 s[2:3], s[2:3], exec
	s_or_b64 s[6:7], s[6:7], s[2:3]
	s_andn2_b64 exec, exec, s[20:21]
	s_cbranch_execz .LBB23_467
.LBB23_452:                             ; =>This Inner Loop Header: Depth=1
	v_cmp_gt_u32_e32 vcc, s9, v0
	s_or_b64 s[24:25], s[24:25], exec
	s_or_b64 s[22:23], s[22:23], exec
	s_and_saveexec_b64 s[26:27], vcc
	s_cbranch_execz .LBB23_451
; %bb.453:                              ;   in Loop: Header=BB23_452 Depth=1
	v_add_u32_e32 v8, s33, v0
	v_cmp_gt_u32_e32 vcc, s60, v8
	v_mov_b32_e32 v9, 0
	s_and_saveexec_b64 s[2:3], vcc
	s_cbranch_execz .LBB23_455
; %bb.454:                              ;   in Loop: Header=BB23_452 Depth=1
	global_load_ubyte v9, v5, s[72:73]
.LBB23_455:                             ;   in Loop: Header=BB23_452 Depth=1
	s_or_b64 exec, exec, s[2:3]
	s_waitcnt vmcnt(0)
	v_and_b32_e32 v10, 0xff, v3
	v_cmp_gt_u32_e32 vcc, s60, v0
	v_cmp_eq_u16_sdwa s[2:3], v10, v4 src0_sel:DWORD src1_sel:BYTE_0
	s_and_b64 s[30:31], vcc, s[2:3]
	v_cndmask_b32_e64 v10, 0, 1, s[30:31]
	v_cmp_ne_u32_e32 vcc, 0, v10
	s_cmp_lg_u64 vcc, 0
	s_cselect_b64 s[2:3], -1, 0
	s_and_b64 s[2:3], s[0:1], s[2:3]
	s_and_saveexec_b64 s[28:29], s[2:3]
	s_cbranch_execz .LBB23_459
; %bb.456:                              ;   in Loop: Header=BB23_452 Depth=1
	s_mov_b64 s[36:37], exec
	v_mbcnt_lo_u32_b32 v2, s36, 0
	v_mbcnt_hi_u32_b32 v2, s37, v2
	s_bcnt1_i32_b64 s38, vcc
	v_cmp_eq_u32_e64 s[2:3], 0, v2
                                        ; implicit-def: $vgpr10
	s_and_saveexec_b64 s[34:35], s[2:3]
	s_cbranch_execz .LBB23_458
; %bb.457:                              ;   in Loop: Header=BB23_452 Depth=1
	s_bcnt1_i32_b64 s2, s[36:37]
	s_mul_i32 s2, s38, s2
	v_mov_b32_e32 v10, s2
	ds_add_rtn_u32 v10, v1, v10 offset:4108
.LBB23_458:                             ;   in Loop: Header=BB23_452 Depth=1
	s_or_b64 exec, exec, s[34:35]
	s_waitcnt lgkmcnt(0)
	v_readfirstlane_b32 s2, v10
	v_mov_b32_e32 v10, s2
	v_mad_u32_u24 v2, s38, v2, v10
.LBB23_459:                             ;   in Loop: Header=BB23_452 Depth=1
	s_or_b64 exec, exec, s[28:29]
	ds_bpermute_b32 v2, v12, v2
	s_cmp_eq_u64 vcc, 0
	s_cselect_b64 s[34:35], -1, 0
	s_mov_b64 s[28:29], -1
	s_mov_b64 s[36:37], -1
	s_waitcnt lgkmcnt(0)
	v_cmp_gt_u32_e64 s[2:3], s61, v2
	s_or_b64 s[2:3], s[34:35], s[2:3]
	v_cndmask_b32_e64 v3, v3, v9, s[2:3]
	s_and_b64 s[38:39], s[30:31], s[2:3]
	s_mov_b64 s[34:35], -1
	s_and_saveexec_b64 s[30:31], s[38:39]
	s_cbranch_execz .LBB23_465
; %bb.460:                              ;   in Loop: Header=BB23_452 Depth=1
	v_and_b32_e32 v10, vcc_lo, v6
	v_and_b32_e32 v3, vcc_hi, v7
	v_bcnt_u32_b32 v10, v10, 0
	v_bcnt_u32_b32 v3, v3, v10
	v_sub_u32_e32 v10, s61, v2
	v_cmp_le_u32_e64 s[34:35], v10, v3
	v_cmp_gt_u32_e32 vcc, v10, v3
	s_mov_b64 s[38:39], -1
	s_and_saveexec_b64 s[36:37], vcc
	s_cbranch_execz .LBB23_464
; %bb.461:                              ;   in Loop: Header=BB23_452 Depth=1
	v_add_u32_e32 v3, v2, v3
	v_cmp_gt_u32_e32 vcc, s61, v3
	s_mov_b64 s[40:41], s[34:35]
	s_and_saveexec_b64 s[38:39], vcc
	s_cbranch_execz .LBB23_463
; %bb.462:                              ;   in Loop: Header=BB23_452 Depth=1
	v_mul_lo_u32 v11, v3, s46
	v_mul_lo_u32 v10, v3, s47
	global_store_byte v11, v4, s[42:43]
	v_mov_b32_e32 v11, v1
	v_lshlrev_b64 v[10:11], 3, v[10:11]
	v_mov_b32_e32 v3, s45
	v_add_co_u32_e32 v10, vcc, s44, v10
	v_addc_co_u32_e32 v11, vcc, v3, v11, vcc
	s_or_b64 s[40:41], s[34:35], exec
	global_store_dwordx2 v[10:11], v[0:1], off
.LBB23_463:                             ;   in Loop: Header=BB23_452 Depth=1
	s_or_b64 exec, exec, s[38:39]
	s_andn2_b64 s[34:35], s[34:35], exec
	s_and_b64 s[40:41], s[40:41], exec
	s_xor_b64 s[38:39], exec, -1
	s_or_b64 s[34:35], s[34:35], s[40:41]
.LBB23_464:                             ;   in Loop: Header=BB23_452 Depth=1
	s_or_b64 exec, exec, s[36:37]
	s_orn2_b64 s[36:37], s[38:39], exec
	s_or_b64 s[2:3], s[2:3], exec
	s_orn2_b64 s[34:35], s[34:35], exec
	v_mov_b32_e32 v3, v9
.LBB23_465:                             ;   in Loop: Header=BB23_452 Depth=1
	s_or_b64 exec, exec, s[30:31]
	s_and_saveexec_b64 s[30:31], s[34:35]
	s_cbranch_execz .LBB23_450
; %bb.466:                              ;   in Loop: Header=BB23_452 Depth=1
	s_xor_b64 s[2:3], s[2:3], -1
	v_add_u32_e32 v5, s8, v5
	s_or_b64 s[36:37], s[36:37], exec
	s_orn2_b64 s[28:29], s[2:3], exec
	s_branch .LBB23_450
.LBB23_467:
	s_or_b64 exec, exec, s[20:21]
	s_mov_b64 s[0:1], 0
	s_and_saveexec_b64 s[2:3], s[6:7]
	s_xor_b64 s[2:3], exec, s[2:3]
	s_cbranch_execnz .LBB23_473
.LBB23_468:
	s_or_b64 exec, exec, s[2:3]
	s_and_b64 s[2:3], s[0:1], exec
	s_andn2_b64 s[4:5], s[4:5], exec
	s_or_b64 exec, exec, s[18:19]
	s_and_saveexec_b64 s[0:1], s[4:5]
	s_xor_b64 s[0:1], exec, s[0:1]
	s_cbranch_execz .LBB23_424
.LBB23_469:
	s_or_b64 s[2:3], s[2:3], exec
	s_trap 2
	s_branch .LBB23_424
.LBB23_470:
	s_or_b64 s[14:15], s[14:15], exec
	s_trap 2
	s_branch .LBB23_430
.LBB23_471:
	s_or_b64 s[18:19], s[18:19], exec
	s_trap 2
	s_branch .LBB23_428
.LBB23_472:
	s_trap 2
	s_or_b64 s[18:19], s[18:19], exec
	s_branch .LBB23_426
.LBB23_473:
	s_mov_b64 s[0:1], exec
	s_trap 2
	s_branch .LBB23_468
	.section	.rodata,"a",@progbits
	.p2align	6, 0x0
	.amdhsa_kernel _ZN2at6native6sbtopk10gatherTopKIajLi3ELb0EEEvNS_4cuda6detail10TensorInfoIKT_T0_EES8_S8_bS8_S8_NS5_IS6_S8_EES8_NS5_IlS8_EES8_PS6_
		.amdhsa_group_segment_fixed_size 4112
		.amdhsa_private_segment_fixed_size 0
		.amdhsa_kernarg_size 952
		.amdhsa_user_sgpr_count 6
		.amdhsa_user_sgpr_private_segment_buffer 1
		.amdhsa_user_sgpr_dispatch_ptr 0
		.amdhsa_user_sgpr_queue_ptr 0
		.amdhsa_user_sgpr_kernarg_segment_ptr 1
		.amdhsa_user_sgpr_dispatch_id 0
		.amdhsa_user_sgpr_flat_scratch_init 0
		.amdhsa_user_sgpr_kernarg_preload_length 0
		.amdhsa_user_sgpr_kernarg_preload_offset 0
		.amdhsa_user_sgpr_private_segment_size 0
		.amdhsa_uses_dynamic_stack 0
		.amdhsa_system_sgpr_private_segment_wavefront_offset 0
		.amdhsa_system_sgpr_workgroup_id_x 1
		.amdhsa_system_sgpr_workgroup_id_y 1
		.amdhsa_system_sgpr_workgroup_id_z 1
		.amdhsa_system_sgpr_workgroup_info 0
		.amdhsa_system_vgpr_workitem_id 0
		.amdhsa_next_free_vgpr 48
		.amdhsa_next_free_sgpr 96
		.amdhsa_accum_offset 48
		.amdhsa_reserve_vcc 1
		.amdhsa_reserve_flat_scratch 0
		.amdhsa_float_round_mode_32 0
		.amdhsa_float_round_mode_16_64 0
		.amdhsa_float_denorm_mode_32 3
		.amdhsa_float_denorm_mode_16_64 3
		.amdhsa_dx10_clamp 1
		.amdhsa_ieee_mode 1
		.amdhsa_fp16_overflow 0
		.amdhsa_tg_split 0
		.amdhsa_exception_fp_ieee_invalid_op 0
		.amdhsa_exception_fp_denorm_src 0
		.amdhsa_exception_fp_ieee_div_zero 0
		.amdhsa_exception_fp_ieee_overflow 0
		.amdhsa_exception_fp_ieee_underflow 0
		.amdhsa_exception_fp_ieee_inexact 0
		.amdhsa_exception_int_div_zero 0
	.end_amdhsa_kernel
	.section	.text._ZN2at6native6sbtopk10gatherTopKIajLi3ELb0EEEvNS_4cuda6detail10TensorInfoIKT_T0_EES8_S8_bS8_S8_NS5_IS6_S8_EES8_NS5_IlS8_EES8_PS6_,"axG",@progbits,_ZN2at6native6sbtopk10gatherTopKIajLi3ELb0EEEvNS_4cuda6detail10TensorInfoIKT_T0_EES8_S8_bS8_S8_NS5_IS6_S8_EES8_NS5_IlS8_EES8_PS6_,comdat
.Lfunc_end23:
	.size	_ZN2at6native6sbtopk10gatherTopKIajLi3ELb0EEEvNS_4cuda6detail10TensorInfoIKT_T0_EES8_S8_bS8_S8_NS5_IS6_S8_EES8_NS5_IlS8_EES8_PS6_, .Lfunc_end23-_ZN2at6native6sbtopk10gatherTopKIajLi3ELb0EEEvNS_4cuda6detail10TensorInfoIKT_T0_EES8_S8_bS8_S8_NS5_IS6_S8_EES8_NS5_IlS8_EES8_PS6_
                                        ; -- End function
	.section	.AMDGPU.csdata,"",@progbits
; Kernel info:
; codeLenInByte = 15784
; NumSgprs: 100
; NumVgprs: 48
; NumAgprs: 0
; TotalNumVgprs: 48
; ScratchSize: 0
; MemoryBound: 0
; FloatMode: 240
; IeeeMode: 1
; LDSByteSize: 4112 bytes/workgroup (compile time only)
; SGPRBlocks: 12
; VGPRBlocks: 5
; NumSGPRsForWavesPerEU: 100
; NumVGPRsForWavesPerEU: 48
; AccumOffset: 48
; Occupancy: 8
; WaveLimiterHint : 1
; COMPUTE_PGM_RSRC2:SCRATCH_EN: 0
; COMPUTE_PGM_RSRC2:USER_SGPR: 6
; COMPUTE_PGM_RSRC2:TRAP_HANDLER: 0
; COMPUTE_PGM_RSRC2:TGID_X_EN: 1
; COMPUTE_PGM_RSRC2:TGID_Y_EN: 1
; COMPUTE_PGM_RSRC2:TGID_Z_EN: 1
; COMPUTE_PGM_RSRC2:TIDIG_COMP_CNT: 0
; COMPUTE_PGM_RSRC3_GFX90A:ACCUM_OFFSET: 11
; COMPUTE_PGM_RSRC3_GFX90A:TG_SPLIT: 0
	.section	.text._ZN2at6native6mbtopk23computeBlockDigitCountsIajjLin1EEEvNS_4cuda6detail10TensorInfoIKT_T0_EEjPjjS8_iijT1_PSB_Ps,"axG",@progbits,_ZN2at6native6mbtopk23computeBlockDigitCountsIajjLin1EEEvNS_4cuda6detail10TensorInfoIKT_T0_EEjPjjS8_iijT1_PSB_Ps,comdat
	.protected	_ZN2at6native6mbtopk23computeBlockDigitCountsIajjLin1EEEvNS_4cuda6detail10TensorInfoIKT_T0_EEjPjjS8_iijT1_PSB_Ps ; -- Begin function _ZN2at6native6mbtopk23computeBlockDigitCountsIajjLin1EEEvNS_4cuda6detail10TensorInfoIKT_T0_EEjPjjS8_iijT1_PSB_Ps
	.globl	_ZN2at6native6mbtopk23computeBlockDigitCountsIajjLin1EEEvNS_4cuda6detail10TensorInfoIKT_T0_EEjPjjS8_iijT1_PSB_Ps
	.p2align	8
	.type	_ZN2at6native6mbtopk23computeBlockDigitCountsIajjLin1EEEvNS_4cuda6detail10TensorInfoIKT_T0_EEjPjjS8_iijT1_PSB_Ps,@function
_ZN2at6native6mbtopk23computeBlockDigitCountsIajjLin1EEEvNS_4cuda6detail10TensorInfoIKT_T0_EEjPjjS8_iijT1_PSB_Ps: ; @_ZN2at6native6mbtopk23computeBlockDigitCountsIajjLin1EEEvNS_4cuda6detail10TensorInfoIKT_T0_EEjPjjS8_iijT1_PSB_Ps
; %bb.0:
	s_load_dwordx2 s[10:11], s[4:5], 0xf8
	s_load_dwordx4 s[12:15], s[4:5], 0xe8
	s_load_dwordx2 s[0:1], s[4:5], 0x110
	s_waitcnt lgkmcnt(0)
	v_cvt_f32_u32_e32 v1, s10
	s_sub_i32 s2, 0, s10
	s_mul_i32 s1, s1, s8
	s_add_i32 s1, s1, s7
	v_rcp_iflag_f32_e32 v1, v1
	s_mul_i32 s16, s1, s0
	s_add_i32 s16, s16, s6
	s_mov_b32 s7, 0
	v_mul_f32_e32 v1, 0x4f7ffffe, v1
	v_cvt_u32_f32_e32 v1, v1
	v_readfirstlane_b32 s0, v1
	s_mul_i32 s2, s2, s0
	s_mul_hi_u32 s1, s0, s2
	s_add_i32 s0, s0, s1
	s_mul_hi_u32 s0, s16, s0
	s_mul_i32 s1, s0, s10
	s_sub_i32 s1, s16, s1
	s_add_i32 s2, s0, 1
	s_sub_i32 s3, s1, s10
	s_cmp_ge_u32 s1, s10
	s_cselect_b32 s0, s2, s0
	s_cselect_b32 s1, s3, s1
	s_add_i32 s2, s0, 1
	s_cmp_ge_u32 s1, s10
	s_cselect_b32 s6, s2, s0
	s_cmp_ge_u32 s6, s12
	s_cbranch_scc1 .LBB24_32
; %bb.1:
	s_load_dwordx4 s[0:3], s[4:5], 0x100
	s_load_dword s8, s[4:5], 0xd0
	s_lshl_b64 s[18:19], s[6:7], 2
	s_waitcnt lgkmcnt(0)
	s_add_u32 s0, s0, s18
	s_addc_u32 s1, s1, s19
	s_cmp_lt_i32 s8, 2
	s_mov_b32 s18, s6
	s_cbranch_scc1 .LBB24_4
; %bb.2:
	s_add_i32 s18, s8, -1
	s_mov_b32 s19, 0
	s_add_i32 s12, s8, 1
	s_lshl_b64 s[8:9], s[18:19], 2
	s_add_u32 s7, s8, s4
	s_addc_u32 s9, s9, s5
	s_add_u32 s8, s7, 8
	s_addc_u32 s9, s9, 0
	s_mov_b32 s18, s6
	s_mov_b32 s7, s19
.LBB24_3:                               ; =>This Inner Loop Header: Depth=1
	s_load_dword s17, s[8:9], 0x0
	s_load_dword s20, s[8:9], 0x64
	s_mov_b32 s19, s18
	s_waitcnt lgkmcnt(0)
	v_cvt_f32_u32_e32 v1, s17
	s_sub_i32 s18, 0, s17
	v_rcp_iflag_f32_e32 v1, v1
	v_mul_f32_e32 v1, 0x4f7ffffe, v1
	v_cvt_u32_f32_e32 v1, v1
	v_readfirstlane_b32 s21, v1
	s_mul_i32 s18, s18, s21
	s_mul_hi_u32 s18, s21, s18
	s_add_i32 s21, s21, s18
	s_mul_hi_u32 s18, s19, s21
	s_mul_i32 s21, s18, s17
	s_sub_i32 s21, s19, s21
	s_add_i32 s22, s18, 1
	s_sub_i32 s23, s21, s17
	s_cmp_ge_u32 s21, s17
	s_cselect_b32 s18, s22, s18
	s_cselect_b32 s21, s23, s21
	s_add_i32 s22, s18, 1
	s_cmp_ge_u32 s21, s17
	s_cselect_b32 s18, s22, s18
	s_mul_i32 s17, s18, s17
	s_sub_i32 s17, s19, s17
	s_mul_i32 s17, s20, s17
	s_add_i32 s12, s12, -1
	s_add_i32 s7, s17, s7
	s_add_u32 s8, s8, -4
	s_addc_u32 s9, s9, -1
	s_cmp_gt_u32 s12, 2
	s_cbranch_scc1 .LBB24_3
.LBB24_4:
	s_load_dword s8, s[0:1], 0x0
	s_movk_i32 s0, 0x100
	v_cmp_gt_u32_e32 vcc, s0, v0
	v_lshlrev_b32_e32 v1, 2, v0
	s_and_saveexec_b64 s[0:1], vcc
	s_cbranch_execz .LBB24_6
; %bb.5:
	v_mov_b32_e32 v2, 0
	ds_write_b32 v1, v2
.LBB24_6:
	s_or_b64 exec, exec, s[0:1]
	s_load_dword s9, s[4:5], 0xd8
	s_mul_i32 s0, s6, s10
	s_sub_i32 s0, s16, s0
	s_add_i32 s1, s0, 1
	s_mul_i32 s0, s15, s0
	s_lshl_b32 s12, s0, 8
	s_waitcnt lgkmcnt(0)
	s_sub_i32 s0, s9, s12
	s_add_u32 s0, s0, 0xff
	s_addc_u32 s6, 0, 0
	v_mov_b32_e32 v2, s0
	v_alignbit_b32 v2, s6, v2, 8
	s_cmp_lt_u32 s1, s10
	v_readfirstlane_b32 s0, v2
	s_cselect_b32 s17, s15, s0
	s_cmp_lt_i32 s17, 1
	s_mov_b32 s15, 0
	s_barrier
	s_cbranch_scc1 .LBB24_28
; %bb.7:
	s_load_dword s6, s[4:5], 0x6c
	s_load_dwordx2 s[0:1], s[4:5], 0x0
	s_waitcnt lgkmcnt(0)
	s_mul_i32 s4, s6, s18
	s_add_i32 s4, s4, s7
	s_add_u32 s4, s0, s4
	s_addc_u32 s5, s1, 0
	s_and_b32 s10, s14, 0xff
	s_cmp_lt_u32 s17, 4
	s_cbranch_scc1 .LBB24_22
; %bb.8:
	v_add_u32_e32 v6, s12, v0
	v_add_u32_e32 v2, 0x300, v6
	;; [unrolled: 1-line block ×4, first 2 shown]
	s_and_b32 s15, s17, 0x7ffffffc
	v_mul_lo_u32 v3, s13, v2
	s_lshl_b32 s14, s13, 10
	v_mul_lo_u32 v4, s13, v4
	v_mul_lo_u32 v5, s13, v5
	;; [unrolled: 1-line block ×3, first 2 shown]
	s_mov_b32 s18, 0
	v_mov_b32_e32 v7, 1
	s_mov_b32 s19, 0
	s_branch .LBB24_10
.LBB24_9:                               ;   in Loop: Header=BB24_10 Depth=1
	s_or_b64 exec, exec, s[6:7]
	s_add_i32 s19, s19, 4
	s_add_i32 s18, s18, s14
	s_cmp_eq_u32 s15, s19
	v_add_u32_e32 v2, 0x400, v2
	s_cbranch_scc1 .LBB24_22
.LBB24_10:                              ; =>This Inner Loop Header: Depth=1
	v_add_u32_e32 v8, 0xfffffd00, v2
	v_cmp_gt_u32_e64 s[0:1], s9, v8
	s_and_saveexec_b64 s[6:7], s[0:1]
	s_cbranch_execz .LBB24_13
; %bb.11:                               ;   in Loop: Header=BB24_10 Depth=1
	v_add_u32_e32 v8, s18, v6
	global_load_sbyte v8, v8, s[4:5]
	s_waitcnt vmcnt(0)
	v_add_u32_e32 v8, 0x80, v8
	v_xor_b32_e32 v9, s8, v8
	v_and_b32_e32 v9, s11, v9
	v_cmp_eq_u32_e64 s[0:1], 0, v9
	s_and_b64 exec, exec, s[0:1]
	s_cbranch_execz .LBB24_13
; %bb.12:                               ;   in Loop: Header=BB24_10 Depth=1
	v_lshrrev_b32_e32 v8, s10, v8
	v_lshlrev_b32_e32 v8, 2, v8
	ds_add_u32 v8, v7
.LBB24_13:                              ;   in Loop: Header=BB24_10 Depth=1
	s_or_b64 exec, exec, s[6:7]
	v_add_u32_e32 v8, 0xfffffe00, v2
	v_cmp_gt_u32_e64 s[0:1], s9, v8
	s_and_saveexec_b64 s[6:7], s[0:1]
	s_cbranch_execz .LBB24_16
; %bb.14:                               ;   in Loop: Header=BB24_10 Depth=1
	v_add_u32_e32 v8, s18, v5
	global_load_sbyte v8, v8, s[4:5]
	s_waitcnt vmcnt(0)
	v_add_u32_e32 v8, 0x80, v8
	v_xor_b32_e32 v9, s8, v8
	v_and_b32_e32 v9, s11, v9
	v_cmp_eq_u32_e64 s[0:1], 0, v9
	s_and_b64 exec, exec, s[0:1]
	s_cbranch_execz .LBB24_16
; %bb.15:                               ;   in Loop: Header=BB24_10 Depth=1
	v_lshrrev_b32_e32 v8, s10, v8
	v_lshlrev_b32_e32 v8, 2, v8
	ds_add_u32 v8, v7
.LBB24_16:                              ;   in Loop: Header=BB24_10 Depth=1
	s_or_b64 exec, exec, s[6:7]
	;; [unrolled: 20-line block ×3, first 2 shown]
	v_cmp_gt_u32_e64 s[0:1], s9, v2
	s_and_saveexec_b64 s[6:7], s[0:1]
	s_cbranch_execz .LBB24_9
; %bb.20:                               ;   in Loop: Header=BB24_10 Depth=1
	v_add_u32_e32 v8, s18, v3
	global_load_sbyte v8, v8, s[4:5]
	s_waitcnt vmcnt(0)
	v_add_u32_e32 v8, 0x80, v8
	v_xor_b32_e32 v9, s8, v8
	v_and_b32_e32 v9, s11, v9
	v_cmp_eq_u32_e64 s[0:1], 0, v9
	s_and_b64 exec, exec, s[0:1]
	s_cbranch_execz .LBB24_9
; %bb.21:                               ;   in Loop: Header=BB24_10 Depth=1
	v_lshrrev_b32_e32 v8, s10, v8
	v_lshlrev_b32_e32 v8, 2, v8
	ds_add_u32 v8, v7
	s_branch .LBB24_9
.LBB24_22:
	s_and_b32 s14, s17, 3
	s_cmp_eq_u32 s14, 0
	s_cbranch_scc1 .LBB24_28
; %bb.23:
	s_lshl_b32 s0, s15, 8
	s_add_i32 s0, s0, s12
	v_add_u32_e32 v2, s0, v0
	v_mul_lo_u32 v3, s13, v2
	s_lshl_b32 s12, s13, 8
	v_mov_b32_e32 v4, 1
	s_branch .LBB24_25
.LBB24_24:                              ;   in Loop: Header=BB24_25 Depth=1
	s_or_b64 exec, exec, s[6:7]
	s_add_i32 s14, s14, -1
	v_add_u32_e32 v3, s12, v3
	s_cmp_lg_u32 s14, 0
	v_add_u32_e32 v2, 0x100, v2
	s_cbranch_scc0 .LBB24_28
.LBB24_25:                              ; =>This Inner Loop Header: Depth=1
	v_cmp_gt_u32_e64 s[0:1], s9, v2
	s_and_saveexec_b64 s[6:7], s[0:1]
	s_cbranch_execz .LBB24_24
; %bb.26:                               ;   in Loop: Header=BB24_25 Depth=1
	global_load_sbyte v5, v3, s[4:5]
	s_waitcnt vmcnt(0)
	v_add_u32_e32 v5, 0x80, v5
	v_xor_b32_e32 v6, s8, v5
	v_and_b32_e32 v6, s11, v6
	v_cmp_eq_u32_e64 s[0:1], 0, v6
	s_and_b64 exec, exec, s[0:1]
	s_cbranch_execz .LBB24_24
; %bb.27:                               ;   in Loop: Header=BB24_25 Depth=1
	v_lshrrev_b32_e32 v5, s10, v5
	v_lshlrev_b32_e32 v5, 2, v5
	ds_add_u32 v5, v4
	s_branch .LBB24_24
.LBB24_28:
	v_mov_b32_e32 v2, 0
	s_waitcnt lgkmcnt(0)
	s_barrier
	s_and_saveexec_b64 s[0:1], vcc
	s_cbranch_execz .LBB24_30
; %bb.29:
	ds_read_b32 v2, v1
.LBB24_30:
	s_or_b64 exec, exec, s[0:1]
	s_and_saveexec_b64 s[0:1], vcc
	s_cbranch_execz .LBB24_32
; %bb.31:
	v_lshl_or_b32 v0, s16, 8, v0
	v_mov_b32_e32 v1, 0
	v_lshlrev_b64 v[0:1], 1, v[0:1]
	v_mov_b32_e32 v3, s3
	v_add_co_u32_e32 v0, vcc, s2, v0
	v_addc_co_u32_e32 v1, vcc, v3, v1, vcc
	s_waitcnt lgkmcnt(0)
	global_store_short v[0:1], v2, off
.LBB24_32:
	s_endpgm
	.section	.rodata,"a",@progbits
	.p2align	6, 0x0
	.amdhsa_kernel _ZN2at6native6mbtopk23computeBlockDigitCountsIajjLin1EEEvNS_4cuda6detail10TensorInfoIKT_T0_EEjPjjS8_iijT1_PSB_Ps
		.amdhsa_group_segment_fixed_size 1024
		.amdhsa_private_segment_fixed_size 0
		.amdhsa_kernarg_size 528
		.amdhsa_user_sgpr_count 6
		.amdhsa_user_sgpr_private_segment_buffer 1
		.amdhsa_user_sgpr_dispatch_ptr 0
		.amdhsa_user_sgpr_queue_ptr 0
		.amdhsa_user_sgpr_kernarg_segment_ptr 1
		.amdhsa_user_sgpr_dispatch_id 0
		.amdhsa_user_sgpr_flat_scratch_init 0
		.amdhsa_user_sgpr_kernarg_preload_length 0
		.amdhsa_user_sgpr_kernarg_preload_offset 0
		.amdhsa_user_sgpr_private_segment_size 0
		.amdhsa_uses_dynamic_stack 0
		.amdhsa_system_sgpr_private_segment_wavefront_offset 0
		.amdhsa_system_sgpr_workgroup_id_x 1
		.amdhsa_system_sgpr_workgroup_id_y 1
		.amdhsa_system_sgpr_workgroup_id_z 1
		.amdhsa_system_sgpr_workgroup_info 0
		.amdhsa_system_vgpr_workitem_id 0
		.amdhsa_next_free_vgpr 10
		.amdhsa_next_free_sgpr 24
		.amdhsa_accum_offset 12
		.amdhsa_reserve_vcc 1
		.amdhsa_reserve_flat_scratch 0
		.amdhsa_float_round_mode_32 0
		.amdhsa_float_round_mode_16_64 0
		.amdhsa_float_denorm_mode_32 3
		.amdhsa_float_denorm_mode_16_64 3
		.amdhsa_dx10_clamp 1
		.amdhsa_ieee_mode 1
		.amdhsa_fp16_overflow 0
		.amdhsa_tg_split 0
		.amdhsa_exception_fp_ieee_invalid_op 0
		.amdhsa_exception_fp_denorm_src 0
		.amdhsa_exception_fp_ieee_div_zero 0
		.amdhsa_exception_fp_ieee_overflow 0
		.amdhsa_exception_fp_ieee_underflow 0
		.amdhsa_exception_fp_ieee_inexact 0
		.amdhsa_exception_int_div_zero 0
	.end_amdhsa_kernel
	.section	.text._ZN2at6native6mbtopk23computeBlockDigitCountsIajjLin1EEEvNS_4cuda6detail10TensorInfoIKT_T0_EEjPjjS8_iijT1_PSB_Ps,"axG",@progbits,_ZN2at6native6mbtopk23computeBlockDigitCountsIajjLin1EEEvNS_4cuda6detail10TensorInfoIKT_T0_EEjPjjS8_iijT1_PSB_Ps,comdat
.Lfunc_end24:
	.size	_ZN2at6native6mbtopk23computeBlockDigitCountsIajjLin1EEEvNS_4cuda6detail10TensorInfoIKT_T0_EEjPjjS8_iijT1_PSB_Ps, .Lfunc_end24-_ZN2at6native6mbtopk23computeBlockDigitCountsIajjLin1EEEvNS_4cuda6detail10TensorInfoIKT_T0_EEjPjjS8_iijT1_PSB_Ps
                                        ; -- End function
	.section	.AMDGPU.csdata,"",@progbits
; Kernel info:
; codeLenInByte = 1268
; NumSgprs: 28
; NumVgprs: 10
; NumAgprs: 0
; TotalNumVgprs: 10
; ScratchSize: 0
; MemoryBound: 0
; FloatMode: 240
; IeeeMode: 1
; LDSByteSize: 1024 bytes/workgroup (compile time only)
; SGPRBlocks: 3
; VGPRBlocks: 1
; NumSGPRsForWavesPerEU: 28
; NumVGPRsForWavesPerEU: 10
; AccumOffset: 12
; Occupancy: 8
; WaveLimiterHint : 1
; COMPUTE_PGM_RSRC2:SCRATCH_EN: 0
; COMPUTE_PGM_RSRC2:USER_SGPR: 6
; COMPUTE_PGM_RSRC2:TRAP_HANDLER: 0
; COMPUTE_PGM_RSRC2:TGID_X_EN: 1
; COMPUTE_PGM_RSRC2:TGID_Y_EN: 1
; COMPUTE_PGM_RSRC2:TGID_Z_EN: 1
; COMPUTE_PGM_RSRC2:TIDIG_COMP_CNT: 0
; COMPUTE_PGM_RSRC3_GFX90A:ACCUM_OFFSET: 2
; COMPUTE_PGM_RSRC3_GFX90A:TG_SPLIT: 0
	.section	.text._ZN2at6native6mbtopk10gatherTopKIajLin1EEEvNS_4cuda6detail10TensorInfoIKT_T0_EES8_S8_bjS8_NS5_IS6_S8_EES8_NS5_IlS8_EES8_jjPS6_PjSD_j,"axG",@progbits,_ZN2at6native6mbtopk10gatherTopKIajLin1EEEvNS_4cuda6detail10TensorInfoIKT_T0_EES8_S8_bjS8_NS5_IS6_S8_EES8_NS5_IlS8_EES8_jjPS6_PjSD_j,comdat
	.protected	_ZN2at6native6mbtopk10gatherTopKIajLin1EEEvNS_4cuda6detail10TensorInfoIKT_T0_EES8_S8_bjS8_NS5_IS6_S8_EES8_NS5_IlS8_EES8_jjPS6_PjSD_j ; -- Begin function _ZN2at6native6mbtopk10gatherTopKIajLin1EEEvNS_4cuda6detail10TensorInfoIKT_T0_EES8_S8_bjS8_NS5_IS6_S8_EES8_NS5_IlS8_EES8_jjPS6_PjSD_j
	.globl	_ZN2at6native6mbtopk10gatherTopKIajLin1EEEvNS_4cuda6detail10TensorInfoIKT_T0_EES8_S8_bjS8_NS5_IS6_S8_EES8_NS5_IlS8_EES8_jjPS6_PjSD_j
	.p2align	8
	.type	_ZN2at6native6mbtopk10gatherTopKIajLin1EEEvNS_4cuda6detail10TensorInfoIKT_T0_EES8_S8_bjS8_NS5_IS6_S8_EES8_NS5_IlS8_EES8_jjPS6_PjSD_j,@function
_ZN2at6native6mbtopk10gatherTopKIajLin1EEEvNS_4cuda6detail10TensorInfoIKT_T0_EES8_S8_bjS8_NS5_IS6_S8_EES8_NS5_IlS8_EES8_jjPS6_PjSD_j: ; @_ZN2at6native6mbtopk10gatherTopKIajLin1EEEvNS_4cuda6detail10TensorInfoIKT_T0_EES8_S8_bjS8_NS5_IS6_S8_EES8_NS5_IlS8_EES8_jjPS6_PjSD_j
; %bb.0:
	s_load_dwordx2 s[0:1], s[4:5], 0x2d8
	s_load_dword s2, s[4:5], 0x2d0
	s_waitcnt lgkmcnt(0)
	s_mul_i32 s1, s1, s8
	s_add_i32 s1, s1, s7
	s_mul_i32 s16, s1, s0
	s_add_i32 s16, s16, s6
	s_cmp_ge_u32 s16, s2
	s_cbranch_scc1 .LBB25_49
; %bb.1:
	s_load_dwordx4 s[8:11], s[4:5], 0x2a8
	s_load_dword s0, s[4:5], 0xd0
	s_mov_b32 s7, 0
	s_waitcnt lgkmcnt(0)
	v_cvt_f32_u32_e32 v1, s10
	s_sub_i32 s1, 0, s10
	v_rcp_iflag_f32_e32 v1, v1
	v_mul_f32_e32 v1, 0x4f7ffffe, v1
	v_cvt_u32_f32_e32 v1, v1
	v_readfirstlane_b32 s2, v1
	s_mul_i32 s1, s1, s2
	s_mul_hi_u32 s1, s2, s1
	s_add_i32 s2, s2, s1
	s_mul_hi_u32 s1, s16, s2
	s_mul_i32 s2, s1, s10
	s_sub_i32 s2, s16, s2
	s_add_i32 s3, s1, 1
	s_sub_i32 s6, s2, s10
	s_cmp_ge_u32 s2, s10
	s_cselect_b32 s1, s3, s1
	s_cselect_b32 s2, s6, s2
	s_add_i32 s3, s1, 1
	s_cmp_ge_u32 s2, s10
	s_cselect_b32 s17, s3, s1
	s_cmp_lt_i32 s0, 2
	s_mov_b32 s6, s17
	s_cbranch_scc1 .LBB25_4
; %bb.2:
	s_add_i32 s6, s0, -1
	s_add_i32 s2, s0, 1
	s_lshl_b64 s[0:1], s[6:7], 2
	s_add_u32 s0, s0, s4
	s_addc_u32 s1, s1, s5
	s_add_u32 s0, s0, 8
	s_addc_u32 s1, s1, 0
	s_mov_b32 s6, s17
.LBB25_3:                               ; =>This Inner Loop Header: Depth=1
	s_load_dword s3, s[0:1], 0x0
	s_load_dword s12, s[0:1], 0x64
	s_mov_b32 s11, s6
	s_waitcnt lgkmcnt(0)
	v_cvt_f32_u32_e32 v1, s3
	s_sub_i32 s6, 0, s3
	v_rcp_iflag_f32_e32 v1, v1
	v_mul_f32_e32 v1, 0x4f7ffffe, v1
	v_cvt_u32_f32_e32 v1, v1
	v_readfirstlane_b32 s13, v1
	s_mul_i32 s6, s6, s13
	s_mul_hi_u32 s6, s13, s6
	s_add_i32 s13, s13, s6
	s_mul_hi_u32 s6, s11, s13
	s_mul_i32 s13, s6, s3
	s_sub_i32 s13, s11, s13
	s_add_i32 s14, s6, 1
	s_sub_i32 s15, s13, s3
	s_cmp_ge_u32 s13, s3
	s_cselect_b32 s6, s14, s6
	s_cselect_b32 s13, s15, s13
	s_add_i32 s14, s6, 1
	s_cmp_ge_u32 s13, s3
	s_cselect_b32 s6, s14, s6
	s_mul_i32 s3, s6, s3
	s_sub_i32 s3, s11, s3
	s_mul_i32 s3, s12, s3
	s_add_i32 s2, s2, -1
	s_add_i32 s7, s3, s7
	s_add_u32 s0, s0, -4
	s_addc_u32 s1, s1, -1
	s_cmp_gt_u32 s2, 2
	s_cbranch_scc1 .LBB25_3
.LBB25_4:
	s_load_dword s2, s[4:5], 0x1c0
	s_add_u32 s0, s4, 0xf0
	s_addc_u32 s1, s5, 0
	s_mov_b32 s21, 0
	s_mov_b32 s11, s17
	s_waitcnt lgkmcnt(0)
	s_cmp_lt_i32 s2, 2
	s_cbranch_scc1 .LBB25_7
; %bb.5:
	s_add_i32 s20, s2, -1
	s_add_i32 s12, s2, 1
	s_lshl_b64 s[2:3], s[20:21], 2
	s_add_u32 s2, s2, s0
	s_addc_u32 s3, s3, s1
	s_add_u32 s2, s2, 8
	s_addc_u32 s3, s3, 0
	s_mov_b32 s11, s17
.LBB25_6:                               ; =>This Inner Loop Header: Depth=1
	s_load_dword s13, s[2:3], 0x0
	s_load_dword s15, s[2:3], 0x64
	s_mov_b32 s14, s11
	s_waitcnt lgkmcnt(0)
	v_cvt_f32_u32_e32 v1, s13
	s_sub_i32 s11, 0, s13
	v_rcp_iflag_f32_e32 v1, v1
	v_mul_f32_e32 v1, 0x4f7ffffe, v1
	v_cvt_u32_f32_e32 v1, v1
	v_readfirstlane_b32 s18, v1
	s_mul_i32 s11, s11, s18
	s_mul_hi_u32 s11, s18, s11
	s_add_i32 s18, s18, s11
	s_mul_hi_u32 s11, s14, s18
	s_mul_i32 s18, s11, s13
	s_sub_i32 s18, s14, s18
	s_add_i32 s19, s11, 1
	s_sub_i32 s20, s18, s13
	s_cmp_ge_u32 s18, s13
	s_cselect_b32 s11, s19, s11
	s_cselect_b32 s18, s20, s18
	s_add_i32 s19, s11, 1
	s_cmp_ge_u32 s18, s13
	s_cselect_b32 s11, s19, s11
	s_mul_i32 s13, s11, s13
	s_sub_i32 s13, s14, s13
	s_mul_i32 s13, s15, s13
	s_add_i32 s12, s12, -1
	s_add_i32 s21, s13, s21
	s_add_u32 s2, s2, -4
	s_addc_u32 s3, s3, -1
	s_cmp_gt_u32 s12, 2
	s_cbranch_scc1 .LBB25_6
.LBB25_7:
	s_load_dword s20, s[4:5], 0x6c
	s_load_dword s13, s[4:5], 0x2a0
	s_add_u32 s2, s4, 0x1d0
	s_addc_u32 s3, s5, 0
	s_mov_b32 s23, 0
	s_mov_b32 s22, s17
	s_waitcnt lgkmcnt(0)
	s_cmp_lt_i32 s13, 2
	s_cbranch_scc1 .LBB25_10
; %bb.8:
	s_add_i32 s22, s13, -1
	s_add_i32 s12, s13, 1
	s_lshl_b64 s[14:15], s[22:23], 2
	s_add_u32 s2, s14, s2
	s_addc_u32 s3, s15, s3
	s_add_u32 s2, s2, 8
	s_addc_u32 s3, s3, 0
	s_mov_b32 s22, s17
.LBB25_9:                               ; =>This Inner Loop Header: Depth=1
	s_load_dword s13, s[2:3], 0x0
	s_load_dword s15, s[2:3], 0x64
	s_mov_b32 s14, s22
	s_waitcnt lgkmcnt(0)
	v_cvt_f32_u32_e32 v1, s13
	s_sub_i32 s18, 0, s13
	v_rcp_iflag_f32_e32 v1, v1
	v_mul_f32_e32 v1, 0x4f7ffffe, v1
	v_cvt_u32_f32_e32 v1, v1
	v_readfirstlane_b32 s19, v1
	s_mul_i32 s18, s18, s19
	s_mul_hi_u32 s18, s19, s18
	s_add_i32 s19, s19, s18
	s_mul_hi_u32 s18, s22, s19
	s_mul_i32 s19, s18, s13
	s_sub_i32 s19, s14, s19
	s_add_i32 s22, s18, 1
	s_sub_i32 s24, s19, s13
	s_cmp_ge_u32 s19, s13
	s_cselect_b32 s18, s22, s18
	s_cselect_b32 s19, s24, s19
	s_add_i32 s22, s18, 1
	s_cmp_ge_u32 s19, s13
	s_cselect_b32 s22, s22, s18
	s_mul_i32 s13, s22, s13
	s_sub_i32 s13, s14, s13
	s_mul_i32 s13, s15, s13
	s_add_i32 s12, s12, -1
	s_add_i32 s23, s13, s23
	s_add_u32 s2, s2, -4
	s_addc_u32 s3, s3, -1
	s_cmp_gt_u32 s12, 2
	s_cbranch_scc1 .LBB25_9
.LBB25_10:
	s_load_dword s33, s[0:1], 0x6c
	s_load_dwordx4 s[12:15], s[4:5], 0x2b8
	v_mov_b32_e32 v1, s17
	s_mul_i32 s30, s17, s10
	s_sub_i32 s40, s16, s30
	s_mov_b32 s31, 0
	s_waitcnt lgkmcnt(0)
	global_load_ubyte v5, v1, s[12:13]
	s_load_dwordx2 s[28:29], s[4:5], 0x0
	s_load_dwordx2 s[26:27], s[4:5], 0xf0
	;; [unrolled: 1-line block ×3, first 2 shown]
	v_cmp_ne_u32_e64 s[0:1], 0, v0
	v_cmp_eq_u32_e64 s[2:3], 0, v0
	s_and_saveexec_b64 s[12:13], s[2:3]
	s_cbranch_execz .LBB25_26
; %bb.11:
	s_load_dwordx2 s[34:35], s[4:5], 0x2c8
	s_lshl_b64 s[36:37], s[30:31], 2
	s_add_u32 s16, s14, s36
	s_addc_u32 s17, s15, s37
	s_mov_b32 s30, 0
	s_waitcnt lgkmcnt(0)
	s_add_u32 s18, s34, s36
	s_addc_u32 s19, s35, s37
	s_mov_b32 s41, 0
	s_cmp_lt_u32 s10, 4
	s_cbranch_scc1 .LBB25_23
; %bb.12:
	s_mov_b32 s42, 0
.LBB25_13:                              ; =>This Inner Loop Header: Depth=1
	s_add_u32 s16, s14, s36
	s_addc_u32 s17, s15, s37
	s_load_dwordx4 s[16:19], s[16:17], 0x0
	s_add_u32 s38, s34, s36
	s_addc_u32 s39, s35, s37
	s_cmp_ge_u32 s42, s40
	s_cbranch_scc0 .LBB25_20
; %bb.14:                               ;   in Loop: Header=BB25_13 Depth=1
	s_add_i32 s43, s42, 1
	s_cmp_ge_u32 s43, s40
	s_cbranch_scc0 .LBB25_21
.LBB25_15:                              ;   in Loop: Header=BB25_13 Depth=1
	s_add_i32 s43, s43, 1
	s_cmp_ge_u32 s43, s40
	s_cbranch_scc0 .LBB25_22
.LBB25_16:                              ;   in Loop: Header=BB25_13 Depth=1
	s_add_i32 s43, s43, 1
	s_cmp_ge_u32 s43, s40
	s_cbranch_scc1 .LBB25_18
.LBB25_17:                              ;   in Loop: Header=BB25_13 Depth=1
	s_load_dword s38, s[38:39], 0xc
	s_waitcnt lgkmcnt(0)
	s_add_i32 s31, s31, s19
	s_add_i32 s30, s38, s30
.LBB25_18:                              ;   in Loop: Header=BB25_13 Depth=1
	s_waitcnt lgkmcnt(0)
	s_add_i32 s16, s16, s41
	s_add_i32 s16, s16, s17
	;; [unrolled: 1-line block ×4, first 2 shown]
	s_add_u32 s14, s14, 16
	s_addc_u32 s15, s15, 0
	s_add_u32 s34, s34, 16
	s_addc_u32 s35, s35, 0
	s_add_i32 s39, s43, 4
	s_add_u32 s18, s34, s36
	s_addc_u32 s19, s35, s37
	s_add_u32 s16, s14, s36
	s_addc_u32 s17, s15, s37
	s_add_i32 s38, s43, 1
	s_cmp_ge_u32 s39, s10
	s_cbranch_scc1 .LBB25_24
; %bb.19:                               ;   in Loop: Header=BB25_13 Depth=1
	s_mov_b32 s42, s38
	s_branch .LBB25_13
.LBB25_20:                              ;   in Loop: Header=BB25_13 Depth=1
	s_load_dword s43, s[38:39], 0x0
	s_waitcnt lgkmcnt(0)
	s_add_i32 s31, s16, s31
	s_add_i32 s30, s43, s30
	;; [unrolled: 1-line block ×3, first 2 shown]
	s_cmp_ge_u32 s43, s40
	s_cbranch_scc1 .LBB25_15
.LBB25_21:                              ;   in Loop: Header=BB25_13 Depth=1
	s_load_dword s44, s[38:39], 0x4
	s_waitcnt lgkmcnt(0)
	s_add_i32 s31, s31, s17
	s_add_i32 s30, s44, s30
	;; [unrolled: 1-line block ×3, first 2 shown]
	s_cmp_ge_u32 s43, s40
	s_cbranch_scc1 .LBB25_16
.LBB25_22:                              ;   in Loop: Header=BB25_13 Depth=1
	s_load_dword s44, s[38:39], 0x8
	s_waitcnt lgkmcnt(0)
	s_add_i32 s31, s31, s18
	s_add_i32 s30, s44, s30
	;; [unrolled: 1-line block ×3, first 2 shown]
	s_cmp_ge_u32 s43, s40
	s_cbranch_scc0 .LBB25_17
	s_branch .LBB25_18
.LBB25_23:
	s_mov_b32 s14, 0
	s_cmp_ge_u32 s14, s10
	s_cbranch_scc0 .LBB25_47
	s_branch .LBB25_25
.LBB25_24:
	s_add_i32 s14, s42, 4
	s_cmp_ge_u32 s14, s10
	s_cbranch_scc0 .LBB25_47
.LBB25_25:
	v_mov_b32_e32 v2, s30
	v_mov_b32_e32 v3, s41
	;; [unrolled: 1-line block ×4, first 2 shown]
	ds_write_b96 v1, v[2:4] offset:1056
.LBB25_26:
	s_or_b64 exec, exec, s[12:13]
	s_load_dword s16, s[4:5], 0x23c
	s_load_dwordx4 s[12:15], s[4:5], 0xd8
	s_waitcnt lgkmcnt(0)
	s_mul_i32 s15, s9, s40
	s_lshl_b32 s15, s15, 8
	s_add_i32 s17, s40, 1
	s_mov_b32 s19, 0
	s_sub_i32 s18, s12, s15
	s_add_u32 s18, s18, 0xff
	s_addc_u32 s30, 0, 0
	v_mov_b32_e32 v1, s18
	v_alignbit_b32 v1, s30, v1, 8
	s_cmp_lt_u32 s17, s10
	v_readfirstlane_b32 s10, v1
	s_cselect_b32 s9, s9, s10
	s_cmp_eq_u32 s9, 0
	s_barrier
	s_cbranch_scc1 .LBB25_49
; %bb.27:
	s_mul_i32 s6, s20, s6
	s_mul_i32 s10, s33, s11
	s_add_i32 s6, s6, s7
	s_mul_i32 s7, s16, s22
	s_add_i32 s17, s10, s21
	s_add_i32 s18, s7, s23
	s_add_u32 s10, s28, s6
	s_addc_u32 s11, s29, 0
	s_add_u32 s16, s26, s17
	v_mov_b32_e32 v1, 0
	s_addc_u32 s17, s27, 0
	s_lshl_b64 s[6:7], s[18:19], 3
	ds_read_b96 v[2:4], v1 offset:1056
	s_add_u32 s18, s24, s6
	s_addc_u32 s19, s25, s7
	s_bitcmp1_b32 s14, 0
	s_load_dword s14, s[4:5], 0xe8
	s_load_dword s21, s[4:5], 0x1c8
	v_lshlrev_b32_e32 v7, 2, v0
	v_lshrrev_b32_e32 v8, 3, v0
	s_waitcnt lgkmcnt(0)
	v_add_u32_e32 v2, v2, v3
	v_lshrrev_b32_e32 v3, 5, v0
	v_add_lshl_u32 v7, v8, v7, 2
	v_add_u32_e32 v8, -1, v0
	v_mbcnt_lo_u32_b32 v10, -1, 0
	s_movk_i32 s20, 0x80
	v_add_lshl_u32 v3, v3, v0, 2
	v_cmp_gt_u32_e64 s[4:5], 64, v0
	v_lshrrev_b32_e32 v9, 5, v8
	v_add_u32_e32 v0, s15, v0
	v_mbcnt_hi_u32_b32 v10, -1, v10
	s_waitcnt vmcnt(0)
	v_add_u32_sdwa v6, sext(v5), s20 dst_sel:DWORD dst_unused:UNUSED_PAD src0_sel:BYTE_0 src1_sel:DWORD
	s_cselect_b64 s[6:7], -1, 0
	v_add_lshl_u32 v8, v9, v8, 2
	v_mul_lo_u32 v9, s14, v0
	s_lshl_b32 s22, s14, 8
	v_and_b32_e32 v11, 15, v10
	v_bfe_i32 v12, v10, 4, 1
	v_add_u32_e32 v13, -1, v10
	v_and_b32_e32 v14, 64, v10
                                        ; implicit-def: $vgpr15
	s_branch .LBB25_30
.LBB25_28:                              ;   in Loop: Header=BB25_30 Depth=1
	s_or_b64 exec, exec, s[14:15]
	v_add_u32_e32 v2, v18, v2
.LBB25_29:                              ;   in Loop: Header=BB25_30 Depth=1
	s_add_i32 s9, s9, -1
	v_add_u32_e32 v4, v17, v4
	v_add_u32_e32 v9, s22, v9
	s_cmp_lg_u32 s9, 0
	v_add_u32_e32 v0, 0x100, v0
	s_cbranch_scc0 .LBB25_49
.LBB25_30:                              ; =>This Inner Loop Header: Depth=1
	v_cmp_gt_u32_e32 vcc, s12, v0
	v_mov_b32_e32 v18, 0
	v_mov_b32_e32 v16, 0
	s_and_saveexec_b64 s[14:15], vcc
	s_cbranch_execz .LBB25_32
; %bb.31:                               ;   in Loop: Header=BB25_30 Depth=1
	global_load_ubyte v15, v9, s[10:11]
	s_waitcnt vmcnt(0)
	v_add_u32_sdwa v16, sext(v15), s20 dst_sel:DWORD dst_unused:UNUSED_PAD src0_sel:BYTE_0 src1_sel:DWORD
	v_cmp_gt_u32_e32 vcc, v16, v6
	v_cndmask_b32_e64 v17, 0, 1, vcc
	v_cmp_lt_u32_e32 vcc, v16, v6
	v_cndmask_b32_e64 v16, 0, 1, vcc
	v_cndmask_b32_e64 v16, v16, v17, s[6:7]
	v_cmp_eq_u16_sdwa s[24:25], v15, v5 src0_sel:DWORD src1_sel:BYTE_0
	v_and_b32_e32 v18, 1, v16
	v_cndmask_b32_e64 v16, 0, 1, s[24:25]
.LBB25_32:                              ;   in Loop: Header=BB25_30 Depth=1
	s_or_b64 exec, exec, s[14:15]
	ds_write_b32 v3, v18
	s_waitcnt lgkmcnt(0)
	s_barrier
	s_and_saveexec_b64 s[14:15], s[4:5]
	s_cbranch_execz .LBB25_34
; %bb.33:                               ;   in Loop: Header=BB25_30 Depth=1
	ds_read2_b32 v[20:21], v7 offset1:1
	ds_read2_b32 v[22:23], v7 offset0:2 offset1:3
	v_cmp_ne_u32_e32 vcc, 0, v11
	; wave barrier
	s_waitcnt lgkmcnt(1)
	v_add_u32_e32 v17, v21, v20
	s_waitcnt lgkmcnt(0)
	v_add3_u32 v17, v17, v22, v23
	s_nop 1
	v_mov_b32_dpp v19, v17 row_shr:1 row_mask:0xf bank_mask:0xf
	v_cndmask_b32_e32 v19, 0, v19, vcc
	v_add_u32_e32 v17, v19, v17
	v_cmp_lt_u32_e32 vcc, 1, v11
	s_nop 0
	v_mov_b32_dpp v19, v17 row_shr:2 row_mask:0xf bank_mask:0xf
	v_cndmask_b32_e32 v19, 0, v19, vcc
	v_add_u32_e32 v17, v17, v19
	v_cmp_lt_u32_e32 vcc, 3, v11
	;; [unrolled: 5-line block ×4, first 2 shown]
	s_nop 0
	v_mov_b32_dpp v19, v17 row_bcast:15 row_mask:0xf bank_mask:0xf
	v_and_b32_e32 v19, v12, v19
	v_add_u32_e32 v17, v17, v19
	s_nop 1
	v_mov_b32_dpp v19, v17 row_bcast:31 row_mask:0xf bank_mask:0xf
	v_cndmask_b32_e32 v19, 0, v19, vcc
	v_cmp_lt_i32_e32 vcc, v13, v14
	v_add_u32_e32 v17, v17, v19
	v_cndmask_b32_e32 v19, v13, v10, vcc
	v_lshlrev_b32_e32 v19, 2, v19
	ds_bpermute_b32 v17, v19, v17
	s_waitcnt lgkmcnt(0)
	v_add_u32_e32 v17, v17, v20
	v_cndmask_b32_e64 v17, v17, v18, s[2:3]
	ds_write_b32 v7, v17
	; wave barrier
	ds_read2_b32 v[20:21], v7 offset0:1 offset1:2
	ds_read_b32 v19, v7 offset:12
	s_waitcnt lgkmcnt(1)
	v_add_u32_e32 v17, v20, v17
	v_add_u32_e32 v20, v21, v17
	ds_write2_b32 v7, v17, v20 offset0:1 offset1:2
	s_waitcnt lgkmcnt(1)
	v_add_u32_e32 v17, v19, v20
	ds_write_b32 v7, v17 offset:12
.LBB25_34:                              ;   in Loop: Header=BB25_30 Depth=1
	s_or_b64 exec, exec, s[14:15]
	v_mov_b32_e32 v19, 0
	s_waitcnt lgkmcnt(0)
	s_barrier
	s_and_saveexec_b64 s[14:15], s[0:1]
	s_cbranch_execz .LBB25_36
; %bb.35:                               ;   in Loop: Header=BB25_30 Depth=1
	ds_read_b32 v19, v8
.LBB25_36:                              ;   in Loop: Header=BB25_30 Depth=1
	s_or_b64 exec, exec, s[14:15]
	ds_read_b32 v17, v1 offset:1048
	v_cmp_ne_u32_e32 vcc, 0, v18
	s_waitcnt lgkmcnt(0)
	s_barrier
	s_and_saveexec_b64 s[14:15], vcc
	s_cbranch_execz .LBB25_38
; %bb.37:                               ;   in Loop: Header=BB25_30 Depth=1
	v_add_u32_e32 v18, v19, v4
	v_mul_lo_u32 v19, v18, s21
	global_store_byte v19, v15, s[16:17]
	v_mul_lo_u32 v18, v18, s8
	v_mov_b32_e32 v19, v1
	v_lshlrev_b64 v[18:19], 3, v[18:19]
	v_mov_b32_e32 v20, s19
	v_add_co_u32_e32 v18, vcc, s18, v18
	v_addc_co_u32_e32 v19, vcc, v20, v19, vcc
	global_store_dwordx2 v[18:19], v[0:1], off
.LBB25_38:                              ;   in Loop: Header=BB25_30 Depth=1
	s_or_b64 exec, exec, s[14:15]
	v_cmp_le_u32_e32 vcc, s13, v2
	s_cbranch_vccnz .LBB25_29
; %bb.39:                               ;   in Loop: Header=BB25_30 Depth=1
	ds_write_b32 v3, v16
	s_waitcnt lgkmcnt(0)
	s_barrier
	s_and_saveexec_b64 s[14:15], s[4:5]
	s_cbranch_execz .LBB25_41
; %bb.40:                               ;   in Loop: Header=BB25_30 Depth=1
	ds_read2_b32 v[18:19], v7 offset1:1
	ds_read2_b32 v[20:21], v7 offset0:2 offset1:3
	v_cmp_ne_u32_e32 vcc, 0, v11
	; wave barrier
	s_waitcnt lgkmcnt(1)
	v_add_u32_e32 v19, v19, v18
	s_waitcnt lgkmcnt(0)
	v_add3_u32 v19, v19, v20, v21
	s_nop 1
	v_mov_b32_dpp v20, v19 row_shr:1 row_mask:0xf bank_mask:0xf
	v_cndmask_b32_e32 v20, 0, v20, vcc
	v_add_u32_e32 v19, v20, v19
	v_cmp_lt_u32_e32 vcc, 1, v11
	s_nop 0
	v_mov_b32_dpp v20, v19 row_shr:2 row_mask:0xf bank_mask:0xf
	v_cndmask_b32_e32 v20, 0, v20, vcc
	v_add_u32_e32 v19, v19, v20
	v_cmp_lt_u32_e32 vcc, 3, v11
	;; [unrolled: 5-line block ×4, first 2 shown]
	s_nop 0
	v_mov_b32_dpp v20, v19 row_bcast:15 row_mask:0xf bank_mask:0xf
	v_and_b32_e32 v20, v12, v20
	v_add_u32_e32 v19, v19, v20
	s_nop 1
	v_mov_b32_dpp v20, v19 row_bcast:31 row_mask:0xf bank_mask:0xf
	v_cndmask_b32_e32 v20, 0, v20, vcc
	v_cmp_lt_i32_e32 vcc, v13, v14
	v_add_u32_e32 v19, v19, v20
	v_cndmask_b32_e32 v20, v13, v10, vcc
	v_lshlrev_b32_e32 v20, 2, v20
	ds_bpermute_b32 v19, v20, v19
	s_waitcnt lgkmcnt(0)
	v_add_u32_e32 v18, v19, v18
	v_cndmask_b32_e64 v20, v18, v16, s[2:3]
	ds_write_b32 v7, v20
	; wave barrier
	ds_read2_b32 v[18:19], v7 offset0:1 offset1:2
	ds_read_b32 v21, v7 offset:12
	s_waitcnt lgkmcnt(1)
	v_add_u32_e32 v18, v18, v20
	v_add_u32_e32 v19, v19, v18
	ds_write2_b32 v7, v18, v19 offset0:1 offset1:2
	s_waitcnt lgkmcnt(1)
	v_add_u32_e32 v18, v21, v19
	ds_write_b32 v7, v18 offset:12
.LBB25_41:                              ;   in Loop: Header=BB25_30 Depth=1
	s_or_b64 exec, exec, s[14:15]
	v_mov_b32_e32 v19, 0
	s_waitcnt lgkmcnt(0)
	s_barrier
	s_and_saveexec_b64 s[14:15], s[0:1]
	s_cbranch_execz .LBB25_43
; %bb.42:                               ;   in Loop: Header=BB25_30 Depth=1
	ds_read_b32 v19, v8
.LBB25_43:                              ;   in Loop: Header=BB25_30 Depth=1
	s_or_b64 exec, exec, s[14:15]
	ds_read_b32 v18, v1 offset:1048
	v_cmp_ne_u32_e32 vcc, 0, v16
	s_waitcnt lgkmcnt(0)
	s_barrier
	s_and_saveexec_b64 s[14:15], vcc
	s_cbranch_execz .LBB25_28
; %bb.44:                               ;   in Loop: Header=BB25_30 Depth=1
	v_add_u32_e32 v16, v19, v2
	v_cmp_gt_u32_e32 vcc, s13, v16
	s_and_b64 exec, exec, vcc
	s_cbranch_execz .LBB25_28
; %bb.45:                               ;   in Loop: Header=BB25_30 Depth=1
	v_mul_lo_u32 v20, v16, s8
	v_mov_b32_e32 v21, v1
	v_lshlrev_b64 v[20:21], 3, v[20:21]
	v_mul_lo_u32 v19, v16, s21
	v_mov_b32_e32 v16, s19
	v_add_co_u32_e32 v20, vcc, s18, v20
	v_addc_co_u32_e32 v21, vcc, v16, v21, vcc
	global_store_byte v19, v15, s[16:17]
	global_store_dwordx2 v[20:21], v[0:1], off
	s_branch .LBB25_28
.LBB25_46:                              ;   in Loop: Header=BB25_47 Depth=1
	s_add_u32 s16, s16, 4
	s_addc_u32 s17, s17, 0
	s_waitcnt lgkmcnt(0)
	s_add_i32 s41, s15, s41
	s_add_u32 s18, s18, 4
	s_addc_u32 s19, s19, 0
	s_add_i32 s14, s14, 1
	s_cmp_lt_u32 s14, s10
	s_cbranch_scc0 .LBB25_25
.LBB25_47:                              ; =>This Inner Loop Header: Depth=1
	s_load_dword s15, s[16:17], 0x0
	s_cmp_ge_u32 s14, s40
	s_cbranch_scc1 .LBB25_46
; %bb.48:                               ;   in Loop: Header=BB25_47 Depth=1
	s_load_dword s34, s[18:19], 0x0
	s_waitcnt lgkmcnt(0)
	s_add_i32 s31, s15, s31
	s_add_i32 s30, s34, s30
	s_branch .LBB25_46
.LBB25_49:
	s_endpgm
	.section	.rodata,"a",@progbits
	.p2align	6, 0x0
	.amdhsa_kernel _ZN2at6native6mbtopk10gatherTopKIajLin1EEEvNS_4cuda6detail10TensorInfoIKT_T0_EES8_S8_bjS8_NS5_IS6_S8_EES8_NS5_IlS8_EES8_jjPS6_PjSD_j
		.amdhsa_group_segment_fixed_size 1068
		.amdhsa_private_segment_fixed_size 0
		.amdhsa_kernarg_size 984
		.amdhsa_user_sgpr_count 6
		.amdhsa_user_sgpr_private_segment_buffer 1
		.amdhsa_user_sgpr_dispatch_ptr 0
		.amdhsa_user_sgpr_queue_ptr 0
		.amdhsa_user_sgpr_kernarg_segment_ptr 1
		.amdhsa_user_sgpr_dispatch_id 0
		.amdhsa_user_sgpr_flat_scratch_init 0
		.amdhsa_user_sgpr_kernarg_preload_length 0
		.amdhsa_user_sgpr_kernarg_preload_offset 0
		.amdhsa_user_sgpr_private_segment_size 0
		.amdhsa_uses_dynamic_stack 0
		.amdhsa_system_sgpr_private_segment_wavefront_offset 0
		.amdhsa_system_sgpr_workgroup_id_x 1
		.amdhsa_system_sgpr_workgroup_id_y 1
		.amdhsa_system_sgpr_workgroup_id_z 1
		.amdhsa_system_sgpr_workgroup_info 0
		.amdhsa_system_vgpr_workitem_id 0
		.amdhsa_next_free_vgpr 24
		.amdhsa_next_free_sgpr 45
		.amdhsa_accum_offset 24
		.amdhsa_reserve_vcc 1
		.amdhsa_reserve_flat_scratch 0
		.amdhsa_float_round_mode_32 0
		.amdhsa_float_round_mode_16_64 0
		.amdhsa_float_denorm_mode_32 3
		.amdhsa_float_denorm_mode_16_64 3
		.amdhsa_dx10_clamp 1
		.amdhsa_ieee_mode 1
		.amdhsa_fp16_overflow 0
		.amdhsa_tg_split 0
		.amdhsa_exception_fp_ieee_invalid_op 0
		.amdhsa_exception_fp_denorm_src 0
		.amdhsa_exception_fp_ieee_div_zero 0
		.amdhsa_exception_fp_ieee_overflow 0
		.amdhsa_exception_fp_ieee_underflow 0
		.amdhsa_exception_fp_ieee_inexact 0
		.amdhsa_exception_int_div_zero 0
	.end_amdhsa_kernel
	.section	.text._ZN2at6native6mbtopk10gatherTopKIajLin1EEEvNS_4cuda6detail10TensorInfoIKT_T0_EES8_S8_bjS8_NS5_IS6_S8_EES8_NS5_IlS8_EES8_jjPS6_PjSD_j,"axG",@progbits,_ZN2at6native6mbtopk10gatherTopKIajLin1EEEvNS_4cuda6detail10TensorInfoIKT_T0_EES8_S8_bjS8_NS5_IS6_S8_EES8_NS5_IlS8_EES8_jjPS6_PjSD_j,comdat
.Lfunc_end25:
	.size	_ZN2at6native6mbtopk10gatherTopKIajLin1EEEvNS_4cuda6detail10TensorInfoIKT_T0_EES8_S8_bjS8_NS5_IS6_S8_EES8_NS5_IlS8_EES8_jjPS6_PjSD_j, .Lfunc_end25-_ZN2at6native6mbtopk10gatherTopKIajLin1EEEvNS_4cuda6detail10TensorInfoIKT_T0_EES8_S8_bjS8_NS5_IS6_S8_EES8_NS5_IlS8_EES8_jjPS6_PjSD_j
                                        ; -- End function
	.section	.AMDGPU.csdata,"",@progbits
; Kernel info:
; codeLenInByte = 2632
; NumSgprs: 49
; NumVgprs: 24
; NumAgprs: 0
; TotalNumVgprs: 24
; ScratchSize: 0
; MemoryBound: 0
; FloatMode: 240
; IeeeMode: 1
; LDSByteSize: 1068 bytes/workgroup (compile time only)
; SGPRBlocks: 6
; VGPRBlocks: 2
; NumSGPRsForWavesPerEU: 49
; NumVGPRsForWavesPerEU: 24
; AccumOffset: 24
; Occupancy: 8
; WaveLimiterHint : 1
; COMPUTE_PGM_RSRC2:SCRATCH_EN: 0
; COMPUTE_PGM_RSRC2:USER_SGPR: 6
; COMPUTE_PGM_RSRC2:TRAP_HANDLER: 0
; COMPUTE_PGM_RSRC2:TGID_X_EN: 1
; COMPUTE_PGM_RSRC2:TGID_Y_EN: 1
; COMPUTE_PGM_RSRC2:TGID_Z_EN: 1
; COMPUTE_PGM_RSRC2:TIDIG_COMP_CNT: 0
; COMPUTE_PGM_RSRC3_GFX90A:ACCUM_OFFSET: 5
; COMPUTE_PGM_RSRC3_GFX90A:TG_SPLIT: 0
	.section	.text._ZN2at6native6sbtopk10gatherTopKIajLin1ELb0EEEvNS_4cuda6detail10TensorInfoIKT_T0_EES8_S8_bS8_S8_NS5_IS6_S8_EES8_NS5_IlS8_EES8_PS6_,"axG",@progbits,_ZN2at6native6sbtopk10gatherTopKIajLin1ELb0EEEvNS_4cuda6detail10TensorInfoIKT_T0_EES8_S8_bS8_S8_NS5_IS6_S8_EES8_NS5_IlS8_EES8_PS6_,comdat
	.protected	_ZN2at6native6sbtopk10gatherTopKIajLin1ELb0EEEvNS_4cuda6detail10TensorInfoIKT_T0_EES8_S8_bS8_S8_NS5_IS6_S8_EES8_NS5_IlS8_EES8_PS6_ ; -- Begin function _ZN2at6native6sbtopk10gatherTopKIajLin1ELb0EEEvNS_4cuda6detail10TensorInfoIKT_T0_EES8_S8_bS8_S8_NS5_IS6_S8_EES8_NS5_IlS8_EES8_PS6_
	.globl	_ZN2at6native6sbtopk10gatherTopKIajLin1ELb0EEEvNS_4cuda6detail10TensorInfoIKT_T0_EES8_S8_bS8_S8_NS5_IS6_S8_EES8_NS5_IlS8_EES8_PS6_
	.p2align	8
	.type	_ZN2at6native6sbtopk10gatherTopKIajLin1ELb0EEEvNS_4cuda6detail10TensorInfoIKT_T0_EES8_S8_bS8_S8_NS5_IS6_S8_EES8_NS5_IlS8_EES8_PS6_,@function
_ZN2at6native6sbtopk10gatherTopKIajLin1ELb0EEEvNS_4cuda6detail10TensorInfoIKT_T0_EES8_S8_bS8_S8_NS5_IS6_S8_EES8_NS5_IlS8_EES8_PS6_: ; @_ZN2at6native6sbtopk10gatherTopKIajLin1ELb0EEEvNS_4cuda6detail10TensorInfoIKT_T0_EES8_S8_bS8_S8_NS5_IS6_S8_EES8_NS5_IlS8_EES8_PS6_
; %bb.0:
	s_load_dwordx2 s[10:11], s[4:5], 0x2b8
	s_load_dwordx4 s[60:63], s[4:5], 0xd8
	s_mov_b64 s[20:21], s[4:5]
	s_add_u32 s2, s20, 0x2b8
	s_addc_u32 s3, s21, 0
	s_waitcnt lgkmcnt(0)
	s_mul_i32 s0, s11, s8
	s_add_i32 s0, s0, s7
	s_mul_i32 s0, s0, s10
	s_add_i32 s78, s0, s6
	s_cmp_ge_u32 s78, s63
	s_cbranch_scc1 .LBB26_420
; %bb.1:
	s_load_dword s5, s[20:21], 0xd0
	s_load_dword s19, s[20:21], 0xe8
	s_mov_b32 s1, 0
	s_mov_b32 s0, s78
	s_waitcnt lgkmcnt(0)
	s_cmp_lt_i32 s5, 2
	s_cbranch_scc1 .LBB26_4
; %bb.2:
	s_add_i32 s0, s5, -1
	s_add_i32 s4, s5, 1
	s_lshl_b64 s[8:9], s[0:1], 2
	s_add_u32 s0, s8, s20
	s_addc_u32 s5, s9, s21
	s_add_u32 s8, s0, 8
	s_addc_u32 s9, s5, 0
	s_mov_b32 s0, s78
.LBB26_3:                               ; =>This Inner Loop Header: Depth=1
	s_load_dword s5, s[8:9], 0x0
	s_load_dword s11, s[8:9], 0x64
	s_mov_b32 s7, s0
	s_waitcnt lgkmcnt(0)
	v_cvt_f32_u32_e32 v1, s5
	s_sub_i32 s0, 0, s5
	v_rcp_iflag_f32_e32 v1, v1
	v_mul_f32_e32 v1, 0x4f7ffffe, v1
	v_cvt_u32_f32_e32 v1, v1
	v_readfirstlane_b32 s12, v1
	s_mul_i32 s0, s0, s12
	s_mul_hi_u32 s0, s12, s0
	s_add_i32 s12, s12, s0
	s_mul_hi_u32 s0, s7, s12
	s_mul_i32 s12, s0, s5
	s_sub_i32 s12, s7, s12
	s_add_i32 s13, s0, 1
	s_sub_i32 s14, s12, s5
	s_cmp_ge_u32 s12, s5
	s_cselect_b32 s0, s13, s0
	s_cselect_b32 s12, s14, s12
	s_add_i32 s13, s0, 1
	s_cmp_ge_u32 s12, s5
	s_cselect_b32 s0, s13, s0
	s_mul_i32 s5, s0, s5
	s_sub_i32 s5, s7, s5
	s_mul_i32 s5, s11, s5
	s_add_i32 s4, s4, -1
	s_add_i32 s1, s5, s1
	s_add_u32 s8, s8, -4
	s_addc_u32 s9, s9, -1
	s_cmp_gt_u32 s4, 2
	s_cbranch_scc1 .LBB26_3
.LBB26_4:
	s_load_dword s5, s[20:21], 0x1c0
	s_add_u32 s8, s20, 0xf0
	s_addc_u32 s9, s21, 0
	s_mov_b32 s67, 0
	s_mov_b32 s79, s78
	s_waitcnt lgkmcnt(0)
	s_cmp_lt_i32 s5, 2
	s_cbranch_scc1 .LBB26_7
; %bb.5:
	s_add_i32 s66, s5, -1
	s_add_i32 s4, s5, 1
	s_lshl_b64 s[12:13], s[66:67], 2
	s_add_u32 s5, s12, s8
	s_addc_u32 s7, s13, s9
	s_add_u32 s12, s5, 8
	s_addc_u32 s13, s7, 0
	s_mov_b32 s79, s78
.LBB26_6:                               ; =>This Inner Loop Header: Depth=1
	s_load_dword s5, s[12:13], 0x0
	s_load_dword s11, s[12:13], 0x64
	s_mov_b32 s7, s79
	s_waitcnt lgkmcnt(0)
	v_cvt_f32_u32_e32 v1, s5
	s_sub_i32 s14, 0, s5
	v_rcp_iflag_f32_e32 v1, v1
	v_mul_f32_e32 v1, 0x4f7ffffe, v1
	v_cvt_u32_f32_e32 v1, v1
	v_readfirstlane_b32 s15, v1
	s_mul_i32 s14, s14, s15
	s_mul_hi_u32 s14, s15, s14
	s_add_i32 s15, s15, s14
	s_mul_hi_u32 s14, s79, s15
	s_mul_i32 s15, s14, s5
	s_sub_i32 s15, s79, s15
	s_add_i32 s16, s14, 1
	s_sub_i32 s17, s15, s5
	s_cmp_ge_u32 s15, s5
	s_cselect_b32 s14, s16, s14
	s_cselect_b32 s15, s17, s15
	s_add_i32 s16, s14, 1
	s_cmp_ge_u32 s15, s5
	s_cselect_b32 s79, s16, s14
	s_mul_i32 s5, s79, s5
	s_sub_i32 s5, s7, s5
	s_mul_i32 s5, s11, s5
	s_add_i32 s4, s4, -1
	s_add_i32 s67, s5, s67
	s_add_u32 s12, s12, -4
	s_addc_u32 s13, s13, -1
	s_cmp_gt_u32 s4, 2
	s_cbranch_scc1 .LBB26_6
.LBB26_7:
	s_load_dword s4, s[20:21], 0x6c
	s_load_dword s12, s[20:21], 0x2a0
	s_add_u32 s7, s20, 0x1d0
	s_addc_u32 s11, s21, 0
	s_mov_b32 s69, 0
	s_waitcnt lgkmcnt(0)
	s_cmp_lt_i32 s12, 2
	s_cbranch_scc1 .LBB26_10
; %bb.8:
	s_add_i32 s68, s12, -1
	s_add_i32 s5, s12, 1
	s_lshl_b64 s[12:13], s[68:69], 2
	s_add_u32 s7, s12, s7
	s_addc_u32 s11, s13, s11
	s_add_u32 s12, s7, 8
	s_addc_u32 s13, s11, 0
.LBB26_9:                               ; =>This Inner Loop Header: Depth=1
	s_load_dword s7, s[12:13], 0x0
	s_load_dword s14, s[12:13], 0x64
	s_mov_b32 s11, s78
	s_waitcnt lgkmcnt(0)
	v_cvt_f32_u32_e32 v1, s7
	s_sub_i32 s15, 0, s7
	v_rcp_iflag_f32_e32 v1, v1
	v_mul_f32_e32 v1, 0x4f7ffffe, v1
	v_cvt_u32_f32_e32 v1, v1
	v_readfirstlane_b32 s16, v1
	s_mul_i32 s15, s15, s16
	s_mul_hi_u32 s15, s16, s15
	s_add_i32 s16, s16, s15
	s_mul_hi_u32 s15, s78, s16
	s_mul_i32 s16, s15, s7
	s_sub_i32 s16, s78, s16
	s_add_i32 s17, s15, 1
	s_sub_i32 s18, s16, s7
	s_cmp_ge_u32 s16, s7
	s_cselect_b32 s15, s17, s15
	s_cselect_b32 s16, s18, s16
	s_add_i32 s17, s15, 1
	s_cmp_ge_u32 s16, s7
	s_cselect_b32 s78, s17, s15
	s_mul_i32 s7, s78, s7
	s_sub_i32 s7, s11, s7
	s_mul_i32 s7, s14, s7
	s_add_i32 s5, s5, -1
	s_add_i32 s69, s7, s69
	s_add_u32 s12, s12, -4
	s_addc_u32 s13, s13, -1
	s_cmp_gt_u32 s5, 2
	s_cbranch_scc1 .LBB26_9
.LBB26_10:
	s_load_dword s5, s[8:9], 0x6c
	s_nop 0
	s_load_dwordx2 s[8:9], s[20:21], 0x0
	s_load_dwordx2 s[12:13], s[20:21], 0xf0
                                        ; implicit-def: $vgpr46 : SGPR spill to VGPR lane
	v_cmp_eq_u32_e64 s[14:15], 0, v0
	s_waitcnt lgkmcnt(0)
	v_writelane_b32 v46, s5, 0
	v_writelane_b32 v46, s12, 1
	;; [unrolled: 1-line block ×3, first 2 shown]
	s_load_dwordx2 s[12:13], s[20:21], 0x1d0
	s_waitcnt lgkmcnt(0)
	v_writelane_b32 v46, s12, 3
	v_writelane_b32 v46, s13, 4
	s_mov_b32 s12, 0
	v_writelane_b32 v46, s12, 5
	v_writelane_b32 v46, s13, 6
	s_mov_b64 s[12:13], exec
	v_writelane_b32 v46, s14, 7
	v_writelane_b32 v46, s15, 8
	s_and_b64 s[14:15], s[12:13], s[14:15]
	s_mov_b64 exec, s[14:15]
	s_cbranch_execz .LBB26_12
; %bb.11:
	v_mov_b32_e32 v2, 0
	v_mov_b32_e32 v3, s60
	;; [unrolled: 1-line block ×3, first 2 shown]
	ds_write_b96 v2, v[2:4] offset:4096
.LBB26_12:
	s_or_b64 exec, exec, s[12:13]
	v_writelane_b32 v46, s20, 9
	s_load_dword s5, s[20:21], 0x23c
	s_mul_i32 s0, s4, s0
	s_add_i32 s0, s0, s1
	s_add_u32 s64, s8, s0
	s_addc_u32 s65, s9, 0
	v_writelane_b32 v46, s21, 10
	s_waitcnt lgkmcnt(0)
	s_barrier
	s_load_dword s0, s[2:3], 0xc
	s_bitcmp1_b32 s62, 0
	v_writelane_b32 v46, s5, 11
	s_cselect_b64 s[4:5], -1, 0
	v_writelane_b32 v46, s4, 12
	v_writelane_b32 v46, s5, 13
	s_xor_b64 s[4:5], s[4:5], -1
	v_mbcnt_lo_u32_b32 v2, -1, 0
	v_writelane_b32 v46, s4, 14
	v_mbcnt_hi_u32_b32 v13, -1, v2
	v_writelane_b32 v46, s5, 15
	s_waitcnt lgkmcnt(0)
	s_and_b32 s33, s0, 0xffff
	s_bfe_u32 s5, s0, 0xa0006
	v_cmp_gt_u32_e32 vcc, 64, v0
	v_cmp_gt_i32_e64 s[0:1], 4, v13
	s_lshl_b32 s68, s33, 2
	s_and_b64 s[0:1], vcc, s[0:1]
	v_writelane_b32 v46, s0, 16
	s_cmpk_gt_u32 s60, 0xc00
	v_writelane_b32 v46, s1, 17
	s_cselect_b64 s[0:1], -1, 0
	v_writelane_b32 v46, s0, 18
	s_cmp_gt_u32 s33, 63
	v_writelane_b32 v46, s1, 19
	s_cselect_b64 s[0:1], -1, 0
	v_writelane_b32 v46, s0, 20
	v_writelane_b32 v46, s1, 21
	s_add_i32 s0, s33, -1
	s_add_i32 s4, s0, s60
	s_cmp_lt_u32 s6, s10
	v_writelane_b32 v46, s0, 22
	s_cselect_b32 s0, 12, 18
	s_add_u32 s0, s2, s0
	s_addc_u32 s1, s3, 0
	v_writelane_b32 v46, s0, 23
	s_add_i32 s2, s5, -2
	v_writelane_b32 v46, s1, 24
	s_lshr_b32 s0, s2, 1
	s_add_i32 s3, s0, 1
	s_cmpk_gt_u32 s33, 0x7f
	s_cselect_b64 s[0:1], -1, 0
	v_writelane_b32 v46, s0, 25
	v_mul_lo_u32 v15, v0, s19
	v_writelane_b32 v46, s1, 26
	v_mov_b32_e32 v2, s65
	v_add_co_u32_e32 v8, vcc, s64, v15
	v_cmp_gt_u32_e64 s[6:7], s60, v0
	v_addc_co_u32_e32 v9, vcc, 0, v2, vcc
	v_writelane_b32 v46, s6, 27
	v_lshrrev_b32_e32 v2, 4, v0
	v_writelane_b32 v46, s7, 28
	v_and_b32_e32 v16, 60, v2
	v_cmp_gt_u32_e64 s[6:7], 2, v0
	v_lshlrev_b64 v[2:3], v13, -1
	v_writelane_b32 v46, s6, 29
	v_not_b32_e32 v6, v2
	v_cvt_f32_u32_e32 v2, s68
	v_writelane_b32 v46, s7, 30
	s_and_b32 s6, s5, 0x3fe
	s_and_b32 s7, s3, 7
	s_cmp_gt_u32 s2, 13
	s_cselect_b64 s[8:9], -1, 0
	v_writelane_b32 v46, s8, 31
	v_rcp_iflag_f32_e32 v2, v2
	v_writelane_b32 v46, s9, 32
	s_and_b32 s2, s3, -8
	v_writelane_b32 v46, s2, 33
	s_cmp_lg_u32 s7, 0
	v_writelane_b32 v46, s7, 34
	s_cselect_b64 s[2:3], -1, 0
	v_writelane_b32 v46, s2, 35
	v_mul_f32_e32 v2, 0x4f7ffffe, v2
	v_writelane_b32 v46, s3, 36
	v_cvt_u32_f32_e32 v2, v2
	v_writelane_b32 v46, s5, 37
	s_cmp_lg_u32 s6, s5
	v_writelane_b32 v46, s6, 38
	s_cselect_b64 s[2:3], -1, 0
	v_writelane_b32 v46, s2, 39
	v_writelane_b32 v46, s3, 40
	s_sub_i32 s2, 0, s68
	v_readfirstlane_b32 s3, v2
	v_cvt_f32_u32_e32 v2, s33
	s_mul_i32 s2, s2, s3
	s_mul_hi_u32 s2, s3, s2
	s_add_i32 s2, s3, s2
	v_writelane_b32 v46, s2, 41
	s_mul_hi_u32 s2, s60, s2
	v_rcp_iflag_f32_e32 v2, v2
	s_mul_i32 s2, s2, s68
	s_sub_i32 s2, s60, s2
	s_sub_i32 s3, s2, s68
	s_cmp_ge_u32 s2, s68
	v_mul_f32_e32 v2, 0x4f7ffffe, v2
	s_cselect_b32 s2, s3, s2
	v_cvt_u32_f32_e32 v2, v2
	s_sub_i32 s3, s2, s68
	s_cmp_ge_u32 s2, s68
	s_cselect_b32 s2, s3, s2
	v_lshlrev_b32_e32 v14, 2, v0
	s_sub_i32 s81, s60, s2
	s_sub_i32 s3, 0, s33
	v_readfirstlane_b32 s5, v2
	v_cmp_gt_u32_e64 s[6:7], s81, v14
	s_mul_i32 s3, s3, s5
	v_writelane_b32 v46, s6, 42
	s_mul_hi_u32 s3, s5, s3
	v_writelane_b32 v46, s7, 43
	s_add_i32 s3, s5, s3
	v_writelane_b32 v46, s3, 44
	s_mul_hi_u32 s3, s4, s3
	s_mul_i32 s3, s3, s33
	s_sub_i32 s3, s4, s3
	s_sub_i32 s5, s3, s33
	s_cmp_ge_u32 s3, s33
	s_cselect_b32 s3, s5, s3
	s_sub_i32 s5, s3, s33
	s_cmp_ge_u32 s3, s33
	v_mul_lo_u32 v2, s19, v14
	s_cselect_b32 s3, s5, s3
	v_add_u32_e32 v18, s19, v2
	v_or_b32_e32 v2, 2, v14
	v_add_u32_e32 v17, s81, v0
	s_sub_i32 s12, s4, s3
	v_mul_lo_u32 v19, s19, v2
	v_or_b32_e32 v2, 3, v14
	s_add_i32 s3, s33, s60
	v_not_b32_e32 v7, v3
	v_mul_lo_u32 v3, v17, s19
	v_cmp_gt_u32_e64 s[4:5], s12, v0
	v_mul_lo_u32 v20, s19, v2
	v_add_u32_e32 v2, s3, v0
	v_lshlrev_b32_e32 v4, 2, v13
	v_mov_b32_e32 v5, s65
	v_add_co_u32_e32 v10, vcc, s64, v3
	v_writelane_b32 v46, s4, 45
	s_mul_i32 s66, s19, s33
	v_subrev_u32_e32 v2, s2, v2
	v_mov_b32_e32 v1, 0
	v_cmp_eq_u32_e64 s[0:1], 0, v13
	v_and_b32_e32 v12, 0x100, v4
	v_cmp_gt_u32_e64 s[14:15], s60, v17
	v_addc_co_u32_e32 v11, vcc, 0, v5, vcc
	v_writelane_b32 v46, s5, 46
	s_lshl_b32 s13, s66, 2
	v_lshlrev_b32_e32 v21, 2, v15
	v_mul_lo_u32 v22, s19, v2
	v_or_b32_e32 v23, 0xc00, v4
	s_mov_b32 s74, 6
	s_mov_b64 s[92:93], 0
	v_mov_b32_e32 v24, 0
	v_mov_b32_e32 v29, s61
	s_movk_i32 s80, 0x80
	v_mov_b32_e32 v25, 0xc00
	v_mov_b32_e32 v28, 0
	s_mov_b32 s75, 0
	v_mov_b32_e32 v27, 0
	v_mov_b32_e32 v26, 0
	v_writelane_b32 v46, s19, 47
                                        ; implicit-def: $sgpr94_sgpr95
                                        ; implicit-def: $sgpr70_sgpr71
                                        ; implicit-def: $sgpr2_sgpr3
                                        ; implicit-def: $sgpr86_sgpr87
                                        ; implicit-def: $sgpr72_sgpr73
                                        ; implicit-def: $sgpr88_sgpr89
                                        ; implicit-def: $sgpr90_sgpr91
                                        ; implicit-def: $sgpr82_sgpr83
                                        ; implicit-def: $sgpr84_sgpr85
                                        ; implicit-def: $sgpr16_sgpr17
	s_branch .LBB26_15
.LBB26_13:                              ;   in Loop: Header=BB26_15 Depth=1
	s_or_b64 exec, exec, s[20:21]
	s_andn2_b64 s[4:5], s[16:17], exec
	s_and_b64 s[10:11], s[18:19], exec
	s_or_b64 s[16:17], s[4:5], s[10:11]
	s_andn2_b64 s[84:85], s[84:85], exec
	s_andn2_b64 s[82:83], s[82:83], exec
	;; [unrolled: 1-line block ×4, first 2 shown]
	s_orn2_b64 s[8:9], s[8:9], exec
	v_mov_b32_e32 v26, v3
	v_mov_b32_e32 v27, v2
	;; [unrolled: 1-line block ×4, first 2 shown]
.LBB26_14:                              ;   in Loop: Header=BB26_15 Depth=1
	s_or_b64 exec, exec, s[6:7]
	s_and_b64 s[4:5], exec, s[8:9]
	s_or_b64 s[92:93], s[4:5], s[92:93]
	s_andn2_b64 s[4:5], s[72:73], exec
	s_and_b64 s[6:7], s[16:17], exec
	s_or_b64 s[72:73], s[4:5], s[6:7]
	s_andn2_b64 s[4:5], s[86:87], exec
	s_and_b64 s[6:7], s[84:85], exec
	;; [unrolled: 3-line block ×5, first 2 shown]
	s_or_b64 s[94:95], s[4:5], s[6:7]
	s_andn2_b64 exec, exec, s[92:93]
	s_cbranch_execz .LBB26_416
.LBB26_15:                              ; =>This Loop Header: Depth=1
                                        ;     Child Loop BB26_20 Depth 2
                                        ;     Child Loop BB26_38 Depth 2
	;; [unrolled: 1-line block ×25, first 2 shown]
	ds_read_b64 v[2:3], v24 offset:4096
	s_waitcnt lgkmcnt(0)
	v_readfirstlane_b32 s4, v2
	s_cmp_lg_u32 s4, 0
	s_cbranch_scc1 .LBB26_45
; %bb.16:                               ;   in Loop: Header=BB26_15 Depth=1
	v_readlane_b32 s4, v46, 18
	v_readlane_b32 s5, v46, 19
	s_and_b64 vcc, exec, s[4:5]
	s_cbranch_vccz .LBB26_28
; %bb.17:                               ;   in Loop: Header=BB26_15 Depth=1
	s_movk_i32 s4, 0xc01
	v_cmp_gt_u32_e32 vcc, s4, v3
	s_mov_b64 s[6:7], 0
	s_mov_b64 s[8:9], 0
	s_cbranch_vccz .LBB26_29
; %bb.18:                               ;   in Loop: Header=BB26_15 Depth=1
	v_readlane_b32 s4, v46, 23
	v_readlane_b32 s5, v46, 24
	s_nop 4
	global_load_ushort v2, v24, s[4:5]
	global_load_ubyte v3, v[8:9], off
	v_readlane_b32 s4, v46, 47
	v_mov_b32_e32 v30, v0
	s_waitcnt vmcnt(1)
	v_add_u32_e32 v5, v0, v2
	v_mul_lo_u32 v4, s4, v2
	v_mul_lo_u32 v5, s4, v5
	s_branch .LBB26_20
.LBB26_19:                              ;   in Loop: Header=BB26_20 Depth=2
	s_or_b64 exec, exec, s[20:21]
	v_add_u32_e32 v5, v5, v4
	v_mov_b32_e32 v3, v31
	s_andn2_b64 exec, exec, s[8:9]
	s_cbranch_execz .LBB26_30
.LBB26_20:                              ;   Parent Loop BB26_15 Depth=1
                                        ; =>  This Inner Loop Header: Depth=2
	v_add_u32_e32 v30, v30, v2
	v_cmp_gt_u32_e64 s[18:19], s60, v30
	v_cmp_le_u32_e32 vcc, s60, v30
	s_waitcnt lgkmcnt(0)
	v_mov_b32_e32 v32, 0
	v_mov_b32_e32 v31, 0
	s_and_saveexec_b64 s[20:21], s[18:19]
	s_cbranch_execz .LBB26_22
; %bb.21:                               ;   in Loop: Header=BB26_20 Depth=2
	global_load_ubyte v31, v5, s[64:65]
.LBB26_22:                              ;   in Loop: Header=BB26_20 Depth=2
	s_or_b64 exec, exec, s[20:21]
	s_waitcnt vmcnt(0)
	v_add_u32_sdwa v33, sext(v3), s80 dst_sel:DWORD dst_unused:UNUSED_PAD src0_sel:BYTE_0 src1_sel:DWORD
	v_and_b32_e32 v33, v33, v26
	v_cmp_eq_u32_e64 s[18:19], v33, v27
	s_cmp_lg_u64 s[18:19], 0
	s_cselect_b64 s[4:5], -1, 0
	s_and_b64 s[4:5], s[0:1], s[4:5]
	s_and_saveexec_b64 s[22:23], s[4:5]
	s_cbranch_execz .LBB26_26
; %bb.23:                               ;   in Loop: Header=BB26_20 Depth=2
	s_mov_b64 s[26:27], exec
	v_mbcnt_lo_u32_b32 v32, s26, 0
	v_mbcnt_hi_u32_b32 v32, s27, v32
	s_bcnt1_i32_b64 s4, s[18:19]
	v_cmp_eq_u32_e64 s[20:21], 0, v32
                                        ; implicit-def: $vgpr33
	s_and_saveexec_b64 s[24:25], s[20:21]
	s_cbranch_execz .LBB26_25
; %bb.24:                               ;   in Loop: Header=BB26_20 Depth=2
	s_bcnt1_i32_b64 s5, s[26:27]
	s_mul_i32 s5, s4, s5
	v_mov_b32_e32 v33, s5
	ds_add_rtn_u32 v33, v24, v33 offset:4104
.LBB26_25:                              ;   in Loop: Header=BB26_20 Depth=2
	s_or_b64 exec, exec, s[24:25]
	s_waitcnt lgkmcnt(0)
	v_readfirstlane_b32 s5, v33
	v_mov_b32_e32 v33, s5
	v_mad_u32_u24 v32, s4, v32, v33
.LBB26_26:                              ;   in Loop: Header=BB26_20 Depth=2
	s_or_b64 exec, exec, s[22:23]
	ds_bpermute_b32 v32, v12, v32
	s_and_b64 s[4:5], exec, vcc
	s_or_b64 s[8:9], s[4:5], s[8:9]
	s_and_saveexec_b64 s[20:21], s[18:19]
	s_cbranch_execz .LBB26_19
; %bb.27:                               ;   in Loop: Header=BB26_20 Depth=2
	v_and_b32_e32 v34, s18, v6
	v_and_b32_e32 v33, s19, v7
	v_bcnt_u32_b32 v34, v34, 0
	v_bcnt_u32_b32 v33, v33, v34
	s_waitcnt lgkmcnt(0)
	v_add_u32_e32 v32, v32, v33
	ds_write_b8 v32, v3
	s_branch .LBB26_19
.LBB26_28:                              ;   in Loop: Header=BB26_15 Depth=1
	s_mov_b64 s[8:9], 0
                                        ; implicit-def: $sgpr4
	s_cbranch_execnz .LBB26_33
	s_branch .LBB26_43
.LBB26_29:                              ;   in Loop: Header=BB26_15 Depth=1
	s_mov_b32 s4, 0
	s_and_b64 vcc, exec, s[6:7]
	s_cbranch_vccnz .LBB26_33
	s_branch .LBB26_43
.LBB26_30:                              ;   in Loop: Header=BB26_15 Depth=1
	s_or_b64 exec, exec, s[8:9]
	s_waitcnt lgkmcnt(0)
	s_barrier
	s_mov_b64 s[8:9], exec
	v_readlane_b32 s4, v46, 7
	v_readlane_b32 s5, v46, 8
	s_and_b64 s[4:5], s[8:9], s[4:5]
	s_mov_b64 exec, s[4:5]
	s_cbranch_execz .LBB26_32
; %bb.31:                               ;   in Loop: Header=BB26_15 Depth=1
	ds_read_b32 v2, v24 offset:4104
	s_waitcnt lgkmcnt(0)
	ds_write_b32 v24, v2 offset:4096
.LBB26_32:                              ;   in Loop: Header=BB26_15 Depth=1
	s_or_b64 exec, exec, s[8:9]
	s_waitcnt lgkmcnt(0)
	s_barrier
	s_mov_b64 s[8:9], -1
	s_mov_b32 s4, 0
	s_and_b64 vcc, exec, s[6:7]
	s_cbranch_vccz .LBB26_43
.LBB26_33:                              ;   in Loop: Header=BB26_15 Depth=1
	v_mov_b32_e32 v2, 0
	s_mov_b64 s[6:7], exec
	v_readlane_b32 s4, v46, 27
	v_readlane_b32 s5, v46, 28
	s_and_b64 s[4:5], s[6:7], s[4:5]
	s_mov_b64 exec, s[4:5]
	s_cbranch_execz .LBB26_35
; %bb.34:                               ;   in Loop: Header=BB26_15 Depth=1
	global_load_ubyte v2, v[8:9], off
.LBB26_35:                              ;   in Loop: Header=BB26_15 Depth=1
	s_or_b64 exec, exec, s[6:7]
	s_mov_b64 s[6:7], exec
	v_readlane_b32 s4, v46, 27
	v_readlane_b32 s5, v46, 28
	s_and_b64 s[4:5], s[6:7], s[4:5]
	s_mov_b64 exec, s[4:5]
	s_cbranch_execz .LBB26_40
; %bb.36:                               ;   in Loop: Header=BB26_15 Depth=1
	v_readlane_b32 s4, v46, 23
	v_readlane_b32 s5, v46, 24
	s_mov_b64 s[8:9], 0
	v_mov_b32_e32 v30, v0
	s_nop 2
	global_load_ushort v3, v24, s[4:5]
	v_readlane_b32 s4, v46, 47
	s_waitcnt vmcnt(0)
	v_add_u32_e32 v5, v0, v3
	v_mul_lo_u32 v4, s4, v3
	v_mul_lo_u32 v5, s4, v5
	s_branch .LBB26_38
.LBB26_37:                              ;   in Loop: Header=BB26_38 Depth=2
	s_or_b64 exec, exec, s[20:21]
	s_and_b64 s[4:5], exec, vcc
	s_or_b64 s[8:9], s[4:5], s[8:9]
	ds_write_b8 v30, v2
	v_add_u32_e32 v5, v5, v4
	s_waitcnt vmcnt(0)
	v_mov_b32_e32 v2, v32
	v_mov_b32_e32 v30, v31
	s_andn2_b64 exec, exec, s[8:9]
	s_cbranch_execz .LBB26_40
.LBB26_38:                              ;   Parent Loop BB26_15 Depth=1
                                        ; =>  This Inner Loop Header: Depth=2
	v_add_u32_e32 v31, v30, v3
	v_cmp_gt_u32_e64 s[18:19], s60, v31
	v_cmp_le_u32_e32 vcc, s60, v31
	v_mov_b32_e32 v32, 0
	s_and_saveexec_b64 s[20:21], s[18:19]
	s_cbranch_execz .LBB26_37
; %bb.39:                               ;   in Loop: Header=BB26_38 Depth=2
	global_load_ubyte v32, v5, s[64:65]
	s_branch .LBB26_37
.LBB26_40:                              ;   in Loop: Header=BB26_15 Depth=1
	s_or_b64 exec, exec, s[6:7]
	s_waitcnt lgkmcnt(0)
	s_barrier
	s_mov_b64 s[6:7], exec
	v_readlane_b32 s4, v46, 7
	v_readlane_b32 s5, v46, 8
	s_and_b64 s[4:5], s[6:7], s[4:5]
	s_mov_b64 exec, s[4:5]
	s_cbranch_execz .LBB26_42
; %bb.41:                               ;   in Loop: Header=BB26_15 Depth=1
	s_waitcnt vmcnt(0)
	v_mov_b32_e32 v2, s60
	ds_write_b32 v24, v2 offset:4096
.LBB26_42:                              ;   in Loop: Header=BB26_15 Depth=1
	s_or_b64 exec, exec, s[6:7]
	s_mov_b64 s[8:9], -1
	s_waitcnt lgkmcnt(0)
	s_barrier
                                        ; implicit-def: $sgpr4
.LBB26_43:                              ;   in Loop: Header=BB26_15 Depth=1
	s_and_b64 vcc, exec, s[8:9]
	s_cbranch_vccz .LBB26_45
; %bb.44:                               ;   in Loop: Header=BB26_15 Depth=1
	s_waitcnt vmcnt(0)
	ds_read_b32 v2, v24 offset:4096
	s_waitcnt lgkmcnt(0)
	v_readfirstlane_b32 s4, v2
.LBB26_45:                              ;   in Loop: Header=BB26_15 Depth=1
	s_cmp_lt_i32 s4, 1
	s_cbranch_scc0 .LBB26_49
; %bb.46:                               ;   in Loop: Header=BB26_15 Depth=1
	s_waitcnt vmcnt(0)
	v_mov_b32_e32 v2, 0
	s_mov_b32 s5, 0
	v_mov_b32_e32 v3, 0
	v_mov_b32_e32 v4, v2
	;; [unrolled: 1-line block ×3, first 2 shown]
	s_mov_b64 s[6:7], exec
	v_readlane_b32 s8, v46, 42
	v_readlane_b32 s9, v46, 43
	s_and_b64 s[8:9], s[6:7], s[8:9]
	s_mov_b64 exec, s[8:9]
	s_cbranch_execnz .LBB26_50
; %bb.47:                               ;   in Loop: Header=BB26_15 Depth=1
	s_or_b64 exec, exec, s[6:7]
	v_mov_b32_e32 v32, 0
	s_and_saveexec_b64 s[6:7], s[14:15]
	s_cbranch_execnz .LBB26_53
.LBB26_48:                              ;   in Loop: Header=BB26_15 Depth=1
	s_or_b64 exec, exec, s[6:7]
	s_and_saveexec_b64 s[6:7], s[14:15]
	s_cbranch_execnz .LBB26_54
	s_branch .LBB26_59
.LBB26_49:                              ;   in Loop: Header=BB26_15 Depth=1
                                        ; implicit-def: $vgpr5
	s_cbranch_execnz .LBB26_60
	s_branch .LBB26_69
.LBB26_50:                              ;   in Loop: Header=BB26_15 Depth=1
	s_and_b32 s10, s74, 0xfe
	s_mov_b64 s[8:9], 0
	s_mov_b32 s11, 0
	s_mov_b32 s62, 0
	s_mov_b32 s63, 0
	s_mov_b32 s76, 0
	v_mov_b32_e32 v30, v14
.LBB26_51:                              ;   Parent Loop BB26_15 Depth=1
                                        ; =>  This Inner Loop Header: Depth=2
	v_add_u32_e32 v2, s5, v21
	v_add_u32_e32 v3, s5, v18
	;; [unrolled: 1-line block ×4, first 2 shown]
	global_load_sbyte v2, v2, s[64:65]
	s_nop 0
	global_load_sbyte v3, v3, s[64:65]
	s_nop 0
	;; [unrolled: 2-line block ×3, first 2 shown]
	global_load_sbyte v5, v5, s[64:65]
	v_add_u32_e32 v30, s68, v30
	s_add_i32 s5, s5, s13
	v_cmp_le_u32_e32 vcc, s81, v30
	s_waitcnt vmcnt(3)
	v_add_u32_e32 v2, 0x80, v2
	s_waitcnt vmcnt(2)
	v_add_u32_e32 v3, 0x80, v3
	v_and_b32_e32 v31, v2, v26
	v_bfe_u32 v2, v2, s10, 2
	s_waitcnt vmcnt(1)
	v_add_u32_e32 v4, 0x80, v4
	v_and_b32_e32 v32, v3, v26
	v_bfe_u32 v3, v3, s10, 2
	v_cmp_eq_u32_e64 s[18:19], v31, v27
	v_cmp_eq_u32_e64 s[26:27], 0, v2
	s_waitcnt vmcnt(0)
	v_add_u32_e32 v5, 0x80, v5
	v_and_b32_e32 v33, v4, v26
	v_bfe_u32 v4, v4, s10, 2
	v_cmp_eq_u32_e64 s[20:21], v32, v27
	v_cmp_eq_u32_e64 s[28:29], 0, v3
	s_and_b64 s[26:27], s[18:19], s[26:27]
	v_and_b32_e32 v34, v5, v26
	v_bfe_u32 v5, v5, s10, 2
	v_cmp_eq_u32_e64 s[22:23], v33, v27
	v_cmp_eq_u32_e64 s[30:31], 0, v4
	;; [unrolled: 1-line block ×5, first 2 shown]
	v_cndmask_b32_e64 v2, 0, 1, s[26:27]
	s_and_b64 s[26:27], s[20:21], s[28:29]
	v_cmp_eq_u32_e64 s[24:25], v34, v27
	v_cmp_eq_u32_e64 s[34:35], 0, v5
	;; [unrolled: 1-line block ×5, first 2 shown]
	v_cndmask_b32_e64 v3, 0, 1, s[26:27]
	s_and_b64 s[26:27], s[22:23], s[30:31]
	v_cmp_eq_u32_e64 s[40:41], 1, v4
	v_cmp_eq_u32_e64 s[48:49], 2, v4
	;; [unrolled: 1-line block ×3, first 2 shown]
	v_cndmask_b32_e64 v4, 0, 1, s[26:27]
	s_and_b64 s[26:27], s[24:25], s[34:35]
	v_cmp_eq_u32_e64 s[42:43], 1, v5
	v_cmp_eq_u32_e64 s[50:51], 2, v5
	;; [unrolled: 1-line block ×3, first 2 shown]
	v_cndmask_b32_e64 v5, 0, 1, s[26:27]
	s_and_b64 s[26:27], s[18:19], s[36:37]
	v_cndmask_b32_e64 v31, 0, 1, s[26:27]
	s_and_b64 s[26:27], s[20:21], s[38:39]
	;; [unrolled: 2-line block ×5, first 2 shown]
	s_and_b64 s[18:19], s[18:19], s[52:53]
	v_cndmask_b32_e64 v35, 0, 1, s[26:27]
	s_and_b64 s[26:27], s[20:21], s[46:47]
	v_cndmask_b32_e64 v39, 0, 1, s[18:19]
	;; [unrolled: 2-line block ×7, first 2 shown]
	v_cndmask_b32_e64 v42, 0, 1, s[18:19]
	v_cmp_ne_u32_e64 s[18:19], 0, v2
	v_cmp_ne_u32_e64 s[20:21], 0, v3
	;; [unrolled: 1-line block ×11, first 2 shown]
	s_bcnt1_i32_b64 s18, s[18:19]
	s_bcnt1_i32_b64 s19, s[20:21]
	;; [unrolled: 1-line block ×8, first 2 shown]
	v_cmp_ne_u32_e64 s[34:35], 0, v34
	v_cmp_ne_u32_e64 s[40:41], 0, v37
	;; [unrolled: 1-line block ×3, first 2 shown]
	s_bcnt1_i32_b64 s23, s[28:29]
	s_bcnt1_i32_b64 s27, s[38:39]
	;; [unrolled: 1-line block ×3, first 2 shown]
	s_add_i32 s18, s76, s18
	s_add_i32 s22, s63, s22
	;; [unrolled: 1-line block ×4, first 2 shown]
	v_cmp_ne_u32_e64 s[42:43], 0, v38
	v_cmp_ne_u32_e64 s[50:51], 0, v42
	s_bcnt1_i32_b64 s25, s[34:35]
	s_bcnt1_i32_b64 s28, s[40:41]
	;; [unrolled: 1-line block ×3, first 2 shown]
	s_add_i32 s18, s18, s19
	s_add_i32 s19, s22, s23
	;; [unrolled: 1-line block ×4, first 2 shown]
	s_bcnt1_i32_b64 s29, s[42:43]
	s_bcnt1_i32_b64 s35, s[50:51]
	s_add_i32 s18, s18, s20
	s_add_i32 s19, s19, s24
	s_add_i32 s20, s22, s28
	s_add_i32 s11, s11, s34
	s_add_i32 s76, s18, s21
	s_add_i32 s63, s19, s25
	s_add_i32 s62, s20, s29
	s_add_i32 s11, s11, s35
	s_or_b64 s[8:9], vcc, s[8:9]
	v_mov_b32_e32 v2, s76
	v_mov_b32_e32 v3, s63
	v_mov_b32_e32 v4, s62
	v_mov_b32_e32 v5, s11
	s_andn2_b64 exec, exec, s[8:9]
	s_cbranch_execnz .LBB26_51
; %bb.52:                               ;   in Loop: Header=BB26_15 Depth=1
	s_or_b64 exec, exec, s[8:9]
	s_or_b64 exec, exec, s[6:7]
	v_mov_b32_e32 v32, 0
	s_and_saveexec_b64 s[6:7], s[14:15]
	s_cbranch_execz .LBB26_48
.LBB26_53:                              ;   in Loop: Header=BB26_15 Depth=1
	global_load_ubyte v32, v[10:11], off
	s_or_b64 exec, exec, s[6:7]
	s_and_saveexec_b64 s[6:7], s[14:15]
	s_cbranch_execz .LBB26_59
.LBB26_54:                              ;   in Loop: Header=BB26_15 Depth=1
	s_and_b32 s5, s74, 0xfe
	s_mov_b64 s[8:9], 0
	v_mov_b32_e32 v30, v22
	v_mov_b32_e32 v31, v17
	s_branch .LBB26_56
.LBB26_55:                              ;   in Loop: Header=BB26_56 Depth=2
	s_or_b64 exec, exec, s[20:21]
	s_waitcnt vmcnt(0)
	v_add_u32_sdwa v32, sext(v32), s80 dst_sel:DWORD dst_unused:UNUSED_PAD src0_sel:BYTE_0 src1_sel:DWORD
	s_and_b64 s[10:11], exec, vcc
	v_and_b32_e32 v34, v32, v26
	v_bfe_u32 v32, v32, s5, 2
	s_or_b64 s[8:9], s[10:11], s[8:9]
	v_cmp_eq_u32_e32 vcc, v34, v27
	v_cmp_eq_u32_e64 s[18:19], 0, v32
	s_and_b64 s[10:11], vcc, s[18:19]
	v_cndmask_b32_e64 v34, 0, 1, s[10:11]
	v_cmp_ne_u32_e64 s[18:19], 0, v34
	s_bcnt1_i32_b64 s10, s[18:19]
	v_cmp_eq_u32_e64 s[18:19], 1, v32
	v_add_u32_e32 v2, s10, v2
	s_and_b64 s[10:11], vcc, s[18:19]
	v_cndmask_b32_e64 v34, 0, 1, s[10:11]
	v_cmp_ne_u32_e64 s[18:19], 0, v34
	s_bcnt1_i32_b64 s10, s[18:19]
	v_cmp_eq_u32_e64 s[18:19], 2, v32
	v_add_u32_e32 v3, s10, v3
	;; [unrolled: 6-line block ×3, first 2 shown]
	s_and_b64 s[10:11], vcc, s[18:19]
	v_cndmask_b32_e64 v32, 0, 1, s[10:11]
	v_cmp_ne_u32_e32 vcc, 0, v32
	s_bcnt1_i32_b64 s10, vcc
	v_add_u32_e32 v5, s10, v5
	v_add_u32_e32 v30, s66, v30
	v_mov_b32_e32 v32, v33
	s_andn2_b64 exec, exec, s[8:9]
	s_cbranch_execz .LBB26_58
.LBB26_56:                              ;   Parent Loop BB26_15 Depth=1
                                        ; =>  This Inner Loop Header: Depth=2
	v_add_u32_e32 v31, s33, v31
	v_cmp_gt_u32_e64 s[18:19], s60, v31
	v_cmp_le_u32_e32 vcc, s60, v31
	v_mov_b32_e32 v33, 0
	s_and_saveexec_b64 s[20:21], s[18:19]
	s_cbranch_execz .LBB26_55
; %bb.57:                               ;   in Loop: Header=BB26_56 Depth=2
	global_load_ubyte v33, v30, s[64:65]
	s_branch .LBB26_55
.LBB26_58:                              ;   in Loop: Header=BB26_15 Depth=1
	s_or_b64 exec, exec, s[8:9]
.LBB26_59:                              ;   in Loop: Header=BB26_15 Depth=1
	s_or_b64 exec, exec, s[6:7]
	s_branch .LBB26_69
.LBB26_60:                              ;   in Loop: Header=BB26_15 Depth=1
	v_readlane_b32 s5, v46, 41
	s_mul_hi_u32 s5, s4, s5
	s_mul_i32 s5, s5, s68
	s_sub_i32 s5, s4, s5
	s_sub_i32 s6, s5, s68
	s_cmp_ge_u32 s5, s68
	s_cselect_b32 s5, s6, s5
	s_sub_i32 s6, s5, s68
	s_cmp_ge_u32 s5, s68
	s_cselect_b32 s5, s6, s5
	s_sub_i32 s5, s4, s5
	v_cmp_gt_u32_e32 vcc, s5, v14
	s_mov_b32 s11, 0
	s_waitcnt vmcnt(0)
	v_mov_b32_e32 v2, 0
	v_mov_b32_e32 v3, 0
	;; [unrolled: 1-line block ×4, first 2 shown]
	s_and_saveexec_b64 s[6:7], vcc
	s_cbranch_execz .LBB26_64
; %bb.61:                               ;   in Loop: Header=BB26_15 Depth=1
	s_and_b32 s10, s74, 0xfe
	s_mov_b64 s[8:9], 0
	s_mov_b32 s62, 0
	s_mov_b32 s63, 0
	;; [unrolled: 1-line block ×3, first 2 shown]
	v_mov_b32_e32 v30, v14
.LBB26_62:                              ;   Parent Loop BB26_15 Depth=1
                                        ; =>  This Inner Loop Header: Depth=2
	ds_read_b32 v2, v30
	v_add_u32_e32 v30, s68, v30
	v_cmp_le_u32_e32 vcc, s5, v30
	s_waitcnt lgkmcnt(0)
	v_add_u32_sdwa v3, sext(v2), s80 dst_sel:DWORD dst_unused:UNUSED_PAD src0_sel:BYTE_0 src1_sel:DWORD
	v_add_u32_sdwa v4, sext(v2), s80 dst_sel:DWORD dst_unused:UNUSED_PAD src0_sel:BYTE_1 src1_sel:DWORD
	v_and_b32_e32 v31, v3, v26
	v_bfe_u32 v3, v3, s10, 2
	v_add_u32_sdwa v5, sext(v2), s80 dst_sel:DWORD dst_unused:UNUSED_PAD src0_sel:BYTE_2 src1_sel:DWORD
	v_add_u32_sdwa v2, sext(v2), s80 dst_sel:DWORD dst_unused:UNUSED_PAD src0_sel:BYTE_3 src1_sel:DWORD
	v_and_b32_e32 v32, v4, v26
	v_bfe_u32 v4, v4, s10, 2
	v_cmp_eq_u32_e64 s[18:19], v31, v27
	v_cmp_eq_u32_e64 s[26:27], 0, v3
	v_and_b32_e32 v33, v5, v26
	v_and_b32_e32 v34, v2, v26
	v_bfe_u32 v5, v5, s10, 2
	v_bfe_u32 v2, v2, s10, 2
	v_cmp_eq_u32_e64 s[20:21], v32, v27
	v_cmp_eq_u32_e64 s[28:29], 0, v4
	s_and_b64 s[26:27], s[18:19], s[26:27]
	v_cmp_eq_u32_e64 s[22:23], v33, v27
	v_cmp_eq_u32_e64 s[30:31], 0, v5
	;; [unrolled: 1-line block ×6, first 2 shown]
	v_cndmask_b32_e64 v2, 0, 1, s[26:27]
	s_and_b64 s[26:27], s[20:21], s[28:29]
	v_cmp_eq_u32_e64 s[24:25], v34, v27
	v_cmp_eq_u32_e64 s[36:37], 1, v3
	;; [unrolled: 1-line block ×4, first 2 shown]
	v_cndmask_b32_e64 v3, 0, 1, s[26:27]
	s_and_b64 s[26:27], s[22:23], s[30:31]
	v_cmp_eq_u32_e64 s[38:39], 1, v4
	v_cmp_eq_u32_e64 s[46:47], 2, v4
	;; [unrolled: 1-line block ×3, first 2 shown]
	v_cndmask_b32_e64 v4, 0, 1, s[26:27]
	s_and_b64 s[26:27], s[24:25], s[34:35]
	v_cmp_eq_u32_e64 s[40:41], 1, v5
	v_cmp_eq_u32_e64 s[48:49], 2, v5
	;; [unrolled: 1-line block ×3, first 2 shown]
	v_cndmask_b32_e64 v5, 0, 1, s[26:27]
	s_and_b64 s[26:27], s[18:19], s[36:37]
	v_cndmask_b32_e64 v31, 0, 1, s[26:27]
	s_and_b64 s[26:27], s[20:21], s[38:39]
	;; [unrolled: 2-line block ×5, first 2 shown]
	s_and_b64 s[18:19], s[18:19], s[52:53]
	v_cndmask_b32_e64 v35, 0, 1, s[26:27]
	s_and_b64 s[26:27], s[20:21], s[46:47]
	v_cndmask_b32_e64 v39, 0, 1, s[18:19]
	;; [unrolled: 2-line block ×7, first 2 shown]
	v_cndmask_b32_e64 v42, 0, 1, s[18:19]
	v_cmp_ne_u32_e64 s[18:19], 0, v2
	v_cmp_ne_u32_e64 s[20:21], 0, v3
	;; [unrolled: 1-line block ×11, first 2 shown]
	s_bcnt1_i32_b64 s18, s[18:19]
	s_bcnt1_i32_b64 s19, s[20:21]
	;; [unrolled: 1-line block ×8, first 2 shown]
	v_cmp_ne_u32_e64 s[34:35], 0, v34
	v_cmp_ne_u32_e64 s[40:41], 0, v37
	;; [unrolled: 1-line block ×3, first 2 shown]
	s_bcnt1_i32_b64 s23, s[28:29]
	s_bcnt1_i32_b64 s27, s[38:39]
	;; [unrolled: 1-line block ×3, first 2 shown]
	s_add_i32 s18, s76, s18
	s_add_i32 s22, s63, s22
	;; [unrolled: 1-line block ×4, first 2 shown]
	v_cmp_ne_u32_e64 s[42:43], 0, v38
	v_cmp_ne_u32_e64 s[50:51], 0, v42
	s_bcnt1_i32_b64 s25, s[34:35]
	s_bcnt1_i32_b64 s28, s[40:41]
	;; [unrolled: 1-line block ×3, first 2 shown]
	s_add_i32 s18, s18, s19
	s_add_i32 s19, s22, s23
	;; [unrolled: 1-line block ×4, first 2 shown]
	s_bcnt1_i32_b64 s29, s[42:43]
	s_bcnt1_i32_b64 s35, s[50:51]
	s_add_i32 s18, s18, s20
	s_add_i32 s19, s19, s24
	s_add_i32 s20, s22, s28
	s_add_i32 s11, s11, s34
	s_add_i32 s76, s18, s21
	s_add_i32 s63, s19, s25
	s_add_i32 s62, s20, s29
	s_add_i32 s11, s11, s35
	s_or_b64 s[8:9], vcc, s[8:9]
	v_mov_b32_e32 v2, s76
	v_mov_b32_e32 v3, s63
	;; [unrolled: 1-line block ×4, first 2 shown]
	s_andn2_b64 exec, exec, s[8:9]
	s_cbranch_execnz .LBB26_62
; %bb.63:                               ;   in Loop: Header=BB26_15 Depth=1
	s_or_b64 exec, exec, s[8:9]
.LBB26_64:                              ;   in Loop: Header=BB26_15 Depth=1
	s_or_b64 exec, exec, s[6:7]
	v_add_u32_e32 v30, s5, v0
	v_cmp_gt_u32_e32 vcc, s4, v30
	s_and_saveexec_b64 s[6:7], vcc
	s_cbranch_execz .LBB26_68
; %bb.65:                               ;   in Loop: Header=BB26_15 Depth=1
	s_and_b32 s5, s74, 0xfe
	s_mov_b64 s[8:9], 0
.LBB26_66:                              ;   Parent Loop BB26_15 Depth=1
                                        ; =>  This Inner Loop Header: Depth=2
	ds_read_i8 v31, v30
	v_add_u32_e32 v30, s33, v30
	v_cmp_le_u32_e32 vcc, s4, v30
	s_waitcnt lgkmcnt(0)
	v_add_u32_e32 v31, 0x80, v31
	v_and_b32_e32 v32, v31, v26
	v_bfe_u32 v31, v31, s5, 2
	v_cmp_eq_u32_e64 s[18:19], v32, v27
	v_cmp_eq_u32_e64 s[20:21], 0, v31
	;; [unrolled: 1-line block ×3, first 2 shown]
	s_and_b64 s[10:11], s[18:19], s[20:21]
	v_cmp_eq_u32_e64 s[24:25], 2, v31
	v_cmp_eq_u32_e64 s[26:27], 3, v31
	v_cndmask_b32_e64 v31, 0, 1, s[10:11]
	s_and_b64 s[10:11], s[18:19], s[22:23]
	v_cndmask_b32_e64 v32, 0, 1, s[10:11]
	s_and_b64 s[10:11], s[18:19], s[24:25]
	;; [unrolled: 2-line block ×3, first 2 shown]
	v_cndmask_b32_e64 v34, 0, 1, s[10:11]
	v_cmp_ne_u32_e64 s[18:19], 0, v31
	v_cmp_ne_u32_e64 s[20:21], 0, v32
	;; [unrolled: 1-line block ×4, first 2 shown]
	s_bcnt1_i32_b64 s10, s[18:19]
	s_bcnt1_i32_b64 s11, s[20:21]
	;; [unrolled: 1-line block ×4, first 2 shown]
	v_add_u32_e32 v2, s10, v2
	v_add_u32_e32 v3, s11, v3
	;; [unrolled: 1-line block ×3, first 2 shown]
	s_or_b64 s[8:9], vcc, s[8:9]
	v_add_u32_e32 v5, s19, v5
	s_andn2_b64 exec, exec, s[8:9]
	s_cbranch_execnz .LBB26_66
; %bb.67:                               ;   in Loop: Header=BB26_15 Depth=1
	s_or_b64 exec, exec, s[8:9]
.LBB26_68:                              ;   in Loop: Header=BB26_15 Depth=1
	s_or_b64 exec, exec, s[6:7]
.LBB26_69:                              ;   in Loop: Header=BB26_15 Depth=1
	s_lshl_b32 s4, s75, 6
	s_and_saveexec_b64 s[6:7], s[0:1]
	s_cbranch_execz .LBB26_71
; %bb.70:                               ;   in Loop: Header=BB26_15 Depth=1
	v_or_b32_e32 v30, s4, v16
	v_lshlrev_b32_e32 v30, 2, v30
	s_waitcnt vmcnt(0)
	ds_write_b128 v30, v[2:5] offset:3072
.LBB26_71:                              ;   in Loop: Header=BB26_15 Depth=1
	s_or_b64 exec, exec, s[6:7]
	s_waitcnt lgkmcnt(0)
	s_barrier
	s_mov_b64 s[6:7], exec
	v_readlane_b32 s8, v46, 16
	v_readlane_b32 s9, v46, 17
	s_and_b64 s[8:9], s[6:7], s[8:9]
	s_mov_b64 exec, s[8:9]
	s_cbranch_execz .LBB26_85
; %bb.72:                               ;   in Loop: Header=BB26_15 Depth=1
	v_readlane_b32 s8, v46, 20
	v_readlane_b32 s9, v46, 21
	v_add_u32_e32 v4, s4, v13
	s_andn2_b64 vcc, exec, s[8:9]
	s_waitcnt vmcnt(0)
	v_mov_b32_e32 v2, 0
	s_cbranch_vccnz .LBB26_84
; %bb.73:                               ;   in Loop: Header=BB26_15 Depth=1
	v_readlane_b32 s8, v46, 25
	v_readlane_b32 s9, v46, 26
	s_mov_b32 s5, 0
	s_and_b64 vcc, exec, s[8:9]
	v_mov_b32_e32 v2, 0
	s_cbranch_vccz .LBB26_77
; %bb.74:                               ;   in Loop: Header=BB26_15 Depth=1
	v_readlane_b32 s10, v46, 31
	v_readlane_b32 s8, v46, 5
	;; [unrolled: 1-line block ×3, first 2 shown]
	v_lshl_add_u32 v5, v4, 2, v25
	v_readlane_b32 s9, v46, 6
	s_andn2_b64 vcc, exec, s[10:11]
	s_cbranch_vccnz .LBB26_78
; %bb.75:                               ;   in Loop: Header=BB26_15 Depth=1
	v_writelane_b32 v46, s8, 5
	v_writelane_b32 v46, s9, 6
	s_mov_b32 s9, 1
	s_mov_b32 s8, 0
	v_mov_b32_e32 v2, 0
	v_readlane_b32 s5, v46, 33
	v_mov_b32_e32 v3, 0
.LBB26_76:                              ;   Parent Loop BB26_15 Depth=1
                                        ; =>  This Inner Loop Header: Depth=2
	v_lshl_add_u32 v42, s8, 4, v5
	v_lshl_add_u32 v44, s9, 4, v5
	ds_read2_b32 v[30:31], v42 offset1:8
	ds_read2_b32 v[32:33], v44 offset1:8
	ds_read2_b32 v[34:35], v42 offset0:16 offset1:24
	ds_read2_b32 v[36:37], v44 offset0:16 offset1:24
	;; [unrolled: 1-line block ×6, first 2 shown]
	s_waitcnt lgkmcnt(7)
	v_add3_u32 v2, v30, v2, v31
	s_waitcnt lgkmcnt(6)
	v_add3_u32 v3, v32, v3, v33
	;; [unrolled: 2-line block ×3, first 2 shown]
	v_add3_u32 v2, v34, v2, v35
	s_add_i32 s9, s9, 16
	s_add_i32 s8, s8, 16
	s_add_i32 s5, s5, -8
	s_waitcnt lgkmcnt(3)
	v_add3_u32 v2, v38, v2, v39
	s_waitcnt lgkmcnt(2)
	v_add3_u32 v3, v40, v3, v41
	s_cmp_lg_u32 s5, 0
	s_waitcnt lgkmcnt(0)
	v_add3_u32 v3, v44, v3, v45
	v_add3_u32 v2, v42, v2, v43
	s_cbranch_scc1 .LBB26_76
	s_branch .LBB26_79
.LBB26_77:                              ;   in Loop: Header=BB26_15 Depth=1
	s_cbranch_execnz .LBB26_82
	s_branch .LBB26_84
.LBB26_78:                              ;   in Loop: Header=BB26_15 Depth=1
	s_mov_b32 s10, s8
	s_mov_b32 s9, s8
	v_writelane_b32 v46, s10, 5
	v_pk_mov_b32 v[2:3], s[8:9], s[8:9] op_sel:[0,1]
	s_mov_b32 s9, 1
	v_writelane_b32 v46, s11, 6
.LBB26_79:                              ;   in Loop: Header=BB26_15 Depth=1
	v_readlane_b32 s10, v46, 35
	v_readlane_b32 s11, v46, 36
	s_andn2_b64 vcc, exec, s[10:11]
	v_readlane_b32 s5, v46, 34
	s_cbranch_vccnz .LBB26_81
.LBB26_80:                              ;   Parent Loop BB26_15 Depth=1
                                        ; =>  This Inner Loop Header: Depth=2
	v_lshl_add_u32 v30, s8, 4, v5
	v_lshl_add_u32 v31, s9, 4, v5
	ds_read_b32 v31, v31
	ds_read_b32 v30, v30
	s_add_i32 s9, s9, 2
	s_add_i32 s8, s8, 2
	s_add_i32 s5, s5, -1
	s_cmp_lg_u32 s5, 0
	s_waitcnt lgkmcnt(1)
	v_add_u32_e32 v3, v31, v3
	s_waitcnt lgkmcnt(0)
	v_add_u32_e32 v2, v30, v2
	s_cbranch_scc1 .LBB26_80
.LBB26_81:                              ;   in Loop: Header=BB26_15 Depth=1
	v_readlane_b32 s8, v46, 39
	v_add_u32_e32 v2, v2, v3
	v_readlane_b32 s5, v46, 38
	v_readlane_b32 s9, v46, 40
	s_and_b64 vcc, exec, s[8:9]
	s_cbranch_vccz .LBB26_84
.LBB26_82:                              ;   in Loop: Header=BB26_15 Depth=1
	s_lshl_b32 s8, s75, 8
	s_lshl_b32 s9, s5, 4
	s_add_i32 s8, s8, s9
	v_add_u32_e32 v3, s8, v23
	v_readlane_b32 s8, v46, 37
	s_sub_i32 s5, s8, s5
.LBB26_83:                              ;   Parent Loop BB26_15 Depth=1
                                        ; =>  This Inner Loop Header: Depth=2
	ds_read_b32 v5, v3
	s_add_i32 s5, s5, -1
	v_add_u32_e32 v3, 16, v3
	s_cmp_eq_u32 s5, 0
	s_waitcnt lgkmcnt(0)
	v_add_u32_e32 v2, v5, v2
	s_cbranch_scc0 .LBB26_83
.LBB26_84:                              ;   in Loop: Header=BB26_15 Depth=1
	v_lshlrev_b32_e32 v3, 2, v4
	ds_write_b32 v3, v2 offset:3072
.LBB26_85:                              ;   in Loop: Header=BB26_15 Depth=1
	s_or_b64 exec, exec, s[6:7]
	s_lshl_b32 s4, s4, 2
	s_waitcnt vmcnt(0)
	v_mov_b32_e32 v2, s4
	s_waitcnt lgkmcnt(0)
	s_barrier
	ds_read_b128 v[2:5], v2 offset:3072
	s_and_b32 s4, s74, 0xfe
	v_readlane_b32 s6, v46, 14
	s_lshl_b32 s11, 3, s4
	v_readlane_b32 s7, v46, 15
	s_waitcnt lgkmcnt(0)
	v_readfirstlane_b32 s10, v2
	v_readfirstlane_b32 s63, v3
	;; [unrolled: 1-line block ×4, first 2 shown]
	s_not_b32 s62, s11
	s_andn2_b64 vcc, exec, s[6:7]
	v_cmp_eq_u32_e64 s[18:19], 1, v29
	s_cbranch_vccnz .LBB26_98
; %bb.86:                               ;   in Loop: Header=BB26_15 Depth=1
	s_cmp_eq_u32 s10, 1
	s_cselect_b64 s[6:7], -1, 0
	s_and_b64 s[36:37], s[6:7], s[18:19]
	s_mov_b64 s[8:9], -1
	v_mov_b32_e32 v2, v27
	v_mov_b32_e32 v3, v26
	;; [unrolled: 1-line block ×3, first 2 shown]
                                        ; implicit-def: $sgpr22_sgpr23
                                        ; implicit-def: $sgpr28_sgpr29
                                        ; implicit-def: $sgpr26_sgpr27
	s_and_saveexec_b64 s[6:7], s[36:37]
	s_cbranch_execz .LBB26_114
; %bb.87:                               ;   in Loop: Header=BB26_15 Depth=1
	ds_read_b32 v2, v24 offset:4096
	s_waitcnt lgkmcnt(0)
	s_barrier
	v_readfirstlane_b32 s26, v2
	s_mov_b64 s[8:9], exec
	v_readlane_b32 s20, v46, 29
	v_readlane_b32 s21, v46, 30
	s_and_b64 s[20:21], s[8:9], s[20:21]
	s_mov_b64 exec, s[20:21]
	s_cbranch_execz .LBB26_89
; %bb.88:                               ;   in Loop: Header=BB26_15 Depth=1
	ds_write_b8 v0, v1 offset:3072
.LBB26_89:                              ;   in Loop: Header=BB26_15 Depth=1
	s_or_b64 exec, exec, s[8:9]
	v_and_b32_e32 v2, s62, v27
	v_or_b32_e32 v3, s11, v26
	s_cmp_eq_u32 s26, 0
	s_waitcnt lgkmcnt(0)
	s_barrier
	s_cbranch_scc1 .LBB26_100
; %bb.90:                               ;   in Loop: Header=BB26_15 Depth=1
	v_readlane_b32 s8, v46, 22
	s_add_i32 s8, s26, s8
	v_readlane_b32 s9, v46, 44
	s_mul_hi_u32 s9, s8, s9
	s_mul_i32 s9, s9, s33
	s_sub_i32 s9, s8, s9
	s_sub_i32 s20, s9, s33
	s_cmp_ge_u32 s9, s33
	s_cselect_b32 s9, s20, s9
	s_sub_i32 s20, s9, s33
	s_cmp_ge_u32 s9, s33
	s_cselect_b32 s9, s20, s9
	s_sub_i32 s27, s8, s9
	v_cmp_gt_u32_e32 vcc, s27, v0
	s_mov_b64 s[8:9], 0
                                        ; implicit-def: $vgpr4
	s_and_saveexec_b64 s[20:21], vcc
	s_cbranch_execz .LBB26_102
; %bb.91:                               ;   in Loop: Header=BB26_15 Depth=1
	v_mov_b32_e32 v4, v0
                                        ; implicit-def: $sgpr22_sgpr23
	s_branch .LBB26_93
.LBB26_92:                              ;   in Loop: Header=BB26_93 Depth=2
	s_or_b64 exec, exec, s[24:25]
	s_waitcnt lgkmcnt(0)
	s_barrier
	ds_read_u16 v5, v24 offset:3072
	v_add_u32_e32 v4, s33, v4
	v_cmp_le_u32_e32 vcc, s27, v4
	s_waitcnt lgkmcnt(0)
	s_barrier
	v_cmp_ne_u16_sdwa s[24:25], v5, v1 src0_sel:BYTE_0 src1_sel:DWORD
	s_or_b64 s[28:29], vcc, s[24:25]
	s_and_b64 s[28:29], exec, s[28:29]
	s_or_b64 s[8:9], s[28:29], s[8:9]
	s_andn2_b64 s[22:23], s[22:23], exec
	s_and_b64 s[24:25], s[24:25], exec
	s_or_b64 s[22:23], s[22:23], s[24:25]
	s_andn2_b64 exec, exec, s[8:9]
	s_cbranch_execz .LBB26_101
.LBB26_93:                              ;   Parent Loop BB26_15 Depth=1
                                        ; =>  This Inner Loop Header: Depth=2
	v_cmp_gt_u32_e32 vcc, s26, v4
	v_mov_b32_e32 v5, 0
	s_and_saveexec_b64 s[24:25], vcc
	s_cbranch_execz .LBB26_95
; %bb.94:                               ;   in Loop: Header=BB26_93 Depth=2
	ds_read_u8 v5, v4
.LBB26_95:                              ;   in Loop: Header=BB26_93 Depth=2
	s_or_b64 exec, exec, s[24:25]
	s_and_saveexec_b64 s[24:25], vcc
	s_cbranch_execz .LBB26_92
; %bb.96:                               ;   in Loop: Header=BB26_93 Depth=2
	s_waitcnt lgkmcnt(0)
	v_add_u32_sdwa v30, sext(v5), s80 dst_sel:DWORD dst_unused:UNUSED_PAD src0_sel:BYTE_0 src1_sel:DWORD
	v_and_b32_e32 v30, v30, v3
	v_cmp_eq_u32_e32 vcc, v30, v2
	s_and_b64 exec, exec, vcc
	s_cbranch_execz .LBB26_92
; %bb.97:                               ;   in Loop: Header=BB26_93 Depth=2
	v_lshlrev_b16_e32 v5, 8, v5
	v_or_b32_e32 v5, 1, v5
	ds_write_b16 v24, v5 offset:3072
	s_branch .LBB26_92
.LBB26_98:                              ;   in Loop: Header=BB26_15 Depth=1
	s_mov_b64 s[24:25], 0
	s_mov_b64 s[20:21], 0
                                        ; implicit-def: $sgpr26_sgpr27
                                        ; implicit-def: $sgpr28_sgpr29
                                        ; implicit-def: $sgpr22_sgpr23
                                        ; implicit-def: $vgpr30
                                        ; implicit-def: $vgpr5
                                        ; implicit-def: $vgpr2
                                        ; implicit-def: $vgpr3
                                        ; implicit-def: $vgpr4
	s_cbranch_execnz .LBB26_250
.LBB26_99:                              ;   in Loop: Header=BB26_15 Depth=1
	s_mov_b64 s[30:31], s[22:23]
	s_mov_b64 s[34:35], s[22:23]
	s_and_saveexec_b64 s[6:7], s[24:25]
	s_cbranch_execnz .LBB26_412
	s_branch .LBB26_413
.LBB26_100:                             ;   in Loop: Header=BB26_15 Depth=1
	s_mov_b64 s[22:23], -1
	s_mov_b64 s[8:9], 0
                                        ; implicit-def: $sgpr26_sgpr27
                                        ; implicit-def: $vgpr4
	s_mov_b64 s[28:29], s[22:23]
	s_cbranch_execnz .LBB26_103
	s_branch .LBB26_113
.LBB26_101:                             ;   in Loop: Header=BB26_15 Depth=1
	s_or_b64 exec, exec, s[8:9]
	v_lshrrev_b16_e32 v4, 8, v5
	s_and_b64 s[8:9], s[22:23], exec
.LBB26_102:                             ;   in Loop: Header=BB26_15 Depth=1
	s_or_b64 exec, exec, s[20:21]
	s_mov_b64 s[26:27], -1
	s_mov_b64 s[22:23], 0
	s_mov_b64 s[28:29], s[22:23]
	s_branch .LBB26_113
.LBB26_103:                             ;   in Loop: Header=BB26_15 Depth=1
	s_mov_b64 s[8:9], 0
                                        ; implicit-def: $vgpr4
	s_mov_b64 s[20:21], exec
	v_readlane_b32 s22, v46, 45
	v_readlane_b32 s23, v46, 46
	s_and_b64 s[22:23], s[20:21], s[22:23]
	s_mov_b64 exec, s[22:23]
	s_cbranch_execz .LBB26_112
; %bb.104:                              ;   in Loop: Header=BB26_15 Depth=1
	v_mov_b32_e32 v4, v15
	v_mov_b32_e32 v5, v0
                                        ; implicit-def: $sgpr22_sgpr23
	s_branch .LBB26_106
.LBB26_105:                             ;   in Loop: Header=BB26_106 Depth=2
	s_or_b64 exec, exec, s[24:25]
	s_waitcnt lgkmcnt(0)
	s_barrier
	s_waitcnt vmcnt(0)
	ds_read_u16 v30, v24 offset:3072
	v_add_u32_e32 v5, s33, v5
	v_cmp_le_u32_e32 vcc, s12, v5
	v_add_u32_e32 v4, s66, v4
	s_waitcnt lgkmcnt(0)
	v_cmp_ne_u16_sdwa s[24:25], v30, v1 src0_sel:BYTE_0 src1_sel:DWORD
	s_or_b64 s[26:27], vcc, s[24:25]
	s_and_b64 s[26:27], exec, s[26:27]
	s_or_b64 s[8:9], s[26:27], s[8:9]
	s_andn2_b64 s[22:23], s[22:23], exec
	s_and_b64 s[24:25], s[24:25], exec
	s_or_b64 s[22:23], s[22:23], s[24:25]
	s_barrier
	s_andn2_b64 exec, exec, s[8:9]
	s_cbranch_execz .LBB26_111
.LBB26_106:                             ;   Parent Loop BB26_15 Depth=1
                                        ; =>  This Inner Loop Header: Depth=2
	v_cmp_gt_u32_e32 vcc, s60, v5
	v_mov_b32_e32 v30, 0
	s_and_saveexec_b64 s[24:25], vcc
	s_cbranch_execz .LBB26_108
; %bb.107:                              ;   in Loop: Header=BB26_106 Depth=2
	global_load_ubyte v30, v4, s[64:65]
.LBB26_108:                             ;   in Loop: Header=BB26_106 Depth=2
	s_or_b64 exec, exec, s[24:25]
	s_and_saveexec_b64 s[24:25], vcc
	s_cbranch_execz .LBB26_105
; %bb.109:                              ;   in Loop: Header=BB26_106 Depth=2
	s_waitcnt vmcnt(0)
	v_add_u32_sdwa v31, sext(v30), s80 dst_sel:DWORD dst_unused:UNUSED_PAD src0_sel:BYTE_0 src1_sel:DWORD
	v_and_b32_e32 v31, v31, v3
	v_cmp_eq_u32_e32 vcc, v31, v2
	s_and_b64 exec, exec, vcc
	s_cbranch_execz .LBB26_105
; %bb.110:                              ;   in Loop: Header=BB26_106 Depth=2
	v_lshlrev_b16_e32 v30, 8, v30
	v_or_b32_e32 v30, 1, v30
	ds_write_b16 v24, v30 offset:3072
	s_branch .LBB26_105
.LBB26_111:                             ;   in Loop: Header=BB26_15 Depth=1
	s_or_b64 exec, exec, s[8:9]
	v_lshrrev_b16_e32 v4, 8, v30
	s_and_b64 s[8:9], s[22:23], exec
.LBB26_112:                             ;   in Loop: Header=BB26_15 Depth=1
	s_or_b64 exec, exec, s[20:21]
	s_mov_b64 s[28:29], -1
	s_mov_b64 s[22:23], 0
	s_mov_b64 s[26:27], 0
.LBB26_113:                             ;   in Loop: Header=BB26_15 Depth=1
	s_orn2_b64 s[8:9], s[8:9], exec
.LBB26_114:                             ;   in Loop: Header=BB26_15 Depth=1
	s_or_b64 exec, exec, s[6:7]
	s_mov_b64 s[30:31], 0
	s_mov_b64 s[24:25], 0
	;; [unrolled: 1-line block ×3, first 2 shown]
                                        ; implicit-def: $vgpr30
                                        ; implicit-def: $vgpr5
	s_and_saveexec_b64 s[34:35], s[8:9]
	s_cbranch_execz .LBB26_249
; %bb.115:                              ;   in Loop: Header=BB26_15 Depth=1
	s_xor_b64 s[8:9], s[36:37], -1
	v_mov_b32_e32 v5, 1
	v_mov_b32_e32 v30, 1
	s_and_saveexec_b64 s[6:7], s[8:9]
	s_cbranch_execz .LBB26_125
; %bb.116:                              ;   in Loop: Header=BB26_15 Depth=1
	v_cmp_ge_u32_e32 vcc, s10, v29
                                        ; implicit-def: $sgpr24
                                        ; implicit-def: $sgpr8_sgpr9
	s_and_saveexec_b64 s[20:21], vcc
	s_xor_b64 s[20:21], exec, s[20:21]
	s_cbranch_execz .LBB26_122
; %bb.117:                              ;   in Loop: Header=BB26_15 Depth=1
	ds_read_b32 v5, v24 offset:4096
	s_waitcnt lgkmcnt(0)
	v_cmp_ne_u32_e32 vcc, 0, v5
	s_cbranch_vccnz .LBB26_121
; %bb.118:                              ;   in Loop: Header=BB26_15 Depth=1
	s_mov_b64 s[8:9], exec
	v_readlane_b32 s24, v46, 7
	v_readlane_b32 s25, v46, 8
	s_and_b64 s[24:25], s[8:9], s[24:25]
	s_mov_b64 exec, s[24:25]
	s_cbranch_execz .LBB26_120
; %bb.119:                              ;   in Loop: Header=BB26_15 Depth=1
	v_mov_b32_e32 v5, s10
	ds_write_b32 v24, v5 offset:4100
.LBB26_120:                             ;   in Loop: Header=BB26_15 Depth=1
	s_or_b64 exec, exec, s[8:9]
	s_waitcnt lgkmcnt(0)
	s_barrier
.LBB26_121:                             ;   in Loop: Header=BB26_15 Depth=1
	v_and_b32_e32 v2, s62, v2
	v_or_b32_e32 v3, s11, v3
	s_mov_b64 s[8:9], 0
	s_mov_b32 s24, 8
.LBB26_122:                             ;   in Loop: Header=BB26_15 Depth=1
	s_or_saveexec_b64 s[20:21], s[20:21]
	v_mov_b32_e32 v30, s24
	v_mov_b32_e32 v5, v29
	s_xor_b64 exec, exec, s[20:21]
; %bb.123:                              ;   in Loop: Header=BB26_15 Depth=1
	v_subrev_u32_e32 v5, s10, v29
	v_mov_b32_e32 v30, 0
	s_or_b64 s[8:9], s[8:9], exec
; %bb.124:                              ;   in Loop: Header=BB26_15 Depth=1
	s_or_b64 exec, exec, s[20:21]
	s_and_b64 s[20:21], s[8:9], exec
.LBB26_125:                             ;   in Loop: Header=BB26_15 Depth=1
	s_or_b64 exec, exec, s[6:7]
	s_mov_b64 s[38:39], -1
                                        ; implicit-def: $sgpr6_sgpr7
                                        ; implicit-def: $sgpr8_sgpr9
                                        ; implicit-def: $sgpr24_sgpr25
	s_and_saveexec_b64 s[36:37], s[20:21]
	s_xor_b64 s[20:21], exec, s[36:37]
	s_cbranch_execz .LBB26_246
; %bb.126:                              ;   in Loop: Header=BB26_15 Depth=1
	s_cmp_eq_u32 s63, 1
	s_cselect_b64 s[6:7], -1, 0
	v_cmp_eq_u32_e32 vcc, 1, v5
	s_and_b64 s[42:43], s[6:7], vcc
	s_mov_b64 s[8:9], -1
                                        ; implicit-def: $sgpr24_sgpr25
                                        ; implicit-def: $sgpr38_sgpr39
                                        ; implicit-def: $sgpr36_sgpr37
	s_and_saveexec_b64 s[6:7], s[42:43]
	s_cbranch_execz .LBB26_152
; %bb.127:                              ;   in Loop: Header=BB26_15 Depth=1
	ds_read_b32 v4, v24 offset:4096
	s_waitcnt lgkmcnt(0)
	s_barrier
	v_readfirstlane_b32 s40, v4
	s_mov_b64 s[8:9], exec
	v_readlane_b32 s24, v46, 29
	v_readlane_b32 s25, v46, 30
	s_and_b64 s[24:25], s[8:9], s[24:25]
	s_mov_b64 exec, s[24:25]
	s_cbranch_execz .LBB26_129
; %bb.128:                              ;   in Loop: Header=BB26_15 Depth=1
	ds_write_b8 v0, v1 offset:3072
.LBB26_129:                             ;   in Loop: Header=BB26_15 Depth=1
	s_or_b64 exec, exec, s[8:9]
	v_and_b32_e32 v2, s62, v2
	v_lshl_or_b32 v2, 1, s4, v2
	v_or_b32_e32 v3, s11, v3
	s_cmp_eq_u32 s40, 0
	s_waitcnt lgkmcnt(0)
	s_barrier
	s_cbranch_scc1 .LBB26_138
; %bb.130:                              ;   in Loop: Header=BB26_15 Depth=1
	v_readlane_b32 s8, v46, 22
	s_add_i32 s8, s40, s8
	v_readlane_b32 s9, v46, 44
	s_mul_hi_u32 s9, s8, s9
	s_mul_i32 s9, s9, s33
	s_sub_i32 s9, s8, s9
	s_sub_i32 s24, s9, s33
	s_cmp_ge_u32 s9, s33
	s_cselect_b32 s9, s24, s9
	s_sub_i32 s24, s9, s33
	s_cmp_ge_u32 s9, s33
	s_cselect_b32 s9, s24, s9
	s_sub_i32 s41, s8, s9
	v_cmp_gt_u32_e32 vcc, s41, v0
	s_mov_b64 s[8:9], 0
                                        ; implicit-def: $vgpr4
	s_and_saveexec_b64 s[24:25], vcc
	s_cbranch_execz .LBB26_140
; %bb.131:                              ;   in Loop: Header=BB26_15 Depth=1
	v_mov_b32_e32 v4, v0
                                        ; implicit-def: $sgpr36_sgpr37
	s_branch .LBB26_133
.LBB26_132:                             ;   in Loop: Header=BB26_133 Depth=2
	s_or_b64 exec, exec, s[38:39]
	s_waitcnt lgkmcnt(0)
	s_barrier
	ds_read_u16 v30, v24 offset:3072
	v_add_u32_e32 v4, s33, v4
	v_cmp_le_u32_e32 vcc, s41, v4
	s_waitcnt lgkmcnt(0)
	s_barrier
	v_cmp_ne_u16_sdwa s[38:39], v30, v1 src0_sel:BYTE_0 src1_sel:DWORD
	s_or_b64 s[44:45], vcc, s[38:39]
	s_and_b64 s[44:45], exec, s[44:45]
	s_or_b64 s[8:9], s[44:45], s[8:9]
	s_andn2_b64 s[36:37], s[36:37], exec
	s_and_b64 s[38:39], s[38:39], exec
	s_or_b64 s[36:37], s[36:37], s[38:39]
	s_andn2_b64 exec, exec, s[8:9]
	s_cbranch_execz .LBB26_139
.LBB26_133:                             ;   Parent Loop BB26_15 Depth=1
                                        ; =>  This Inner Loop Header: Depth=2
	v_cmp_gt_u32_e32 vcc, s40, v4
	v_mov_b32_e32 v30, 0
	s_and_saveexec_b64 s[38:39], vcc
	s_cbranch_execz .LBB26_135
; %bb.134:                              ;   in Loop: Header=BB26_133 Depth=2
	ds_read_u8 v30, v4
.LBB26_135:                             ;   in Loop: Header=BB26_133 Depth=2
	s_or_b64 exec, exec, s[38:39]
	s_and_saveexec_b64 s[38:39], vcc
	s_cbranch_execz .LBB26_132
; %bb.136:                              ;   in Loop: Header=BB26_133 Depth=2
	s_waitcnt lgkmcnt(0)
	v_add_u32_sdwa v31, sext(v30), s80 dst_sel:DWORD dst_unused:UNUSED_PAD src0_sel:BYTE_0 src1_sel:DWORD
	v_and_b32_e32 v31, v31, v3
	v_cmp_eq_u32_e32 vcc, v31, v2
	s_and_b64 exec, exec, vcc
	s_cbranch_execz .LBB26_132
; %bb.137:                              ;   in Loop: Header=BB26_133 Depth=2
	v_lshlrev_b16_e32 v30, 8, v30
	v_or_b32_e32 v30, 1, v30
	ds_write_b16 v24, v30 offset:3072
	s_branch .LBB26_132
.LBB26_138:                             ;   in Loop: Header=BB26_15 Depth=1
	s_mov_b64 s[24:25], -1
	s_mov_b64 s[8:9], 0
                                        ; implicit-def: $sgpr36_sgpr37
                                        ; implicit-def: $vgpr4
	s_mov_b64 s[38:39], s[24:25]
	s_cbranch_execnz .LBB26_141
	s_branch .LBB26_151
.LBB26_139:                             ;   in Loop: Header=BB26_15 Depth=1
	s_or_b64 exec, exec, s[8:9]
	v_lshrrev_b16_e32 v4, 8, v30
	s_and_b64 s[8:9], s[36:37], exec
.LBB26_140:                             ;   in Loop: Header=BB26_15 Depth=1
	s_or_b64 exec, exec, s[24:25]
	s_mov_b64 s[36:37], -1
	s_mov_b64 s[24:25], 0
	s_mov_b64 s[38:39], s[24:25]
	s_branch .LBB26_151
.LBB26_141:                             ;   in Loop: Header=BB26_15 Depth=1
	s_mov_b64 s[8:9], 0
                                        ; implicit-def: $vgpr4
	s_mov_b64 s[24:25], exec
	v_readlane_b32 s36, v46, 45
	v_readlane_b32 s37, v46, 46
	s_and_b64 s[36:37], s[24:25], s[36:37]
	s_mov_b64 exec, s[36:37]
	s_cbranch_execz .LBB26_150
; %bb.142:                              ;   in Loop: Header=BB26_15 Depth=1
	v_mov_b32_e32 v4, v15
	v_mov_b32_e32 v30, v0
                                        ; implicit-def: $sgpr36_sgpr37
	s_branch .LBB26_144
.LBB26_143:                             ;   in Loop: Header=BB26_144 Depth=2
	s_or_b64 exec, exec, s[38:39]
	s_waitcnt lgkmcnt(0)
	s_barrier
	s_waitcnt vmcnt(0)
	ds_read_u16 v31, v24 offset:3072
	v_add_u32_e32 v30, s33, v30
	v_cmp_le_u32_e32 vcc, s12, v30
	v_add_u32_e32 v4, s66, v4
	s_waitcnt lgkmcnt(0)
	v_cmp_ne_u16_sdwa s[38:39], v31, v1 src0_sel:BYTE_0 src1_sel:DWORD
	s_or_b64 s[40:41], vcc, s[38:39]
	s_and_b64 s[40:41], exec, s[40:41]
	s_or_b64 s[8:9], s[40:41], s[8:9]
	s_andn2_b64 s[36:37], s[36:37], exec
	s_and_b64 s[38:39], s[38:39], exec
	s_or_b64 s[36:37], s[36:37], s[38:39]
	s_barrier
	s_andn2_b64 exec, exec, s[8:9]
	s_cbranch_execz .LBB26_149
.LBB26_144:                             ;   Parent Loop BB26_15 Depth=1
                                        ; =>  This Inner Loop Header: Depth=2
	v_cmp_gt_u32_e32 vcc, s60, v30
	v_mov_b32_e32 v31, 0
	s_and_saveexec_b64 s[38:39], vcc
	s_cbranch_execz .LBB26_146
; %bb.145:                              ;   in Loop: Header=BB26_144 Depth=2
	global_load_ubyte v31, v4, s[64:65]
.LBB26_146:                             ;   in Loop: Header=BB26_144 Depth=2
	s_or_b64 exec, exec, s[38:39]
	s_and_saveexec_b64 s[38:39], vcc
	s_cbranch_execz .LBB26_143
; %bb.147:                              ;   in Loop: Header=BB26_144 Depth=2
	s_waitcnt vmcnt(0)
	v_add_u32_sdwa v32, sext(v31), s80 dst_sel:DWORD dst_unused:UNUSED_PAD src0_sel:BYTE_0 src1_sel:DWORD
	v_and_b32_e32 v32, v32, v3
	v_cmp_eq_u32_e32 vcc, v32, v2
	s_and_b64 exec, exec, vcc
	s_cbranch_execz .LBB26_143
; %bb.148:                              ;   in Loop: Header=BB26_144 Depth=2
	v_lshlrev_b16_e32 v31, 8, v31
	v_or_b32_e32 v31, 1, v31
	ds_write_b16 v24, v31 offset:3072
	s_branch .LBB26_143
.LBB26_149:                             ;   in Loop: Header=BB26_15 Depth=1
	s_or_b64 exec, exec, s[8:9]
	v_lshrrev_b16_e32 v4, 8, v31
	s_and_b64 s[8:9], s[36:37], exec
.LBB26_150:                             ;   in Loop: Header=BB26_15 Depth=1
	s_or_b64 exec, exec, s[24:25]
	s_mov_b64 s[38:39], -1
	s_mov_b64 s[24:25], 0
	s_mov_b64 s[36:37], 0
.LBB26_151:                             ;   in Loop: Header=BB26_15 Depth=1
	s_orn2_b64 s[8:9], s[8:9], exec
.LBB26_152:                             ;   in Loop: Header=BB26_15 Depth=1
	s_or_b64 exec, exec, s[6:7]
	s_mov_b64 s[44:45], 0
                                        ; implicit-def: $vgpr30
	s_and_saveexec_b64 s[40:41], s[8:9]
	s_cbranch_execz .LBB26_245
; %bb.153:                              ;   in Loop: Header=BB26_15 Depth=1
	s_xor_b64 s[8:9], s[42:43], -1
	s_mov_b64 s[46:47], 0
	v_mov_b32_e32 v31, 1
	v_mov_b32_e32 v30, 1
	s_and_saveexec_b64 s[6:7], s[8:9]
	s_cbranch_execz .LBB26_163
; %bb.154:                              ;   in Loop: Header=BB26_15 Depth=1
	v_cmp_ge_u32_e32 vcc, s63, v5
                                        ; implicit-def: $sgpr44
                                        ; implicit-def: $sgpr8_sgpr9
	s_and_saveexec_b64 s[42:43], vcc
	s_xor_b64 s[42:43], exec, s[42:43]
	s_cbranch_execz .LBB26_160
; %bb.155:                              ;   in Loop: Header=BB26_15 Depth=1
	ds_read_b32 v30, v24 offset:4096
	s_waitcnt lgkmcnt(0)
	v_cmp_ne_u32_e32 vcc, 0, v30
	s_cbranch_vccnz .LBB26_159
; %bb.156:                              ;   in Loop: Header=BB26_15 Depth=1
	s_mov_b64 s[8:9], exec
	v_readlane_b32 s44, v46, 7
	v_readlane_b32 s45, v46, 8
	s_and_b64 s[44:45], s[8:9], s[44:45]
	s_mov_b64 exec, s[44:45]
	s_cbranch_execz .LBB26_158
; %bb.157:                              ;   in Loop: Header=BB26_15 Depth=1
	v_mov_b32_e32 v30, s63
	ds_write_b32 v24, v30 offset:4100
.LBB26_158:                             ;   in Loop: Header=BB26_15 Depth=1
	s_or_b64 exec, exec, s[8:9]
	s_waitcnt lgkmcnt(0)
	s_barrier
.LBB26_159:                             ;   in Loop: Header=BB26_15 Depth=1
	v_and_b32_e32 v2, s62, v2
	v_lshl_or_b32 v2, 1, s4, v2
	v_or_b32_e32 v3, s11, v3
	s_mov_b64 s[8:9], 0
	s_mov_b32 s44, 8
.LBB26_160:                             ;   in Loop: Header=BB26_15 Depth=1
	s_or_saveexec_b64 s[42:43], s[42:43]
	v_mov_b32_e32 v30, s44
	s_xor_b64 exec, exec, s[42:43]
; %bb.161:                              ;   in Loop: Header=BB26_15 Depth=1
	v_subrev_u32_e32 v5, s63, v5
	v_mov_b32_e32 v30, 0
	s_or_b64 s[8:9], s[8:9], exec
; %bb.162:                              ;   in Loop: Header=BB26_15 Depth=1
	s_or_b64 exec, exec, s[42:43]
	s_and_b64 s[46:47], s[8:9], exec
	v_mov_b32_e32 v31, v5
.LBB26_163:                             ;   in Loop: Header=BB26_15 Depth=1
	s_or_b64 exec, exec, s[6:7]
	s_mov_b64 s[6:7], -1
                                        ; implicit-def: $sgpr8_sgpr9
                                        ; implicit-def: $sgpr44_sgpr45
                                        ; implicit-def: $sgpr50_sgpr51
	s_and_saveexec_b64 s[42:43], s[46:47]
	s_cbranch_execz .LBB26_244
; %bb.164:                              ;   in Loop: Header=BB26_15 Depth=1
	s_cmp_eq_u32 s5, 1
	s_cselect_b64 s[6:7], -1, 0
	v_cmp_eq_u32_e32 vcc, 1, v31
	s_and_b64 s[52:53], s[6:7], vcc
	s_mov_b64 s[8:9], -1
                                        ; implicit-def: $sgpr44_sgpr45
                                        ; implicit-def: $sgpr48_sgpr49
                                        ; implicit-def: $sgpr46_sgpr47
	s_and_saveexec_b64 s[6:7], s[52:53]
	s_cbranch_execz .LBB26_190
; %bb.165:                              ;   in Loop: Header=BB26_15 Depth=1
	ds_read_b32 v4, v24 offset:4096
	s_waitcnt lgkmcnt(0)
	s_barrier
	v_readfirstlane_b32 s50, v4
	s_mov_b64 s[8:9], exec
	v_readlane_b32 s44, v46, 29
	v_readlane_b32 s45, v46, 30
	s_and_b64 s[44:45], s[8:9], s[44:45]
	s_mov_b64 exec, s[44:45]
	s_cbranch_execz .LBB26_167
; %bb.166:                              ;   in Loop: Header=BB26_15 Depth=1
	ds_write_b8 v0, v1 offset:3072
.LBB26_167:                             ;   in Loop: Header=BB26_15 Depth=1
	s_or_b64 exec, exec, s[8:9]
	v_and_b32_e32 v2, s62, v2
	v_lshl_or_b32 v2, 2, s4, v2
	v_or_b32_e32 v3, s11, v3
	s_cmp_eq_u32 s50, 0
	s_waitcnt lgkmcnt(0)
	s_barrier
	s_cbranch_scc1 .LBB26_176
; %bb.168:                              ;   in Loop: Header=BB26_15 Depth=1
	v_readlane_b32 s8, v46, 22
	s_add_i32 s8, s50, s8
	v_readlane_b32 s9, v46, 44
	s_mul_hi_u32 s9, s8, s9
	s_mul_i32 s9, s9, s33
	s_sub_i32 s9, s8, s9
	s_sub_i32 s44, s9, s33
	s_cmp_ge_u32 s9, s33
	s_cselect_b32 s9, s44, s9
	s_sub_i32 s44, s9, s33
	s_cmp_ge_u32 s9, s33
	s_cselect_b32 s9, s44, s9
	s_sub_i32 s51, s8, s9
	v_cmp_gt_u32_e32 vcc, s51, v0
	s_mov_b64 s[8:9], 0
                                        ; implicit-def: $vgpr4
	s_and_saveexec_b64 s[44:45], vcc
	s_cbranch_execz .LBB26_178
; %bb.169:                              ;   in Loop: Header=BB26_15 Depth=1
	v_mov_b32_e32 v4, v0
                                        ; implicit-def: $sgpr46_sgpr47
	s_branch .LBB26_171
.LBB26_170:                             ;   in Loop: Header=BB26_171 Depth=2
	s_or_b64 exec, exec, s[48:49]
	s_waitcnt lgkmcnt(0)
	s_barrier
	ds_read_u16 v5, v24 offset:3072
	v_add_u32_e32 v4, s33, v4
	v_cmp_le_u32_e32 vcc, s51, v4
	s_waitcnt lgkmcnt(0)
	s_barrier
	v_cmp_ne_u16_sdwa s[48:49], v5, v1 src0_sel:BYTE_0 src1_sel:DWORD
	s_or_b64 s[54:55], vcc, s[48:49]
	s_and_b64 s[54:55], exec, s[54:55]
	s_or_b64 s[8:9], s[54:55], s[8:9]
	s_andn2_b64 s[46:47], s[46:47], exec
	s_and_b64 s[48:49], s[48:49], exec
	s_or_b64 s[46:47], s[46:47], s[48:49]
	s_andn2_b64 exec, exec, s[8:9]
	s_cbranch_execz .LBB26_177
.LBB26_171:                             ;   Parent Loop BB26_15 Depth=1
                                        ; =>  This Inner Loop Header: Depth=2
	v_cmp_gt_u32_e32 vcc, s50, v4
	v_mov_b32_e32 v5, 0
	s_and_saveexec_b64 s[48:49], vcc
	s_cbranch_execz .LBB26_173
; %bb.172:                              ;   in Loop: Header=BB26_171 Depth=2
	ds_read_u8 v5, v4
.LBB26_173:                             ;   in Loop: Header=BB26_171 Depth=2
	s_or_b64 exec, exec, s[48:49]
	s_and_saveexec_b64 s[48:49], vcc
	s_cbranch_execz .LBB26_170
; %bb.174:                              ;   in Loop: Header=BB26_171 Depth=2
	s_waitcnt lgkmcnt(0)
	v_add_u32_sdwa v30, sext(v5), s80 dst_sel:DWORD dst_unused:UNUSED_PAD src0_sel:BYTE_0 src1_sel:DWORD
	v_and_b32_e32 v30, v30, v3
	v_cmp_eq_u32_e32 vcc, v30, v2
	s_and_b64 exec, exec, vcc
	s_cbranch_execz .LBB26_170
; %bb.175:                              ;   in Loop: Header=BB26_171 Depth=2
	v_lshlrev_b16_e32 v5, 8, v5
	v_or_b32_e32 v5, 1, v5
	ds_write_b16 v24, v5 offset:3072
	s_branch .LBB26_170
.LBB26_176:                             ;   in Loop: Header=BB26_15 Depth=1
	s_mov_b64 s[44:45], -1
	s_mov_b64 s[8:9], 0
                                        ; implicit-def: $sgpr46_sgpr47
                                        ; implicit-def: $vgpr4
	s_mov_b64 s[48:49], s[44:45]
	s_cbranch_execnz .LBB26_179
	s_branch .LBB26_189
.LBB26_177:                             ;   in Loop: Header=BB26_15 Depth=1
	s_or_b64 exec, exec, s[8:9]
	v_lshrrev_b16_e32 v4, 8, v5
	s_and_b64 s[8:9], s[46:47], exec
.LBB26_178:                             ;   in Loop: Header=BB26_15 Depth=1
	s_or_b64 exec, exec, s[44:45]
	s_mov_b64 s[46:47], -1
	s_mov_b64 s[44:45], 0
	s_mov_b64 s[48:49], s[44:45]
	s_branch .LBB26_189
.LBB26_179:                             ;   in Loop: Header=BB26_15 Depth=1
	s_mov_b64 s[8:9], 0
                                        ; implicit-def: $vgpr4
	s_mov_b64 s[44:45], exec
	v_readlane_b32 s46, v46, 45
	v_readlane_b32 s47, v46, 46
	s_and_b64 s[46:47], s[44:45], s[46:47]
	s_mov_b64 exec, s[46:47]
	s_cbranch_execz .LBB26_188
; %bb.180:                              ;   in Loop: Header=BB26_15 Depth=1
	v_mov_b32_e32 v4, v15
	v_mov_b32_e32 v5, v0
                                        ; implicit-def: $sgpr46_sgpr47
	s_branch .LBB26_182
.LBB26_181:                             ;   in Loop: Header=BB26_182 Depth=2
	s_or_b64 exec, exec, s[48:49]
	s_waitcnt lgkmcnt(0)
	s_barrier
	s_waitcnt vmcnt(0)
	ds_read_u16 v30, v24 offset:3072
	v_add_u32_e32 v5, s33, v5
	v_cmp_le_u32_e32 vcc, s12, v5
	v_add_u32_e32 v4, s66, v4
	s_waitcnt lgkmcnt(0)
	v_cmp_ne_u16_sdwa s[48:49], v30, v1 src0_sel:BYTE_0 src1_sel:DWORD
	s_or_b64 s[50:51], vcc, s[48:49]
	s_and_b64 s[50:51], exec, s[50:51]
	s_or_b64 s[8:9], s[50:51], s[8:9]
	s_andn2_b64 s[46:47], s[46:47], exec
	s_and_b64 s[48:49], s[48:49], exec
	s_or_b64 s[46:47], s[46:47], s[48:49]
	s_barrier
	s_andn2_b64 exec, exec, s[8:9]
	s_cbranch_execz .LBB26_187
.LBB26_182:                             ;   Parent Loop BB26_15 Depth=1
                                        ; =>  This Inner Loop Header: Depth=2
	v_cmp_gt_u32_e32 vcc, s60, v5
	v_mov_b32_e32 v30, 0
	s_and_saveexec_b64 s[48:49], vcc
	s_cbranch_execz .LBB26_184
; %bb.183:                              ;   in Loop: Header=BB26_182 Depth=2
	global_load_ubyte v30, v4, s[64:65]
.LBB26_184:                             ;   in Loop: Header=BB26_182 Depth=2
	s_or_b64 exec, exec, s[48:49]
	s_and_saveexec_b64 s[48:49], vcc
	s_cbranch_execz .LBB26_181
; %bb.185:                              ;   in Loop: Header=BB26_182 Depth=2
	s_waitcnt vmcnt(0)
	v_add_u32_sdwa v32, sext(v30), s80 dst_sel:DWORD dst_unused:UNUSED_PAD src0_sel:BYTE_0 src1_sel:DWORD
	v_and_b32_e32 v32, v32, v3
	v_cmp_eq_u32_e32 vcc, v32, v2
	s_and_b64 exec, exec, vcc
	s_cbranch_execz .LBB26_181
; %bb.186:                              ;   in Loop: Header=BB26_182 Depth=2
	v_lshlrev_b16_e32 v30, 8, v30
	v_or_b32_e32 v30, 1, v30
	ds_write_b16 v24, v30 offset:3072
	s_branch .LBB26_181
.LBB26_187:                             ;   in Loop: Header=BB26_15 Depth=1
	s_or_b64 exec, exec, s[8:9]
	v_lshrrev_b16_e32 v4, 8, v30
	s_and_b64 s[8:9], s[46:47], exec
.LBB26_188:                             ;   in Loop: Header=BB26_15 Depth=1
	s_or_b64 exec, exec, s[44:45]
	s_mov_b64 s[48:49], -1
	s_mov_b64 s[44:45], 0
	s_mov_b64 s[46:47], 0
.LBB26_189:                             ;   in Loop: Header=BB26_15 Depth=1
	s_orn2_b64 s[8:9], s[8:9], exec
.LBB26_190:                             ;   in Loop: Header=BB26_15 Depth=1
	s_or_b64 exec, exec, s[6:7]
	s_mov_b64 s[6:7], 0
                                        ; implicit-def: $vgpr30
	s_and_saveexec_b64 s[50:51], s[8:9]
	s_cbranch_execz .LBB26_243
; %bb.191:                              ;   in Loop: Header=BB26_15 Depth=1
	s_xor_b64 s[8:9], s[52:53], -1
	s_mov_b64 s[54:55], 0
	v_mov_b32_e32 v5, 1
	v_mov_b32_e32 v30, 1
	s_and_saveexec_b64 s[6:7], s[8:9]
	s_cbranch_execz .LBB26_201
; %bb.192:                              ;   in Loop: Header=BB26_15 Depth=1
	v_cmp_ge_u32_e32 vcc, s5, v31
                                        ; implicit-def: $sgpr54
                                        ; implicit-def: $sgpr8_sgpr9
	s_and_saveexec_b64 s[52:53], vcc
	s_xor_b64 s[52:53], exec, s[52:53]
	s_cbranch_execz .LBB26_198
; %bb.193:                              ;   in Loop: Header=BB26_15 Depth=1
	ds_read_b32 v5, v24 offset:4096
	s_waitcnt lgkmcnt(0)
	v_cmp_ne_u32_e32 vcc, 0, v5
	s_cbranch_vccnz .LBB26_197
; %bb.194:                              ;   in Loop: Header=BB26_15 Depth=1
	s_mov_b64 s[8:9], exec
	v_readlane_b32 s54, v46, 7
	v_readlane_b32 s55, v46, 8
	s_and_b64 s[54:55], s[8:9], s[54:55]
	s_mov_b64 exec, s[54:55]
	s_cbranch_execz .LBB26_196
; %bb.195:                              ;   in Loop: Header=BB26_15 Depth=1
	v_mov_b32_e32 v5, s5
	ds_write_b32 v24, v5 offset:4100
.LBB26_196:                             ;   in Loop: Header=BB26_15 Depth=1
	s_or_b64 exec, exec, s[8:9]
	s_waitcnt lgkmcnt(0)
	s_barrier
.LBB26_197:                             ;   in Loop: Header=BB26_15 Depth=1
	v_and_b32_e32 v2, s62, v2
	v_lshl_or_b32 v2, 2, s4, v2
	v_or_b32_e32 v3, s11, v3
	s_mov_b64 s[8:9], 0
	s_mov_b32 s54, 8
.LBB26_198:                             ;   in Loop: Header=BB26_15 Depth=1
	s_or_saveexec_b64 s[52:53], s[52:53]
	v_mov_b32_e32 v30, s54
	s_xor_b64 exec, exec, s[52:53]
; %bb.199:                              ;   in Loop: Header=BB26_15 Depth=1
	v_subrev_u32_e32 v31, s5, v31
	v_mov_b32_e32 v30, 0
	s_or_b64 s[8:9], s[8:9], exec
; %bb.200:                              ;   in Loop: Header=BB26_15 Depth=1
	s_or_b64 exec, exec, s[52:53]
	s_and_b64 s[54:55], s[8:9], exec
	v_mov_b32_e32 v5, v31
.LBB26_201:                             ;   in Loop: Header=BB26_15 Depth=1
	s_or_b64 exec, exec, s[6:7]
	s_mov_b64 s[6:7], -1
                                        ; implicit-def: $sgpr8_sgpr9
                                        ; implicit-def: $sgpr58_sgpr59
                                        ; implicit-def: $sgpr56_sgpr57
	s_and_saveexec_b64 s[52:53], s[54:55]
	s_cbranch_execz .LBB26_242
; %bb.202:                              ;   in Loop: Header=BB26_15 Depth=1
	s_cmp_eq_u32 s76, 1
	s_cselect_b64 s[6:7], -1, 0
	v_cmp_eq_u32_e32 vcc, 1, v5
	s_mov_b64 s[54:55], -1
	s_and_b64 s[6:7], s[6:7], vcc
                                        ; implicit-def: $sgpr8_sgpr9
                                        ; implicit-def: $sgpr58_sgpr59
	s_mov_b64 s[56:57], exec
	v_writelane_b32 v46, s6, 50
	v_writelane_b32 v46, s7, 51
	;; [unrolled: 1-line block ×3, first 2 shown]
	s_and_b64 vcc, s[56:57], s[6:7]
	v_writelane_b32 v46, s57, 53
                                        ; implicit-def: $sgpr56_sgpr57
	s_mov_b64 exec, vcc
	s_cbranch_execz .LBB26_229
; %bb.203:                              ;   in Loop: Header=BB26_15 Depth=1
	ds_read_b32 v4, v24 offset:4096
	v_readlane_b32 s6, v46, 29
	v_readlane_b32 s7, v46, 30
	s_waitcnt lgkmcnt(0)
	s_barrier
	v_readfirstlane_b32 s77, v4
	s_and_saveexec_b64 s[8:9], s[6:7]
	s_cbranch_execz .LBB26_205
; %bb.204:                              ;   in Loop: Header=BB26_15 Depth=1
	ds_write_b8 v0, v1 offset:3072
.LBB26_205:                             ;   in Loop: Header=BB26_15 Depth=1
	s_or_b64 exec, exec, s[8:9]
	v_or_b32_e32 v2, s11, v2
	v_or_b32_e32 v3, s11, v3
	s_cmp_eq_u32 s77, 0
	s_waitcnt lgkmcnt(0)
	s_barrier
	s_cbranch_scc1 .LBB26_214
; %bb.206:                              ;   in Loop: Header=BB26_15 Depth=1
	v_readlane_b32 s6, v46, 22
	s_add_i32 s6, s77, s6
	v_readlane_b32 s7, v46, 44
	s_mul_hi_u32 s7, s6, s7
	s_mul_i32 s7, s7, s33
	s_sub_i32 s7, s6, s7
	s_sub_i32 s8, s7, s33
	s_cmp_ge_u32 s7, s33
	s_cselect_b32 s7, s8, s7
	s_sub_i32 s8, s7, s33
	s_cmp_ge_u32 s7, s33
	s_cselect_b32 s7, s8, s7
	s_sub_i32 s8, s6, s7
	s_mov_b64 s[54:55], 0
	v_cmp_gt_u32_e32 vcc, s8, v0
                                        ; implicit-def: $vgpr4
	s_mov_b64 s[6:7], exec
	v_writelane_b32 v46, s6, 54
	s_and_b64 s[56:57], s[6:7], vcc
	v_writelane_b32 v46, s7, 55
	s_mov_b64 exec, s[56:57]
	s_cbranch_execz .LBB26_216
; %bb.207:                              ;   in Loop: Header=BB26_15 Depth=1
	v_mov_b32_e32 v4, v0
                                        ; implicit-def: $sgpr56_sgpr57
	s_branch .LBB26_209
.LBB26_208:                             ;   in Loop: Header=BB26_209 Depth=2
	s_or_b64 exec, exec, s[58:59]
	s_waitcnt lgkmcnt(0)
	s_barrier
	ds_read_u16 v30, v24 offset:3072
	v_add_u32_e32 v4, s33, v4
	v_cmp_le_u32_e32 vcc, s8, v4
	s_waitcnt lgkmcnt(0)
	s_barrier
	v_cmp_ne_u16_sdwa s[6:7], v30, v1 src0_sel:BYTE_0 src1_sel:DWORD
	s_or_b64 s[58:59], vcc, s[6:7]
	s_and_b64 s[58:59], exec, s[58:59]
	s_or_b64 s[54:55], s[58:59], s[54:55]
	s_andn2_b64 s[56:57], s[56:57], exec
	s_and_b64 s[6:7], s[6:7], exec
	s_or_b64 s[56:57], s[56:57], s[6:7]
	s_andn2_b64 exec, exec, s[54:55]
	s_cbranch_execz .LBB26_215
.LBB26_209:                             ;   Parent Loop BB26_15 Depth=1
                                        ; =>  This Inner Loop Header: Depth=2
	v_cmp_gt_u32_e32 vcc, s77, v4
	v_mov_b32_e32 v30, 0
	s_and_saveexec_b64 s[58:59], vcc
	s_cbranch_execz .LBB26_211
; %bb.210:                              ;   in Loop: Header=BB26_209 Depth=2
	ds_read_u8 v30, v4
.LBB26_211:                             ;   in Loop: Header=BB26_209 Depth=2
	s_or_b64 exec, exec, s[58:59]
	s_and_saveexec_b64 s[58:59], vcc
	s_cbranch_execz .LBB26_208
; %bb.212:                              ;   in Loop: Header=BB26_209 Depth=2
	s_waitcnt lgkmcnt(0)
	v_add_u32_sdwa v31, sext(v30), s80 dst_sel:DWORD dst_unused:UNUSED_PAD src0_sel:BYTE_0 src1_sel:DWORD
	v_and_b32_e32 v31, v31, v3
	v_cmp_eq_u32_e32 vcc, v31, v2
	s_and_b64 exec, exec, vcc
	s_cbranch_execz .LBB26_208
; %bb.213:                              ;   in Loop: Header=BB26_209 Depth=2
	v_lshlrev_b16_e32 v30, 8, v30
	v_or_b32_e32 v30, 1, v30
	ds_write_b16 v24, v30 offset:3072
	s_branch .LBB26_208
.LBB26_214:                             ;   in Loop: Header=BB26_15 Depth=1
	s_mov_b64 s[8:9], -1
	s_mov_b64 s[54:55], 0
                                        ; implicit-def: $sgpr56_sgpr57
                                        ; implicit-def: $vgpr4
	s_branch .LBB26_217
.LBB26_215:                             ;   in Loop: Header=BB26_15 Depth=1
	s_or_b64 exec, exec, s[54:55]
	v_lshrrev_b16_e32 v4, 8, v30
	s_and_b64 s[54:55], s[56:57], exec
.LBB26_216:                             ;   in Loop: Header=BB26_15 Depth=1
	v_readlane_b32 s6, v46, 54
	v_readlane_b32 s7, v46, 55
	s_or_b64 exec, exec, s[6:7]
	s_mov_b64 s[56:57], -1
	s_mov_b64 s[8:9], 0
.LBB26_217:                             ;   in Loop: Header=BB26_15 Depth=1
	s_and_b64 vcc, exec, s[8:9]
	s_mov_b64 s[58:59], s[8:9]
	s_cbranch_vccz .LBB26_228
; %bb.218:                              ;   in Loop: Header=BB26_15 Depth=1
	s_mov_b64 s[54:55], 0
                                        ; implicit-def: $vgpr4
	s_mov_b64 s[8:9], exec
	v_readlane_b32 s6, v46, 45
	v_readlane_b32 s7, v46, 46
	s_and_b64 s[6:7], s[8:9], s[6:7]
	s_mov_b64 exec, s[6:7]
	s_cbranch_execz .LBB26_227
; %bb.219:                              ;   in Loop: Header=BB26_15 Depth=1
	v_mov_b32_e32 v4, v15
	v_mov_b32_e32 v30, v0
                                        ; implicit-def: $sgpr56_sgpr57
	s_branch .LBB26_221
.LBB26_220:                             ;   in Loop: Header=BB26_221 Depth=2
	s_or_b64 exec, exec, s[58:59]
	s_waitcnt lgkmcnt(0)
	s_barrier
	s_waitcnt vmcnt(0)
	ds_read_u16 v31, v24 offset:3072
	v_add_u32_e32 v30, s33, v30
	v_cmp_le_u32_e32 vcc, s12, v30
	v_add_u32_e32 v4, s66, v4
	s_waitcnt lgkmcnt(0)
	v_cmp_ne_u16_sdwa s[6:7], v31, v1 src0_sel:BYTE_0 src1_sel:DWORD
	s_or_b64 s[58:59], vcc, s[6:7]
	s_and_b64 s[58:59], exec, s[58:59]
	s_or_b64 s[54:55], s[58:59], s[54:55]
	s_andn2_b64 s[56:57], s[56:57], exec
	s_and_b64 s[6:7], s[6:7], exec
	s_or_b64 s[56:57], s[56:57], s[6:7]
	s_barrier
	s_andn2_b64 exec, exec, s[54:55]
	s_cbranch_execz .LBB26_226
.LBB26_221:                             ;   Parent Loop BB26_15 Depth=1
                                        ; =>  This Inner Loop Header: Depth=2
	v_cmp_gt_u32_e32 vcc, s60, v30
	v_mov_b32_e32 v31, 0
	s_and_saveexec_b64 s[58:59], vcc
	s_cbranch_execz .LBB26_223
; %bb.222:                              ;   in Loop: Header=BB26_221 Depth=2
	global_load_ubyte v31, v4, s[64:65]
.LBB26_223:                             ;   in Loop: Header=BB26_221 Depth=2
	s_or_b64 exec, exec, s[58:59]
	s_and_saveexec_b64 s[58:59], vcc
	s_cbranch_execz .LBB26_220
; %bb.224:                              ;   in Loop: Header=BB26_221 Depth=2
	s_waitcnt vmcnt(0)
	v_add_u32_sdwa v32, sext(v31), s80 dst_sel:DWORD dst_unused:UNUSED_PAD src0_sel:BYTE_0 src1_sel:DWORD
	v_and_b32_e32 v32, v32, v3
	v_cmp_eq_u32_e32 vcc, v32, v2
	s_and_b64 exec, exec, vcc
	s_cbranch_execz .LBB26_220
; %bb.225:                              ;   in Loop: Header=BB26_221 Depth=2
	v_lshlrev_b16_e32 v31, 8, v31
	v_or_b32_e32 v31, 1, v31
	ds_write_b16 v24, v31 offset:3072
	s_branch .LBB26_220
.LBB26_226:                             ;   in Loop: Header=BB26_15 Depth=1
	s_or_b64 exec, exec, s[54:55]
	v_lshrrev_b16_e32 v4, 8, v31
	s_and_b64 s[54:55], s[56:57], exec
.LBB26_227:                             ;   in Loop: Header=BB26_15 Depth=1
	s_or_b64 exec, exec, s[8:9]
	s_mov_b64 s[58:59], -1
	s_mov_b64 s[8:9], 0
	s_mov_b64 s[56:57], 0
.LBB26_228:                             ;   in Loop: Header=BB26_15 Depth=1
	s_orn2_b64 s[54:55], s[54:55], exec
.LBB26_229:                             ;   in Loop: Header=BB26_15 Depth=1
	v_readlane_b32 s6, v46, 52
	v_readlane_b32 s7, v46, 53
	s_or_b64 exec, exec, s[6:7]
	s_mov_b64 vcc, 0
                                        ; implicit-def: $vgpr30
                                        ; implicit-def: $vgpr31
	s_and_saveexec_b64 s[6:7], s[54:55]
	s_cbranch_execz .LBB26_241
; %bb.230:                              ;   in Loop: Header=BB26_15 Depth=1
	v_readlane_b32 s54, v46, 50
	v_readlane_b32 s55, v46, 51
	s_xor_b64 vcc, s[54:55], -1
	v_mov_b32_e32 v30, 1
	v_mov_b32_e32 v31, 1
	s_and_saveexec_b64 s[54:55], vcc
	s_cbranch_execz .LBB26_240
; %bb.231:                              ;   in Loop: Header=BB26_15 Depth=1
	v_writelane_b32 v46, s56, 56
	v_cmp_ge_u32_e32 vcc, s76, v5
	v_writelane_b32 v46, s57, 57
                                        ; implicit-def: $sgpr77
	s_and_saveexec_b64 s[56:57], vcc
	s_xor_b64 s[56:57], exec, s[56:57]
	s_cbranch_execz .LBB26_237
; %bb.232:                              ;   in Loop: Header=BB26_15 Depth=1
	ds_read_b32 v30, v24 offset:4096
	s_waitcnt lgkmcnt(0)
	v_cmp_ne_u32_e32 vcc, 0, v30
	s_cbranch_vccnz .LBB26_236
; %bb.233:                              ;   in Loop: Header=BB26_15 Depth=1
	v_writelane_b32 v46, s56, 58
	v_writelane_b32 v46, s57, 59
	s_mov_b64 vcc, exec
	v_readlane_b32 s56, v46, 7
	v_readlane_b32 s57, v46, 8
	s_and_b64 s[56:57], vcc, s[56:57]
	s_mov_b64 exec, s[56:57]
	s_cbranch_execz .LBB26_235
; %bb.234:                              ;   in Loop: Header=BB26_15 Depth=1
	v_mov_b32_e32 v30, s76
	ds_write_b32 v24, v30 offset:4100
.LBB26_235:                             ;   in Loop: Header=BB26_15 Depth=1
	s_or_b64 exec, exec, vcc
	v_readlane_b32 s56, v46, 58
	v_readlane_b32 s57, v46, 59
	s_waitcnt lgkmcnt(0)
	s_barrier
.LBB26_236:                             ;   in Loop: Header=BB26_15 Depth=1
	v_or_b32_e32 v2, s11, v2
	v_or_b32_e32 v3, s11, v3
	s_mov_b32 s77, 8
.LBB26_237:                             ;   in Loop: Header=BB26_15 Depth=1
	s_or_saveexec_b64 vcc, s[56:57]
	v_mov_b32_e32 v30, s77
	s_xor_b64 exec, exec, vcc
; %bb.238:                              ;   in Loop: Header=BB26_15 Depth=1
	v_subrev_u32_e32 v5, s76, v5
	v_mov_b32_e32 v30, 8
; %bb.239:                              ;   in Loop: Header=BB26_15 Depth=1
	s_or_b64 exec, exec, vcc
	v_readlane_b32 s56, v46, 56
	v_mov_b32_e32 v31, v5
	v_readlane_b32 s57, v46, 57
.LBB26_240:                             ;   in Loop: Header=BB26_15 Depth=1
	s_or_b64 exec, exec, s[54:55]
	s_mov_b64 vcc, exec
.LBB26_241:                             ;   in Loop: Header=BB26_15 Depth=1
	s_or_b64 exec, exec, s[6:7]
	s_orn2_b64 s[6:7], vcc, exec
	v_mov_b32_e32 v5, v31
.LBB26_242:                             ;   in Loop: Header=BB26_15 Depth=1
	s_or_b64 exec, exec, s[52:53]
	s_andn2_b64 s[44:45], s[44:45], exec
	s_and_b64 s[8:9], s[8:9], exec
	s_or_b64 s[44:45], s[44:45], s[8:9]
	s_andn2_b64 s[8:9], s[48:49], exec
	s_and_b64 s[48:49], s[58:59], exec
	s_or_b64 s[48:49], s[8:9], s[48:49]
	;; [unrolled: 3-line block ×3, first 2 shown]
	s_and_b64 s[6:7], s[6:7], exec
	v_mov_b32_e32 v31, v5
.LBB26_243:                             ;   in Loop: Header=BB26_15 Depth=1
	s_or_b64 exec, exec, s[50:51]
	s_and_b64 s[50:51], s[44:45], exec
	s_and_b64 s[44:45], s[48:49], exec
	;; [unrolled: 1-line block ×3, first 2 shown]
	s_orn2_b64 s[6:7], s[6:7], exec
.LBB26_244:                             ;   in Loop: Header=BB26_15 Depth=1
	s_or_b64 exec, exec, s[42:43]
	s_andn2_b64 s[24:25], s[24:25], exec
	s_and_b64 s[42:43], s[50:51], exec
	s_or_b64 s[24:25], s[24:25], s[42:43]
	s_andn2_b64 s[38:39], s[38:39], exec
	s_and_b64 s[42:43], s[44:45], exec
	s_andn2_b64 s[36:37], s[36:37], exec
	s_and_b64 s[8:9], s[8:9], exec
	s_or_b64 s[38:39], s[38:39], s[42:43]
	s_or_b64 s[36:37], s[36:37], s[8:9]
	s_and_b64 s[44:45], s[6:7], exec
	v_mov_b32_e32 v5, v31
.LBB26_245:                             ;   in Loop: Header=BB26_15 Depth=1
	s_or_b64 exec, exec, s[40:41]
	s_and_b64 s[24:25], s[24:25], exec
	s_and_b64 s[8:9], s[38:39], exec
	;; [unrolled: 1-line block ×3, first 2 shown]
	s_orn2_b64 s[38:39], s[44:45], exec
.LBB26_246:                             ;   in Loop: Header=BB26_15 Depth=1
	s_or_b64 exec, exec, s[20:21]
	s_mov_b64 s[36:37], 0
	s_mov_b64 s[20:21], 0
	s_and_saveexec_b64 s[40:41], s[38:39]
	s_xor_b64 s[38:39], exec, s[40:41]
; %bb.247:                              ;   in Loop: Header=BB26_15 Depth=1
	v_cmp_eq_u32_e32 vcc, 8, v30
	v_cmp_ne_u32_e64 s[20:21], 8, v30
	s_andn2_b64 s[24:25], s[24:25], exec
	s_andn2_b64 s[8:9], s[8:9], exec
	;; [unrolled: 1-line block ×3, first 2 shown]
	s_and_b64 s[20:21], s[20:21], exec
	s_and_b64 s[36:37], vcc, exec
; %bb.248:                              ;   in Loop: Header=BB26_15 Depth=1
	s_or_b64 exec, exec, s[38:39]
	s_andn2_b64 s[22:23], s[22:23], exec
	s_and_b64 s[24:25], s[24:25], exec
	s_or_b64 s[22:23], s[22:23], s[24:25]
	s_andn2_b64 s[24:25], s[28:29], exec
	s_and_b64 s[8:9], s[8:9], exec
	s_or_b64 s[28:29], s[24:25], s[8:9]
	;; [unrolled: 3-line block ×3, first 2 shown]
	s_and_b64 s[20:21], s[20:21], exec
	s_and_b64 s[24:25], s[36:37], exec
.LBB26_249:                             ;   in Loop: Header=BB26_15 Depth=1
	s_or_b64 exec, exec, s[34:35]
	s_and_b64 vcc, exec, s[30:31]
	s_cbranch_vccz .LBB26_99
.LBB26_250:                             ;   in Loop: Header=BB26_15 Depth=1
	s_cmp_eq_u32 s76, 1
	s_cselect_b64 s[6:7], -1, 0
	s_and_b64 s[18:19], s[6:7], s[18:19]
	s_mov_b64 s[8:9], -1
                                        ; implicit-def: $sgpr30_sgpr31
                                        ; implicit-def: $sgpr34_sgpr35
                                        ; implicit-def: $sgpr22_sgpr23
	s_and_saveexec_b64 s[6:7], s[18:19]
	s_cbranch_execz .LBB26_276
; %bb.251:                              ;   in Loop: Header=BB26_15 Depth=1
	ds_read_b32 v2, v24 offset:4096
	s_waitcnt lgkmcnt(0)
	s_barrier
	v_readfirstlane_b32 s30, v2
	s_mov_b64 s[8:9], exec
	v_readlane_b32 s22, v46, 29
	v_readlane_b32 s23, v46, 30
	s_and_b64 s[22:23], s[8:9], s[22:23]
	s_mov_b64 exec, s[22:23]
	s_cbranch_execz .LBB26_253
; %bb.252:                              ;   in Loop: Header=BB26_15 Depth=1
	ds_write_b8 v0, v1 offset:3072
.LBB26_253:                             ;   in Loop: Header=BB26_15 Depth=1
	s_or_b64 exec, exec, s[8:9]
	v_or_b32_e32 v27, s11, v27
	v_or_b32_e32 v26, s11, v26
	s_cmp_eq_u32 s30, 0
	s_waitcnt lgkmcnt(0)
	s_barrier
	s_cbranch_scc1 .LBB26_262
; %bb.254:                              ;   in Loop: Header=BB26_15 Depth=1
	v_readlane_b32 s8, v46, 22
	s_add_i32 s8, s30, s8
	v_readlane_b32 s9, v46, 44
	s_mul_hi_u32 s9, s8, s9
	s_mul_i32 s9, s9, s33
	s_sub_i32 s9, s8, s9
	s_sub_i32 s22, s9, s33
	s_cmp_ge_u32 s9, s33
	s_cselect_b32 s9, s22, s9
	s_sub_i32 s22, s9, s33
	s_cmp_ge_u32 s9, s33
	s_cselect_b32 s9, s22, s9
	s_sub_i32 s31, s8, s9
	v_cmp_gt_u32_e32 vcc, s31, v0
	s_mov_b64 s[8:9], 0
                                        ; implicit-def: $vgpr28
	s_and_saveexec_b64 s[22:23], vcc
	s_cbranch_execz .LBB26_264
; %bb.255:                              ;   in Loop: Header=BB26_15 Depth=1
	v_mov_b32_e32 v2, v0
                                        ; implicit-def: $sgpr26_sgpr27
	s_branch .LBB26_257
.LBB26_256:                             ;   in Loop: Header=BB26_257 Depth=2
	s_or_b64 exec, exec, s[28:29]
	s_waitcnt lgkmcnt(0)
	s_barrier
	ds_read_u16 v3, v24 offset:3072
	v_add_u32_e32 v2, s33, v2
	v_cmp_le_u32_e32 vcc, s31, v2
	s_waitcnt lgkmcnt(0)
	s_barrier
	v_cmp_ne_u16_sdwa s[28:29], v3, v1 src0_sel:BYTE_0 src1_sel:DWORD
	s_or_b64 s[34:35], vcc, s[28:29]
	s_and_b64 s[34:35], exec, s[34:35]
	s_or_b64 s[8:9], s[34:35], s[8:9]
	s_andn2_b64 s[26:27], s[26:27], exec
	s_and_b64 s[28:29], s[28:29], exec
	s_or_b64 s[26:27], s[26:27], s[28:29]
	s_andn2_b64 exec, exec, s[8:9]
	s_cbranch_execz .LBB26_263
.LBB26_257:                             ;   Parent Loop BB26_15 Depth=1
                                        ; =>  This Inner Loop Header: Depth=2
	v_cmp_gt_u32_e32 vcc, s30, v2
	v_mov_b32_e32 v3, 0
	s_and_saveexec_b64 s[28:29], vcc
	s_cbranch_execz .LBB26_259
; %bb.258:                              ;   in Loop: Header=BB26_257 Depth=2
	ds_read_u8 v3, v2
.LBB26_259:                             ;   in Loop: Header=BB26_257 Depth=2
	s_or_b64 exec, exec, s[28:29]
	s_and_saveexec_b64 s[28:29], vcc
	s_cbranch_execz .LBB26_256
; %bb.260:                              ;   in Loop: Header=BB26_257 Depth=2
	s_waitcnt lgkmcnt(0)
	v_add_u32_sdwa v4, sext(v3), s80 dst_sel:DWORD dst_unused:UNUSED_PAD src0_sel:BYTE_0 src1_sel:DWORD
	v_and_b32_e32 v4, v4, v26
	v_cmp_eq_u32_e32 vcc, v4, v27
	s_and_b64 exec, exec, vcc
	s_cbranch_execz .LBB26_256
; %bb.261:                              ;   in Loop: Header=BB26_257 Depth=2
	v_lshlrev_b16_e32 v3, 8, v3
	v_or_b32_e32 v3, 1, v3
	ds_write_b16 v24, v3 offset:3072
	s_branch .LBB26_256
.LBB26_262:                             ;   in Loop: Header=BB26_15 Depth=1
	s_mov_b64 s[30:31], -1
	s_mov_b64 s[8:9], 0
                                        ; implicit-def: $sgpr34_sgpr35
                                        ; implicit-def: $vgpr28
	s_mov_b64 s[22:23], s[30:31]
	s_cbranch_execnz .LBB26_265
	s_branch .LBB26_275
.LBB26_263:                             ;   in Loop: Header=BB26_15 Depth=1
	s_or_b64 exec, exec, s[8:9]
	v_lshrrev_b16_e32 v28, 8, v3
	s_and_b64 s[8:9], s[26:27], exec
.LBB26_264:                             ;   in Loop: Header=BB26_15 Depth=1
	s_or_b64 exec, exec, s[22:23]
	s_mov_b64 s[30:31], 0
	s_mov_b64 s[34:35], -1
	s_mov_b64 s[22:23], s[30:31]
	s_branch .LBB26_275
.LBB26_265:                             ;   in Loop: Header=BB26_15 Depth=1
	s_mov_b64 s[8:9], 0
                                        ; implicit-def: $vgpr28
	s_mov_b64 s[22:23], exec
	v_readlane_b32 s26, v46, 45
	v_readlane_b32 s27, v46, 46
	s_and_b64 s[26:27], s[22:23], s[26:27]
	s_mov_b64 exec, s[26:27]
	s_cbranch_execz .LBB26_274
; %bb.266:                              ;   in Loop: Header=BB26_15 Depth=1
	v_mov_b32_e32 v2, v15
	v_mov_b32_e32 v3, v0
                                        ; implicit-def: $sgpr26_sgpr27
	s_branch .LBB26_268
.LBB26_267:                             ;   in Loop: Header=BB26_268 Depth=2
	s_or_b64 exec, exec, s[28:29]
	s_waitcnt lgkmcnt(0)
	s_barrier
	s_waitcnt vmcnt(0)
	ds_read_u16 v4, v24 offset:3072
	v_add_u32_e32 v3, s33, v3
	v_cmp_le_u32_e32 vcc, s12, v3
	v_add_u32_e32 v2, s66, v2
	s_waitcnt lgkmcnt(0)
	v_cmp_ne_u16_sdwa s[28:29], v4, v1 src0_sel:BYTE_0 src1_sel:DWORD
	s_or_b64 s[30:31], vcc, s[28:29]
	s_and_b64 s[30:31], exec, s[30:31]
	s_or_b64 s[8:9], s[30:31], s[8:9]
	s_andn2_b64 s[26:27], s[26:27], exec
	s_and_b64 s[28:29], s[28:29], exec
	s_or_b64 s[26:27], s[26:27], s[28:29]
	s_barrier
	s_andn2_b64 exec, exec, s[8:9]
	s_cbranch_execz .LBB26_273
.LBB26_268:                             ;   Parent Loop BB26_15 Depth=1
                                        ; =>  This Inner Loop Header: Depth=2
	v_cmp_gt_u32_e32 vcc, s60, v3
	v_mov_b32_e32 v4, 0
	s_and_saveexec_b64 s[28:29], vcc
	s_cbranch_execz .LBB26_270
; %bb.269:                              ;   in Loop: Header=BB26_268 Depth=2
	global_load_ubyte v4, v2, s[64:65]
.LBB26_270:                             ;   in Loop: Header=BB26_268 Depth=2
	s_or_b64 exec, exec, s[28:29]
	s_and_saveexec_b64 s[28:29], vcc
	s_cbranch_execz .LBB26_267
; %bb.271:                              ;   in Loop: Header=BB26_268 Depth=2
	s_waitcnt vmcnt(0)
	v_add_u32_sdwa v5, sext(v4), s80 dst_sel:DWORD dst_unused:UNUSED_PAD src0_sel:BYTE_0 src1_sel:DWORD
	v_and_b32_e32 v5, v5, v26
	v_cmp_eq_u32_e32 vcc, v5, v27
	s_and_b64 exec, exec, vcc
	s_cbranch_execz .LBB26_267
; %bb.272:                              ;   in Loop: Header=BB26_268 Depth=2
	v_lshlrev_b16_e32 v4, 8, v4
	v_or_b32_e32 v4, 1, v4
	ds_write_b16 v24, v4 offset:3072
	s_branch .LBB26_267
.LBB26_273:                             ;   in Loop: Header=BB26_15 Depth=1
	s_or_b64 exec, exec, s[8:9]
	v_lshrrev_b16_e32 v28, 8, v4
	s_and_b64 s[8:9], s[26:27], exec
.LBB26_274:                             ;   in Loop: Header=BB26_15 Depth=1
	s_or_b64 exec, exec, s[22:23]
	s_mov_b64 s[34:35], 0
	s_mov_b64 s[30:31], -1
	s_mov_b64 s[22:23], 0
.LBB26_275:                             ;   in Loop: Header=BB26_15 Depth=1
	s_orn2_b64 s[8:9], s[8:9], exec
.LBB26_276:                             ;   in Loop: Header=BB26_15 Depth=1
	s_or_b64 exec, exec, s[6:7]
                                        ; implicit-def: $vgpr30
                                        ; implicit-def: $vgpr5
                                        ; implicit-def: $vgpr2
                                        ; implicit-def: $vgpr3
                                        ; implicit-def: $vgpr4
	s_and_saveexec_b64 s[26:27], s[8:9]
	s_cbranch_execz .LBB26_411
; %bb.277:                              ;   in Loop: Header=BB26_15 Depth=1
	s_xor_b64 s[8:9], s[18:19], -1
	s_mov_b64 s[18:19], 0
	v_mov_b32_e32 v5, 1
	v_mov_b32_e32 v30, 1
	s_and_saveexec_b64 s[6:7], s[8:9]
	s_cbranch_execz .LBB26_287
; %bb.278:                              ;   in Loop: Header=BB26_15 Depth=1
	v_cmp_ge_u32_e32 vcc, s76, v29
                                        ; implicit-def: $sgpr28
                                        ; implicit-def: $sgpr8_sgpr9
	s_and_saveexec_b64 s[18:19], vcc
	s_xor_b64 s[18:19], exec, s[18:19]
	s_cbranch_execz .LBB26_284
; %bb.279:                              ;   in Loop: Header=BB26_15 Depth=1
	ds_read_b32 v2, v24 offset:4096
	s_waitcnt lgkmcnt(0)
	v_cmp_ne_u32_e32 vcc, 0, v2
	s_cbranch_vccnz .LBB26_283
; %bb.280:                              ;   in Loop: Header=BB26_15 Depth=1
	s_mov_b64 s[8:9], exec
	v_readlane_b32 s28, v46, 7
	v_readlane_b32 s29, v46, 8
	s_and_b64 s[28:29], s[8:9], s[28:29]
	s_mov_b64 exec, s[28:29]
	s_cbranch_execz .LBB26_282
; %bb.281:                              ;   in Loop: Header=BB26_15 Depth=1
	v_mov_b32_e32 v2, s76
	ds_write_b32 v24, v2 offset:4100
.LBB26_282:                             ;   in Loop: Header=BB26_15 Depth=1
	s_or_b64 exec, exec, s[8:9]
	s_waitcnt lgkmcnt(0)
	s_barrier
.LBB26_283:                             ;   in Loop: Header=BB26_15 Depth=1
	v_or_b32_e32 v27, s11, v27
	v_or_b32_e32 v26, s11, v26
	s_mov_b64 s[8:9], 0
	s_mov_b32 s28, 5
.LBB26_284:                             ;   in Loop: Header=BB26_15 Depth=1
	s_or_saveexec_b64 s[18:19], s[18:19]
	v_mov_b32_e32 v30, s28
	s_xor_b64 exec, exec, s[18:19]
; %bb.285:                              ;   in Loop: Header=BB26_15 Depth=1
	v_subrev_u32_e32 v29, s76, v29
	v_mov_b32_e32 v30, 0
	s_or_b64 s[8:9], s[8:9], exec
; %bb.286:                              ;   in Loop: Header=BB26_15 Depth=1
	s_or_b64 exec, exec, s[18:19]
	s_and_b64 s[18:19], s[8:9], exec
	v_mov_b32_e32 v5, v29
.LBB26_287:                             ;   in Loop: Header=BB26_15 Depth=1
	s_or_b64 exec, exec, s[6:7]
	s_mov_b64 s[38:39], -1
                                        ; implicit-def: $sgpr6_sgpr7
                                        ; implicit-def: $sgpr8_sgpr9
                                        ; implicit-def: $sgpr28_sgpr29
	s_and_saveexec_b64 s[36:37], s[18:19]
	s_xor_b64 s[18:19], exec, s[36:37]
	s_cbranch_execz .LBB26_408
; %bb.288:                              ;   in Loop: Header=BB26_15 Depth=1
	s_cmp_eq_u32 s5, 1
	s_cselect_b64 s[6:7], -1, 0
	v_cmp_eq_u32_e32 vcc, 1, v5
	s_and_b64 s[42:43], s[6:7], vcc
	s_mov_b64 s[8:9], -1
                                        ; implicit-def: $sgpr28_sgpr29
                                        ; implicit-def: $sgpr36_sgpr37
                                        ; implicit-def: $sgpr38_sgpr39
	s_and_saveexec_b64 s[6:7], s[42:43]
	s_cbranch_execz .LBB26_314
; %bb.289:                              ;   in Loop: Header=BB26_15 Depth=1
	ds_read_b32 v2, v24 offset:4096
	s_waitcnt lgkmcnt(0)
	s_barrier
	v_readfirstlane_b32 s40, v2
	s_mov_b64 s[8:9], exec
	v_readlane_b32 s28, v46, 29
	v_readlane_b32 s29, v46, 30
	s_and_b64 s[28:29], s[8:9], s[28:29]
	s_mov_b64 exec, s[28:29]
	s_cbranch_execz .LBB26_291
; %bb.290:                              ;   in Loop: Header=BB26_15 Depth=1
	ds_write_b8 v0, v1 offset:3072
.LBB26_291:                             ;   in Loop: Header=BB26_15 Depth=1
	s_or_b64 exec, exec, s[8:9]
	v_and_b32_e32 v2, s62, v27
	v_lshl_or_b32 v27, 2, s4, v2
	v_or_b32_e32 v26, s11, v26
	s_cmp_eq_u32 s40, 0
	s_waitcnt lgkmcnt(0)
	s_barrier
	s_cbranch_scc1 .LBB26_300
; %bb.292:                              ;   in Loop: Header=BB26_15 Depth=1
	v_readlane_b32 s8, v46, 22
	s_add_i32 s8, s40, s8
	v_readlane_b32 s9, v46, 44
	s_mul_hi_u32 s9, s8, s9
	s_mul_i32 s9, s9, s33
	s_sub_i32 s9, s8, s9
	s_sub_i32 s28, s9, s33
	s_cmp_ge_u32 s9, s33
	s_cselect_b32 s9, s28, s9
	s_sub_i32 s28, s9, s33
	s_cmp_ge_u32 s9, s33
	s_cselect_b32 s9, s28, s9
	s_sub_i32 s41, s8, s9
	v_cmp_gt_u32_e32 vcc, s41, v0
	s_mov_b64 s[8:9], 0
                                        ; implicit-def: $vgpr28
	s_and_saveexec_b64 s[28:29], vcc
	s_cbranch_execz .LBB26_302
; %bb.293:                              ;   in Loop: Header=BB26_15 Depth=1
	v_mov_b32_e32 v2, v0
                                        ; implicit-def: $sgpr36_sgpr37
	s_branch .LBB26_295
.LBB26_294:                             ;   in Loop: Header=BB26_295 Depth=2
	s_or_b64 exec, exec, s[38:39]
	s_waitcnt lgkmcnt(0)
	s_barrier
	ds_read_u16 v3, v24 offset:3072
	v_add_u32_e32 v2, s33, v2
	v_cmp_le_u32_e32 vcc, s41, v2
	s_waitcnt lgkmcnt(0)
	s_barrier
	v_cmp_ne_u16_sdwa s[38:39], v3, v1 src0_sel:BYTE_0 src1_sel:DWORD
	s_or_b64 s[44:45], vcc, s[38:39]
	s_and_b64 s[44:45], exec, s[44:45]
	s_or_b64 s[8:9], s[44:45], s[8:9]
	s_andn2_b64 s[36:37], s[36:37], exec
	s_and_b64 s[38:39], s[38:39], exec
	s_or_b64 s[36:37], s[36:37], s[38:39]
	s_andn2_b64 exec, exec, s[8:9]
	s_cbranch_execz .LBB26_301
.LBB26_295:                             ;   Parent Loop BB26_15 Depth=1
                                        ; =>  This Inner Loop Header: Depth=2
	v_cmp_gt_u32_e32 vcc, s40, v2
	v_mov_b32_e32 v3, 0
	s_and_saveexec_b64 s[38:39], vcc
	s_cbranch_execz .LBB26_297
; %bb.296:                              ;   in Loop: Header=BB26_295 Depth=2
	ds_read_u8 v3, v2
.LBB26_297:                             ;   in Loop: Header=BB26_295 Depth=2
	s_or_b64 exec, exec, s[38:39]
	s_and_saveexec_b64 s[38:39], vcc
	s_cbranch_execz .LBB26_294
; %bb.298:                              ;   in Loop: Header=BB26_295 Depth=2
	s_waitcnt lgkmcnt(0)
	v_add_u32_sdwa v4, sext(v3), s80 dst_sel:DWORD dst_unused:UNUSED_PAD src0_sel:BYTE_0 src1_sel:DWORD
	v_and_b32_e32 v4, v4, v26
	v_cmp_eq_u32_e32 vcc, v4, v27
	s_and_b64 exec, exec, vcc
	s_cbranch_execz .LBB26_294
; %bb.299:                              ;   in Loop: Header=BB26_295 Depth=2
	v_lshlrev_b16_e32 v3, 8, v3
	v_or_b32_e32 v3, 1, v3
	ds_write_b16 v24, v3 offset:3072
	s_branch .LBB26_294
.LBB26_300:                             ;   in Loop: Header=BB26_15 Depth=1
	s_mov_b64 s[28:29], -1
	s_mov_b64 s[8:9], 0
                                        ; implicit-def: $sgpr36_sgpr37
                                        ; implicit-def: $vgpr28
	s_mov_b64 s[38:39], s[28:29]
	s_cbranch_execnz .LBB26_303
	s_branch .LBB26_313
.LBB26_301:                             ;   in Loop: Header=BB26_15 Depth=1
	s_or_b64 exec, exec, s[8:9]
	v_lshrrev_b16_e32 v28, 8, v3
	s_and_b64 s[8:9], s[36:37], exec
.LBB26_302:                             ;   in Loop: Header=BB26_15 Depth=1
	s_or_b64 exec, exec, s[28:29]
	s_mov_b64 s[28:29], 0
	s_mov_b64 s[36:37], -1
	s_mov_b64 s[38:39], s[28:29]
	s_branch .LBB26_313
.LBB26_303:                             ;   in Loop: Header=BB26_15 Depth=1
	s_mov_b64 s[8:9], 0
                                        ; implicit-def: $vgpr28
	s_mov_b64 s[28:29], exec
	v_readlane_b32 s36, v46, 45
	v_readlane_b32 s37, v46, 46
	s_and_b64 s[36:37], s[28:29], s[36:37]
	s_mov_b64 exec, s[36:37]
	s_cbranch_execz .LBB26_312
; %bb.304:                              ;   in Loop: Header=BB26_15 Depth=1
	v_mov_b32_e32 v2, v15
	v_mov_b32_e32 v3, v0
                                        ; implicit-def: $sgpr36_sgpr37
	s_branch .LBB26_306
.LBB26_305:                             ;   in Loop: Header=BB26_306 Depth=2
	s_or_b64 exec, exec, s[38:39]
	s_waitcnt lgkmcnt(0)
	s_barrier
	s_waitcnt vmcnt(0)
	ds_read_u16 v4, v24 offset:3072
	v_add_u32_e32 v3, s33, v3
	v_cmp_le_u32_e32 vcc, s12, v3
	v_add_u32_e32 v2, s66, v2
	s_waitcnt lgkmcnt(0)
	v_cmp_ne_u16_sdwa s[38:39], v4, v1 src0_sel:BYTE_0 src1_sel:DWORD
	s_or_b64 s[40:41], vcc, s[38:39]
	s_and_b64 s[40:41], exec, s[40:41]
	s_or_b64 s[8:9], s[40:41], s[8:9]
	s_andn2_b64 s[36:37], s[36:37], exec
	s_and_b64 s[38:39], s[38:39], exec
	s_or_b64 s[36:37], s[36:37], s[38:39]
	s_barrier
	s_andn2_b64 exec, exec, s[8:9]
	s_cbranch_execz .LBB26_311
.LBB26_306:                             ;   Parent Loop BB26_15 Depth=1
                                        ; =>  This Inner Loop Header: Depth=2
	v_cmp_gt_u32_e32 vcc, s60, v3
	v_mov_b32_e32 v4, 0
	s_and_saveexec_b64 s[38:39], vcc
	s_cbranch_execz .LBB26_308
; %bb.307:                              ;   in Loop: Header=BB26_306 Depth=2
	global_load_ubyte v4, v2, s[64:65]
.LBB26_308:                             ;   in Loop: Header=BB26_306 Depth=2
	s_or_b64 exec, exec, s[38:39]
	s_and_saveexec_b64 s[38:39], vcc
	s_cbranch_execz .LBB26_305
; %bb.309:                              ;   in Loop: Header=BB26_306 Depth=2
	s_waitcnt vmcnt(0)
	v_add_u32_sdwa v28, sext(v4), s80 dst_sel:DWORD dst_unused:UNUSED_PAD src0_sel:BYTE_0 src1_sel:DWORD
	v_and_b32_e32 v28, v28, v26
	v_cmp_eq_u32_e32 vcc, v28, v27
	s_and_b64 exec, exec, vcc
	s_cbranch_execz .LBB26_305
; %bb.310:                              ;   in Loop: Header=BB26_306 Depth=2
	v_lshlrev_b16_e32 v4, 8, v4
	v_or_b32_e32 v4, 1, v4
	ds_write_b16 v24, v4 offset:3072
	s_branch .LBB26_305
.LBB26_311:                             ;   in Loop: Header=BB26_15 Depth=1
	s_or_b64 exec, exec, s[8:9]
	v_lshrrev_b16_e32 v28, 8, v4
	s_and_b64 s[8:9], s[36:37], exec
.LBB26_312:                             ;   in Loop: Header=BB26_15 Depth=1
	s_or_b64 exec, exec, s[28:29]
	s_mov_b64 s[36:37], 0
	s_mov_b64 s[28:29], -1
	s_mov_b64 s[38:39], 0
.LBB26_313:                             ;   in Loop: Header=BB26_15 Depth=1
	s_orn2_b64 s[8:9], s[8:9], exec
.LBB26_314:                             ;   in Loop: Header=BB26_15 Depth=1
	s_or_b64 exec, exec, s[6:7]
	s_mov_b64 s[44:45], 0
                                        ; implicit-def: $vgpr30
	s_and_saveexec_b64 s[40:41], s[8:9]
	s_cbranch_execz .LBB26_407
; %bb.315:                              ;   in Loop: Header=BB26_15 Depth=1
	s_xor_b64 s[8:9], s[42:43], -1
	s_mov_b64 s[46:47], 0
	v_mov_b32_e32 v2, 1
	v_mov_b32_e32 v30, 1
	s_and_saveexec_b64 s[6:7], s[8:9]
	s_cbranch_execz .LBB26_325
; %bb.316:                              ;   in Loop: Header=BB26_15 Depth=1
	v_cmp_ge_u32_e32 vcc, s5, v5
                                        ; implicit-def: $sgpr44
                                        ; implicit-def: $sgpr8_sgpr9
	s_and_saveexec_b64 s[42:43], vcc
	s_xor_b64 s[42:43], exec, s[42:43]
	s_cbranch_execz .LBB26_322
; %bb.317:                              ;   in Loop: Header=BB26_15 Depth=1
	ds_read_b32 v2, v24 offset:4096
	s_waitcnt lgkmcnt(0)
	v_cmp_ne_u32_e32 vcc, 0, v2
	s_cbranch_vccnz .LBB26_321
; %bb.318:                              ;   in Loop: Header=BB26_15 Depth=1
	s_mov_b64 s[8:9], exec
	v_readlane_b32 s44, v46, 7
	v_readlane_b32 s45, v46, 8
	s_and_b64 s[44:45], s[8:9], s[44:45]
	s_mov_b64 exec, s[44:45]
	s_cbranch_execz .LBB26_320
; %bb.319:                              ;   in Loop: Header=BB26_15 Depth=1
	v_mov_b32_e32 v2, s5
	ds_write_b32 v24, v2 offset:4100
.LBB26_320:                             ;   in Loop: Header=BB26_15 Depth=1
	s_or_b64 exec, exec, s[8:9]
	s_waitcnt lgkmcnt(0)
	s_barrier
.LBB26_321:                             ;   in Loop: Header=BB26_15 Depth=1
	v_and_b32_e32 v2, s62, v27
	v_lshl_or_b32 v27, 2, s4, v2
	v_or_b32_e32 v26, s11, v26
	s_mov_b64 s[8:9], 0
	s_mov_b32 s44, 5
.LBB26_322:                             ;   in Loop: Header=BB26_15 Depth=1
	s_or_saveexec_b64 s[42:43], s[42:43]
	v_mov_b32_e32 v30, s44
	s_xor_b64 exec, exec, s[42:43]
; %bb.323:                              ;   in Loop: Header=BB26_15 Depth=1
	v_subrev_u32_e32 v5, s5, v5
	v_mov_b32_e32 v30, 0
	s_or_b64 s[8:9], s[8:9], exec
; %bb.324:                              ;   in Loop: Header=BB26_15 Depth=1
	s_or_b64 exec, exec, s[42:43]
	s_and_b64 s[46:47], s[8:9], exec
	v_mov_b32_e32 v2, v5
.LBB26_325:                             ;   in Loop: Header=BB26_15 Depth=1
	s_or_b64 exec, exec, s[6:7]
	s_mov_b64 s[6:7], -1
                                        ; implicit-def: $sgpr8_sgpr9
                                        ; implicit-def: $sgpr44_sgpr45
                                        ; implicit-def: $sgpr50_sgpr51
	s_and_saveexec_b64 s[42:43], s[46:47]
	s_cbranch_execz .LBB26_406
; %bb.326:                              ;   in Loop: Header=BB26_15 Depth=1
	s_cmp_eq_u32 s63, 1
	s_cselect_b64 s[6:7], -1, 0
	v_cmp_eq_u32_e32 vcc, 1, v2
	s_and_b64 s[52:53], s[6:7], vcc
	s_mov_b64 s[8:9], -1
                                        ; implicit-def: $sgpr44_sgpr45
                                        ; implicit-def: $sgpr46_sgpr47
                                        ; implicit-def: $sgpr48_sgpr49
	s_and_saveexec_b64 s[6:7], s[52:53]
	s_cbranch_execz .LBB26_352
; %bb.327:                              ;   in Loop: Header=BB26_15 Depth=1
	ds_read_b32 v3, v24 offset:4096
	s_waitcnt lgkmcnt(0)
	s_barrier
	v_readfirstlane_b32 s5, v3
	s_mov_b64 s[8:9], exec
	v_readlane_b32 s44, v46, 29
	v_readlane_b32 s45, v46, 30
	s_and_b64 s[44:45], s[8:9], s[44:45]
	s_mov_b64 exec, s[44:45]
	s_cbranch_execz .LBB26_329
; %bb.328:                              ;   in Loop: Header=BB26_15 Depth=1
	ds_write_b8 v0, v1 offset:3072
.LBB26_329:                             ;   in Loop: Header=BB26_15 Depth=1
	s_or_b64 exec, exec, s[8:9]
	v_and_b32_e32 v3, s62, v27
	v_lshl_or_b32 v27, 1, s4, v3
	v_or_b32_e32 v26, s11, v26
	s_cmp_eq_u32 s5, 0
	s_waitcnt lgkmcnt(0)
	s_barrier
	s_cbranch_scc1 .LBB26_338
; %bb.330:                              ;   in Loop: Header=BB26_15 Depth=1
	v_readlane_b32 s8, v46, 22
	s_add_i32 s8, s5, s8
	v_readlane_b32 s9, v46, 44
	s_mul_hi_u32 s9, s8, s9
	s_mul_i32 s9, s9, s33
	s_sub_i32 s9, s8, s9
	s_sub_i32 s44, s9, s33
	s_cmp_ge_u32 s9, s33
	s_cselect_b32 s9, s44, s9
	s_sub_i32 s44, s9, s33
	s_cmp_ge_u32 s9, s33
	s_cselect_b32 s9, s44, s9
	s_sub_i32 s50, s8, s9
	v_cmp_gt_u32_e32 vcc, s50, v0
	s_mov_b64 s[8:9], 0
                                        ; implicit-def: $vgpr28
	s_and_saveexec_b64 s[44:45], vcc
	s_cbranch_execz .LBB26_340
; %bb.331:                              ;   in Loop: Header=BB26_15 Depth=1
	v_mov_b32_e32 v3, v0
                                        ; implicit-def: $sgpr46_sgpr47
	s_branch .LBB26_333
.LBB26_332:                             ;   in Loop: Header=BB26_333 Depth=2
	s_or_b64 exec, exec, s[48:49]
	s_waitcnt lgkmcnt(0)
	s_barrier
	ds_read_u16 v4, v24 offset:3072
	v_add_u32_e32 v3, s33, v3
	v_cmp_le_u32_e32 vcc, s50, v3
	s_waitcnt lgkmcnt(0)
	s_barrier
	v_cmp_ne_u16_sdwa s[48:49], v4, v1 src0_sel:BYTE_0 src1_sel:DWORD
	s_or_b64 s[54:55], vcc, s[48:49]
	s_and_b64 s[54:55], exec, s[54:55]
	s_or_b64 s[8:9], s[54:55], s[8:9]
	s_andn2_b64 s[46:47], s[46:47], exec
	s_and_b64 s[48:49], s[48:49], exec
	s_or_b64 s[46:47], s[46:47], s[48:49]
	s_andn2_b64 exec, exec, s[8:9]
	s_cbranch_execz .LBB26_339
.LBB26_333:                             ;   Parent Loop BB26_15 Depth=1
                                        ; =>  This Inner Loop Header: Depth=2
	v_cmp_gt_u32_e32 vcc, s5, v3
	v_mov_b32_e32 v4, 0
	s_and_saveexec_b64 s[48:49], vcc
	s_cbranch_execz .LBB26_335
; %bb.334:                              ;   in Loop: Header=BB26_333 Depth=2
	ds_read_u8 v4, v3
.LBB26_335:                             ;   in Loop: Header=BB26_333 Depth=2
	s_or_b64 exec, exec, s[48:49]
	s_and_saveexec_b64 s[48:49], vcc
	s_cbranch_execz .LBB26_332
; %bb.336:                              ;   in Loop: Header=BB26_333 Depth=2
	s_waitcnt lgkmcnt(0)
	v_add_u32_sdwa v5, sext(v4), s80 dst_sel:DWORD dst_unused:UNUSED_PAD src0_sel:BYTE_0 src1_sel:DWORD
	v_and_b32_e32 v5, v5, v26
	v_cmp_eq_u32_e32 vcc, v5, v27
	s_and_b64 exec, exec, vcc
	s_cbranch_execz .LBB26_332
; %bb.337:                              ;   in Loop: Header=BB26_333 Depth=2
	v_lshlrev_b16_e32 v4, 8, v4
	v_or_b32_e32 v4, 1, v4
	ds_write_b16 v24, v4 offset:3072
	s_branch .LBB26_332
.LBB26_338:                             ;   in Loop: Header=BB26_15 Depth=1
	s_mov_b64 s[44:45], -1
	s_mov_b64 s[8:9], 0
                                        ; implicit-def: $sgpr46_sgpr47
                                        ; implicit-def: $vgpr28
	s_mov_b64 s[48:49], s[44:45]
	s_cbranch_execnz .LBB26_341
	s_branch .LBB26_351
.LBB26_339:                             ;   in Loop: Header=BB26_15 Depth=1
	s_or_b64 exec, exec, s[8:9]
	v_lshrrev_b16_e32 v28, 8, v4
	s_and_b64 s[8:9], s[46:47], exec
.LBB26_340:                             ;   in Loop: Header=BB26_15 Depth=1
	s_or_b64 exec, exec, s[44:45]
	s_mov_b64 s[44:45], 0
	s_mov_b64 s[46:47], -1
	s_mov_b64 s[48:49], s[44:45]
	s_branch .LBB26_351
.LBB26_341:                             ;   in Loop: Header=BB26_15 Depth=1
	s_mov_b64 s[8:9], 0
                                        ; implicit-def: $vgpr28
	s_mov_b64 s[44:45], exec
	v_readlane_b32 s46, v46, 45
	v_readlane_b32 s47, v46, 46
	s_and_b64 s[46:47], s[44:45], s[46:47]
	s_mov_b64 exec, s[46:47]
	s_cbranch_execz .LBB26_350
; %bb.342:                              ;   in Loop: Header=BB26_15 Depth=1
	v_mov_b32_e32 v3, v15
	v_mov_b32_e32 v4, v0
                                        ; implicit-def: $sgpr46_sgpr47
	s_branch .LBB26_344
.LBB26_343:                             ;   in Loop: Header=BB26_344 Depth=2
	s_or_b64 exec, exec, s[48:49]
	s_waitcnt lgkmcnt(0)
	s_barrier
	s_waitcnt vmcnt(0)
	ds_read_u16 v5, v24 offset:3072
	v_add_u32_e32 v4, s33, v4
	v_cmp_le_u32_e32 vcc, s12, v4
	v_add_u32_e32 v3, s66, v3
	s_waitcnt lgkmcnt(0)
	v_cmp_ne_u16_sdwa s[48:49], v5, v1 src0_sel:BYTE_0 src1_sel:DWORD
	s_or_b64 s[50:51], vcc, s[48:49]
	s_and_b64 s[50:51], exec, s[50:51]
	s_or_b64 s[8:9], s[50:51], s[8:9]
	s_andn2_b64 s[46:47], s[46:47], exec
	s_and_b64 s[48:49], s[48:49], exec
	s_or_b64 s[46:47], s[46:47], s[48:49]
	s_barrier
	s_andn2_b64 exec, exec, s[8:9]
	s_cbranch_execz .LBB26_349
.LBB26_344:                             ;   Parent Loop BB26_15 Depth=1
                                        ; =>  This Inner Loop Header: Depth=2
	v_cmp_gt_u32_e32 vcc, s60, v4
	v_mov_b32_e32 v5, 0
	s_and_saveexec_b64 s[48:49], vcc
	s_cbranch_execz .LBB26_346
; %bb.345:                              ;   in Loop: Header=BB26_344 Depth=2
	global_load_ubyte v5, v3, s[64:65]
.LBB26_346:                             ;   in Loop: Header=BB26_344 Depth=2
	s_or_b64 exec, exec, s[48:49]
	s_and_saveexec_b64 s[48:49], vcc
	s_cbranch_execz .LBB26_343
; %bb.347:                              ;   in Loop: Header=BB26_344 Depth=2
	s_waitcnt vmcnt(0)
	v_add_u32_sdwa v28, sext(v5), s80 dst_sel:DWORD dst_unused:UNUSED_PAD src0_sel:BYTE_0 src1_sel:DWORD
	v_and_b32_e32 v28, v28, v26
	v_cmp_eq_u32_e32 vcc, v28, v27
	s_and_b64 exec, exec, vcc
	s_cbranch_execz .LBB26_343
; %bb.348:                              ;   in Loop: Header=BB26_344 Depth=2
	v_lshlrev_b16_e32 v5, 8, v5
	v_or_b32_e32 v5, 1, v5
	ds_write_b16 v24, v5 offset:3072
	s_branch .LBB26_343
.LBB26_349:                             ;   in Loop: Header=BB26_15 Depth=1
	s_or_b64 exec, exec, s[8:9]
	v_lshrrev_b16_e32 v28, 8, v5
	s_and_b64 s[8:9], s[46:47], exec
.LBB26_350:                             ;   in Loop: Header=BB26_15 Depth=1
	s_or_b64 exec, exec, s[44:45]
	s_mov_b64 s[46:47], 0
	s_mov_b64 s[44:45], -1
	s_mov_b64 s[48:49], 0
.LBB26_351:                             ;   in Loop: Header=BB26_15 Depth=1
	s_orn2_b64 s[8:9], s[8:9], exec
.LBB26_352:                             ;   in Loop: Header=BB26_15 Depth=1
	s_or_b64 exec, exec, s[6:7]
	s_mov_b64 s[6:7], 0
                                        ; implicit-def: $vgpr30
	s_and_saveexec_b64 s[50:51], s[8:9]
	s_cbranch_execz .LBB26_405
; %bb.353:                              ;   in Loop: Header=BB26_15 Depth=1
	s_xor_b64 s[8:9], s[52:53], -1
	s_mov_b64 s[54:55], 0
	v_mov_b32_e32 v3, 1
	v_mov_b32_e32 v30, 1
	s_and_saveexec_b64 s[6:7], s[8:9]
	s_cbranch_execz .LBB26_363
; %bb.354:                              ;   in Loop: Header=BB26_15 Depth=1
	v_cmp_ge_u32_e32 vcc, s63, v2
                                        ; implicit-def: $sgpr5
                                        ; implicit-def: $sgpr8_sgpr9
	s_and_saveexec_b64 s[52:53], vcc
	s_xor_b64 s[52:53], exec, s[52:53]
	s_cbranch_execz .LBB26_360
; %bb.355:                              ;   in Loop: Header=BB26_15 Depth=1
	ds_read_b32 v3, v24 offset:4096
	s_waitcnt lgkmcnt(0)
	v_cmp_ne_u32_e32 vcc, 0, v3
	s_cbranch_vccnz .LBB26_359
; %bb.356:                              ;   in Loop: Header=BB26_15 Depth=1
	s_mov_b64 s[8:9], exec
	v_readlane_b32 s54, v46, 7
	v_readlane_b32 s55, v46, 8
	s_and_b64 s[54:55], s[8:9], s[54:55]
	s_mov_b64 exec, s[54:55]
	s_cbranch_execz .LBB26_358
; %bb.357:                              ;   in Loop: Header=BB26_15 Depth=1
	v_mov_b32_e32 v3, s63
	ds_write_b32 v24, v3 offset:4100
.LBB26_358:                             ;   in Loop: Header=BB26_15 Depth=1
	s_or_b64 exec, exec, s[8:9]
	s_waitcnt lgkmcnt(0)
	s_barrier
.LBB26_359:                             ;   in Loop: Header=BB26_15 Depth=1
	v_and_b32_e32 v3, s62, v27
	v_lshl_or_b32 v27, 1, s4, v3
	v_or_b32_e32 v26, s11, v26
	s_mov_b64 s[8:9], 0
	s_mov_b32 s5, 5
.LBB26_360:                             ;   in Loop: Header=BB26_15 Depth=1
	s_or_saveexec_b64 s[52:53], s[52:53]
	v_mov_b32_e32 v30, s5
	s_xor_b64 exec, exec, s[52:53]
; %bb.361:                              ;   in Loop: Header=BB26_15 Depth=1
	v_subrev_u32_e32 v2, s63, v2
	v_mov_b32_e32 v30, 0
	s_or_b64 s[8:9], s[8:9], exec
; %bb.362:                              ;   in Loop: Header=BB26_15 Depth=1
	s_or_b64 exec, exec, s[52:53]
	s_and_b64 s[54:55], s[8:9], exec
	v_mov_b32_e32 v3, v2
.LBB26_363:                             ;   in Loop: Header=BB26_15 Depth=1
	s_or_b64 exec, exec, s[6:7]
	s_mov_b64 s[6:7], -1
                                        ; implicit-def: $sgpr8_sgpr9
                                        ; implicit-def: $sgpr56_sgpr57
                                        ; implicit-def: $sgpr58_sgpr59
	s_and_saveexec_b64 s[52:53], s[54:55]
	s_cbranch_execz .LBB26_404
; %bb.364:                              ;   in Loop: Header=BB26_15 Depth=1
	s_cmp_eq_u32 s10, 1
	s_cselect_b64 s[4:5], -1, 0
	v_cmp_eq_u32_e32 vcc, 1, v3
	s_mov_b64 s[54:55], -1
	s_and_b64 s[4:5], s[4:5], vcc
                                        ; implicit-def: $sgpr8_sgpr9
                                        ; implicit-def: $sgpr56_sgpr57
                                        ; implicit-def: $sgpr58_sgpr59
	s_mov_b64 s[6:7], exec
	v_writelane_b32 v46, s4, 48
	v_writelane_b32 v46, s5, 49
	s_and_b64 s[4:5], s[6:7], s[4:5]
	s_mov_b64 exec, s[4:5]
	s_cbranch_execz .LBB26_391
; %bb.365:                              ;   in Loop: Header=BB26_15 Depth=1
	ds_read_b32 v2, v24 offset:4096
	s_waitcnt lgkmcnt(0)
	s_barrier
	v_readfirstlane_b32 s4, v2
	s_mov_b64 s[8:9], exec
	v_readlane_b32 s54, v46, 29
	v_readlane_b32 s55, v46, 30
	s_and_b64 s[54:55], s[8:9], s[54:55]
	s_mov_b64 exec, s[54:55]
	s_cbranch_execz .LBB26_367
; %bb.366:                              ;   in Loop: Header=BB26_15 Depth=1
	ds_write_b8 v0, v1 offset:3072
.LBB26_367:                             ;   in Loop: Header=BB26_15 Depth=1
	s_or_b64 exec, exec, s[8:9]
	v_and_b32_e32 v27, s62, v27
	v_or_b32_e32 v26, s11, v26
	s_cmp_eq_u32 s4, 0
	s_waitcnt lgkmcnt(0)
	s_barrier
	s_cbranch_scc1 .LBB26_376
; %bb.368:                              ;   in Loop: Header=BB26_15 Depth=1
	v_readlane_b32 s5, v46, 22
	s_add_i32 s5, s4, s5
	v_readlane_b32 s8, v46, 44
	s_mul_hi_u32 s8, s5, s8
	s_mul_i32 s8, s8, s33
	s_sub_i32 s8, s5, s8
	s_sub_i32 s9, s8, s33
	s_cmp_ge_u32 s8, s33
	s_cselect_b32 s8, s9, s8
	s_sub_i32 s9, s8, s33
	s_cmp_ge_u32 s8, s33
	s_cselect_b32 s8, s9, s8
	s_sub_i32 s5, s5, s8
	v_cmp_gt_u32_e32 vcc, s5, v0
	s_mov_b64 s[54:55], 0
                                        ; implicit-def: $vgpr28
	s_and_saveexec_b64 s[8:9], vcc
	s_cbranch_execz .LBB26_378
; %bb.369:                              ;   in Loop: Header=BB26_15 Depth=1
	v_mov_b32_e32 v2, v0
                                        ; implicit-def: $sgpr56_sgpr57
	s_branch .LBB26_371
.LBB26_370:                             ;   in Loop: Header=BB26_371 Depth=2
	s_or_b64 exec, exec, s[58:59]
	s_waitcnt lgkmcnt(0)
	s_barrier
	ds_read_u16 v4, v24 offset:3072
	v_add_u32_e32 v2, s33, v2
	v_cmp_le_u32_e32 vcc, s5, v2
	s_waitcnt lgkmcnt(0)
	s_barrier
	v_cmp_ne_u16_sdwa s[58:59], v4, v1 src0_sel:BYTE_0 src1_sel:DWORD
	s_or_b64 s[76:77], vcc, s[58:59]
	s_and_b64 s[76:77], exec, s[76:77]
	s_or_b64 s[54:55], s[76:77], s[54:55]
	s_andn2_b64 s[56:57], s[56:57], exec
	s_and_b64 s[58:59], s[58:59], exec
	s_or_b64 s[56:57], s[56:57], s[58:59]
	s_andn2_b64 exec, exec, s[54:55]
	s_cbranch_execz .LBB26_377
.LBB26_371:                             ;   Parent Loop BB26_15 Depth=1
                                        ; =>  This Inner Loop Header: Depth=2
	v_cmp_gt_u32_e32 vcc, s4, v2
	v_mov_b32_e32 v4, 0
	s_and_saveexec_b64 s[58:59], vcc
	s_cbranch_execz .LBB26_373
; %bb.372:                              ;   in Loop: Header=BB26_371 Depth=2
	ds_read_u8 v4, v2
.LBB26_373:                             ;   in Loop: Header=BB26_371 Depth=2
	s_or_b64 exec, exec, s[58:59]
	s_and_saveexec_b64 s[58:59], vcc
	s_cbranch_execz .LBB26_370
; %bb.374:                              ;   in Loop: Header=BB26_371 Depth=2
	s_waitcnt lgkmcnt(0)
	v_add_u32_sdwa v5, sext(v4), s80 dst_sel:DWORD dst_unused:UNUSED_PAD src0_sel:BYTE_0 src1_sel:DWORD
	v_and_b32_e32 v5, v5, v26
	v_cmp_eq_u32_e32 vcc, v5, v27
	s_and_b64 exec, exec, vcc
	s_cbranch_execz .LBB26_370
; %bb.375:                              ;   in Loop: Header=BB26_371 Depth=2
	v_lshlrev_b16_e32 v4, 8, v4
	v_or_b32_e32 v4, 1, v4
	ds_write_b16 v24, v4 offset:3072
	s_branch .LBB26_370
.LBB26_376:                             ;   in Loop: Header=BB26_15 Depth=1
	s_mov_b64 s[8:9], -1
	s_mov_b64 s[54:55], 0
                                        ; implicit-def: $sgpr56_sgpr57
                                        ; implicit-def: $vgpr28
	s_branch .LBB26_379
.LBB26_377:                             ;   in Loop: Header=BB26_15 Depth=1
	s_or_b64 exec, exec, s[54:55]
	v_lshrrev_b16_e32 v28, 8, v4
	s_and_b64 s[54:55], s[56:57], exec
.LBB26_378:                             ;   in Loop: Header=BB26_15 Depth=1
	s_or_b64 exec, exec, s[8:9]
	s_mov_b64 s[8:9], 0
	s_mov_b64 s[56:57], -1
.LBB26_379:                             ;   in Loop: Header=BB26_15 Depth=1
	s_and_b64 vcc, exec, s[8:9]
	s_mov_b64 s[58:59], s[8:9]
	s_cbranch_vccz .LBB26_390
; %bb.380:                              ;   in Loop: Header=BB26_15 Depth=1
	s_mov_b64 s[54:55], 0
                                        ; implicit-def: $vgpr28
	s_mov_b64 s[8:9], exec
	v_readlane_b32 s4, v46, 45
	v_readlane_b32 s5, v46, 46
	s_and_b64 s[4:5], s[8:9], s[4:5]
	s_mov_b64 exec, s[4:5]
	s_cbranch_execz .LBB26_389
; %bb.381:                              ;   in Loop: Header=BB26_15 Depth=1
	v_mov_b32_e32 v2, v15
	v_mov_b32_e32 v4, v0
                                        ; implicit-def: $sgpr56_sgpr57
	s_branch .LBB26_383
.LBB26_382:                             ;   in Loop: Header=BB26_383 Depth=2
	s_or_b64 exec, exec, s[58:59]
	s_waitcnt lgkmcnt(0)
	s_barrier
	s_waitcnt vmcnt(0)
	ds_read_u16 v5, v24 offset:3072
	v_add_u32_e32 v4, s33, v4
	v_cmp_le_u32_e32 vcc, s12, v4
	v_add_u32_e32 v2, s66, v2
	s_waitcnt lgkmcnt(0)
	v_cmp_ne_u16_sdwa s[4:5], v5, v1 src0_sel:BYTE_0 src1_sel:DWORD
	s_or_b64 s[58:59], vcc, s[4:5]
	s_and_b64 s[58:59], exec, s[58:59]
	s_or_b64 s[54:55], s[58:59], s[54:55]
	s_andn2_b64 s[56:57], s[56:57], exec
	s_and_b64 s[4:5], s[4:5], exec
	s_or_b64 s[56:57], s[56:57], s[4:5]
	s_barrier
	s_andn2_b64 exec, exec, s[54:55]
	s_cbranch_execz .LBB26_388
.LBB26_383:                             ;   Parent Loop BB26_15 Depth=1
                                        ; =>  This Inner Loop Header: Depth=2
	v_cmp_gt_u32_e32 vcc, s60, v4
	v_mov_b32_e32 v5, 0
	s_and_saveexec_b64 s[58:59], vcc
	s_cbranch_execz .LBB26_385
; %bb.384:                              ;   in Loop: Header=BB26_383 Depth=2
	global_load_ubyte v5, v2, s[64:65]
.LBB26_385:                             ;   in Loop: Header=BB26_383 Depth=2
	s_or_b64 exec, exec, s[58:59]
	s_and_saveexec_b64 s[58:59], vcc
	s_cbranch_execz .LBB26_382
; %bb.386:                              ;   in Loop: Header=BB26_383 Depth=2
	s_waitcnt vmcnt(0)
	v_add_u32_sdwa v28, sext(v5), s80 dst_sel:DWORD dst_unused:UNUSED_PAD src0_sel:BYTE_0 src1_sel:DWORD
	v_and_b32_e32 v28, v28, v26
	v_cmp_eq_u32_e32 vcc, v28, v27
	s_and_b64 exec, exec, vcc
	s_cbranch_execz .LBB26_382
; %bb.387:                              ;   in Loop: Header=BB26_383 Depth=2
	v_lshlrev_b16_e32 v5, 8, v5
	v_or_b32_e32 v5, 1, v5
	ds_write_b16 v24, v5 offset:3072
	s_branch .LBB26_382
.LBB26_388:                             ;   in Loop: Header=BB26_15 Depth=1
	s_or_b64 exec, exec, s[54:55]
	v_lshrrev_b16_e32 v28, 8, v5
	s_and_b64 s[54:55], s[56:57], exec
.LBB26_389:                             ;   in Loop: Header=BB26_15 Depth=1
	s_or_b64 exec, exec, s[8:9]
	s_mov_b64 s[56:57], 0
	s_mov_b64 s[8:9], -1
	s_mov_b64 s[58:59], 0
.LBB26_390:                             ;   in Loop: Header=BB26_15 Depth=1
	s_orn2_b64 s[54:55], s[54:55], exec
.LBB26_391:                             ;   in Loop: Header=BB26_15 Depth=1
	s_or_b64 exec, exec, s[6:7]
	s_mov_b64 vcc, 0
                                        ; implicit-def: $vgpr30
                                        ; implicit-def: $vgpr2
	s_and_saveexec_b64 s[6:7], s[54:55]
	s_cbranch_execz .LBB26_403
; %bb.392:                              ;   in Loop: Header=BB26_15 Depth=1
	v_readlane_b32 s4, v46, 48
	v_readlane_b32 s5, v46, 49
	s_xor_b64 s[4:5], s[4:5], -1
	v_mov_b32_e32 v30, 1
	v_mov_b32_e32 v2, 1
	s_and_saveexec_b64 s[54:55], s[4:5]
	s_cbranch_execz .LBB26_402
; %bb.393:                              ;   in Loop: Header=BB26_15 Depth=1
	v_cmp_ge_u32_e32 vcc, s10, v3
                                        ; implicit-def: $sgpr4
	s_and_saveexec_b64 s[76:77], vcc
	s_xor_b64 s[76:77], exec, s[76:77]
	s_cbranch_execz .LBB26_399
; %bb.394:                              ;   in Loop: Header=BB26_15 Depth=1
	ds_read_b32 v2, v24 offset:4096
	s_waitcnt lgkmcnt(0)
	v_cmp_ne_u32_e32 vcc, 0, v2
	s_cbranch_vccnz .LBB26_398
; %bb.395:                              ;   in Loop: Header=BB26_15 Depth=1
	s_mov_b64 vcc, exec
	v_readlane_b32 s4, v46, 7
	v_readlane_b32 s5, v46, 8
	s_and_b64 s[4:5], vcc, s[4:5]
	s_mov_b64 exec, s[4:5]
	s_cbranch_execz .LBB26_397
; %bb.396:                              ;   in Loop: Header=BB26_15 Depth=1
	v_mov_b32_e32 v2, s10
	ds_write_b32 v24, v2 offset:4100
.LBB26_397:                             ;   in Loop: Header=BB26_15 Depth=1
	s_or_b64 exec, exec, vcc
	s_waitcnt lgkmcnt(0)
	s_barrier
.LBB26_398:                             ;   in Loop: Header=BB26_15 Depth=1
	v_and_b32_e32 v27, s62, v27
	v_or_b32_e32 v26, s11, v26
	s_mov_b32 s4, 5
.LBB26_399:                             ;   in Loop: Header=BB26_15 Depth=1
	s_or_saveexec_b64 vcc, s[76:77]
	v_mov_b32_e32 v30, s4
	s_xor_b64 exec, exec, vcc
; %bb.400:                              ;   in Loop: Header=BB26_15 Depth=1
	v_subrev_u32_e32 v3, s10, v3
	v_mov_b32_e32 v30, 5
; %bb.401:                              ;   in Loop: Header=BB26_15 Depth=1
	s_or_b64 exec, exec, vcc
	v_mov_b32_e32 v2, v3
.LBB26_402:                             ;   in Loop: Header=BB26_15 Depth=1
	s_or_b64 exec, exec, s[54:55]
	s_mov_b64 vcc, exec
.LBB26_403:                             ;   in Loop: Header=BB26_15 Depth=1
	s_or_b64 exec, exec, s[6:7]
	s_orn2_b64 s[6:7], vcc, exec
	v_mov_b32_e32 v3, v2
.LBB26_404:                             ;   in Loop: Header=BB26_15 Depth=1
	s_or_b64 exec, exec, s[52:53]
	s_andn2_b64 s[4:5], s[44:45], exec
	s_and_b64 s[8:9], s[8:9], exec
	s_or_b64 s[44:45], s[4:5], s[8:9]
	s_andn2_b64 s[4:5], s[46:47], exec
	s_and_b64 s[8:9], s[56:57], exec
	s_or_b64 s[46:47], s[4:5], s[8:9]
	;; [unrolled: 3-line block ×3, first 2 shown]
	s_and_b64 s[6:7], s[6:7], exec
	v_mov_b32_e32 v2, v3
.LBB26_405:                             ;   in Loop: Header=BB26_15 Depth=1
	s_or_b64 exec, exec, s[50:51]
	s_and_b64 s[50:51], s[44:45], exec
	s_and_b64 s[44:45], s[46:47], exec
	;; [unrolled: 1-line block ×3, first 2 shown]
	s_orn2_b64 s[6:7], s[6:7], exec
.LBB26_406:                             ;   in Loop: Header=BB26_15 Depth=1
	s_or_b64 exec, exec, s[42:43]
	s_andn2_b64 s[4:5], s[28:29], exec
	s_and_b64 s[10:11], s[50:51], exec
	s_or_b64 s[28:29], s[4:5], s[10:11]
	s_andn2_b64 s[4:5], s[36:37], exec
	s_and_b64 s[10:11], s[44:45], exec
	s_or_b64 s[36:37], s[4:5], s[10:11]
	;; [unrolled: 3-line block ×3, first 2 shown]
	s_and_b64 s[44:45], s[6:7], exec
	v_mov_b32_e32 v5, v2
.LBB26_407:                             ;   in Loop: Header=BB26_15 Depth=1
	s_or_b64 exec, exec, s[40:41]
	s_and_b64 s[28:29], s[28:29], exec
	s_and_b64 s[8:9], s[36:37], exec
	s_and_b64 s[6:7], s[38:39], exec
	s_orn2_b64 s[38:39], s[44:45], exec
.LBB26_408:                             ;   in Loop: Header=BB26_15 Depth=1
	s_or_b64 exec, exec, s[18:19]
	s_mov_b64 s[18:19], s[24:25]
	s_mov_b64 s[36:37], s[20:21]
	s_and_saveexec_b64 s[40:41], s[38:39]
; %bb.409:                              ;   in Loop: Header=BB26_15 Depth=1
	v_cmp_ne_u32_e64 s[18:19], 5, v30
	v_cmp_eq_u32_e32 vcc, 5, v30
	s_andn2_b64 s[4:5], s[20:21], exec
	s_and_b64 s[10:11], s[18:19], exec
	s_or_b64 s[36:37], s[4:5], s[10:11]
	s_andn2_b64 s[4:5], s[24:25], exec
	s_and_b64 s[10:11], vcc, exec
	s_andn2_b64 s[28:29], s[28:29], exec
	s_andn2_b64 s[8:9], s[8:9], exec
	;; [unrolled: 1-line block ×3, first 2 shown]
	s_or_b64 s[18:19], s[4:5], s[10:11]
; %bb.410:                              ;   in Loop: Header=BB26_15 Depth=1
	s_or_b64 exec, exec, s[40:41]
	s_andn2_b64 s[4:5], s[30:31], exec
	s_and_b64 s[10:11], s[28:29], exec
	s_or_b64 s[30:31], s[4:5], s[10:11]
	s_andn2_b64 s[4:5], s[34:35], exec
	s_and_b64 s[8:9], s[8:9], exec
	s_or_b64 s[34:35], s[4:5], s[8:9]
	;; [unrolled: 3-line block ×5, first 2 shown]
	v_mov_b32_e32 v2, v27
	v_mov_b32_e32 v3, v26
	;; [unrolled: 1-line block ×3, first 2 shown]
.LBB26_411:                             ;   in Loop: Header=BB26_15 Depth=1
	s_or_b64 exec, exec, s[26:27]
	s_mov_b64 s[28:29], s[22:23]
	s_mov_b64 s[26:27], s[22:23]
	s_and_saveexec_b64 s[6:7], s[24:25]
.LBB26_412:                             ;   in Loop: Header=BB26_15 Depth=1
	v_mov_b32_e32 v30, 0
	s_andn2_b64 s[22:23], s[22:23], exec
	s_andn2_b64 s[30:31], s[30:31], exec
	;; [unrolled: 1-line block ×5, first 2 shown]
	s_or_b64 s[20:21], s[20:21], exec
.LBB26_413:                             ;   in Loop: Header=BB26_15 Depth=1
	s_or_b64 exec, exec, s[6:7]
	s_andn2_b64 s[4:5], s[16:17], exec
	s_and_b64 s[6:7], s[22:23], exec
	s_or_b64 s[16:17], s[4:5], s[6:7]
	s_andn2_b64 s[4:5], s[84:85], exec
	s_and_b64 s[6:7], s[30:31], exec
	s_or_b64 s[84:85], s[4:5], s[6:7]
	;; [unrolled: 3-line block ×4, first 2 shown]
	s_andn2_b64 s[4:5], s[88:89], exec
	s_and_b64 s[6:7], s[26:27], exec
	s_mov_b64 s[8:9], -1
	s_or_b64 s[88:89], s[4:5], s[6:7]
                                        ; implicit-def: $vgpr26
                                        ; implicit-def: $vgpr27
                                        ; implicit-def: $vgpr29
                                        ; implicit-def: $vgpr28
	s_and_saveexec_b64 s[4:5], s[20:21]
	s_xor_b64 s[6:7], exec, s[4:5]
	s_cbranch_execz .LBB26_14
; %bb.414:                              ;   in Loop: Header=BB26_15 Depth=1
	v_cmp_eq_u32_e32 vcc, 0, v30
	s_mov_b64 s[18:19], -1
	s_and_saveexec_b64 s[20:21], vcc
	s_cbranch_execz .LBB26_13
; %bb.415:                              ;   in Loop: Header=BB26_15 Depth=1
	s_xor_b32 s75, s75, 1
	s_add_i32 s10, s74, -2
	s_cmp_eq_u32 s74, 0
	s_cselect_b64 s[4:5], -1, 0
	s_xor_b64 s[18:19], exec, -1
	s_orn2_b64 s[8:9], s[4:5], exec
	s_mov_b32 s74, s10
	s_branch .LBB26_13
.LBB26_416:
	s_or_b64 exec, exec, s[92:93]
	s_xor_b64 s[6:7], s[86:87], -1
	s_xor_b64 s[14:15], s[2:3], -1
	;; [unrolled: 1-line block ×5, first 2 shown]
	s_mov_b64 s[8:9], 0
	s_and_saveexec_b64 s[10:11], s[4:5]
	s_xor_b64 s[10:11], exec, s[10:11]
	s_cbranch_execnz .LBB26_421
; %bb.417:
	s_andn2_saveexec_b64 s[0:1], s[10:11]
	s_cbranch_execnz .LBB26_440
.LBB26_418:
	s_or_b64 exec, exec, s[0:1]
	s_and_saveexec_b64 s[0:1], s[8:9]
.LBB26_419:
	; divergent unreachable
.LBB26_420:
	s_endpgm
.LBB26_421:
	s_and_saveexec_b64 s[4:5], s[12:13]
	s_xor_b64 s[12:13], exec, s[4:5]
	s_cbranch_execz .LBB26_438
; %bb.422:
	s_and_saveexec_b64 s[4:5], s[14:15]
	s_xor_b64 s[14:15], exec, s[4:5]
	s_cbranch_execz .LBB26_436
; %bb.423:
	;; [unrolled: 4-line block ×3, first 2 shown]
	s_and_saveexec_b64 s[4:5], s[2:3]
	s_xor_b64 s[2:3], exec, s[4:5]
; %bb.425:
	v_xor_b32_e32 v4, 0xffffff80, v2
; %bb.426:
	s_or_b64 exec, exec, s[2:3]
	s_mov_b64 s[2:3], exec
	v_readlane_b32 s4, v46, 7
	v_readlane_b32 s5, v46, 8
	;; [unrolled: 1-line block ×3, first 2 shown]
	s_and_b64 s[4:5], s[2:3], s[4:5]
	v_readlane_b32 s22, v46, 47
	v_readlane_b32 s35, v46, 13
	s_mov_b64 exec, s[4:5]
	s_cbranch_execz .LBB26_428
; %bb.427:
	v_mov_b32_e32 v1, 0
	ds_write_b32 v1, v1 offset:4108
.LBB26_428:
	s_or_b64 exec, exec, s[2:3]
	v_mov_b32_e32 v11, 0
	s_waitcnt lgkmcnt(0)
	s_barrier
	s_mov_b64 s[2:3], exec
	v_readlane_b32 s4, v46, 27
	v_readlane_b32 s5, v46, 28
	s_and_b64 s[4:5], s[2:3], s[4:5]
	s_mov_b64 exec, s[4:5]
	s_cbranch_execz .LBB26_430
; %bb.429:
	global_load_ubyte v11, v[8:9], off
.LBB26_430:
	s_or_b64 exec, exec, s[2:3]
	v_readlane_b32 s2, v46, 0
	s_mul_i32 s2, s2, s79
	s_add_i32 s4, s2, s67
	v_readlane_b32 s2, v46, 11
	s_add_i32 s42, s60, 63
	s_mul_i32 s2, s2, s78
	s_andn2_b32 s42, s42, 63
	s_add_i32 s2, s2, s69
	v_readlane_b32 s6, v46, 1
	s_mov_b32 s3, 0
	v_readlane_b32 s7, v46, 2
	s_add_u32 s8, s6, s4
	s_addc_u32 s9, s7, 0
	s_lshl_b64 s[2:3], s[2:3], 3
	v_readlane_b32 s4, v46, 3
	v_readlane_b32 s5, v46, 4
	s_add_u32 s43, s4, s2
	s_addc_u32 s44, s5, s3
	v_readlane_b32 s2, v46, 9
	v_readlane_b32 s3, v46, 10
	s_load_dword s45, s[2:3], 0x1c8
	s_load_dword s46, s[2:3], 0x2a8
	v_add_u32_e32 v2, s33, v0
	v_cmp_gt_u32_e32 vcc, s42, v0
	s_mov_b64 s[18:19], -1
	s_mov_b64 s[2:3], 0
	v_mul_lo_u32 v5, s22, v2
	s_mov_b64 s[4:5], 0
	s_and_saveexec_b64 s[6:7], vcc
	s_cbranch_execnz .LBB26_441
; %bb.431:
	s_or_b64 exec, exec, s[6:7]
	s_and_saveexec_b64 s[6:7], s[18:19]
	s_cbranch_execnz .LBB26_456
.LBB26_432:
	s_or_b64 exec, exec, s[6:7]
	s_and_saveexec_b64 s[0:1], s[4:5]
	s_xor_b64 s[0:1], exec, s[0:1]
	s_cbranch_execnz .LBB26_478
.LBB26_433:
	s_or_b64 exec, exec, s[0:1]
	s_and_b64 s[8:9], s[2:3], exec
.LBB26_434:
	s_andn2_saveexec_b64 s[0:1], s[16:17]
	s_cbranch_execnz .LBB26_481
.LBB26_435:
	s_or_b64 exec, exec, s[0:1]
	s_and_b64 s[8:9], s[8:9], exec
.LBB26_436:
	s_andn2_saveexec_b64 s[0:1], s[14:15]
	s_cbranch_execnz .LBB26_480
.LBB26_437:
	s_or_b64 exec, exec, s[0:1]
	s_and_b64 s[8:9], s[8:9], exec
.LBB26_438:
	s_andn2_saveexec_b64 s[0:1], s[12:13]
	s_cbranch_execnz .LBB26_479
.LBB26_439:
	s_or_b64 exec, exec, s[0:1]
	s_and_b64 s[8:9], s[8:9], exec
	s_andn2_saveexec_b64 s[0:1], s[10:11]
	s_cbranch_execz .LBB26_418
.LBB26_440:
	s_or_b64 s[8:9], s[8:9], exec
	s_trap 2
	s_or_b64 exec, exec, s[0:1]
	s_and_saveexec_b64 s[0:1], s[8:9]
	s_cbranch_execnz .LBB26_419
	s_branch .LBB26_420
.LBB26_441:
	s_movk_i32 s30, 0x80
	v_add_u32_sdwa v1, sext(v4), s30 dst_sel:DWORD dst_unused:UNUSED_PAD src0_sel:BYTE_0 src1_sel:DWORD
	v_mul_lo_u32 v10, s22, v2
	s_mov_b64 s[18:19], 0
	v_mov_b32_e32 v3, 0
	v_mov_b32_e32 v2, v0
                                        ; implicit-def: $sgpr20_sgpr21
                                        ; implicit-def: $vgpr15
	s_branch .LBB26_443
.LBB26_442:                             ;   in Loop: Header=BB26_443 Depth=1
	s_or_b64 exec, exec, s[22:23]
	s_xor_b64 s[22:23], s[26:27], -1
	s_and_b64 s[4:5], exec, s[4:5]
	s_or_b64 s[18:19], s[4:5], s[18:19]
	s_andn2_b64 s[4:5], s[20:21], exec
	s_and_b64 s[20:21], s[22:23], exec
	s_or_b64 s[20:21], s[4:5], s[20:21]
	v_mov_b32_e32 v11, v14
	v_mov_b32_e32 v2, v13
	s_andn2_b64 exec, exec, s[18:19]
	s_cbranch_execz .LBB26_455
.LBB26_443:                             ; =>This Inner Loop Header: Depth=1
	v_add_u32_e32 v13, s33, v2
	v_cmp_gt_u32_e32 vcc, s60, v13
	v_mov_b32_e32 v14, 0
	s_and_saveexec_b64 s[4:5], vcc
	s_cbranch_execz .LBB26_445
; %bb.444:                              ;   in Loop: Header=BB26_443 Depth=1
	global_load_ubyte v14, v10, s[64:65]
.LBB26_445:                             ;   in Loop: Header=BB26_443 Depth=1
	s_or_b64 exec, exec, s[4:5]
	s_waitcnt vmcnt(0)
	v_add_u32_sdwa v16, sext(v11), s30 dst_sel:DWORD dst_unused:UNUSED_PAD src0_sel:BYTE_0 src1_sel:DWORD
	v_cmp_gt_u32_e64 s[4:5], v16, v1
	v_cndmask_b32_e64 v17, 0, 1, s[4:5]
	v_cmp_lt_u32_e64 s[4:5], v16, v1
	v_cndmask_b32_e64 v16, 0, 1, s[4:5]
	v_cndmask_b32_e64 v16, v16, v17, s[34:35]
	v_and_b32_e32 v16, 1, v16
	v_cmp_gt_u32_e32 vcc, s60, v2
	v_cmp_eq_u32_e64 s[4:5], 1, v16
	s_and_b64 s[22:23], vcc, s[4:5]
	v_cndmask_b32_e64 v16, 0, 1, s[22:23]
	v_cmp_ne_u32_e32 vcc, 0, v16
	s_cmp_lg_u64 vcc, 0
	s_cselect_b64 s[4:5], -1, 0
	s_and_b64 s[4:5], s[0:1], s[4:5]
	s_and_saveexec_b64 s[24:25], s[4:5]
	s_cbranch_execz .LBB26_449
; %bb.446:                              ;   in Loop: Header=BB26_443 Depth=1
	s_mov_b64 s[28:29], exec
	s_waitcnt lgkmcnt(0)
	v_mbcnt_lo_u32_b32 v15, s28, 0
	v_mbcnt_hi_u32_b32 v15, s29, v15
	s_bcnt1_i32_b64 s31, vcc
	v_cmp_eq_u32_e64 s[4:5], 0, v15
                                        ; implicit-def: $vgpr16
	s_and_saveexec_b64 s[26:27], s[4:5]
	s_cbranch_execz .LBB26_448
; %bb.447:                              ;   in Loop: Header=BB26_443 Depth=1
	s_bcnt1_i32_b64 s4, s[28:29]
	s_mul_i32 s4, s31, s4
	v_mov_b32_e32 v16, s4
	ds_add_rtn_u32 v16, v3, v16 offset:4108
.LBB26_448:                             ;   in Loop: Header=BB26_443 Depth=1
	s_or_b64 exec, exec, s[26:27]
	s_waitcnt lgkmcnt(0)
	v_readfirstlane_b32 s4, v16
	v_mov_b32_e32 v16, s4
	v_mad_u32_u24 v15, s31, v15, v16
.LBB26_449:                             ;   in Loop: Header=BB26_443 Depth=1
	s_or_b64 exec, exec, s[24:25]
	s_waitcnt lgkmcnt(0)
	ds_bpermute_b32 v15, v12, v15
	s_mov_b64 s[4:5], -1
	s_mov_b64 s[28:29], -1
                                        ; implicit-def: $sgpr26_sgpr27
	s_and_saveexec_b64 s[24:25], s[22:23]
	s_cbranch_execz .LBB26_453
; %bb.450:                              ;   in Loop: Header=BB26_443 Depth=1
	v_and_b32_e32 v17, vcc_lo, v6
	v_and_b32_e32 v16, vcc_hi, v7
	v_bcnt_u32_b32 v17, v17, 0
	v_bcnt_u32_b32 v16, v16, v17
	s_waitcnt lgkmcnt(0)
	v_add_u32_e32 v16, v15, v16
	v_cmp_gt_u32_e32 vcc, s61, v16
	s_mov_b64 s[22:23], 0
	s_and_saveexec_b64 s[26:27], vcc
	s_cbranch_execz .LBB26_452
; %bb.451:                              ;   in Loop: Header=BB26_443 Depth=1
	v_mul_lo_u32 v17, v16, s45
	v_mul_lo_u32 v16, v16, s46
	global_store_byte v17, v11, s[8:9]
	v_mov_b32_e32 v17, v3
	v_lshlrev_b64 v[16:17], 3, v[16:17]
	v_mov_b32_e32 v11, s44
	v_add_co_u32_e32 v16, vcc, s43, v16
	s_mov_b64 s[22:23], exec
	v_addc_co_u32_e32 v17, vcc, v11, v17, vcc
	global_store_dwordx2 v[16:17], v[2:3], off
.LBB26_452:                             ;   in Loop: Header=BB26_443 Depth=1
	s_or_b64 exec, exec, s[26:27]
	s_mov_b64 s[26:27], -1
	s_orn2_b64 s[28:29], s[22:23], exec
.LBB26_453:                             ;   in Loop: Header=BB26_443 Depth=1
	s_or_b64 exec, exec, s[24:25]
	s_and_saveexec_b64 s[22:23], s[28:29]
	s_cbranch_execz .LBB26_442
; %bb.454:                              ;   in Loop: Header=BB26_443 Depth=1
	v_cmp_le_u32_e32 vcc, s42, v13
	v_add_u32_e32 v10, s66, v10
	s_andn2_b64 s[26:27], s[26:27], exec
	s_orn2_b64 s[4:5], vcc, exec
	s_branch .LBB26_442
.LBB26_455:
	s_or_b64 exec, exec, s[18:19]
	s_mov_b64 s[4:5], exec
	s_orn2_b64 s[18:19], s[20:21], exec
	s_or_b64 exec, exec, s[6:7]
	s_and_saveexec_b64 s[6:7], s[18:19]
	s_cbranch_execz .LBB26_432
.LBB26_456:
	v_mov_b32_e32 v1, 0
	v_mov_b32_e32 v3, 0
	s_waitcnt lgkmcnt(0)
	s_barrier
	s_mov_b64 s[2:3], exec
	v_readlane_b32 s18, v46, 27
	v_readlane_b32 s19, v46, 28
	s_and_b64 s[18:19], s[2:3], s[18:19]
	s_mov_b64 exec, s[18:19]
	s_cbranch_execz .LBB26_458
; %bb.457:
	global_load_ubyte v3, v[8:9], off
.LBB26_458:
	s_or_b64 exec, exec, s[2:3]
	s_mov_b64 s[20:21], 0
                                        ; implicit-def: $sgpr18_sgpr19
                                        ; implicit-def: $sgpr22_sgpr23
                                        ; implicit-def: $sgpr24_sgpr25
                                        ; implicit-def: $vgpr2
	s_branch .LBB26_461
.LBB26_459:                             ;   in Loop: Header=BB26_461 Depth=1
	s_or_b64 exec, exec, s[30:31]
	s_andn2_b64 s[2:3], s[24:25], exec
	s_and_b64 s[24:25], s[36:37], exec
	s_or_b64 s[24:25], s[2:3], s[24:25]
	s_andn2_b64 s[2:3], s[22:23], exec
	s_and_b64 s[22:23], s[28:29], exec
	s_or_b64 s[22:23], s[2:3], s[22:23]
	v_mov_b32_e32 v0, v8
.LBB26_460:                             ;   in Loop: Header=BB26_461 Depth=1
	s_or_b64 exec, exec, s[26:27]
	s_xor_b64 s[2:3], s[24:25], -1
	s_and_b64 s[26:27], exec, s[22:23]
	s_or_b64 s[20:21], s[26:27], s[20:21]
	s_andn2_b64 s[18:19], s[18:19], exec
	s_and_b64 s[2:3], s[2:3], exec
	s_or_b64 s[18:19], s[18:19], s[2:3]
	s_andn2_b64 exec, exec, s[20:21]
	s_cbranch_execz .LBB26_476
.LBB26_461:                             ; =>This Inner Loop Header: Depth=1
	v_cmp_gt_u32_e32 vcc, s42, v0
	s_or_b64 s[24:25], s[24:25], exec
	s_or_b64 s[22:23], s[22:23], exec
	s_and_saveexec_b64 s[26:27], vcc
	s_cbranch_execz .LBB26_460
; %bb.462:                              ;   in Loop: Header=BB26_461 Depth=1
	v_add_u32_e32 v8, s33, v0
	v_cmp_gt_u32_e32 vcc, s60, v8
	v_mov_b32_e32 v9, 0
	s_and_saveexec_b64 s[2:3], vcc
	s_cbranch_execz .LBB26_464
; %bb.463:                              ;   in Loop: Header=BB26_461 Depth=1
	global_load_ubyte v9, v5, s[64:65]
.LBB26_464:                             ;   in Loop: Header=BB26_461 Depth=1
	s_or_b64 exec, exec, s[2:3]
	s_waitcnt vmcnt(0)
	v_and_b32_e32 v10, 0xff, v3
	v_cmp_gt_u32_e32 vcc, s60, v0
	v_cmp_eq_u16_sdwa s[2:3], v10, v4 src0_sel:DWORD src1_sel:BYTE_0
	s_and_b64 s[30:31], vcc, s[2:3]
	v_cndmask_b32_e64 v10, 0, 1, s[30:31]
	v_cmp_ne_u32_e32 vcc, 0, v10
	s_cmp_lg_u64 vcc, 0
	s_cselect_b64 s[2:3], -1, 0
	s_and_b64 s[2:3], s[0:1], s[2:3]
	s_and_saveexec_b64 s[28:29], s[2:3]
	s_cbranch_execz .LBB26_468
; %bb.465:                              ;   in Loop: Header=BB26_461 Depth=1
	s_mov_b64 s[36:37], exec
	v_mbcnt_lo_u32_b32 v2, s36, 0
	v_mbcnt_hi_u32_b32 v2, s37, v2
	s_bcnt1_i32_b64 s38, vcc
	v_cmp_eq_u32_e64 s[2:3], 0, v2
                                        ; implicit-def: $vgpr10
	s_and_saveexec_b64 s[34:35], s[2:3]
	s_cbranch_execz .LBB26_467
; %bb.466:                              ;   in Loop: Header=BB26_461 Depth=1
	s_bcnt1_i32_b64 s2, s[36:37]
	s_mul_i32 s2, s38, s2
	v_mov_b32_e32 v10, s2
	ds_add_rtn_u32 v10, v1, v10 offset:4108
.LBB26_467:                             ;   in Loop: Header=BB26_461 Depth=1
	s_or_b64 exec, exec, s[34:35]
	s_waitcnt lgkmcnt(0)
	v_readfirstlane_b32 s2, v10
	v_mov_b32_e32 v10, s2
	v_mad_u32_u24 v2, s38, v2, v10
.LBB26_468:                             ;   in Loop: Header=BB26_461 Depth=1
	s_or_b64 exec, exec, s[28:29]
	ds_bpermute_b32 v2, v12, v2
	s_cmp_eq_u64 vcc, 0
	s_cselect_b64 s[34:35], -1, 0
	s_mov_b64 s[28:29], -1
	s_mov_b64 s[36:37], -1
	s_waitcnt lgkmcnt(0)
	v_cmp_gt_u32_e64 s[2:3], s61, v2
	s_or_b64 s[2:3], s[34:35], s[2:3]
	v_cndmask_b32_e64 v3, v3, v9, s[2:3]
	s_and_b64 s[38:39], s[30:31], s[2:3]
	s_mov_b64 s[34:35], -1
	s_and_saveexec_b64 s[30:31], s[38:39]
	s_cbranch_execz .LBB26_474
; %bb.469:                              ;   in Loop: Header=BB26_461 Depth=1
	v_and_b32_e32 v10, vcc_lo, v6
	v_and_b32_e32 v3, vcc_hi, v7
	v_bcnt_u32_b32 v10, v10, 0
	v_bcnt_u32_b32 v3, v3, v10
	v_sub_u32_e32 v10, s61, v2
	v_cmp_le_u32_e64 s[34:35], v10, v3
	v_cmp_gt_u32_e32 vcc, v10, v3
	s_mov_b64 s[38:39], -1
	s_and_saveexec_b64 s[36:37], vcc
	s_cbranch_execz .LBB26_473
; %bb.470:                              ;   in Loop: Header=BB26_461 Depth=1
	v_add_u32_e32 v3, v2, v3
	v_cmp_gt_u32_e32 vcc, s61, v3
	s_mov_b64 s[40:41], s[34:35]
	s_and_saveexec_b64 s[38:39], vcc
	s_cbranch_execz .LBB26_472
; %bb.471:                              ;   in Loop: Header=BB26_461 Depth=1
	v_mul_lo_u32 v11, v3, s45
	v_mul_lo_u32 v10, v3, s46
	global_store_byte v11, v4, s[8:9]
	v_mov_b32_e32 v11, v1
	v_lshlrev_b64 v[10:11], 3, v[10:11]
	v_mov_b32_e32 v3, s44
	v_add_co_u32_e32 v10, vcc, s43, v10
	v_addc_co_u32_e32 v11, vcc, v3, v11, vcc
	s_or_b64 s[40:41], s[34:35], exec
	global_store_dwordx2 v[10:11], v[0:1], off
.LBB26_472:                             ;   in Loop: Header=BB26_461 Depth=1
	s_or_b64 exec, exec, s[38:39]
	s_andn2_b64 s[34:35], s[34:35], exec
	s_and_b64 s[40:41], s[40:41], exec
	s_xor_b64 s[38:39], exec, -1
	s_or_b64 s[34:35], s[34:35], s[40:41]
.LBB26_473:                             ;   in Loop: Header=BB26_461 Depth=1
	s_or_b64 exec, exec, s[36:37]
	s_orn2_b64 s[36:37], s[38:39], exec
	s_or_b64 s[2:3], s[2:3], exec
	s_orn2_b64 s[34:35], s[34:35], exec
	v_mov_b32_e32 v3, v9
.LBB26_474:                             ;   in Loop: Header=BB26_461 Depth=1
	s_or_b64 exec, exec, s[30:31]
	s_and_saveexec_b64 s[30:31], s[34:35]
	s_cbranch_execz .LBB26_459
; %bb.475:                              ;   in Loop: Header=BB26_461 Depth=1
	s_xor_b64 s[2:3], s[2:3], -1
	v_add_u32_e32 v5, s66, v5
	s_or_b64 s[36:37], s[36:37], exec
	s_orn2_b64 s[28:29], s[2:3], exec
	s_branch .LBB26_459
.LBB26_476:
	s_or_b64 exec, exec, s[20:21]
	s_mov_b64 s[0:1], 0
	s_and_saveexec_b64 s[2:3], s[18:19]
	s_xor_b64 s[2:3], exec, s[2:3]
	s_cbranch_execnz .LBB26_482
.LBB26_477:
	s_or_b64 exec, exec, s[2:3]
	s_and_b64 s[2:3], s[0:1], exec
	s_andn2_b64 s[4:5], s[4:5], exec
	s_or_b64 exec, exec, s[6:7]
	s_and_saveexec_b64 s[0:1], s[4:5]
	s_xor_b64 s[0:1], exec, s[0:1]
	s_cbranch_execz .LBB26_433
.LBB26_478:
	s_or_b64 s[2:3], s[2:3], exec
	s_trap 2
	s_branch .LBB26_433
.LBB26_479:
	s_or_b64 s[8:9], s[8:9], exec
	s_trap 2
	s_branch .LBB26_439
.LBB26_480:
	s_or_b64 s[8:9], s[8:9], exec
	s_trap 2
	s_branch .LBB26_437
.LBB26_481:
	s_trap 2
	s_or_b64 s[8:9], s[8:9], exec
	s_branch .LBB26_435
.LBB26_482:
	s_mov_b64 s[0:1], exec
	s_trap 2
	s_branch .LBB26_477
	.section	.rodata,"a",@progbits
	.p2align	6, 0x0
	.amdhsa_kernel _ZN2at6native6sbtopk10gatherTopKIajLin1ELb0EEEvNS_4cuda6detail10TensorInfoIKT_T0_EES8_S8_bS8_S8_NS5_IS6_S8_EES8_NS5_IlS8_EES8_PS6_
		.amdhsa_group_segment_fixed_size 4112
		.amdhsa_private_segment_fixed_size 0
		.amdhsa_kernarg_size 952
		.amdhsa_user_sgpr_count 6
		.amdhsa_user_sgpr_private_segment_buffer 1
		.amdhsa_user_sgpr_dispatch_ptr 0
		.amdhsa_user_sgpr_queue_ptr 0
		.amdhsa_user_sgpr_kernarg_segment_ptr 1
		.amdhsa_user_sgpr_dispatch_id 0
		.amdhsa_user_sgpr_flat_scratch_init 0
		.amdhsa_user_sgpr_kernarg_preload_length 0
		.amdhsa_user_sgpr_kernarg_preload_offset 0
		.amdhsa_user_sgpr_private_segment_size 0
		.amdhsa_uses_dynamic_stack 0
		.amdhsa_system_sgpr_private_segment_wavefront_offset 0
		.amdhsa_system_sgpr_workgroup_id_x 1
		.amdhsa_system_sgpr_workgroup_id_y 1
		.amdhsa_system_sgpr_workgroup_id_z 1
		.amdhsa_system_sgpr_workgroup_info 0
		.amdhsa_system_vgpr_workitem_id 0
		.amdhsa_next_free_vgpr 47
		.amdhsa_next_free_sgpr 96
		.amdhsa_accum_offset 48
		.amdhsa_reserve_vcc 1
		.amdhsa_reserve_flat_scratch 0
		.amdhsa_float_round_mode_32 0
		.amdhsa_float_round_mode_16_64 0
		.amdhsa_float_denorm_mode_32 3
		.amdhsa_float_denorm_mode_16_64 3
		.amdhsa_dx10_clamp 1
		.amdhsa_ieee_mode 1
		.amdhsa_fp16_overflow 0
		.amdhsa_tg_split 0
		.amdhsa_exception_fp_ieee_invalid_op 0
		.amdhsa_exception_fp_denorm_src 0
		.amdhsa_exception_fp_ieee_div_zero 0
		.amdhsa_exception_fp_ieee_overflow 0
		.amdhsa_exception_fp_ieee_underflow 0
		.amdhsa_exception_fp_ieee_inexact 0
		.amdhsa_exception_int_div_zero 0
	.end_amdhsa_kernel
	.section	.text._ZN2at6native6sbtopk10gatherTopKIajLin1ELb0EEEvNS_4cuda6detail10TensorInfoIKT_T0_EES8_S8_bS8_S8_NS5_IS6_S8_EES8_NS5_IlS8_EES8_PS6_,"axG",@progbits,_ZN2at6native6sbtopk10gatherTopKIajLin1ELb0EEEvNS_4cuda6detail10TensorInfoIKT_T0_EES8_S8_bS8_S8_NS5_IS6_S8_EES8_NS5_IlS8_EES8_PS6_,comdat
.Lfunc_end26:
	.size	_ZN2at6native6sbtopk10gatherTopKIajLin1ELb0EEEvNS_4cuda6detail10TensorInfoIKT_T0_EES8_S8_bS8_S8_NS5_IS6_S8_EES8_NS5_IlS8_EES8_PS6_, .Lfunc_end26-_ZN2at6native6sbtopk10gatherTopKIajLin1ELb0EEEvNS_4cuda6detail10TensorInfoIKT_T0_EES8_S8_bS8_S8_NS5_IS6_S8_EES8_NS5_IlS8_EES8_PS6_
                                        ; -- End function
	.section	.AMDGPU.csdata,"",@progbits
; Kernel info:
; codeLenInByte = 15548
; NumSgprs: 100
; NumVgprs: 47
; NumAgprs: 0
; TotalNumVgprs: 47
; ScratchSize: 0
; MemoryBound: 0
; FloatMode: 240
; IeeeMode: 1
; LDSByteSize: 4112 bytes/workgroup (compile time only)
; SGPRBlocks: 12
; VGPRBlocks: 5
; NumSGPRsForWavesPerEU: 100
; NumVGPRsForWavesPerEU: 47
; AccumOffset: 48
; Occupancy: 8
; WaveLimiterHint : 1
; COMPUTE_PGM_RSRC2:SCRATCH_EN: 0
; COMPUTE_PGM_RSRC2:USER_SGPR: 6
; COMPUTE_PGM_RSRC2:TRAP_HANDLER: 0
; COMPUTE_PGM_RSRC2:TGID_X_EN: 1
; COMPUTE_PGM_RSRC2:TGID_Y_EN: 1
; COMPUTE_PGM_RSRC2:TGID_Z_EN: 1
; COMPUTE_PGM_RSRC2:TIDIG_COMP_CNT: 0
; COMPUTE_PGM_RSRC3_GFX90A:ACCUM_OFFSET: 11
; COMPUTE_PGM_RSRC3_GFX90A:TG_SPLIT: 0
	.section	.text._ZN2at6native6mbtopk23computeBlockDigitCountsIijjLi1EEEvNS_4cuda6detail10TensorInfoIKT_T0_EEjPjjS8_iijT1_PSB_Ps,"axG",@progbits,_ZN2at6native6mbtopk23computeBlockDigitCountsIijjLi1EEEvNS_4cuda6detail10TensorInfoIKT_T0_EEjPjjS8_iijT1_PSB_Ps,comdat
	.protected	_ZN2at6native6mbtopk23computeBlockDigitCountsIijjLi1EEEvNS_4cuda6detail10TensorInfoIKT_T0_EEjPjjS8_iijT1_PSB_Ps ; -- Begin function _ZN2at6native6mbtopk23computeBlockDigitCountsIijjLi1EEEvNS_4cuda6detail10TensorInfoIKT_T0_EEjPjjS8_iijT1_PSB_Ps
	.globl	_ZN2at6native6mbtopk23computeBlockDigitCountsIijjLi1EEEvNS_4cuda6detail10TensorInfoIKT_T0_EEjPjjS8_iijT1_PSB_Ps
	.p2align	8
	.type	_ZN2at6native6mbtopk23computeBlockDigitCountsIijjLi1EEEvNS_4cuda6detail10TensorInfoIKT_T0_EEjPjjS8_iijT1_PSB_Ps,@function
_ZN2at6native6mbtopk23computeBlockDigitCountsIijjLi1EEEvNS_4cuda6detail10TensorInfoIKT_T0_EEjPjjS8_iijT1_PSB_Ps: ; @_ZN2at6native6mbtopk23computeBlockDigitCountsIijjLi1EEEvNS_4cuda6detail10TensorInfoIKT_T0_EEjPjjS8_iijT1_PSB_Ps
; %bb.0:
	s_load_dwordx2 s[10:11], s[4:5], 0xf8
	s_load_dwordx4 s[12:15], s[4:5], 0xe8
	s_load_dwordx2 s[0:1], s[4:5], 0x110
	s_waitcnt lgkmcnt(0)
	v_cvt_f32_u32_e32 v1, s10
	s_sub_i32 s2, 0, s10
	s_mul_i32 s1, s1, s8
	s_add_i32 s1, s1, s7
	v_rcp_iflag_f32_e32 v1, v1
	s_mul_i32 s16, s1, s0
	s_add_i32 s16, s16, s6
	s_mov_b32 s7, 0
	v_mul_f32_e32 v1, 0x4f7ffffe, v1
	v_cvt_u32_f32_e32 v1, v1
	v_readfirstlane_b32 s0, v1
	s_mul_i32 s2, s2, s0
	s_mul_hi_u32 s1, s0, s2
	s_add_i32 s0, s0, s1
	s_mul_hi_u32 s0, s16, s0
	s_mul_i32 s1, s0, s10
	s_sub_i32 s1, s16, s1
	s_add_i32 s2, s0, 1
	s_sub_i32 s3, s1, s10
	s_cmp_ge_u32 s1, s10
	s_cselect_b32 s0, s2, s0
	s_cselect_b32 s1, s3, s1
	s_add_i32 s2, s0, 1
	s_cmp_ge_u32 s1, s10
	s_cselect_b32 s6, s2, s0
	s_cmp_ge_u32 s6, s12
	s_cbranch_scc1 .LBB27_29
; %bb.1:
	s_load_dwordx4 s[0:3], s[4:5], 0x100
	s_lshl_b64 s[8:9], s[6:7], 2
	s_movk_i32 s7, 0x100
	v_cmp_gt_u32_e32 vcc, s7, v0
	v_lshlrev_b32_e32 v1, 2, v0
	s_waitcnt lgkmcnt(0)
	s_add_u32 s0, s0, s8
	s_addc_u32 s1, s1, s9
	s_and_saveexec_b64 s[8:9], vcc
	s_cbranch_execz .LBB27_3
; %bb.2:
	v_mov_b32_e32 v2, 0
	ds_write_b32 v1, v2
.LBB27_3:
	s_or_b64 exec, exec, s[8:9]
	s_load_dword s8, s[4:5], 0xd8
	s_mul_i32 s7, s6, s10
	s_sub_i32 s7, s16, s7
	s_add_i32 s9, s7, 1
	s_mul_i32 s7, s15, s7
	s_lshl_b32 s17, s7, 8
	s_waitcnt lgkmcnt(0)
	s_sub_i32 s7, s8, s17
	s_add_u32 s7, s7, 0xff
	s_addc_u32 s12, 0, 0
	v_mov_b32_e32 v2, s7
	v_alignbit_b32 v2, s12, v2, 8
	s_cmp_lt_u32 s9, s10
	v_readfirstlane_b32 s7, v2
	s_cselect_b32 s15, s15, s7
	s_cmp_lt_i32 s15, 1
	s_mov_b32 s7, 0
	s_barrier
	s_cbranch_scc1 .LBB27_25
; %bb.4:
	s_load_dword s10, s[4:5], 0x6c
	s_load_dwordx2 s[18:19], s[4:5], 0x0
	s_load_dword s9, s[0:1], 0x0
	s_waitcnt lgkmcnt(0)
	s_mul_i32 s6, s10, s6
	s_lshl_b64 s[0:1], s[6:7], 2
	s_add_u32 s6, s18, s0
	s_addc_u32 s10, s19, s1
	s_and_b32 s12, s14, 0xff
	s_cmp_lt_u32 s15, 4
	s_cbranch_scc1 .LBB27_19
; %bb.5:
	v_add_u32_e32 v2, s17, v0
	v_add_u32_e32 v3, 0x200, v2
	;; [unrolled: 1-line block ×3, first 2 shown]
	v_mul_lo_u32 v6, s13, v3
	v_add_u32_e32 v3, 0x100, v2
	s_and_b32 s7, s15, 0x7ffffffc
	v_mul_lo_u32 v5, s13, v4
	s_lshl_b32 s14, s13, 10
	v_mul_lo_u32 v7, s13, v3
	v_mul_lo_u32 v8, s13, v2
	s_mov_b32 s18, 0
	v_mov_b32_e32 v3, 0
	v_mov_b32_e32 v9, 1
	s_mov_b32 s19, 0
	s_branch .LBB27_7
.LBB27_6:                               ;   in Loop: Header=BB27_7 Depth=1
	s_or_b64 exec, exec, s[4:5]
	s_add_i32 s19, s19, 4
	s_add_i32 s18, s18, s14
	s_cmp_eq_u32 s7, s19
	v_add_u32_e32 v4, 0x400, v4
	s_cbranch_scc1 .LBB27_19
.LBB27_7:                               ; =>This Inner Loop Header: Depth=1
	v_add_u32_e32 v2, 0xfffffd00, v4
	v_cmp_gt_u32_e64 s[0:1], s8, v2
	s_and_saveexec_b64 s[4:5], s[0:1]
	s_cbranch_execz .LBB27_10
; %bb.8:                                ;   in Loop: Header=BB27_7 Depth=1
	v_add_u32_e32 v2, s18, v8
	v_lshlrev_b64 v[10:11], 2, v[2:3]
	v_mov_b32_e32 v2, s10
	v_add_co_u32_e64 v10, s[0:1], s6, v10
	v_addc_co_u32_e64 v11, s[0:1], v2, v11, s[0:1]
	global_load_dword v2, v[10:11], off
	s_waitcnt vmcnt(0)
	v_xor_b32_e32 v2, 0x80000000, v2
	v_xor_b32_e32 v10, s9, v2
	v_and_b32_e32 v10, s11, v10
	v_cmp_eq_u32_e64 s[0:1], 0, v10
	s_and_b64 exec, exec, s[0:1]
	s_cbranch_execz .LBB27_10
; %bb.9:                                ;   in Loop: Header=BB27_7 Depth=1
	v_bfe_u32 v2, v2, s12, 8
	v_lshlrev_b32_e32 v2, 2, v2
	ds_add_u32 v2, v9
.LBB27_10:                              ;   in Loop: Header=BB27_7 Depth=1
	s_or_b64 exec, exec, s[4:5]
	v_add_u32_e32 v2, 0xfffffe00, v4
	v_cmp_gt_u32_e64 s[0:1], s8, v2
	s_and_saveexec_b64 s[4:5], s[0:1]
	s_cbranch_execz .LBB27_13
; %bb.11:                               ;   in Loop: Header=BB27_7 Depth=1
	v_add_u32_e32 v2, s18, v7
	v_lshlrev_b64 v[10:11], 2, v[2:3]
	v_mov_b32_e32 v2, s10
	v_add_co_u32_e64 v10, s[0:1], s6, v10
	v_addc_co_u32_e64 v11, s[0:1], v2, v11, s[0:1]
	global_load_dword v2, v[10:11], off
	s_waitcnt vmcnt(0)
	v_xor_b32_e32 v2, 0x80000000, v2
	v_xor_b32_e32 v10, s9, v2
	v_and_b32_e32 v10, s11, v10
	v_cmp_eq_u32_e64 s[0:1], 0, v10
	s_and_b64 exec, exec, s[0:1]
	s_cbranch_execz .LBB27_13
; %bb.12:                               ;   in Loop: Header=BB27_7 Depth=1
	v_bfe_u32 v2, v2, s12, 8
	v_lshlrev_b32_e32 v2, 2, v2
	ds_add_u32 v2, v9
.LBB27_13:                              ;   in Loop: Header=BB27_7 Depth=1
	s_or_b64 exec, exec, s[4:5]
	v_add_u32_e32 v2, 0xffffff00, v4
	v_cmp_gt_u32_e64 s[0:1], s8, v2
	s_and_saveexec_b64 s[4:5], s[0:1]
	s_cbranch_execz .LBB27_16
; %bb.14:                               ;   in Loop: Header=BB27_7 Depth=1
	v_add_u32_e32 v2, s18, v6
	v_lshlrev_b64 v[10:11], 2, v[2:3]
	v_mov_b32_e32 v2, s10
	v_add_co_u32_e64 v10, s[0:1], s6, v10
	v_addc_co_u32_e64 v11, s[0:1], v2, v11, s[0:1]
	global_load_dword v2, v[10:11], off
	s_waitcnt vmcnt(0)
	v_xor_b32_e32 v2, 0x80000000, v2
	v_xor_b32_e32 v10, s9, v2
	v_and_b32_e32 v10, s11, v10
	v_cmp_eq_u32_e64 s[0:1], 0, v10
	s_and_b64 exec, exec, s[0:1]
	s_cbranch_execz .LBB27_16
; %bb.15:                               ;   in Loop: Header=BB27_7 Depth=1
	v_bfe_u32 v2, v2, s12, 8
	v_lshlrev_b32_e32 v2, 2, v2
	ds_add_u32 v2, v9
.LBB27_16:                              ;   in Loop: Header=BB27_7 Depth=1
	s_or_b64 exec, exec, s[4:5]
	v_cmp_gt_u32_e64 s[0:1], s8, v4
	s_and_saveexec_b64 s[4:5], s[0:1]
	s_cbranch_execz .LBB27_6
; %bb.17:                               ;   in Loop: Header=BB27_7 Depth=1
	v_add_u32_e32 v2, s18, v5
	v_lshlrev_b64 v[10:11], 2, v[2:3]
	v_mov_b32_e32 v2, s10
	v_add_co_u32_e64 v10, s[0:1], s6, v10
	v_addc_co_u32_e64 v11, s[0:1], v2, v11, s[0:1]
	global_load_dword v2, v[10:11], off
	s_waitcnt vmcnt(0)
	v_xor_b32_e32 v2, 0x80000000, v2
	v_xor_b32_e32 v10, s9, v2
	v_and_b32_e32 v10, s11, v10
	v_cmp_eq_u32_e64 s[0:1], 0, v10
	s_and_b64 exec, exec, s[0:1]
	s_cbranch_execz .LBB27_6
; %bb.18:                               ;   in Loop: Header=BB27_7 Depth=1
	v_bfe_u32 v2, v2, s12, 8
	v_lshlrev_b32_e32 v2, 2, v2
	ds_add_u32 v2, v9
	s_branch .LBB27_6
.LBB27_19:
	s_and_b32 s14, s15, 3
	s_cmp_eq_u32 s14, 0
	s_cbranch_scc1 .LBB27_25
; %bb.20:
	s_lshl_b32 s0, s7, 8
	s_add_i32 s0, s0, s17
	v_add_u32_e32 v4, s0, v0
	v_mul_lo_u32 v2, s13, v4
	s_lshl_b32 s7, s13, 8
	v_mov_b32_e32 v3, 0
	v_mov_b32_e32 v5, 1
	s_branch .LBB27_22
.LBB27_21:                              ;   in Loop: Header=BB27_22 Depth=1
	s_or_b64 exec, exec, s[4:5]
	s_add_i32 s14, s14, -1
	v_add_u32_e32 v2, s7, v2
	s_cmp_lg_u32 s14, 0
	v_add_u32_e32 v4, 0x100, v4
	s_cbranch_scc0 .LBB27_25
.LBB27_22:                              ; =>This Inner Loop Header: Depth=1
	v_cmp_gt_u32_e64 s[0:1], s8, v4
	s_and_saveexec_b64 s[4:5], s[0:1]
	s_cbranch_execz .LBB27_21
; %bb.23:                               ;   in Loop: Header=BB27_22 Depth=1
	v_lshlrev_b64 v[6:7], 2, v[2:3]
	v_mov_b32_e32 v8, s10
	v_add_co_u32_e64 v6, s[0:1], s6, v6
	v_addc_co_u32_e64 v7, s[0:1], v8, v7, s[0:1]
	global_load_dword v6, v[6:7], off
	s_waitcnt vmcnt(0)
	v_xor_b32_e32 v6, 0x80000000, v6
	v_xor_b32_e32 v7, s9, v6
	v_and_b32_e32 v7, s11, v7
	v_cmp_eq_u32_e64 s[0:1], 0, v7
	s_and_b64 exec, exec, s[0:1]
	s_cbranch_execz .LBB27_21
; %bb.24:                               ;   in Loop: Header=BB27_22 Depth=1
	v_bfe_u32 v6, v6, s12, 8
	v_lshlrev_b32_e32 v6, 2, v6
	ds_add_u32 v6, v5
	s_branch .LBB27_21
.LBB27_25:
	v_mov_b32_e32 v2, 0
	s_waitcnt lgkmcnt(0)
	s_barrier
	s_and_saveexec_b64 s[0:1], vcc
	s_cbranch_execz .LBB27_27
; %bb.26:
	ds_read_b32 v2, v1
.LBB27_27:
	s_or_b64 exec, exec, s[0:1]
	s_and_saveexec_b64 s[0:1], vcc
	s_cbranch_execz .LBB27_29
; %bb.28:
	v_lshl_or_b32 v0, s16, 8, v0
	v_mov_b32_e32 v1, 0
	v_lshlrev_b64 v[0:1], 1, v[0:1]
	v_mov_b32_e32 v3, s3
	v_add_co_u32_e32 v0, vcc, s2, v0
	v_addc_co_u32_e32 v1, vcc, v3, v1, vcc
	s_waitcnt lgkmcnt(0)
	global_store_short v[0:1], v2, off
.LBB27_29:
	s_endpgm
	.section	.rodata,"a",@progbits
	.p2align	6, 0x0
	.amdhsa_kernel _ZN2at6native6mbtopk23computeBlockDigitCountsIijjLi1EEEvNS_4cuda6detail10TensorInfoIKT_T0_EEjPjjS8_iijT1_PSB_Ps
		.amdhsa_group_segment_fixed_size 1024
		.amdhsa_private_segment_fixed_size 0
		.amdhsa_kernarg_size 528
		.amdhsa_user_sgpr_count 6
		.amdhsa_user_sgpr_private_segment_buffer 1
		.amdhsa_user_sgpr_dispatch_ptr 0
		.amdhsa_user_sgpr_queue_ptr 0
		.amdhsa_user_sgpr_kernarg_segment_ptr 1
		.amdhsa_user_sgpr_dispatch_id 0
		.amdhsa_user_sgpr_flat_scratch_init 0
		.amdhsa_user_sgpr_kernarg_preload_length 0
		.amdhsa_user_sgpr_kernarg_preload_offset 0
		.amdhsa_user_sgpr_private_segment_size 0
		.amdhsa_uses_dynamic_stack 0
		.amdhsa_system_sgpr_private_segment_wavefront_offset 0
		.amdhsa_system_sgpr_workgroup_id_x 1
		.amdhsa_system_sgpr_workgroup_id_y 1
		.amdhsa_system_sgpr_workgroup_id_z 1
		.amdhsa_system_sgpr_workgroup_info 0
		.amdhsa_system_vgpr_workitem_id 0
		.amdhsa_next_free_vgpr 12
		.amdhsa_next_free_sgpr 20
		.amdhsa_accum_offset 12
		.amdhsa_reserve_vcc 1
		.amdhsa_reserve_flat_scratch 0
		.amdhsa_float_round_mode_32 0
		.amdhsa_float_round_mode_16_64 0
		.amdhsa_float_denorm_mode_32 3
		.amdhsa_float_denorm_mode_16_64 3
		.amdhsa_dx10_clamp 1
		.amdhsa_ieee_mode 1
		.amdhsa_fp16_overflow 0
		.amdhsa_tg_split 0
		.amdhsa_exception_fp_ieee_invalid_op 0
		.amdhsa_exception_fp_denorm_src 0
		.amdhsa_exception_fp_ieee_div_zero 0
		.amdhsa_exception_fp_ieee_overflow 0
		.amdhsa_exception_fp_ieee_underflow 0
		.amdhsa_exception_fp_ieee_inexact 0
		.amdhsa_exception_int_div_zero 0
	.end_amdhsa_kernel
	.section	.text._ZN2at6native6mbtopk23computeBlockDigitCountsIijjLi1EEEvNS_4cuda6detail10TensorInfoIKT_T0_EEjPjjS8_iijT1_PSB_Ps,"axG",@progbits,_ZN2at6native6mbtopk23computeBlockDigitCountsIijjLi1EEEvNS_4cuda6detail10TensorInfoIKT_T0_EEjPjjS8_iijT1_PSB_Ps,comdat
.Lfunc_end27:
	.size	_ZN2at6native6mbtopk23computeBlockDigitCountsIijjLi1EEEvNS_4cuda6detail10TensorInfoIKT_T0_EEjPjjS8_iijT1_PSB_Ps, .Lfunc_end27-_ZN2at6native6mbtopk23computeBlockDigitCountsIijjLi1EEEvNS_4cuda6detail10TensorInfoIKT_T0_EEjPjjS8_iijT1_PSB_Ps
                                        ; -- End function
	.section	.AMDGPU.csdata,"",@progbits
; Kernel info:
; codeLenInByte = 1232
; NumSgprs: 24
; NumVgprs: 12
; NumAgprs: 0
; TotalNumVgprs: 12
; ScratchSize: 0
; MemoryBound: 0
; FloatMode: 240
; IeeeMode: 1
; LDSByteSize: 1024 bytes/workgroup (compile time only)
; SGPRBlocks: 2
; VGPRBlocks: 1
; NumSGPRsForWavesPerEU: 24
; NumVGPRsForWavesPerEU: 12
; AccumOffset: 12
; Occupancy: 8
; WaveLimiterHint : 1
; COMPUTE_PGM_RSRC2:SCRATCH_EN: 0
; COMPUTE_PGM_RSRC2:USER_SGPR: 6
; COMPUTE_PGM_RSRC2:TRAP_HANDLER: 0
; COMPUTE_PGM_RSRC2:TGID_X_EN: 1
; COMPUTE_PGM_RSRC2:TGID_Y_EN: 1
; COMPUTE_PGM_RSRC2:TGID_Z_EN: 1
; COMPUTE_PGM_RSRC2:TIDIG_COMP_CNT: 0
; COMPUTE_PGM_RSRC3_GFX90A:ACCUM_OFFSET: 2
; COMPUTE_PGM_RSRC3_GFX90A:TG_SPLIT: 0
	.section	.text._ZN2at6native6mbtopk29computeBlockwiseWithinKCountsIjiEEvPT_PsPjjibS6_PT0_S6_S4_S6_j,"axG",@progbits,_ZN2at6native6mbtopk29computeBlockwiseWithinKCountsIjiEEvPT_PsPjjibS6_PT0_S6_S4_S6_j,comdat
	.protected	_ZN2at6native6mbtopk29computeBlockwiseWithinKCountsIjiEEvPT_PsPjjibS6_PT0_S6_S4_S6_j ; -- Begin function _ZN2at6native6mbtopk29computeBlockwiseWithinKCountsIjiEEvPT_PsPjjibS6_PT0_S6_S4_S6_j
	.globl	_ZN2at6native6mbtopk29computeBlockwiseWithinKCountsIjiEEvPT_PsPjjibS6_PT0_S6_S4_S6_j
	.p2align	8
	.type	_ZN2at6native6mbtopk29computeBlockwiseWithinKCountsIjiEEvPT_PsPjjibS6_PT0_S6_S4_S6_j,@function
_ZN2at6native6mbtopk29computeBlockwiseWithinKCountsIjiEEvPT_PsPjjibS6_PT0_S6_S4_S6_j: ; @_ZN2at6native6mbtopk29computeBlockwiseWithinKCountsIjiEEvPT_PsPjjibS6_PT0_S6_S4_S6_j
; %bb.0:
	s_load_dwordx4 s[16:19], s[4:5], 0x18
	s_load_dword s2, s[4:5], 0x50
	s_load_dwordx2 s[0:1], s[4:5], 0x58
	s_waitcnt lgkmcnt(0)
	v_cvt_f32_u32_e32 v1, s16
	s_mul_i32 s1, s1, s8
	s_add_i32 s1, s1, s7
	v_rcp_iflag_f32_e32 v1, v1
	s_mul_i32 s0, s1, s0
	s_add_i32 s6, s0, s6
	s_cmp_ge_u32 s6, s2
	v_mul_f32_e32 v1, 0x4f7ffffe, v1
	v_cvt_u32_f32_e32 v1, v1
	v_readfirstlane_b32 s0, v1
	s_cbranch_scc1 .LBB28_46
; %bb.1:
	s_sub_i32 s1, 0, s16
	s_mul_i32 s1, s1, s0
	s_mul_hi_u32 s1, s0, s1
	s_add_i32 s0, s0, s1
	s_mul_hi_u32 s2, s6, s0
	s_mul_i32 s3, s2, s16
	s_sub_i32 s3, s6, s3
	s_add_i32 s8, s2, 1
	s_sub_i32 s9, s3, s16
	s_cmp_ge_u32 s3, s16
	s_load_dwordx4 s[20:23], s[4:5], 0x0
	s_load_dwordx2 s[0:1], s[4:5], 0x10
	s_cselect_b32 s2, s8, s2
	s_cselect_b32 s3, s9, s3
	s_add_i32 s8, s2, 1
	s_mov_b32 s7, 0
	s_cmp_ge_u32 s3, s16
	s_cselect_b32 s26, s8, s2
	s_mov_b32 s27, s7
	s_lshl_b64 s[24:25], s[26:27], 2
	s_waitcnt lgkmcnt(0)
	s_add_u32 s0, s0, s24
	s_addc_u32 s1, s1, s25
	s_load_dword s19, s[0:1], 0x0
	s_movk_i32 s0, 0x100
	v_cmp_gt_u32_e64 s[0:1], s0, v0
	s_and_saveexec_b64 s[2:3], s[0:1]
	s_cbranch_execz .LBB28_17
; %bb.2:
	s_mul_i32 s8, s26, s16
	s_lshl_b32 s8, s8, 8
	s_mov_b32 s9, s7
	s_lshl_b64 s[12:13], s[8:9], 1
	s_add_u32 s8, s22, s12
	s_addc_u32 s9, s23, s13
	v_lshlrev_b32_e32 v4, 1, v0
	v_mov_b32_e32 v3, s9
	v_add_co_u32_e32 v2, vcc, s8, v4
	v_mov_b32_e32 v1, 0
	s_cmp_lt_u32 s16, 4
	v_addc_co_u32_e32 v3, vcc, 0, v3, vcc
	s_cbranch_scc1 .LBB28_7
; %bb.3:
	s_add_i32 s8, s16, -4
	s_mov_b32 s14, 0
	s_cmp_gt_u32 s8, 3
	v_mov_b32_e32 v1, 0
	s_cbranch_scc0 .LBB28_8
; %bb.4:
	s_lshr_b32 s8, s8, 2
	s_add_i32 s8, s8, 1
	s_and_b32 s10, s8, 0x7ffffffe
	s_add_u32 s12, s22, s12
	s_addc_u32 s13, s23, s13
	v_mov_b32_e32 v5, s13
	v_add_co_u32_e32 v4, vcc, s12, v4
	s_mov_b32 s9, 0
	v_addc_co_u32_e32 v5, vcc, 0, v5, vcc
	s_mov_b32 s11, s9
	v_add_co_u32_e32 v4, vcc, 0xe00, v4
	v_mov_b32_e32 v1, 0
	v_addc_co_u32_e32 v5, vcc, 0, v5, vcc
	s_mov_b64 s[12:13], s[10:11]
	v_mov_b32_e32 v6, 0
.LBB28_5:                               ; =>This Inner Loop Header: Depth=1
	global_load_sshort v7, v[4:5], off offset:-3584
	global_load_sshort v8, v[4:5], off offset:-3072
	;; [unrolled: 1-line block ×6, first 2 shown]
	global_load_sshort v13, v[4:5], off
	global_load_sshort v14, v[4:5], off offset:-2048
	s_add_u32 s12, s12, -2
	v_add_co_u32_e32 v4, vcc, 0x1000, v4
	s_addc_u32 s13, s13, -1
	v_addc_co_u32_e32 v5, vcc, 0, v5, vcc
	s_cmp_lg_u64 s[12:13], 0
	s_waitcnt vmcnt(6)
	v_add3_u32 v1, v1, v7, v8
	s_waitcnt vmcnt(3)
	v_add3_u32 v6, v6, v10, v11
	;; [unrolled: 2-line block ×4, first 2 shown]
	s_cbranch_scc1 .LBB28_5
; %bb.6:
	s_lshl_b64 s[12:13], s[10:11], 11
	s_lshl_b32 s14, s10, 2
	v_mov_b32_e32 v4, s13
	v_add_co_u32_e32 v2, vcc, s12, v2
	s_cmp_lg_u64 s[10:11], s[8:9]
	v_addc_co_u32_e32 v3, vcc, v3, v4, vcc
	v_add_u32_e32 v1, v1, v6
	s_cselect_b64 s[8:9], -1, 0
	s_and_b64 vcc, exec, s[8:9]
	s_cbranch_vccnz .LBB28_9
	s_branch .LBB28_10
.LBB28_7:
	s_mov_b32 s14, s7
	s_branch .LBB28_10
.LBB28_8:
	s_cbranch_execz .LBB28_10
.LBB28_9:                               ; =>This Inner Loop Header: Depth=1
	global_load_sshort v4, v[2:3], off
	global_load_sshort v5, v[2:3], off offset:512
	global_load_sshort v6, v[2:3], off offset:1024
	;; [unrolled: 1-line block ×3, first 2 shown]
	s_mov_b32 s8, s14
	v_add_co_u32_e32 v2, vcc, 0x800, v2
	s_add_i32 s14, s14, 4
	s_add_i32 s8, s8, 7
	v_addc_co_u32_e32 v3, vcc, 0, v3, vcc
	s_cmp_ge_u32 s8, s16
	s_waitcnt vmcnt(2)
	v_add3_u32 v1, v1, v4, v5
	s_waitcnt vmcnt(0)
	v_add3_u32 v1, v1, v6, v7
	s_cbranch_scc0 .LBB28_9
.LBB28_10:
	s_cmp_ge_u32 s14, s16
	s_cbranch_scc1 .LBB28_16
; %bb.11:
	s_not_b32 s8, s14
	s_add_i32 s8, s8, s16
	s_cmp_lg_u32 s8, 0
	s_cbranch_scc0 .LBB28_47
; %bb.12:
	s_add_u32 s8, s8, 1
	s_addc_u32 s9, 0, 0
	s_and_b32 s10, s8, -2
	s_mov_b32 s11, s9
	v_add_co_u32_e32 v4, vcc, 0x200, v2
	v_addc_co_u32_e32 v5, vcc, 0, v3, vcc
	v_mov_b32_e32 v6, 0
	s_mov_b64 s[12:13], s[10:11]
.LBB28_13:                              ; =>This Inner Loop Header: Depth=1
	global_load_sshort v7, v[4:5], off
	global_load_sshort v8, v[4:5], off offset:-512
	s_add_u32 s12, s12, -2
	v_add_co_u32_e32 v4, vcc, 0x400, v4
	s_addc_u32 s13, s13, -1
	v_addc_co_u32_e32 v5, vcc, 0, v5, vcc
	s_cmp_lg_u64 s[12:13], 0
	s_waitcnt vmcnt(1)
	v_add_u32_e32 v6, v6, v7
	s_waitcnt vmcnt(0)
	v_add_u32_e32 v1, v1, v8
	s_cbranch_scc1 .LBB28_13
; %bb.14:
	s_lshl_b64 s[12:13], s[10:11], 9
	s_add_i32 s14, s14, s10
	v_mov_b32_e32 v4, s13
	v_add_co_u32_e32 v2, vcc, s12, v2
	s_cmp_lg_u64 s[8:9], s[10:11]
	v_addc_co_u32_e32 v3, vcc, v3, v4, vcc
	v_add_u32_e32 v1, v1, v6
	s_cselect_b64 s[8:9], -1, 0
	s_and_b64 vcc, exec, s[8:9]
	s_cbranch_vccz .LBB28_16
.LBB28_15:                              ; =>This Inner Loop Header: Depth=1
	global_load_sshort v4, v[2:3], off
	v_add_co_u32_e32 v2, vcc, 0x200, v2
	s_add_i32 s14, s14, 1
	v_addc_co_u32_e32 v3, vcc, 0, v3, vcc
	s_cmp_lt_u32 s14, s16
	s_waitcnt vmcnt(0)
	v_add_u32_e32 v1, v1, v4
	s_cbranch_scc1 .LBB28_15
.LBB28_16:
	v_lshlrev_b32_e32 v2, 2, v0
	ds_write_b32 v2, v1 offset:1056
.LBB28_17:
	s_or_b64 exec, exec, s[2:3]
	v_mov_b32_e32 v3, 0
	s_waitcnt lgkmcnt(0)
	s_barrier
	s_and_saveexec_b64 s[2:3], s[0:1]
	s_cbranch_execz .LBB28_19
; %bb.18:
	v_lshlrev_b32_e32 v1, 2, v0
	ds_read_b32 v3, v1 offset:1056
.LBB28_19:
	s_or_b64 exec, exec, s[2:3]
	v_lshrrev_b32_e32 v1, 5, v0
	v_add_lshl_u32 v2, v1, v0, 2
	v_cmp_gt_u32_e64 s[2:3], 64, v0
	v_mbcnt_lo_u32_b32 v1, -1, 0
	s_waitcnt lgkmcnt(0)
	ds_write_b32 v2, v3
	s_waitcnt lgkmcnt(0)
	s_barrier
	s_and_saveexec_b64 s[8:9], s[2:3]
	s_cbranch_execz .LBB28_21
; %bb.20:
	v_lshlrev_b32_e32 v4, 2, v0
	v_lshrrev_b32_e32 v5, 3, v0
	v_add_lshl_u32 v8, v5, v4, 2
	ds_read2_b32 v[4:5], v8 offset1:1
	ds_read2_b32 v[6:7], v8 offset0:2 offset1:3
	v_mbcnt_hi_u32_b32 v9, -1, v1
	v_and_b32_e32 v10, 15, v9
	v_cmp_ne_u32_e32 vcc, 0, v10
	s_waitcnt lgkmcnt(1)
	v_add_u32_e32 v5, v5, v4
	s_waitcnt lgkmcnt(0)
	v_add3_u32 v5, v5, v6, v7
	v_bfe_i32 v7, v9, 4, 1
	s_nop 0
	v_mov_b32_dpp v6, v5 row_shr:1 row_mask:0xf bank_mask:0xf
	v_cndmask_b32_e32 v6, 0, v6, vcc
	v_add_u32_e32 v5, v6, v5
	v_cmp_lt_u32_e32 vcc, 1, v10
	; wave barrier
	s_nop 0
	v_mov_b32_dpp v6, v5 row_shr:2 row_mask:0xf bank_mask:0xf
	v_cndmask_b32_e32 v6, 0, v6, vcc
	v_add_u32_e32 v5, v5, v6
	v_cmp_lt_u32_e32 vcc, 3, v10
	s_nop 0
	v_mov_b32_dpp v6, v5 row_shr:4 row_mask:0xf bank_mask:0xf
	v_cndmask_b32_e32 v6, 0, v6, vcc
	v_add_u32_e32 v5, v5, v6
	v_cmp_lt_u32_e32 vcc, 7, v10
	;; [unrolled: 5-line block ×3, first 2 shown]
	s_nop 0
	v_mov_b32_dpp v6, v5 row_bcast:15 row_mask:0xf bank_mask:0xf
	v_and_b32_e32 v6, v7, v6
	v_add_u32_e32 v5, v5, v6
	v_and_b32_e32 v7, 64, v9
	s_nop 0
	v_mov_b32_dpp v6, v5 row_bcast:31 row_mask:0xf bank_mask:0xf
	v_cndmask_b32_e32 v6, 0, v6, vcc
	v_add_u32_e32 v5, v5, v6
	v_add_u32_e32 v6, -1, v9
	v_cmp_lt_i32_e32 vcc, v6, v7
	v_cndmask_b32_e32 v6, v6, v9, vcc
	v_lshlrev_b32_e32 v6, 2, v6
	ds_bpermute_b32 v5, v6, v5
	v_cmp_eq_u32_e32 vcc, 0, v0
	s_waitcnt lgkmcnt(0)
	v_add_u32_e32 v4, v5, v4
	v_cndmask_b32_e32 v3, v4, v3, vcc
	ds_write_b32 v8, v3
	; wave barrier
	ds_read2_b32 v[4:5], v8 offset0:1 offset1:2
	ds_read_b32 v6, v8 offset:12
	s_waitcnt lgkmcnt(1)
	v_add_u32_e32 v3, v4, v3
	v_add_u32_e32 v4, v5, v3
	ds_write2_b32 v8, v3, v4 offset0:1 offset1:2
	s_waitcnt lgkmcnt(1)
	v_add_u32_e32 v3, v6, v4
	ds_write_b32 v8, v3 offset:12
.LBB28_21:
	s_or_b64 exec, exec, s[8:9]
	s_waitcnt lgkmcnt(0)
	s_barrier
	ds_read_b32 v3, v2
	s_waitcnt lgkmcnt(0)
	s_barrier
	s_and_saveexec_b64 s[8:9], s[0:1]
	s_cbranch_execz .LBB28_23
; %bb.22:
	v_lshlrev_b32_e32 v2, 2, v0
	ds_write_b32 v2, v3 offset:1056
.LBB28_23:
	s_or_b64 exec, exec, s[8:9]
	s_load_dwordx8 s[8:15], s[4:5], 0x28
	s_load_dwordx2 s[28:29], s[4:5], 0x48
	s_waitcnt lgkmcnt(0)
	s_barrier
	s_and_saveexec_b64 s[4:5], s[0:1]
	s_cbranch_execz .LBB28_29
; %bb.24:
	v_cmp_ne_u32_e32 vcc, 0, v0
	v_mov_b32_e32 v2, 0
	s_and_saveexec_b64 s[0:1], vcc
	s_cbranch_execz .LBB28_26
; %bb.25:
	v_lshlrev_b32_e32 v2, 2, v0
	ds_read_b32 v2, v2 offset:1052
.LBB28_26:
	s_or_b64 exec, exec, s[0:1]
	s_waitcnt lgkmcnt(0)
	v_cmp_gt_u32_e32 vcc, s19, v2
	v_cmp_le_u32_e64 s[0:1], s19, v3
	s_and_b64 s[0:1], vcc, s[0:1]
	s_and_b64 exec, exec, s[0:1]
	s_cbranch_execz .LBB28_29
; %bb.27:
	s_add_u32 s0, s20, s24
	s_addc_u32 s1, s21, s25
	v_mov_b32_e32 v3, 0
	global_load_dword v4, v3, s[0:1]
	s_lshl_b32 s1, 0xff, s17
	v_not_b32_e32 v6, s1
	v_lshlrev_b32_e32 v5, s17, v0
	s_mul_i32 s0, s26, s16
	s_cmp_lg_u32 s6, s0
	s_waitcnt vmcnt(0)
	v_and_b32_e32 v4, v4, v6
	v_or_b32_e32 v4, v4, v5
	ds_write_b32 v3, v4 offset:2096
	s_cbranch_scc1 .LBB28_29
; %bb.28:
	s_add_u32 s0, s14, s24
	s_addc_u32 s1, s15, s25
	s_cmp_gt_i32 s17, 0
	s_cselect_b64 vcc, -1, 0
	global_store_dword v3, v4, s[0:1]
	s_and_b64 s[0:1], vcc, exec
	s_cselect_b32 s0, s12, s10
	v_sub_u32_e32 v2, s19, v2
	v_xor_b32_e32 v4, 0x80000000, v4
	s_cselect_b32 s1, s13, s11
	s_add_u32 s0, s0, s24
	v_cndmask_b32_e32 v2, v4, v2, vcc
	s_addc_u32 s1, s1, s25
	global_store_dword v3, v2, s[0:1]
.LBB28_29:
	s_or_b64 exec, exec, s[4:5]
	v_mov_b32_e32 v2, 0
	s_waitcnt lgkmcnt(0)
	s_barrier
	ds_read_b32 v2, v2 offset:2096
	s_bitcmp0_b32 s18, 0
	s_waitcnt lgkmcnt(0)
	v_lshrrev_b32_e32 v2, s17, v2
	s_cbranch_scc0 .LBB28_31
; %bb.30:
	v_and_b32_e32 v3, 0xc0, v0
	v_cmp_lt_u32_sdwa s[4:5], v3, v2 src0_sel:DWORD src1_sel:BYTE_0
	v_cmp_lt_u32_sdwa s[12:13], v0, v2 src0_sel:DWORD src1_sel:BYTE_0
	s_and_b64 s[10:11], s[4:5], exec
	s_and_b64 s[4:5], s[12:13], exec
	s_cbranch_execz .LBB28_32
	s_branch .LBB28_33
.LBB28_31:
                                        ; implicit-def: $sgpr4_sgpr5
                                        ; implicit-def: $sgpr10_sgpr11
.LBB28_32:
	v_or_b32_e32 v3, 63, v0
	v_cmp_gt_u32_sdwa s[0:1], v3, v2 src0_sel:DWORD src1_sel:BYTE_0
	v_cmp_gt_u32_sdwa s[12:13], v0, v2 src0_sel:DWORD src1_sel:BYTE_0
	s_andn2_b64 s[4:5], s[4:5], exec
	s_and_b64 s[12:13], s[12:13], exec
	s_andn2_b64 s[10:11], s[10:11], exec
	s_and_b64 s[0:1], s[0:1], exec
	s_or_b64 s[4:5], s[4:5], s[12:13]
	s_or_b64 s[10:11], s[10:11], s[0:1]
.LBB28_33:
	v_mov_b32_e32 v2, 0
	s_and_saveexec_b64 s[0:1], s[10:11]
	s_cbranch_execz .LBB28_37
; %bb.34:
	v_mov_b32_e32 v2, 0
	s_and_saveexec_b64 s[10:11], s[4:5]
	s_cbranch_execz .LBB28_36
; %bb.35:
	s_lshl_b32 s4, s6, 8
	s_mov_b32 s5, 0
	s_lshl_b64 s[4:5], s[4:5], 1
	s_add_u32 s4, s22, s4
	s_addc_u32 s5, s23, s5
	v_lshlrev_b32_e32 v2, 1, v0
	global_load_sshort v2, v2, s[4:5]
.LBB28_36:
	s_or_b64 exec, exec, s[10:11]
	v_mbcnt_hi_u32_b32 v3, -1, v1
	v_and_b32_e32 v4, 63, v3
	v_cmp_gt_u32_e32 vcc, 32, v4
	v_cndmask_b32_e64 v5, 0, 1, vcc
	v_lshlrev_b32_e32 v5, 5, v5
	v_add_lshl_u32 v5, v5, v3, 2
	s_waitcnt vmcnt(0)
	ds_bpermute_b32 v5, v5, v2
	v_cmp_gt_u32_e32 vcc, 48, v4
	v_cndmask_b32_e64 v6, 0, 1, vcc
	v_lshlrev_b32_e32 v6, 4, v6
	v_cmp_gt_u32_e32 vcc, 56, v4
	s_waitcnt lgkmcnt(0)
	v_add_u32_e32 v2, v5, v2
	v_add_lshl_u32 v5, v6, v3, 2
	ds_bpermute_b32 v5, v5, v2
	v_cndmask_b32_e64 v6, 0, 1, vcc
	v_lshlrev_b32_e32 v6, 3, v6
	v_cmp_gt_u32_e32 vcc, 60, v4
	s_waitcnt lgkmcnt(0)
	v_add_u32_e32 v2, v5, v2
	v_add_lshl_u32 v5, v6, v3, 2
	ds_bpermute_b32 v5, v5, v2
	;; [unrolled: 7-line block ×3, first 2 shown]
	v_cndmask_b32_e64 v6, 0, 1, vcc
	v_lshlrev_b32_e32 v6, 1, v6
	v_cmp_ne_u32_e32 vcc, 63, v4
	s_waitcnt lgkmcnt(0)
	v_add_u32_e32 v2, v5, v2
	v_add_lshl_u32 v5, v6, v3, 2
	ds_bpermute_b32 v5, v5, v2
	v_addc_co_u32_e32 v3, vcc, 0, v3, vcc
	v_lshlrev_b32_e32 v3, 2, v3
	s_waitcnt lgkmcnt(0)
	v_add_u32_e32 v2, v5, v2
	ds_bpermute_b32 v3, v3, v2
	s_waitcnt lgkmcnt(0)
	v_add_u32_e32 v2, v3, v2
.LBB28_37:
	s_or_b64 exec, exec, s[0:1]
	v_and_b32_e32 v3, 63, v0
	v_cmp_eq_u32_e32 vcc, 0, v3
	s_and_saveexec_b64 s[0:1], vcc
	s_cbranch_execz .LBB28_39
; %bb.38:
	v_lshrrev_b32_e32 v3, 4, v0
	v_and_b32_e32 v3, 12, v3
	ds_write_b32 v3, v2 offset:2080
.LBB28_39:
	s_or_b64 exec, exec, s[0:1]
	s_waitcnt lgkmcnt(0)
	s_barrier
	s_and_saveexec_b64 s[0:1], s[2:3]
	s_cbranch_execz .LBB28_46
; %bb.40:
	v_cmp_gt_u32_e32 vcc, 4, v0
	v_mov_b32_e32 v2, 0
	s_and_saveexec_b64 s[0:1], vcc
	s_cbranch_execz .LBB28_42
; %bb.41:
	v_lshlrev_b32_e32 v2, 2, v0
	ds_read_b32 v2, v2 offset:2080
.LBB28_42:
	s_or_b64 exec, exec, s[0:1]
	v_mbcnt_hi_u32_b32 v1, -1, v1
	v_and_b32_e32 v3, 63, v1
	v_cmp_gt_u32_e32 vcc, 62, v3
	v_cndmask_b32_e64 v4, 0, 1, vcc
	v_lshlrev_b32_e32 v4, 1, v4
	v_add_lshl_u32 v4, v4, v1, 2
	s_waitcnt lgkmcnt(0)
	ds_bpermute_b32 v4, v4, v2
	v_cmp_ne_u32_e32 vcc, 63, v3
	v_addc_co_u32_e32 v3, vcc, 0, v1, vcc
	v_cmp_eq_u32_e32 vcc, 0, v0
	s_waitcnt lgkmcnt(0)
	v_add_u32_e32 v1, v4, v2
	v_lshlrev_b32_e32 v2, 2, v3
	ds_bpermute_b32 v2, v2, v1
	s_and_saveexec_b64 s[0:1], vcc
	s_cbranch_execz .LBB28_44
; %bb.43:
	s_lshl_b64 s[2:3], s[6:7], 2
	s_add_u32 s2, s8, s2
	s_addc_u32 s3, s9, s3
	v_mov_b32_e32 v3, 0
	global_load_dword v4, v3, s[2:3]
	s_waitcnt vmcnt(0) lgkmcnt(0)
	v_add3_u32 v1, v2, v1, v4
	global_store_dword v3, v1, s[2:3]
.LBB28_44:
	s_or_b64 exec, exec, s[0:1]
	v_or_b32_e32 v0, s17, v0
	v_cmp_eq_u32_e32 vcc, 0, v0
	s_and_b64 exec, exec, vcc
	s_cbranch_execz .LBB28_46
; %bb.45:
	v_mov_b32_e32 v0, 0
	ds_read_b32 v1, v0 offset:2096
	s_lshl_b32 s0, s6, 8
	s_mov_b32 s1, 0
	s_lshl_b64 s[0:1], s[0:1], 1
	s_add_u32 s0, s22, s0
	s_waitcnt lgkmcnt(1)
	v_mov_b32_e32 v2, 1
	s_addc_u32 s1, s23, s1
	s_waitcnt lgkmcnt(0)
	v_lshlrev_b32_sdwa v1, v2, v1 dst_sel:DWORD dst_unused:UNUSED_PAD src0_sel:DWORD src1_sel:BYTE_0
	global_load_sshort v1, v1, s[0:1]
	s_lshl_b64 s[0:1], s[6:7], 2
	s_add_u32 s0, s28, s0
	s_addc_u32 s1, s29, s1
	s_waitcnt vmcnt(0)
	global_store_dword v0, v1, s[0:1]
.LBB28_46:
	s_endpgm
.LBB28_47:
	s_cbranch_execnz .LBB28_15
	s_branch .LBB28_16
	.section	.rodata,"a",@progbits
	.p2align	6, 0x0
	.amdhsa_kernel _ZN2at6native6mbtopk29computeBlockwiseWithinKCountsIjiEEvPT_PsPjjibS6_PT0_S6_S4_S6_j
		.amdhsa_group_segment_fixed_size 2100
		.amdhsa_private_segment_fixed_size 0
		.amdhsa_kernarg_size 344
		.amdhsa_user_sgpr_count 6
		.amdhsa_user_sgpr_private_segment_buffer 1
		.amdhsa_user_sgpr_dispatch_ptr 0
		.amdhsa_user_sgpr_queue_ptr 0
		.amdhsa_user_sgpr_kernarg_segment_ptr 1
		.amdhsa_user_sgpr_dispatch_id 0
		.amdhsa_user_sgpr_flat_scratch_init 0
		.amdhsa_user_sgpr_kernarg_preload_length 0
		.amdhsa_user_sgpr_kernarg_preload_offset 0
		.amdhsa_user_sgpr_private_segment_size 0
		.amdhsa_uses_dynamic_stack 0
		.amdhsa_system_sgpr_private_segment_wavefront_offset 0
		.amdhsa_system_sgpr_workgroup_id_x 1
		.amdhsa_system_sgpr_workgroup_id_y 1
		.amdhsa_system_sgpr_workgroup_id_z 1
		.amdhsa_system_sgpr_workgroup_info 0
		.amdhsa_system_vgpr_workitem_id 0
		.amdhsa_next_free_vgpr 15
		.amdhsa_next_free_sgpr 30
		.amdhsa_accum_offset 16
		.amdhsa_reserve_vcc 1
		.amdhsa_reserve_flat_scratch 0
		.amdhsa_float_round_mode_32 0
		.amdhsa_float_round_mode_16_64 0
		.amdhsa_float_denorm_mode_32 3
		.amdhsa_float_denorm_mode_16_64 3
		.amdhsa_dx10_clamp 1
		.amdhsa_ieee_mode 1
		.amdhsa_fp16_overflow 0
		.amdhsa_tg_split 0
		.amdhsa_exception_fp_ieee_invalid_op 0
		.amdhsa_exception_fp_denorm_src 0
		.amdhsa_exception_fp_ieee_div_zero 0
		.amdhsa_exception_fp_ieee_overflow 0
		.amdhsa_exception_fp_ieee_underflow 0
		.amdhsa_exception_fp_ieee_inexact 0
		.amdhsa_exception_int_div_zero 0
	.end_amdhsa_kernel
	.section	.text._ZN2at6native6mbtopk29computeBlockwiseWithinKCountsIjiEEvPT_PsPjjibS6_PT0_S6_S4_S6_j,"axG",@progbits,_ZN2at6native6mbtopk29computeBlockwiseWithinKCountsIjiEEvPT_PsPjjibS6_PT0_S6_S4_S6_j,comdat
.Lfunc_end28:
	.size	_ZN2at6native6mbtopk29computeBlockwiseWithinKCountsIjiEEvPT_PsPjjibS6_PT0_S6_S4_S6_j, .Lfunc_end28-_ZN2at6native6mbtopk29computeBlockwiseWithinKCountsIjiEEvPT_PsPjjibS6_PT0_S6_S4_S6_j
                                        ; -- End function
	.section	.AMDGPU.csdata,"",@progbits
; Kernel info:
; codeLenInByte = 2296
; NumSgprs: 34
; NumVgprs: 15
; NumAgprs: 0
; TotalNumVgprs: 15
; ScratchSize: 0
; MemoryBound: 0
; FloatMode: 240
; IeeeMode: 1
; LDSByteSize: 2100 bytes/workgroup (compile time only)
; SGPRBlocks: 4
; VGPRBlocks: 1
; NumSGPRsForWavesPerEU: 34
; NumVGPRsForWavesPerEU: 15
; AccumOffset: 16
; Occupancy: 8
; WaveLimiterHint : 1
; COMPUTE_PGM_RSRC2:SCRATCH_EN: 0
; COMPUTE_PGM_RSRC2:USER_SGPR: 6
; COMPUTE_PGM_RSRC2:TRAP_HANDLER: 0
; COMPUTE_PGM_RSRC2:TGID_X_EN: 1
; COMPUTE_PGM_RSRC2:TGID_Y_EN: 1
; COMPUTE_PGM_RSRC2:TGID_Z_EN: 1
; COMPUTE_PGM_RSRC2:TIDIG_COMP_CNT: 0
; COMPUTE_PGM_RSRC3_GFX90A:ACCUM_OFFSET: 3
; COMPUTE_PGM_RSRC3_GFX90A:TG_SPLIT: 0
	.section	.text._ZN2at6native6mbtopk10gatherTopKIijLi1EEEvNS_4cuda6detail10TensorInfoIKT_T0_EES8_S8_bjS8_NS5_IS6_S8_EES8_NS5_IlS8_EES8_jjPS6_PjSD_j,"axG",@progbits,_ZN2at6native6mbtopk10gatherTopKIijLi1EEEvNS_4cuda6detail10TensorInfoIKT_T0_EES8_S8_bjS8_NS5_IS6_S8_EES8_NS5_IlS8_EES8_jjPS6_PjSD_j,comdat
	.protected	_ZN2at6native6mbtopk10gatherTopKIijLi1EEEvNS_4cuda6detail10TensorInfoIKT_T0_EES8_S8_bjS8_NS5_IS6_S8_EES8_NS5_IlS8_EES8_jjPS6_PjSD_j ; -- Begin function _ZN2at6native6mbtopk10gatherTopKIijLi1EEEvNS_4cuda6detail10TensorInfoIKT_T0_EES8_S8_bjS8_NS5_IS6_S8_EES8_NS5_IlS8_EES8_jjPS6_PjSD_j
	.globl	_ZN2at6native6mbtopk10gatherTopKIijLi1EEEvNS_4cuda6detail10TensorInfoIKT_T0_EES8_S8_bjS8_NS5_IS6_S8_EES8_NS5_IlS8_EES8_jjPS6_PjSD_j
	.p2align	8
	.type	_ZN2at6native6mbtopk10gatherTopKIijLi1EEEvNS_4cuda6detail10TensorInfoIKT_T0_EES8_S8_bjS8_NS5_IS6_S8_EES8_NS5_IlS8_EES8_jjPS6_PjSD_j,@function
_ZN2at6native6mbtopk10gatherTopKIijLi1EEEvNS_4cuda6detail10TensorInfoIKT_T0_EES8_S8_bjS8_NS5_IS6_S8_EES8_NS5_IlS8_EES8_jjPS6_PjSD_j: ; @_ZN2at6native6mbtopk10gatherTopKIijLi1EEEvNS_4cuda6detail10TensorInfoIKT_T0_EES8_S8_bjS8_NS5_IS6_S8_EES8_NS5_IlS8_EES8_jjPS6_PjSD_j
; %bb.0:
	s_load_dwordx2 s[0:1], s[4:5], 0x2d8
	s_load_dword s2, s[4:5], 0x2d0
	s_waitcnt lgkmcnt(0)
	s_mul_i32 s1, s1, s8
	s_add_i32 s1, s1, s7
	s_mul_i32 s0, s1, s0
	s_add_i32 s0, s0, s6
	s_cmp_ge_u32 s0, s2
	s_cbranch_scc1 .LBB29_40
; %bb.1:
	s_load_dwordx8 s[8:15], s[4:5], 0x2a8
	s_mov_b32 s25, 0
	s_load_dwordx2 s[6:7], s[4:5], 0x1d0
	s_load_dwordx2 s[20:21], s[4:5], 0xf0
	;; [unrolled: 1-line block ×3, first 2 shown]
	s_waitcnt lgkmcnt(0)
	v_cvt_f32_u32_e32 v1, s10
	s_sub_i32 s1, 0, s10
	v_rcp_iflag_f32_e32 v1, v1
	v_mul_f32_e32 v1, 0x4f7ffffe, v1
	v_cvt_u32_f32_e32 v1, v1
	v_readfirstlane_b32 s2, v1
	s_mul_i32 s1, s1, s2
	s_mul_hi_u32 s1, s2, s1
	s_add_i32 s2, s2, s1
	s_mul_hi_u32 s1, s0, s2
	s_mul_i32 s2, s1, s10
	s_sub_i32 s2, s0, s2
	s_add_i32 s3, s1, 1
	s_sub_i32 s11, s2, s10
	s_cmp_ge_u32 s2, s10
	s_cselect_b32 s1, s3, s1
	s_cselect_b32 s2, s11, s2
	s_add_i32 s3, s1, 1
	s_cmp_ge_u32 s2, s10
	s_cselect_b32 s24, s3, s1
	s_mul_i32 s16, s24, s10
	s_sub_i32 s11, s0, s16
	s_lshl_b64 s[0:1], s[24:25], 2
	s_add_u32 s0, s12, s0
	s_addc_u32 s1, s13, s1
	s_load_dword s33, s[0:1], 0x0
	v_cmp_ne_u32_e64 s[0:1], 0, v0
	v_cmp_eq_u32_e64 s[2:3], 0, v0
	s_and_saveexec_b64 s[12:13], s[2:3]
	s_cbranch_execz .LBB29_17
; %bb.2:
	s_load_dwordx2 s[26:27], s[4:5], 0x2c8
	s_mov_b32 s17, s25
	s_lshl_b64 s[28:29], s[16:17], 2
	s_add_u32 s16, s14, s28
	s_addc_u32 s17, s15, s29
	s_waitcnt lgkmcnt(0)
	s_add_u32 s18, s26, s28
	s_addc_u32 s19, s27, s29
	s_cmp_lt_u32 s10, 4
	s_cbranch_scc1 .LBB29_14
; %bb.3:
	s_mov_b32 s34, s25
	s_mov_b32 s35, s25
	;; [unrolled: 1-line block ×3, first 2 shown]
.LBB29_4:                               ; =>This Inner Loop Header: Depth=1
	s_add_u32 s16, s14, s28
	s_addc_u32 s17, s15, s29
	s_load_dwordx4 s[16:19], s[16:17], 0x0
	s_add_u32 s30, s26, s28
	s_addc_u32 s31, s27, s29
	s_cmp_ge_u32 s36, s11
	s_cbranch_scc0 .LBB29_11
; %bb.5:                                ;   in Loop: Header=BB29_4 Depth=1
	s_add_i32 s37, s36, 1
	s_cmp_ge_u32 s37, s11
	s_cbranch_scc0 .LBB29_12
.LBB29_6:                               ;   in Loop: Header=BB29_4 Depth=1
	s_add_i32 s37, s37, 1
	s_cmp_ge_u32 s37, s11
	s_cbranch_scc0 .LBB29_13
.LBB29_7:                               ;   in Loop: Header=BB29_4 Depth=1
	s_add_i32 s37, s37, 1
	s_cmp_ge_u32 s37, s11
	s_cbranch_scc1 .LBB29_9
.LBB29_8:                               ;   in Loop: Header=BB29_4 Depth=1
	s_load_dword s30, s[30:31], 0xc
	s_waitcnt lgkmcnt(0)
	s_add_i32 s25, s25, s19
	s_add_i32 s34, s30, s34
.LBB29_9:                               ;   in Loop: Header=BB29_4 Depth=1
	s_waitcnt lgkmcnt(0)
	s_add_i32 s16, s16, s35
	s_add_i32 s16, s16, s17
	;; [unrolled: 1-line block ×4, first 2 shown]
	s_add_u32 s14, s14, 16
	s_addc_u32 s15, s15, 0
	s_add_u32 s26, s26, 16
	s_addc_u32 s27, s27, 0
	s_add_i32 s31, s37, 4
	s_add_u32 s18, s26, s28
	s_addc_u32 s19, s27, s29
	s_add_u32 s16, s14, s28
	s_addc_u32 s17, s15, s29
	s_add_i32 s30, s37, 1
	s_cmp_ge_u32 s31, s10
	s_cbranch_scc1 .LBB29_15
; %bb.10:                               ;   in Loop: Header=BB29_4 Depth=1
	s_mov_b32 s36, s30
	s_branch .LBB29_4
.LBB29_11:                              ;   in Loop: Header=BB29_4 Depth=1
	s_load_dword s37, s[30:31], 0x0
	s_waitcnt lgkmcnt(0)
	s_add_i32 s25, s16, s25
	s_add_i32 s34, s37, s34
	;; [unrolled: 1-line block ×3, first 2 shown]
	s_cmp_ge_u32 s37, s11
	s_cbranch_scc1 .LBB29_6
.LBB29_12:                              ;   in Loop: Header=BB29_4 Depth=1
	s_load_dword s38, s[30:31], 0x4
	s_waitcnt lgkmcnt(0)
	s_add_i32 s25, s25, s17
	s_add_i32 s34, s38, s34
	;; [unrolled: 1-line block ×3, first 2 shown]
	s_cmp_ge_u32 s37, s11
	s_cbranch_scc1 .LBB29_7
.LBB29_13:                              ;   in Loop: Header=BB29_4 Depth=1
	s_load_dword s38, s[30:31], 0x8
	s_waitcnt lgkmcnt(0)
	s_add_i32 s25, s25, s18
	s_add_i32 s34, s38, s34
	;; [unrolled: 1-line block ×3, first 2 shown]
	s_cmp_ge_u32 s37, s11
	s_cbranch_scc0 .LBB29_8
	s_branch .LBB29_9
.LBB29_14:
	s_mov_b32 s34, 0
	s_mov_b32 s35, 0
	;; [unrolled: 1-line block ×3, first 2 shown]
	s_cmp_ge_u32 s14, s10
	s_cbranch_scc0 .LBB29_38
	s_branch .LBB29_16
.LBB29_15:
	s_add_i32 s14, s36, 4
	s_cmp_ge_u32 s14, s10
	s_cbranch_scc0 .LBB29_38
.LBB29_16:
	v_mov_b32_e32 v2, s34
	v_mov_b32_e32 v3, s35
	;; [unrolled: 1-line block ×4, first 2 shown]
	ds_write_b96 v1, v[2:4] offset:1056
.LBB29_17:
	s_or_b64 exec, exec, s[12:13]
	s_load_dword s16, s[4:5], 0x23c
	s_load_dword s17, s[4:5], 0x15c
	;; [unrolled: 1-line block ×3, first 2 shown]
	s_load_dwordx4 s[12:15], s[4:5], 0xd8
	s_mul_i32 s19, s9, s11
	s_lshl_b32 s25, s19, 8
	s_waitcnt lgkmcnt(0)
	s_add_i32 s15, s11, 1
	s_mov_b32 s11, 0
	s_sub_i32 s19, s12, s25
	s_add_u32 s19, s19, 0xff
	s_addc_u32 s26, 0, 0
	v_mov_b32_e32 v1, s19
	v_alignbit_b32 v1, s26, v1, 8
	s_cmp_lt_u32 s15, s10
	v_readfirstlane_b32 s10, v1
	s_cselect_b32 s9, s9, s10
	s_cmp_eq_u32 s9, 0
	s_barrier
	s_cbranch_scc1 .LBB29_40
; %bb.18:
	s_mul_i32 s10, s24, s18
	v_mov_b32_e32 v1, 0
	s_mul_i32 s18, s24, s17
	s_mul_i32 s26, s24, s16
	s_lshl_b64 s[16:17], s[10:11], 2
	ds_read_b96 v[2:4], v1 offset:1056
	s_add_u32 s15, s22, s16
	s_mov_b32 s19, s11
	s_addc_u32 s16, s23, s17
	s_lshl_b64 s[18:19], s[18:19], 2
	s_add_u32 s17, s20, s18
	s_mov_b32 s27, s11
	s_addc_u32 s18, s21, s19
	s_lshl_b64 s[10:11], s[26:27], 3
	s_add_u32 s19, s6, s10
	s_waitcnt lgkmcnt(0)
	v_add_u32_e32 v5, v2, v3
	v_lshrrev_b32_e32 v2, 5, v0
	s_addc_u32 s20, s7, s11
	s_xor_b32 s21, s33, 0x80000000
	v_add_lshl_u32 v6, v2, v0, 2
	v_lshlrev_b32_e32 v2, 2, v0
	v_lshrrev_b32_e32 v3, 3, v0
	s_bitcmp1_b32 s14, 0
	s_load_dword s10, s[4:5], 0xe8
	s_load_dword s14, s[4:5], 0x1c8
	v_add_lshl_u32 v7, v3, v2, 2
	v_add_u32_e32 v2, -1, v0
	v_lshrrev_b32_e32 v3, 5, v2
	v_add_lshl_u32 v8, v3, v2, 2
	v_mbcnt_lo_u32_b32 v3, -1, 0
	v_add_u32_e32 v2, s25, v0
	v_mbcnt_hi_u32_b32 v9, -1, v3
	s_cselect_b64 s[6:7], -1, 0
	v_cmp_gt_u32_e64 s[4:5], 64, v0
	s_waitcnt lgkmcnt(0)
	v_mul_lo_u32 v0, s10, v2
	s_lshl_b32 s22, s10, 8
	v_and_b32_e32 v10, 15, v9
	v_bfe_i32 v11, v9, 4, 1
	v_add_u32_e32 v12, -1, v9
	v_and_b32_e32 v13, 64, v9
                                        ; implicit-def: $vgpr14
	s_branch .LBB29_21
.LBB29_19:                              ;   in Loop: Header=BB29_21 Depth=1
	s_or_b64 exec, exec, s[10:11]
	v_add_u32_e32 v5, v17, v5
.LBB29_20:                              ;   in Loop: Header=BB29_21 Depth=1
	s_add_i32 s9, s9, -1
	v_add_u32_e32 v4, v16, v4
	v_add_u32_e32 v0, s22, v0
	s_cmp_lg_u32 s9, 0
	v_add_u32_e32 v2, 0x100, v2
	s_cbranch_scc0 .LBB29_40
.LBB29_21:                              ; =>This Inner Loop Header: Depth=1
	v_cmp_gt_u32_e32 vcc, s12, v2
	v_mov_b32_e32 v3, 0
	v_mov_b32_e32 v15, 0
	s_and_saveexec_b64 s[10:11], vcc
	s_cbranch_execz .LBB29_23
; %bb.22:                               ;   in Loop: Header=BB29_21 Depth=1
	v_lshlrev_b64 v[14:15], 2, v[0:1]
	v_mov_b32_e32 v3, s16
	v_add_co_u32_e32 v14, vcc, s15, v14
	v_addc_co_u32_e32 v15, vcc, v3, v15, vcc
	global_load_dword v14, v[14:15], off
	s_waitcnt vmcnt(0)
	v_xor_b32_e32 v3, 0x80000000, v14
	v_cmp_lt_u32_e32 vcc, s21, v3
	v_cndmask_b32_e64 v15, 0, 1, vcc
	v_cmp_gt_u32_e32 vcc, s21, v3
	v_cndmask_b32_e64 v3, 0, 1, vcc
	v_cndmask_b32_e64 v3, v3, v15, s[6:7]
	v_cmp_eq_u32_e32 vcc, s33, v14
	v_and_b32_e32 v3, 1, v3
	v_cndmask_b32_e64 v15, 0, 1, vcc
.LBB29_23:                              ;   in Loop: Header=BB29_21 Depth=1
	s_or_b64 exec, exec, s[10:11]
	ds_write_b32 v6, v3
	s_waitcnt lgkmcnt(0)
	s_barrier
	s_and_saveexec_b64 s[10:11], s[4:5]
	s_cbranch_execz .LBB29_25
; %bb.24:                               ;   in Loop: Header=BB29_21 Depth=1
	ds_read2_b32 v[16:17], v7 offset1:1
	ds_read2_b32 v[18:19], v7 offset0:2 offset1:3
	v_cmp_ne_u32_e32 vcc, 0, v10
	; wave barrier
	s_waitcnt lgkmcnt(1)
	v_add_u32_e32 v17, v17, v16
	s_waitcnt lgkmcnt(0)
	v_add3_u32 v17, v17, v18, v19
	s_nop 1
	v_mov_b32_dpp v18, v17 row_shr:1 row_mask:0xf bank_mask:0xf
	v_cndmask_b32_e32 v18, 0, v18, vcc
	v_add_u32_e32 v17, v18, v17
	v_cmp_lt_u32_e32 vcc, 1, v10
	s_nop 0
	v_mov_b32_dpp v18, v17 row_shr:2 row_mask:0xf bank_mask:0xf
	v_cndmask_b32_e32 v18, 0, v18, vcc
	v_add_u32_e32 v17, v17, v18
	v_cmp_lt_u32_e32 vcc, 3, v10
	;; [unrolled: 5-line block ×4, first 2 shown]
	s_nop 0
	v_mov_b32_dpp v18, v17 row_bcast:15 row_mask:0xf bank_mask:0xf
	v_and_b32_e32 v18, v11, v18
	v_add_u32_e32 v17, v17, v18
	s_nop 1
	v_mov_b32_dpp v18, v17 row_bcast:31 row_mask:0xf bank_mask:0xf
	v_cndmask_b32_e32 v18, 0, v18, vcc
	v_cmp_lt_i32_e32 vcc, v12, v13
	v_add_u32_e32 v17, v17, v18
	v_cndmask_b32_e32 v18, v12, v9, vcc
	v_lshlrev_b32_e32 v18, 2, v18
	ds_bpermute_b32 v17, v18, v17
	s_waitcnt lgkmcnt(0)
	v_add_u32_e32 v16, v17, v16
	v_cndmask_b32_e64 v18, v16, v3, s[2:3]
	ds_write_b32 v7, v18
	; wave barrier
	ds_read2_b32 v[16:17], v7 offset0:1 offset1:2
	ds_read_b32 v19, v7 offset:12
	s_waitcnt lgkmcnt(1)
	v_add_u32_e32 v16, v16, v18
	v_add_u32_e32 v17, v17, v16
	ds_write2_b32 v7, v16, v17 offset0:1 offset1:2
	s_waitcnt lgkmcnt(1)
	v_add_u32_e32 v16, v19, v17
	ds_write_b32 v7, v16 offset:12
.LBB29_25:                              ;   in Loop: Header=BB29_21 Depth=1
	s_or_b64 exec, exec, s[10:11]
	v_mov_b32_e32 v17, 0
	s_waitcnt lgkmcnt(0)
	s_barrier
	s_and_saveexec_b64 s[10:11], s[0:1]
	s_cbranch_execz .LBB29_27
; %bb.26:                               ;   in Loop: Header=BB29_21 Depth=1
	ds_read_b32 v17, v8
.LBB29_27:                              ;   in Loop: Header=BB29_21 Depth=1
	s_or_b64 exec, exec, s[10:11]
	ds_read_b32 v16, v1 offset:1048
	v_cmp_ne_u32_e32 vcc, 0, v3
	s_waitcnt lgkmcnt(0)
	s_barrier
	s_and_saveexec_b64 s[10:11], vcc
	s_cbranch_execz .LBB29_29
; %bb.28:                               ;   in Loop: Header=BB29_21 Depth=1
	v_add_u32_e32 v17, v17, v4
	v_mul_lo_u32 v18, v17, s14
	v_mov_b32_e32 v19, v1
	v_lshlrev_b64 v[18:19], 2, v[18:19]
	v_mov_b32_e32 v3, s18
	v_add_co_u32_e32 v18, vcc, s17, v18
	v_addc_co_u32_e32 v19, vcc, v3, v19, vcc
	global_store_dword v[18:19], v14, off
	v_mul_lo_u32 v18, v17, s8
	v_mov_b32_e32 v19, v1
	v_lshlrev_b64 v[18:19], 3, v[18:19]
	v_mov_b32_e32 v17, s20
	v_add_co_u32_e32 v18, vcc, s19, v18
	v_mov_b32_e32 v3, v1
	v_addc_co_u32_e32 v19, vcc, v17, v19, vcc
	global_store_dwordx2 v[18:19], v[2:3], off
.LBB29_29:                              ;   in Loop: Header=BB29_21 Depth=1
	s_or_b64 exec, exec, s[10:11]
	v_cmp_le_u32_e32 vcc, s13, v5
	s_cbranch_vccnz .LBB29_20
; %bb.30:                               ;   in Loop: Header=BB29_21 Depth=1
	ds_write_b32 v6, v15
	s_waitcnt lgkmcnt(0)
	s_barrier
	s_and_saveexec_b64 s[10:11], s[4:5]
	s_cbranch_execz .LBB29_32
; %bb.31:                               ;   in Loop: Header=BB29_21 Depth=1
	ds_read2_b32 v[18:19], v7 offset1:1
	ds_read2_b32 v[20:21], v7 offset0:2 offset1:3
	v_cmp_ne_u32_e32 vcc, 0, v10
	; wave barrier
	s_waitcnt lgkmcnt(1)
	v_add_u32_e32 v3, v19, v18
	s_waitcnt lgkmcnt(0)
	v_add3_u32 v3, v3, v20, v21
	s_nop 1
	v_mov_b32_dpp v17, v3 row_shr:1 row_mask:0xf bank_mask:0xf
	v_cndmask_b32_e32 v17, 0, v17, vcc
	v_add_u32_e32 v3, v17, v3
	v_cmp_lt_u32_e32 vcc, 1, v10
	s_nop 0
	v_mov_b32_dpp v17, v3 row_shr:2 row_mask:0xf bank_mask:0xf
	v_cndmask_b32_e32 v17, 0, v17, vcc
	v_add_u32_e32 v3, v3, v17
	v_cmp_lt_u32_e32 vcc, 3, v10
	;; [unrolled: 5-line block ×4, first 2 shown]
	s_nop 0
	v_mov_b32_dpp v17, v3 row_bcast:15 row_mask:0xf bank_mask:0xf
	v_and_b32_e32 v17, v11, v17
	v_add_u32_e32 v3, v3, v17
	s_nop 1
	v_mov_b32_dpp v17, v3 row_bcast:31 row_mask:0xf bank_mask:0xf
	v_cndmask_b32_e32 v17, 0, v17, vcc
	v_cmp_lt_i32_e32 vcc, v12, v13
	v_add_u32_e32 v3, v3, v17
	v_cndmask_b32_e32 v17, v12, v9, vcc
	v_lshlrev_b32_e32 v17, 2, v17
	ds_bpermute_b32 v3, v17, v3
	s_waitcnt lgkmcnt(0)
	v_add_u32_e32 v3, v3, v18
	v_cndmask_b32_e64 v3, v3, v15, s[2:3]
	ds_write_b32 v7, v3
	; wave barrier
	ds_read2_b32 v[18:19], v7 offset0:1 offset1:2
	ds_read_b32 v17, v7 offset:12
	s_waitcnt lgkmcnt(1)
	v_add_u32_e32 v3, v18, v3
	v_add_u32_e32 v18, v19, v3
	ds_write2_b32 v7, v3, v18 offset0:1 offset1:2
	s_waitcnt lgkmcnt(1)
	v_add_u32_e32 v3, v17, v18
	ds_write_b32 v7, v3 offset:12
.LBB29_32:                              ;   in Loop: Header=BB29_21 Depth=1
	s_or_b64 exec, exec, s[10:11]
	v_mov_b32_e32 v3, 0
	s_waitcnt lgkmcnt(0)
	s_barrier
	s_and_saveexec_b64 s[10:11], s[0:1]
	s_cbranch_execz .LBB29_34
; %bb.33:                               ;   in Loop: Header=BB29_21 Depth=1
	ds_read_b32 v3, v8
.LBB29_34:                              ;   in Loop: Header=BB29_21 Depth=1
	s_or_b64 exec, exec, s[10:11]
	ds_read_b32 v17, v1 offset:1048
	v_cmp_ne_u32_e32 vcc, 0, v15
	s_waitcnt lgkmcnt(0)
	s_barrier
	s_and_saveexec_b64 s[10:11], vcc
	s_cbranch_execz .LBB29_19
; %bb.35:                               ;   in Loop: Header=BB29_21 Depth=1
	v_add_u32_e32 v15, v3, v5
	v_cmp_gt_u32_e32 vcc, s13, v15
	s_and_b64 exec, exec, vcc
	s_cbranch_execz .LBB29_19
; %bb.36:                               ;   in Loop: Header=BB29_21 Depth=1
	v_mul_lo_u32 v18, v15, s14
	v_mov_b32_e32 v19, v1
	v_lshlrev_b64 v[18:19], 2, v[18:19]
	v_mov_b32_e32 v3, s18
	v_add_co_u32_e32 v18, vcc, s17, v18
	v_addc_co_u32_e32 v19, vcc, v3, v19, vcc
	global_store_dword v[18:19], v14, off
	v_mul_lo_u32 v18, v15, s8
	v_mov_b32_e32 v19, v1
	v_lshlrev_b64 v[18:19], 3, v[18:19]
	v_mov_b32_e32 v15, s20
	v_add_co_u32_e32 v18, vcc, s19, v18
	v_mov_b32_e32 v3, v1
	v_addc_co_u32_e32 v19, vcc, v15, v19, vcc
	global_store_dwordx2 v[18:19], v[2:3], off
	s_branch .LBB29_19
.LBB29_37:                              ;   in Loop: Header=BB29_38 Depth=1
	s_add_u32 s16, s16, 4
	s_addc_u32 s17, s17, 0
	s_waitcnt lgkmcnt(0)
	s_add_i32 s35, s15, s35
	s_add_u32 s18, s18, 4
	s_addc_u32 s19, s19, 0
	s_add_i32 s14, s14, 1
	s_cmp_lt_u32 s14, s10
	s_cbranch_scc0 .LBB29_16
.LBB29_38:                              ; =>This Inner Loop Header: Depth=1
	s_load_dword s15, s[16:17], 0x0
	s_cmp_ge_u32 s14, s11
	s_cbranch_scc1 .LBB29_37
; %bb.39:                               ;   in Loop: Header=BB29_38 Depth=1
	s_load_dword s26, s[18:19], 0x0
	s_waitcnt lgkmcnt(0)
	s_add_i32 s25, s15, s25
	s_add_i32 s34, s26, s34
	s_branch .LBB29_37
.LBB29_40:
	s_endpgm
	.section	.rodata,"a",@progbits
	.p2align	6, 0x0
	.amdhsa_kernel _ZN2at6native6mbtopk10gatherTopKIijLi1EEEvNS_4cuda6detail10TensorInfoIKT_T0_EES8_S8_bjS8_NS5_IS6_S8_EES8_NS5_IlS8_EES8_jjPS6_PjSD_j
		.amdhsa_group_segment_fixed_size 1068
		.amdhsa_private_segment_fixed_size 0
		.amdhsa_kernarg_size 984
		.amdhsa_user_sgpr_count 6
		.amdhsa_user_sgpr_private_segment_buffer 1
		.amdhsa_user_sgpr_dispatch_ptr 0
		.amdhsa_user_sgpr_queue_ptr 0
		.amdhsa_user_sgpr_kernarg_segment_ptr 1
		.amdhsa_user_sgpr_dispatch_id 0
		.amdhsa_user_sgpr_flat_scratch_init 0
		.amdhsa_user_sgpr_kernarg_preload_length 0
		.amdhsa_user_sgpr_kernarg_preload_offset 0
		.amdhsa_user_sgpr_private_segment_size 0
		.amdhsa_uses_dynamic_stack 0
		.amdhsa_system_sgpr_private_segment_wavefront_offset 0
		.amdhsa_system_sgpr_workgroup_id_x 1
		.amdhsa_system_sgpr_workgroup_id_y 1
		.amdhsa_system_sgpr_workgroup_id_z 1
		.amdhsa_system_sgpr_workgroup_info 0
		.amdhsa_system_vgpr_workitem_id 0
		.amdhsa_next_free_vgpr 22
		.amdhsa_next_free_sgpr 39
		.amdhsa_accum_offset 24
		.amdhsa_reserve_vcc 1
		.amdhsa_reserve_flat_scratch 0
		.amdhsa_float_round_mode_32 0
		.amdhsa_float_round_mode_16_64 0
		.amdhsa_float_denorm_mode_32 3
		.amdhsa_float_denorm_mode_16_64 3
		.amdhsa_dx10_clamp 1
		.amdhsa_ieee_mode 1
		.amdhsa_fp16_overflow 0
		.amdhsa_tg_split 0
		.amdhsa_exception_fp_ieee_invalid_op 0
		.amdhsa_exception_fp_denorm_src 0
		.amdhsa_exception_fp_ieee_div_zero 0
		.amdhsa_exception_fp_ieee_overflow 0
		.amdhsa_exception_fp_ieee_underflow 0
		.amdhsa_exception_fp_ieee_inexact 0
		.amdhsa_exception_int_div_zero 0
	.end_amdhsa_kernel
	.section	.text._ZN2at6native6mbtopk10gatherTopKIijLi1EEEvNS_4cuda6detail10TensorInfoIKT_T0_EES8_S8_bjS8_NS5_IS6_S8_EES8_NS5_IlS8_EES8_jjPS6_PjSD_j,"axG",@progbits,_ZN2at6native6mbtopk10gatherTopKIijLi1EEEvNS_4cuda6detail10TensorInfoIKT_T0_EES8_S8_bjS8_NS5_IS6_S8_EES8_NS5_IlS8_EES8_jjPS6_PjSD_j,comdat
.Lfunc_end29:
	.size	_ZN2at6native6mbtopk10gatherTopKIijLi1EEEvNS_4cuda6detail10TensorInfoIKT_T0_EES8_S8_bjS8_NS5_IS6_S8_EES8_NS5_IlS8_EES8_jjPS6_PjSD_j, .Lfunc_end29-_ZN2at6native6mbtopk10gatherTopKIijLi1EEEvNS_4cuda6detail10TensorInfoIKT_T0_EES8_S8_bjS8_NS5_IS6_S8_EES8_NS5_IlS8_EES8_jjPS6_PjSD_j
                                        ; -- End function
	.section	.AMDGPU.csdata,"",@progbits
; Kernel info:
; codeLenInByte = 2080
; NumSgprs: 43
; NumVgprs: 22
; NumAgprs: 0
; TotalNumVgprs: 22
; ScratchSize: 0
; MemoryBound: 0
; FloatMode: 240
; IeeeMode: 1
; LDSByteSize: 1068 bytes/workgroup (compile time only)
; SGPRBlocks: 5
; VGPRBlocks: 2
; NumSGPRsForWavesPerEU: 43
; NumVGPRsForWavesPerEU: 22
; AccumOffset: 24
; Occupancy: 8
; WaveLimiterHint : 1
; COMPUTE_PGM_RSRC2:SCRATCH_EN: 0
; COMPUTE_PGM_RSRC2:USER_SGPR: 6
; COMPUTE_PGM_RSRC2:TRAP_HANDLER: 0
; COMPUTE_PGM_RSRC2:TGID_X_EN: 1
; COMPUTE_PGM_RSRC2:TGID_Y_EN: 1
; COMPUTE_PGM_RSRC2:TGID_Z_EN: 1
; COMPUTE_PGM_RSRC2:TIDIG_COMP_CNT: 0
; COMPUTE_PGM_RSRC3_GFX90A:ACCUM_OFFSET: 5
; COMPUTE_PGM_RSRC3_GFX90A:TG_SPLIT: 0
	.section	.text._ZN2at6native6sbtopk10gatherTopKIijLi1ELb0EEEvNS_4cuda6detail10TensorInfoIKT_T0_EES8_S8_bS8_S8_NS5_IS6_S8_EES8_NS5_IlS8_EES8_PS6_,"axG",@progbits,_ZN2at6native6sbtopk10gatherTopKIijLi1ELb0EEEvNS_4cuda6detail10TensorInfoIKT_T0_EES8_S8_bS8_S8_NS5_IS6_S8_EES8_NS5_IlS8_EES8_PS6_,comdat
	.protected	_ZN2at6native6sbtopk10gatherTopKIijLi1ELb0EEEvNS_4cuda6detail10TensorInfoIKT_T0_EES8_S8_bS8_S8_NS5_IS6_S8_EES8_NS5_IlS8_EES8_PS6_ ; -- Begin function _ZN2at6native6sbtopk10gatherTopKIijLi1ELb0EEEvNS_4cuda6detail10TensorInfoIKT_T0_EES8_S8_bS8_S8_NS5_IS6_S8_EES8_NS5_IlS8_EES8_PS6_
	.globl	_ZN2at6native6sbtopk10gatherTopKIijLi1ELb0EEEvNS_4cuda6detail10TensorInfoIKT_T0_EES8_S8_bS8_S8_NS5_IS6_S8_EES8_NS5_IlS8_EES8_PS6_
	.p2align	8
	.type	_ZN2at6native6sbtopk10gatherTopKIijLi1ELb0EEEvNS_4cuda6detail10TensorInfoIKT_T0_EES8_S8_bS8_S8_NS5_IS6_S8_EES8_NS5_IlS8_EES8_PS6_,@function
_ZN2at6native6sbtopk10gatherTopKIijLi1ELb0EEEvNS_4cuda6detail10TensorInfoIKT_T0_EES8_S8_bS8_S8_NS5_IS6_S8_EES8_NS5_IlS8_EES8_PS6_: ; @_ZN2at6native6sbtopk10gatherTopKIijLi1ELb0EEEvNS_4cuda6detail10TensorInfoIKT_T0_EES8_S8_bS8_S8_NS5_IS6_S8_EES8_NS5_IlS8_EES8_PS6_
; %bb.0:
	s_load_dwordx2 s[10:11], s[4:5], 0x2b8
	s_load_dwordx4 s[60:63], s[4:5], 0xd8
	s_add_u32 s2, s4, 0x2b8
	s_addc_u32 s3, s5, 0
	s_waitcnt lgkmcnt(0)
	s_mul_i32 s0, s11, s8
	s_add_i32 s0, s0, s7
	s_mul_i32 s0, s0, s10
	s_add_i32 s14, s0, s6
	s_cmp_ge_u32 s14, s63
	s_cbranch_scc1 .LBB30_414
; %bb.1:
	s_load_dwordx2 s[0:1], s[4:5], 0x1d0
                                        ; implicit-def: $vgpr52 : SGPR spill to VGPR lane
	s_mov_b32 s8, 0
	s_waitcnt lgkmcnt(0)
	v_writelane_b32 v52, s0, 0
	v_writelane_b32 v52, s1, 1
	s_load_dwordx2 s[0:1], s[4:5], 0xf0
	s_waitcnt lgkmcnt(0)
	v_writelane_b32 v52, s0, 2
	v_writelane_b32 v52, s1, 3
	s_load_dword s11, s[4:5], 0xe8
	s_load_dword s7, s[4:5], 0x6c
	s_load_dwordx2 s[0:1], s[4:5], 0x0
	v_writelane_b32 v52, s8, 4
	v_writelane_b32 v52, s9, 5
	v_cmp_eq_u32_e64 s[8:9], 0, v0
	s_mov_b64 s[12:13], exec
	v_writelane_b32 v52, s8, 6
	v_writelane_b32 v52, s9, 7
	s_and_b64 s[8:9], s[12:13], s[8:9]
	s_mov_b64 exec, s[8:9]
	s_cbranch_execz .LBB30_3
; %bb.2:
	v_mov_b32_e32 v2, 0
	v_mov_b32_e32 v3, s60
	;; [unrolled: 1-line block ×3, first 2 shown]
	ds_write_b96 v2, v[2:4] offset:4096
.LBB30_3:
	s_or_b64 exec, exec, s[12:13]
	s_load_dword s8, s[4:5], 0x23c
	s_waitcnt lgkmcnt(0)
	s_barrier
	v_mbcnt_lo_u32_b32 v1, -1, 0
	v_writelane_b32 v52, s8, 8
	v_writelane_b32 v52, s4, 9
	v_writelane_b32 v52, s5, 10
	s_load_dword s4, s[4:5], 0x15c
	s_mov_b32 s5, 0
	v_mbcnt_hi_u32_b32 v1, -1, v1
	v_cmp_gt_u32_e32 vcc, 64, v0
	v_mov_b32_e32 v11, 0
	s_waitcnt lgkmcnt(0)
	v_writelane_b32 v52, s4, 11
	s_mul_i32 s4, s7, s14
	s_lshl_b64 s[4:5], s[4:5], 2
	s_add_u32 s33, s0, s4
	s_load_dword s0, s[2:3], 0xc
	s_addc_u32 s8, s1, s5
	s_bitcmp1_b32 s62, 0
	v_writelane_b32 v52, s14, 12
	s_cselect_b64 s[4:5], -1, 0
	v_writelane_b32 v52, s4, 13
	v_writelane_b32 v52, s5, 14
	s_xor_b64 s[62:63], s[4:5], -1
	s_waitcnt lgkmcnt(0)
	s_and_b32 s9, s0, 0xffff
	s_bfe_u32 s5, s0, 0xa0006
	v_cmp_gt_i32_e64 s[0:1], 4, v1
	s_lshl_b32 s73, s9, 2
	s_and_b64 s[70:71], vcc, s[0:1]
	s_cmpk_gt_u32 s60, 0x300
	s_cselect_b64 s[0:1], -1, 0
	v_writelane_b32 v52, s0, 15
	s_cmp_gt_u32 s9, 63
	v_writelane_b32 v52, s1, 16
	s_cselect_b64 s[0:1], -1, 0
	v_writelane_b32 v52, s0, 17
	v_writelane_b32 v52, s1, 18
	s_add_i32 s0, s9, -1
	s_add_i32 s4, s0, s60
	s_cmp_lt_u32 s6, s10
	v_writelane_b32 v52, s0, 19
	s_cselect_b32 s0, 12, 18
	s_add_u32 s0, s2, s0
	s_addc_u32 s1, s3, 0
	v_writelane_b32 v52, s0, 20
	s_add_i32 s2, s5, -2
	v_writelane_b32 v52, s1, 21
	s_lshr_b32 s0, s2, 1
	s_add_i32 s3, s0, 1
	s_cmpk_gt_u32 s9, 0x7f
	s_cselect_b64 s[0:1], -1, 0
	v_writelane_b32 v52, s0, 22
	v_mul_lo_u32 v12, v0, s11
	v_mov_b32_e32 v13, v11
	v_writelane_b32 v52, s1, 23
	v_cmp_gt_u32_e64 s[6:7], s60, v0
	v_lshlrev_b64 v[2:3], 2, v[12:13]
	v_writelane_b32 v52, s6, 24
	v_mov_b32_e32 v13, s8
	v_add_co_u32_e32 v8, vcc, s33, v2
	v_lshrrev_b32_e32 v2, 4, v0
	v_writelane_b32 v52, s7, 25
	v_addc_co_u32_e32 v9, vcc, v13, v3, vcc
	v_and_b32_e32 v22, 60, v2
	v_cmp_gt_u32_e64 s[6:7], 2, v0
	v_lshlrev_b64 v[2:3], v1, -1
	v_writelane_b32 v52, s6, 26
	v_not_b32_e32 v6, v2
	v_cvt_f32_u32_e32 v2, s73
	v_writelane_b32 v52, s7, 27
	s_and_b32 s6, s5, 0x3fe
	s_and_b32 s7, s3, 7
	s_cmp_gt_u32 s2, 13
	s_cselect_b64 s[12:13], -1, 0
	v_writelane_b32 v52, s12, 28
	v_rcp_iflag_f32_e32 v2, v2
	v_writelane_b32 v52, s13, 29
	s_and_b32 s2, s3, -8
	v_writelane_b32 v52, s2, 30
	s_cmp_lg_u32 s7, 0
	v_writelane_b32 v52, s7, 31
	s_cselect_b64 s[2:3], -1, 0
	v_writelane_b32 v52, s2, 32
	v_mul_f32_e32 v2, 0x4f7ffffe, v2
	v_writelane_b32 v52, s3, 33
	v_cvt_u32_f32_e32 v2, v2
	v_writelane_b32 v52, s5, 34
	s_cmp_lg_u32 s6, s5
	v_writelane_b32 v52, s6, 35
	s_cselect_b64 s[2:3], -1, 0
	v_writelane_b32 v52, s2, 36
	v_writelane_b32 v52, s3, 37
	s_sub_i32 s2, 0, s73
	v_readfirstlane_b32 s3, v2
	v_cvt_f32_u32_e32 v2, s9
	s_mul_i32 s2, s2, s3
	s_mul_hi_u32 s2, s3, s2
	s_add_i32 s2, s3, s2
	v_writelane_b32 v52, s2, 38
	s_mul_hi_u32 s2, s60, s2
	v_rcp_iflag_f32_e32 v5, v2
	s_mul_i32 s2, s2, s73
	s_sub_i32 s2, s60, s2
	s_sub_i32 s3, s2, s73
	s_cmp_ge_u32 s2, s73
	v_mul_f32_e32 v5, 0x4f7ffffe, v5
	s_cselect_b32 s2, s3, s2
	v_cvt_u32_f32_e32 v5, v5
	s_sub_i32 s3, s2, s73
	s_cmp_ge_u32 s2, s73
	s_cselect_b32 s2, s3, s2
	v_lshlrev_b32_e32 v21, 2, v0
	s_sub_i32 s75, s60, s2
	s_sub_i32 s3, 0, s9
	v_readfirstlane_b32 s5, v5
	v_cmp_gt_u32_e64 s[6:7], s75, v21
	s_mul_i32 s3, s3, s5
	v_writelane_b32 v52, s6, 39
	s_mul_hi_u32 s3, s5, s3
	v_writelane_b32 v52, s7, 40
	s_add_i32 s3, s5, s3
	v_writelane_b32 v52, s3, 41
	s_mul_hi_u32 s3, s4, s3
	s_mul_i32 s3, s3, s9
	s_sub_i32 s3, s4, s3
	s_sub_i32 s5, s3, s9
	v_add_u32_e32 v24, s75, v0
	s_cmp_ge_u32 s3, s9
	v_mul_lo_u32 v10, v24, s11
	s_cselect_b32 s3, s5, s3
	v_not_b32_e32 v7, v3
	v_lshlrev_b64 v[2:3], 2, v[10:11]
	s_sub_i32 s5, s3, s9
	v_add_co_u32_e32 v14, vcc, s33, v2
	s_cmp_ge_u32 s3, s9
	v_mul_lo_u32 v2, s11, v21
	s_cselect_b32 s3, s5, s3
	v_add_u32_e32 v25, s11, v2
	v_or_b32_e32 v2, 2, v21
	s_sub_i32 s4, s4, s3
	v_mul_lo_u32 v26, s11, v2
	v_or_b32_e32 v2, 3, v21
	s_add_i32 s3, s9, s60
	v_cmp_gt_u32_e64 s[6:7], s4, v0
	v_mul_lo_u32 v27, s11, v2
	v_add_u32_e32 v2, s3, v0
	v_lshlrev_b32_e32 v4, 2, v1
	v_mov_b32_e32 v10, s8
	v_writelane_b32 v52, s6, 42
	s_mul_i32 s72, s11, s9
	v_subrev_u32_e32 v2, s2, v2
	v_cmp_eq_u32_e64 s[0:1], 0, v1
	v_add_u32_e32 v23, 0xc00, v21
	v_and_b32_e32 v20, 0x100, v4
	v_cmp_gt_u32_e64 s[14:15], s60, v24
	v_addc_co_u32_e32 v15, vcc, v10, v3, vcc
	v_writelane_b32 v52, s7, 43
	s_lshl_b32 s5, s72, 2
	v_lshlrev_b32_e32 v28, 2, v12
	v_mul_lo_u32 v29, s11, v2
	v_lshlrev_b32_e32 v30, 4, v0
	s_lshl_b32 s12, s9, 4
	v_or_b32_e32 v31, 0xc00, v4
	s_mov_b32 s13, 30
	s_mov_b64 s[86:87], 0
	v_mov_b32_e32 v35, s61
	v_mov_b32_e32 v16, 1
	;; [unrolled: 1-line block ×4, first 2 shown]
	s_mov_b32 s6, 0
	v_mov_b32_e32 v34, 0
	v_mov_b32_e32 v33, 0
	v_writelane_b32 v52, s11, 44
                                        ; implicit-def: $sgpr88_sgpr89
                                        ; implicit-def: $sgpr90_sgpr91
                                        ; implicit-def: $sgpr94_sgpr95
                                        ; implicit-def: $sgpr64_sgpr65
                                        ; implicit-def: $sgpr92_sgpr93
                                        ; implicit-def: $sgpr66_sgpr67
                                        ; implicit-def: $sgpr2_sgpr3
                                        ; implicit-def: $sgpr80_sgpr81
                                        ; implicit-def: $sgpr82_sgpr83
                                        ; implicit-def: $sgpr84_sgpr85
	s_branch .LBB30_6
.LBB30_4:                               ;   in Loop: Header=BB30_6 Depth=1
	s_or_b64 exec, exec, s[22:23]
	s_andn2_b64 s[10:11], s[84:85], exec
	s_and_b64 s[16:17], s[16:17], exec
	s_or_b64 s[84:85], s[10:11], s[16:17]
	s_andn2_b64 s[82:83], s[82:83], exec
	s_andn2_b64 s[80:81], s[80:81], exec
	;; [unrolled: 1-line block ×4, first 2 shown]
	s_orn2_b64 s[24:25], s[20:21], exec
	v_mov_b32_e32 v33, v5
	v_mov_b32_e32 v34, v4
	;; [unrolled: 1-line block ×4, first 2 shown]
.LBB30_5:                               ;   in Loop: Header=BB30_6 Depth=1
	s_or_b64 exec, exec, s[18:19]
	s_and_b64 s[10:11], exec, s[24:25]
	s_or_b64 s[86:87], s[10:11], s[86:87]
	s_andn2_b64 s[10:11], s[92:93], exec
	s_and_b64 s[16:17], s[84:85], exec
	s_or_b64 s[92:93], s[10:11], s[16:17]
	s_andn2_b64 s[10:11], s[64:65], exec
	s_and_b64 s[16:17], s[82:83], exec
	;; [unrolled: 3-line block ×5, first 2 shown]
	s_or_b64 s[88:89], s[10:11], s[16:17]
	s_andn2_b64 exec, exec, s[86:87]
	s_cbranch_execz .LBB30_410
.LBB30_6:                               ; =>This Loop Header: Depth=1
                                        ;     Child Loop BB30_14 Depth 2
                                        ;     Child Loop BB30_32 Depth 2
	;; [unrolled: 1-line block ×25, first 2 shown]
	ds_read_b64 v[2:3], v11 offset:4096
	s_waitcnt lgkmcnt(0)
	v_readfirstlane_b32 s7, v2
	s_cmp_lg_u32 s7, 0
	s_cbranch_scc1 .LBB30_39
; %bb.7:                                ;   in Loop: Header=BB30_6 Depth=1
	v_readlane_b32 s10, v52, 15
	v_readlane_b32 s11, v52, 16
	s_and_b64 vcc, exec, s[10:11]
	s_cbranch_vccz .LBB30_22
; %bb.8:                                ;   in Loop: Header=BB30_6 Depth=1
	s_movk_i32 s7, 0x301
	v_cmp_gt_u32_e32 vcc, s7, v3
	s_mov_b64 s[22:23], 0
	s_mov_b64 s[16:17], 0
	s_cbranch_vccz .LBB30_23
; %bb.9:                                ;   in Loop: Header=BB30_6 Depth=1
	v_mov_b32_e32 v2, 0
	s_mov_b64 s[16:17], exec
	v_readlane_b32 s10, v52, 24
	v_readlane_b32 s11, v52, 25
	s_and_b64 s[10:11], s[16:17], s[10:11]
	s_mov_b64 exec, s[10:11]
	s_cbranch_execz .LBB30_11
; %bb.10:                               ;   in Loop: Header=BB30_6 Depth=1
	global_load_dword v2, v[8:9], off
.LBB30_11:                              ;   in Loop: Header=BB30_6 Depth=1
	s_or_b64 exec, exec, s[16:17]
	s_mov_b64 s[24:25], exec
	v_readlane_b32 s10, v52, 24
	v_readlane_b32 s11, v52, 25
	s_and_b64 s[10:11], s[24:25], s[10:11]
	s_mov_b64 exec, s[10:11]
	s_cbranch_execz .LBB30_24
; %bb.12:                               ;   in Loop: Header=BB30_6 Depth=1
	v_readlane_b32 s10, v52, 20
	v_readlane_b32 s11, v52, 21
	v_readlane_b32 s7, v52, 44
	s_mov_b64 s[26:27], 0
	s_nop 2
	global_load_ushort v3, v11, s[10:11]
	s_waitcnt vmcnt(0)
	v_add_u32_e32 v5, v0, v3
	v_mul_lo_u32 v4, s7, v3
	v_mul_lo_u32 v10, s7, v5
	v_mov_b32_e32 v5, v0
	s_branch .LBB30_14
.LBB30_13:                              ;   in Loop: Header=BB30_14 Depth=2
	s_or_b64 exec, exec, s[16:17]
	v_add_u32_e32 v10, v10, v4
	s_waitcnt vmcnt(0)
	v_mov_b32_e32 v2, v17
	s_andn2_b64 exec, exec, s[26:27]
	s_cbranch_execz .LBB30_24
.LBB30_14:                              ;   Parent Loop BB30_6 Depth=1
                                        ; =>  This Inner Loop Header: Depth=2
	v_add_u32_e32 v5, v5, v3
	v_cmp_gt_u32_e64 s[18:19], s60, v5
	v_cmp_le_u32_e32 vcc, s60, v5
	s_waitcnt lgkmcnt(0)
	v_mov_b32_e32 v18, 0
	v_mov_b32_e32 v17, 0
	s_and_saveexec_b64 s[16:17], s[18:19]
	s_cbranch_execz .LBB30_16
; %bb.15:                               ;   in Loop: Header=BB30_14 Depth=2
	v_lshlrev_b64 v[36:37], 2, v[10:11]
	v_add_co_u32_e64 v36, s[18:19], s33, v36
	v_addc_co_u32_e64 v37, s[18:19], v13, v37, s[18:19]
	global_load_dword v17, v[36:37], off
.LBB30_16:                              ;   in Loop: Header=BB30_14 Depth=2
	s_or_b64 exec, exec, s[16:17]
	v_xor_b32_e32 v36, 0x80000000, v2
	v_and_b32_e32 v36, v36, v33
	v_cmp_eq_u32_e64 s[18:19], v36, v34
	s_cmp_lg_u64 s[18:19], 0
	s_cselect_b64 s[10:11], -1, 0
	s_and_b64 s[10:11], s[0:1], s[10:11]
	s_and_saveexec_b64 s[16:17], s[10:11]
	s_cbranch_execz .LBB30_20
; %bb.17:                               ;   in Loop: Header=BB30_14 Depth=2
	s_mov_b64 s[30:31], exec
	v_mbcnt_lo_u32_b32 v18, s30, 0
	v_mbcnt_hi_u32_b32 v18, s31, v18
	s_bcnt1_i32_b64 s7, s[18:19]
	v_cmp_eq_u32_e64 s[20:21], 0, v18
                                        ; implicit-def: $vgpr36
	s_and_saveexec_b64 s[28:29], s[20:21]
	s_cbranch_execz .LBB30_19
; %bb.18:                               ;   in Loop: Header=BB30_14 Depth=2
	s_bcnt1_i32_b64 s10, s[30:31]
	s_mul_i32 s10, s7, s10
	v_mov_b32_e32 v36, s10
	ds_add_rtn_u32 v36, v11, v36 offset:4104
.LBB30_19:                              ;   in Loop: Header=BB30_14 Depth=2
	s_or_b64 exec, exec, s[28:29]
	s_waitcnt lgkmcnt(0)
	v_readfirstlane_b32 s10, v36
	v_mov_b32_e32 v36, s10
	v_mad_u32_u24 v18, s7, v18, v36
.LBB30_20:                              ;   in Loop: Header=BB30_14 Depth=2
	s_or_b64 exec, exec, s[16:17]
	ds_bpermute_b32 v18, v20, v18
	s_and_b64 s[10:11], exec, vcc
	s_or_b64 s[26:27], s[10:11], s[26:27]
	s_and_saveexec_b64 s[16:17], s[18:19]
	s_cbranch_execz .LBB30_13
; %bb.21:                               ;   in Loop: Header=BB30_14 Depth=2
	v_and_b32_e32 v37, s18, v6
	v_and_b32_e32 v36, s19, v7
	v_bcnt_u32_b32 v37, v37, 0
	v_bcnt_u32_b32 v36, v36, v37
	v_lshlrev_b32_e32 v36, 2, v36
	s_waitcnt lgkmcnt(0)
	v_lshl_add_u32 v18, v18, 2, v36
	ds_write_b32 v18, v2
	s_branch .LBB30_13
.LBB30_22:                              ;   in Loop: Header=BB30_6 Depth=1
	s_mov_b64 s[16:17], 0
                                        ; implicit-def: $sgpr7
	s_cbranch_execnz .LBB30_27
	s_branch .LBB30_37
.LBB30_23:                              ;   in Loop: Header=BB30_6 Depth=1
	s_mov_b32 s7, 0
	s_and_b64 vcc, exec, s[22:23]
	s_cbranch_vccnz .LBB30_27
	s_branch .LBB30_37
.LBB30_24:                              ;   in Loop: Header=BB30_6 Depth=1
	s_or_b64 exec, exec, s[24:25]
	s_waitcnt lgkmcnt(0)
	s_barrier
	s_mov_b64 s[16:17], exec
	v_readlane_b32 s10, v52, 6
	v_readlane_b32 s11, v52, 7
	s_and_b64 s[10:11], s[16:17], s[10:11]
	s_mov_b64 exec, s[10:11]
	s_cbranch_execz .LBB30_26
; %bb.25:                               ;   in Loop: Header=BB30_6 Depth=1
	s_waitcnt vmcnt(0)
	ds_read_b32 v2, v11 offset:4104
	s_waitcnt lgkmcnt(0)
	ds_write_b32 v11, v2 offset:4096
.LBB30_26:                              ;   in Loop: Header=BB30_6 Depth=1
	s_or_b64 exec, exec, s[16:17]
	s_waitcnt lgkmcnt(0)
	s_barrier
	s_mov_b64 s[16:17], -1
	s_mov_b32 s7, 0
	s_and_b64 vcc, exec, s[22:23]
	s_cbranch_vccz .LBB30_37
.LBB30_27:                              ;   in Loop: Header=BB30_6 Depth=1
	s_waitcnt vmcnt(0)
	v_mov_b32_e32 v2, 0
	s_mov_b64 s[16:17], exec
	v_readlane_b32 s10, v52, 24
	v_readlane_b32 s11, v52, 25
	s_and_b64 s[10:11], s[16:17], s[10:11]
	s_mov_b64 exec, s[10:11]
	s_cbranch_execz .LBB30_29
; %bb.28:                               ;   in Loop: Header=BB30_6 Depth=1
	global_load_dword v2, v[8:9], off
.LBB30_29:                              ;   in Loop: Header=BB30_6 Depth=1
	s_or_b64 exec, exec, s[16:17]
	s_mov_b64 s[20:21], exec
	v_readlane_b32 s10, v52, 24
	v_readlane_b32 s11, v52, 25
	s_and_b64 s[10:11], s[20:21], s[10:11]
	s_mov_b64 exec, s[10:11]
	s_cbranch_execz .LBB30_34
; %bb.30:                               ;   in Loop: Header=BB30_6 Depth=1
	v_readlane_b32 s10, v52, 20
	v_readlane_b32 s11, v52, 21
	;; [unrolled: 1-line block ×3, first 2 shown]
	s_mov_b64 s[22:23], 0
	v_mov_b32_e32 v4, v21
	v_mov_b32_e32 v18, v0
	s_nop 0
	global_load_ushort v3, v11, s[10:11]
	s_waitcnt vmcnt(0)
	v_add_u32_e32 v10, v0, v3
	v_lshlrev_b32_e32 v5, 2, v3
	v_mul_lo_u32 v17, s7, v3
	v_mul_lo_u32 v10, s7, v10
	s_branch .LBB30_32
.LBB30_31:                              ;   in Loop: Header=BB30_32 Depth=2
	s_or_b64 exec, exec, s[16:17]
	s_and_b64 s[10:11], exec, vcc
	s_or_b64 s[22:23], s[10:11], s[22:23]
	ds_write_b32 v4, v2
	v_add_u32_e32 v4, v4, v5
	v_add_u32_e32 v10, v10, v17
	s_waitcnt vmcnt(0)
	v_mov_b32_e32 v2, v36
	s_andn2_b64 exec, exec, s[22:23]
	s_cbranch_execz .LBB30_34
.LBB30_32:                              ;   Parent Loop BB30_6 Depth=1
                                        ; =>  This Inner Loop Header: Depth=2
	v_add_u32_e32 v18, v18, v3
	v_cmp_gt_u32_e64 s[18:19], s60, v18
	v_cmp_le_u32_e32 vcc, s60, v18
	v_mov_b32_e32 v36, 0
	s_and_saveexec_b64 s[16:17], s[18:19]
	s_cbranch_execz .LBB30_31
; %bb.33:                               ;   in Loop: Header=BB30_32 Depth=2
	v_lshlrev_b64 v[36:37], 2, v[10:11]
	v_mov_b32_e32 v38, s8
	v_add_co_u32_e64 v36, s[18:19], s33, v36
	v_addc_co_u32_e64 v37, s[18:19], v38, v37, s[18:19]
	global_load_dword v36, v[36:37], off
	s_branch .LBB30_31
.LBB30_34:                              ;   in Loop: Header=BB30_6 Depth=1
	s_or_b64 exec, exec, s[20:21]
	s_waitcnt lgkmcnt(0)
	s_barrier
	s_mov_b64 s[16:17], exec
	v_readlane_b32 s10, v52, 6
	v_readlane_b32 s11, v52, 7
	s_and_b64 s[10:11], s[16:17], s[10:11]
	s_mov_b64 exec, s[10:11]
	s_cbranch_execz .LBB30_36
; %bb.35:                               ;   in Loop: Header=BB30_6 Depth=1
	s_waitcnt vmcnt(0)
	v_mov_b32_e32 v2, s60
	ds_write_b32 v11, v2 offset:4096
.LBB30_36:                              ;   in Loop: Header=BB30_6 Depth=1
	s_or_b64 exec, exec, s[16:17]
	s_mov_b64 s[16:17], -1
	s_waitcnt lgkmcnt(0)
	s_barrier
                                        ; implicit-def: $sgpr7
.LBB30_37:                              ;   in Loop: Header=BB30_6 Depth=1
	s_and_b64 vcc, exec, s[16:17]
	s_cbranch_vccz .LBB30_39
; %bb.38:                               ;   in Loop: Header=BB30_6 Depth=1
	s_waitcnt vmcnt(0)
	ds_read_b32 v2, v11 offset:4096
	s_waitcnt lgkmcnt(0)
	v_readfirstlane_b32 s7, v2
.LBB30_39:                              ;   in Loop: Header=BB30_6 Depth=1
	s_cmp_lt_i32 s7, 1
	s_cbranch_scc0 .LBB30_43
; %bb.40:                               ;   in Loop: Header=BB30_6 Depth=1
	s_waitcnt vmcnt(0)
	v_mov_b32_e32 v2, 0
	s_mov_b32 s10, 0
	v_mov_b32_e32 v3, 0
	v_mov_b32_e32 v4, v2
	;; [unrolled: 1-line block ×3, first 2 shown]
	s_mov_b64 s[48:49], exec
	v_readlane_b32 s16, v52, 39
	v_readlane_b32 s17, v52, 40
	s_and_b64 s[16:17], s[48:49], s[16:17]
	s_mov_b64 exec, s[16:17]
	s_cbranch_execnz .LBB30_44
; %bb.41:                               ;   in Loop: Header=BB30_6 Depth=1
	s_or_b64 exec, exec, s[48:49]
	v_mov_b32_e32 v18, 0
	s_and_saveexec_b64 s[16:17], s[14:15]
	s_cbranch_execnz .LBB30_47
.LBB30_42:                              ;   in Loop: Header=BB30_6 Depth=1
	s_or_b64 exec, exec, s[16:17]
	s_and_saveexec_b64 s[20:21], s[14:15]
	s_cbranch_execnz .LBB30_48
	s_branch .LBB30_53
.LBB30_43:                              ;   in Loop: Header=BB30_6 Depth=1
                                        ; implicit-def: $vgpr5
	s_cbranch_execnz .LBB30_54
	s_branch .LBB30_63
.LBB30_44:                              ;   in Loop: Header=BB30_6 Depth=1
	s_and_b32 s11, s13, 0xfe
	s_mov_b64 s[50:51], 0
	s_mov_b32 s16, 0
	s_mov_b32 s17, 0
	;; [unrolled: 1-line block ×4, first 2 shown]
	v_mov_b32_e32 v17, v21
.LBB30_45:                              ;   Parent Loop BB30_6 Depth=1
                                        ; =>  This Inner Loop Header: Depth=2
	v_add_u32_e32 v10, s10, v28
	v_lshlrev_b64 v[2:3], 2, v[10:11]
	v_mov_b32_e32 v18, s8
	v_add_u32_e32 v10, s10, v25
	v_add_co_u32_e64 v2, s[18:19], s33, v2
	v_lshlrev_b64 v[4:5], 2, v[10:11]
	v_addc_co_u32_e64 v3, s[18:19], v18, v3, s[18:19]
	v_add_u32_e32 v10, s10, v26
	v_add_co_u32_e64 v4, s[18:19], s33, v4
	v_lshlrev_b64 v[36:37], 2, v[10:11]
	v_add_u32_e32 v10, s10, v27
	v_addc_co_u32_e64 v5, s[18:19], v18, v5, s[18:19]
	global_load_dword v38, v[2:3], off
	v_lshlrev_b64 v[2:3], 2, v[10:11]
	global_load_dword v10, v[4:5], off
	v_add_co_u32_e64 v4, s[18:19], s33, v36
	v_addc_co_u32_e64 v5, s[18:19], v18, v37, s[18:19]
	v_add_co_u32_e64 v2, s[18:19], s33, v2
	global_load_dword v4, v[4:5], off
	v_addc_co_u32_e64 v3, s[18:19], v18, v3, s[18:19]
	global_load_dword v2, v[2:3], off
	v_add_u32_e32 v17, s73, v17
	v_cmp_le_u32_e32 vcc, s75, v17
	s_add_i32 s10, s10, s5
	s_waitcnt vmcnt(3)
	v_xor_b32_e32 v3, 0x80000000, v38
	s_waitcnt vmcnt(2)
	v_xor_b32_e32 v5, 0x80000000, v10
	v_and_b32_e32 v10, v3, v33
	v_bfe_u32 v3, v3, s11, 2
	v_cmp_eq_u32_e64 s[18:19], v10, v34
	v_cmp_eq_u32_e64 s[20:21], 0, v3
	v_and_b32_e32 v10, v5, v33
	v_bfe_u32 v5, v5, s11, 2
	v_cmp_eq_u32_e64 s[22:23], 1, v3
	s_and_b64 s[20:21], s[18:19], s[20:21]
	s_waitcnt vmcnt(1)
	v_xor_b32_e32 v4, 0x80000000, v4
	v_cmp_eq_u32_e64 s[24:25], 2, v3
	v_cmp_eq_u32_e64 s[26:27], 3, v3
	;; [unrolled: 1-line block ×6, first 2 shown]
	v_cndmask_b32_e64 v5, 0, 1, s[20:21]
	s_and_b64 s[20:21], s[18:19], s[22:23]
	s_waitcnt vmcnt(0)
	v_xor_b32_e32 v2, 0x80000000, v2
	v_cmp_eq_u32_e64 s[28:29], v10, v34
	v_and_b32_e32 v3, v4, v33
	v_bfe_u32 v4, v4, s11, 2
	v_cndmask_b32_e64 v10, 0, 1, s[20:21]
	s_and_b64 s[20:21], s[18:19], s[24:25]
	s_and_b64 s[18:19], s[18:19], s[26:27]
	v_cndmask_b32_e64 v18, 0, 1, s[20:21]
	v_cndmask_b32_e64 v36, 0, 1, s[18:19]
	v_cmp_eq_u32_e64 s[18:19], v3, v34
	v_and_b32_e32 v3, v2, v33
	v_bfe_u32 v2, v2, s11, 2
	v_cmp_eq_u32_e64 s[20:21], 0, v4
	s_and_b64 s[30:31], s[28:29], s[30:31]
	s_and_b64 s[34:35], s[28:29], s[34:35]
	;; [unrolled: 1-line block ×4, first 2 shown]
	v_cmp_eq_u32_e64 s[22:23], 1, v4
	v_cmp_eq_u32_e64 s[24:25], 2, v4
	;; [unrolled: 1-line block ×3, first 2 shown]
	v_cmp_ne_u32_e64 s[40:41], 0, v5
	v_cndmask_b32_e64 v5, 0, 1, s[34:35]
	v_cmp_ne_u32_e64 s[34:35], 0, v18
	v_cndmask_b32_e64 v18, 0, 1, s[28:29]
	v_cmp_eq_u32_e64 s[28:29], v3, v34
	v_cmp_eq_u32_e64 s[38:39], 0, v2
	s_and_b64 s[20:21], s[18:19], s[20:21]
	v_cmp_eq_u32_e64 s[42:43], 1, v2
	v_cmp_eq_u32_e64 s[44:45], 2, v2
	;; [unrolled: 1-line block ×3, first 2 shown]
	v_cndmask_b32_e64 v2, 0, 1, s[20:21]
	s_and_b64 s[22:23], s[18:19], s[22:23]
	s_and_b64 s[24:25], s[18:19], s[24:25]
	;; [unrolled: 1-line block ×4, first 2 shown]
	v_cndmask_b32_e64 v4, 0, 1, s[30:31]
	v_cmp_ne_u32_e64 s[30:31], 0, v10
	v_cndmask_b32_e64 v10, 0, 1, s[36:37]
	v_cmp_ne_u32_e64 s[36:37], 0, v36
	v_cmp_ne_u32_e64 s[20:21], 0, v5
	v_cndmask_b32_e64 v3, 0, 1, s[22:23]
	v_cndmask_b32_e64 v5, 0, 1, s[18:19]
	v_cmp_ne_u32_e64 s[18:19], 0, v2
	v_cndmask_b32_e64 v2, 0, 1, s[26:27]
	s_and_b64 s[26:27], s[28:29], s[42:43]
	s_bcnt1_i32_b64 s54, s[40:41]
	v_cmp_ne_u32_e64 s[40:41], 0, v4
	s_bcnt1_i32_b64 s30, s[30:31]
	s_bcnt1_i32_b64 s31, s[34:35]
	v_cmp_ne_u32_e64 s[22:23], 0, v10
	v_cndmask_b32_e64 v4, 0, 1, s[24:25]
	s_bcnt1_i32_b64 s34, s[36:37]
	s_bcnt1_i32_b64 s37, s[20:21]
	v_cmp_ne_u32_e64 s[20:21], 0, v3
	v_cndmask_b32_e64 v3, 0, 1, s[26:27]
	s_and_b64 s[26:27], s[28:29], s[44:45]
	v_cmp_ne_u32_e64 s[24:25], 0, v18
	s_bcnt1_i32_b64 s38, s[22:23]
	v_cmp_ne_u32_e64 s[22:23], 0, v4
	v_cndmask_b32_e64 v4, 0, 1, s[26:27]
	s_and_b64 s[26:27], s[28:29], s[46:47]
	s_bcnt1_i32_b64 s35, s[40:41]
	s_add_i32 s36, s53, s54
	s_add_i32 s30, s52, s30
	;; [unrolled: 1-line block ×3, first 2 shown]
	s_bcnt1_i32_b64 s31, s[24:25]
	v_cmp_ne_u32_e64 s[24:25], 0, v5
	v_cndmask_b32_e64 v5, 0, 1, s[26:27]
	s_add_i32 s16, s16, s34
	s_bcnt1_i32_b64 s26, s[18:19]
	v_cmp_ne_u32_e64 s[18:19], 0, v2
	s_add_i32 s27, s36, s35
	s_bcnt1_i32_b64 s28, s[20:21]
	v_cmp_ne_u32_e64 s[20:21], 0, v3
	;; [unrolled: 3-line block ×4, first 2 shown]
	s_add_i32 s16, s16, s31
	s_bcnt1_i32_b64 s18, s[18:19]
	s_add_i32 s19, s27, s26
	s_bcnt1_i32_b64 s20, s[20:21]
	;; [unrolled: 2-line block ×4, first 2 shown]
	s_add_i32 s16, s16, s34
	s_add_i32 s53, s19, s18
	;; [unrolled: 1-line block ×5, first 2 shown]
	s_or_b64 s[50:51], vcc, s[50:51]
	v_mov_b32_e32 v2, s53
	v_mov_b32_e32 v3, s52
	;; [unrolled: 1-line block ×4, first 2 shown]
	s_andn2_b64 exec, exec, s[50:51]
	s_cbranch_execnz .LBB30_45
; %bb.46:                               ;   in Loop: Header=BB30_6 Depth=1
	s_or_b64 exec, exec, s[50:51]
	s_or_b64 exec, exec, s[48:49]
	v_mov_b32_e32 v18, 0
	s_and_saveexec_b64 s[16:17], s[14:15]
	s_cbranch_execz .LBB30_42
.LBB30_47:                              ;   in Loop: Header=BB30_6 Depth=1
	global_load_dword v18, v[14:15], off
	s_or_b64 exec, exec, s[16:17]
	s_and_saveexec_b64 s[20:21], s[14:15]
	s_cbranch_execz .LBB30_53
.LBB30_48:                              ;   in Loop: Header=BB30_6 Depth=1
	s_and_b32 s10, s13, 0xfe
	s_mov_b64 s[22:23], 0
	v_mov_b32_e32 v10, v29
	v_mov_b32_e32 v17, v24
	s_branch .LBB30_50
.LBB30_49:                              ;   in Loop: Header=BB30_50 Depth=2
	s_or_b64 exec, exec, s[16:17]
	s_waitcnt vmcnt(0)
	v_xor_b32_e32 v18, 0x80000000, v18
	s_and_b64 s[16:17], exec, vcc
	v_and_b32_e32 v37, v18, v33
	v_bfe_u32 v18, v18, s10, 2
	s_or_b64 s[22:23], s[16:17], s[22:23]
	v_cmp_eq_u32_e32 vcc, v37, v34
	v_cmp_eq_u32_e64 s[18:19], 0, v18
	s_and_b64 s[16:17], vcc, s[18:19]
	v_cndmask_b32_e64 v37, 0, 1, s[16:17]
	v_cmp_ne_u32_e64 s[18:19], 0, v37
	s_bcnt1_i32_b64 s11, s[18:19]
	v_cmp_eq_u32_e64 s[18:19], 1, v18
	s_and_b64 s[16:17], vcc, s[18:19]
	v_cndmask_b32_e64 v37, 0, 1, s[16:17]
	v_cmp_ne_u32_e64 s[18:19], 0, v37
	v_add_u32_e32 v2, s11, v2
	s_bcnt1_i32_b64 s11, s[18:19]
	v_cmp_eq_u32_e64 s[18:19], 2, v18
	s_and_b64 s[16:17], vcc, s[18:19]
	v_cndmask_b32_e64 v37, 0, 1, s[16:17]
	v_cmp_ne_u32_e64 s[18:19], 0, v37
	v_add_u32_e32 v3, s11, v3
	s_bcnt1_i32_b64 s11, s[18:19]
	v_cmp_eq_u32_e64 s[18:19], 3, v18
	s_and_b64 s[16:17], vcc, s[18:19]
	v_cndmask_b32_e64 v18, 0, 1, s[16:17]
	v_cmp_ne_u32_e32 vcc, 0, v18
	v_add_u32_e32 v4, s11, v4
	s_bcnt1_i32_b64 s11, vcc
	v_add_u32_e32 v5, s11, v5
	v_add_u32_e32 v10, s72, v10
	v_mov_b32_e32 v18, v36
	s_andn2_b64 exec, exec, s[22:23]
	s_cbranch_execz .LBB30_52
.LBB30_50:                              ;   Parent Loop BB30_6 Depth=1
                                        ; =>  This Inner Loop Header: Depth=2
	v_add_u32_e32 v17, s9, v17
	v_cmp_gt_u32_e64 s[18:19], s60, v17
	v_cmp_le_u32_e32 vcc, s60, v17
	v_mov_b32_e32 v36, 0
	s_and_saveexec_b64 s[16:17], s[18:19]
	s_cbranch_execz .LBB30_49
; %bb.51:                               ;   in Loop: Header=BB30_50 Depth=2
	v_lshlrev_b64 v[36:37], 2, v[10:11]
	v_mov_b32_e32 v38, s8
	v_add_co_u32_e64 v36, s[18:19], s33, v36
	v_addc_co_u32_e64 v37, s[18:19], v38, v37, s[18:19]
	global_load_dword v36, v[36:37], off
	s_branch .LBB30_49
.LBB30_52:                              ;   in Loop: Header=BB30_6 Depth=1
	s_or_b64 exec, exec, s[22:23]
.LBB30_53:                              ;   in Loop: Header=BB30_6 Depth=1
	s_or_b64 exec, exec, s[20:21]
	s_branch .LBB30_63
.LBB30_54:                              ;   in Loop: Header=BB30_6 Depth=1
	v_readlane_b32 s10, v52, 38
	s_mul_hi_u32 s10, s7, s10
	s_mul_i32 s10, s10, s73
	s_sub_i32 s10, s7, s10
	s_sub_i32 s11, s10, s73
	s_cmp_ge_u32 s10, s73
	s_cselect_b32 s10, s11, s10
	s_sub_i32 s11, s10, s73
	s_cmp_ge_u32 s10, s73
	s_cselect_b32 s10, s11, s10
	s_sub_i32 s10, s7, s10
	v_cmp_gt_u32_e32 vcc, s10, v21
	s_mov_b32 s16, 0
	s_waitcnt vmcnt(0)
	v_mov_b32_e32 v2, 0
	v_mov_b32_e32 v3, 0
	;; [unrolled: 1-line block ×4, first 2 shown]
	s_and_saveexec_b64 s[76:77], vcc
	s_cbranch_execz .LBB30_58
; %bb.55:                               ;   in Loop: Header=BB30_6 Depth=1
	s_and_b32 s11, s13, 0xfe
	s_mov_b64 s[78:79], 0
	v_mov_b32_e32 v10, v30
	s_mov_b32 s17, 0
	s_mov_b32 s68, 0
	;; [unrolled: 1-line block ×3, first 2 shown]
	v_mov_b32_e32 v17, v21
.LBB30_56:                              ;   Parent Loop BB30_6 Depth=1
                                        ; =>  This Inner Loop Header: Depth=2
	ds_read_b128 v[2:5], v10
	v_add_u32_e32 v17, s73, v17
	v_cmp_le_u32_e32 vcc, s10, v17
	v_add_u32_e32 v10, s12, v10
	s_waitcnt lgkmcnt(0)
	v_xor_b32_e32 v2, 0x80000000, v2
	v_xor_b32_e32 v3, 0x80000000, v3
	v_and_b32_e32 v18, v2, v33
	v_bfe_u32 v2, v2, s11, 2
	v_xor_b32_e32 v4, 0x80000000, v4
	v_and_b32_e32 v36, v3, v33
	v_bfe_u32 v3, v3, s11, 2
	v_cmp_eq_u32_e64 s[18:19], v18, v34
	v_cmp_eq_u32_e64 s[26:27], 0, v2
	v_xor_b32_e32 v5, 0x80000000, v5
	v_and_b32_e32 v37, v4, v33
	v_bfe_u32 v4, v4, s11, 2
	v_cmp_eq_u32_e64 s[20:21], v36, v34
	v_cmp_eq_u32_e64 s[28:29], 0, v3
	s_and_b64 s[26:27], s[18:19], s[26:27]
	v_and_b32_e32 v38, v5, v33
	v_bfe_u32 v5, v5, s11, 2
	v_cmp_eq_u32_e64 s[22:23], v37, v34
	v_cmp_eq_u32_e64 s[30:31], 0, v4
	;; [unrolled: 1-line block ×5, first 2 shown]
	v_cndmask_b32_e64 v2, 0, 1, s[26:27]
	s_and_b64 s[26:27], s[20:21], s[28:29]
	v_cmp_eq_u32_e64 s[24:25], v38, v34
	v_cmp_eq_u32_e64 s[34:35], 0, v5
	;; [unrolled: 1-line block ×5, first 2 shown]
	v_cndmask_b32_e64 v3, 0, 1, s[26:27]
	s_and_b64 s[26:27], s[22:23], s[30:31]
	v_cmp_eq_u32_e64 s[40:41], 1, v4
	v_cmp_eq_u32_e64 s[48:49], 2, v4
	;; [unrolled: 1-line block ×3, first 2 shown]
	v_cndmask_b32_e64 v4, 0, 1, s[26:27]
	s_and_b64 s[26:27], s[24:25], s[34:35]
	v_cmp_eq_u32_e64 s[42:43], 1, v5
	v_cmp_eq_u32_e64 s[50:51], 2, v5
	;; [unrolled: 1-line block ×3, first 2 shown]
	v_cndmask_b32_e64 v5, 0, 1, s[26:27]
	s_and_b64 s[26:27], s[18:19], s[36:37]
	v_cndmask_b32_e64 v18, 0, 1, s[26:27]
	s_and_b64 s[26:27], s[20:21], s[38:39]
	;; [unrolled: 2-line block ×5, first 2 shown]
	s_and_b64 s[18:19], s[18:19], s[52:53]
	v_cndmask_b32_e64 v39, 0, 1, s[26:27]
	s_and_b64 s[26:27], s[20:21], s[46:47]
	v_cndmask_b32_e64 v43, 0, 1, s[18:19]
	s_and_b64 s[18:19], s[20:21], s[54:55]
	v_cndmask_b32_e64 v40, 0, 1, s[26:27]
	s_and_b64 s[26:27], s[22:23], s[48:49]
	v_cndmask_b32_e64 v44, 0, 1, s[18:19]
	s_and_b64 s[18:19], s[22:23], s[56:57]
	v_cndmask_b32_e64 v41, 0, 1, s[26:27]
	s_and_b64 s[26:27], s[24:25], s[50:51]
	v_cndmask_b32_e64 v45, 0, 1, s[18:19]
	s_and_b64 s[18:19], s[24:25], s[58:59]
	v_cndmask_b32_e64 v42, 0, 1, s[26:27]
	v_cndmask_b32_e64 v46, 0, 1, s[18:19]
	v_cmp_ne_u32_e64 s[18:19], 0, v2
	v_cmp_ne_u32_e64 s[20:21], 0, v3
	;; [unrolled: 1-line block ×11, first 2 shown]
	s_bcnt1_i32_b64 s18, s[18:19]
	s_bcnt1_i32_b64 s19, s[20:21]
	;; [unrolled: 1-line block ×8, first 2 shown]
	v_cmp_ne_u32_e64 s[34:35], 0, v38
	v_cmp_ne_u32_e64 s[40:41], 0, v41
	;; [unrolled: 1-line block ×3, first 2 shown]
	s_bcnt1_i32_b64 s23, s[28:29]
	s_bcnt1_i32_b64 s27, s[38:39]
	;; [unrolled: 1-line block ×3, first 2 shown]
	s_add_i32 s18, s69, s18
	s_add_i32 s22, s68, s22
	;; [unrolled: 1-line block ×4, first 2 shown]
	v_cmp_ne_u32_e64 s[42:43], 0, v42
	v_cmp_ne_u32_e64 s[50:51], 0, v46
	s_bcnt1_i32_b64 s25, s[34:35]
	s_bcnt1_i32_b64 s28, s[40:41]
	;; [unrolled: 1-line block ×3, first 2 shown]
	s_add_i32 s18, s18, s19
	s_add_i32 s19, s22, s23
	;; [unrolled: 1-line block ×4, first 2 shown]
	s_bcnt1_i32_b64 s29, s[42:43]
	s_bcnt1_i32_b64 s35, s[50:51]
	s_add_i32 s18, s18, s20
	s_add_i32 s19, s19, s24
	;; [unrolled: 1-line block ×8, first 2 shown]
	s_or_b64 s[78:79], vcc, s[78:79]
	v_mov_b32_e32 v2, s69
	v_mov_b32_e32 v3, s68
	;; [unrolled: 1-line block ×4, first 2 shown]
	s_andn2_b64 exec, exec, s[78:79]
	s_cbranch_execnz .LBB30_56
; %bb.57:                               ;   in Loop: Header=BB30_6 Depth=1
	s_or_b64 exec, exec, s[78:79]
.LBB30_58:                              ;   in Loop: Header=BB30_6 Depth=1
	s_or_b64 exec, exec, s[76:77]
	v_add_u32_e32 v10, s10, v0
	v_cmp_gt_u32_e32 vcc, s7, v10
	s_and_saveexec_b64 s[28:29], vcc
	s_cbranch_execz .LBB30_62
; %bb.59:                               ;   in Loop: Header=BB30_6 Depth=1
	s_and_b32 s10, s13, 0xfe
	v_lshlrev_b32_e32 v17, 2, v10
	s_mov_b64 s[30:31], 0
.LBB30_60:                              ;   Parent Loop BB30_6 Depth=1
                                        ; =>  This Inner Loop Header: Depth=2
	ds_read_b32 v18, v17
	v_add_u32_e32 v10, s9, v10
	v_cmp_le_u32_e32 vcc, s7, v10
	v_add_u32_e32 v17, s73, v17
	s_waitcnt lgkmcnt(0)
	v_xor_b32_e32 v18, 0x80000000, v18
	v_and_b32_e32 v36, v18, v33
	v_bfe_u32 v18, v18, s10, 2
	v_cmp_eq_u32_e64 s[18:19], v36, v34
	v_cmp_eq_u32_e64 s[20:21], 0, v18
	;; [unrolled: 1-line block ×3, first 2 shown]
	s_and_b64 s[16:17], s[18:19], s[20:21]
	v_cmp_eq_u32_e64 s[24:25], 2, v18
	v_cmp_eq_u32_e64 s[26:27], 3, v18
	v_cndmask_b32_e64 v18, 0, 1, s[16:17]
	s_and_b64 s[16:17], s[18:19], s[22:23]
	v_cndmask_b32_e64 v36, 0, 1, s[16:17]
	s_and_b64 s[16:17], s[18:19], s[24:25]
	;; [unrolled: 2-line block ×3, first 2 shown]
	v_cndmask_b32_e64 v38, 0, 1, s[16:17]
	v_cmp_ne_u32_e64 s[18:19], 0, v18
	v_cmp_ne_u32_e64 s[20:21], 0, v36
	;; [unrolled: 1-line block ×4, first 2 shown]
	s_bcnt1_i32_b64 s11, s[18:19]
	s_bcnt1_i32_b64 s16, s[20:21]
	;; [unrolled: 1-line block ×4, first 2 shown]
	v_add_u32_e32 v2, s11, v2
	v_add_u32_e32 v3, s16, v3
	;; [unrolled: 1-line block ×3, first 2 shown]
	s_or_b64 s[30:31], vcc, s[30:31]
	v_add_u32_e32 v5, s18, v5
	s_andn2_b64 exec, exec, s[30:31]
	s_cbranch_execnz .LBB30_60
; %bb.61:                               ;   in Loop: Header=BB30_6 Depth=1
	s_or_b64 exec, exec, s[30:31]
.LBB30_62:                              ;   in Loop: Header=BB30_6 Depth=1
	s_or_b64 exec, exec, s[28:29]
.LBB30_63:                              ;   in Loop: Header=BB30_6 Depth=1
	s_lshl_b32 s7, s6, 6
	s_and_saveexec_b64 s[16:17], s[0:1]
	s_cbranch_execz .LBB30_65
; %bb.64:                               ;   in Loop: Header=BB30_6 Depth=1
	v_or_b32_e32 v10, s7, v22
	v_lshlrev_b32_e32 v10, 2, v10
	s_waitcnt vmcnt(0)
	ds_write_b128 v10, v[2:5] offset:3072
.LBB30_65:                              ;   in Loop: Header=BB30_6 Depth=1
	s_or_b64 exec, exec, s[16:17]
	s_waitcnt lgkmcnt(0)
	s_barrier
	s_and_saveexec_b64 s[18:19], s[70:71]
	s_cbranch_execz .LBB30_79
; %bb.66:                               ;   in Loop: Header=BB30_6 Depth=1
	v_readlane_b32 s10, v52, 17
	v_readlane_b32 s11, v52, 18
	v_add_u32_e32 v4, s7, v1
	s_andn2_b64 vcc, exec, s[10:11]
	s_waitcnt vmcnt(0)
	v_mov_b32_e32 v2, 0
	s_cbranch_vccnz .LBB30_78
; %bb.67:                               ;   in Loop: Header=BB30_6 Depth=1
	v_readlane_b32 s16, v52, 22
	v_readlane_b32 s17, v52, 23
	s_mov_b32 s10, 0
	s_and_b64 vcc, exec, s[16:17]
	v_mov_b32_e32 v2, 0
	s_cbranch_vccz .LBB30_71
; %bb.68:                               ;   in Loop: Header=BB30_6 Depth=1
	v_readlane_b32 s10, v52, 28
	v_readlane_b32 s20, v52, 4
	v_readlane_b32 s11, v52, 29
	v_lshl_add_u32 v5, v4, 2, v32
	v_readlane_b32 s21, v52, 5
	s_andn2_b64 vcc, exec, s[10:11]
	s_cbranch_vccnz .LBB30_72
; %bb.69:                               ;   in Loop: Header=BB30_6 Depth=1
	v_writelane_b32 v52, s20, 4
	v_writelane_b32 v52, s21, 5
	s_mov_b32 s21, 1
	s_mov_b32 s20, 0
	v_mov_b32_e32 v2, 0
	v_readlane_b32 s10, v52, 30
	v_mov_b32_e32 v3, 0
.LBB30_70:                              ;   Parent Loop BB30_6 Depth=1
                                        ; =>  This Inner Loop Header: Depth=2
	v_lshl_add_u32 v10, s20, 4, v5
	v_lshl_add_u32 v17, s21, 4, v5
	ds_read2_b32 v[36:37], v10 offset1:8
	ds_read2_b32 v[38:39], v17 offset1:8
	ds_read2_b32 v[40:41], v10 offset0:16 offset1:24
	ds_read2_b32 v[42:43], v17 offset0:16 offset1:24
	ds_read2_b32 v[44:45], v10 offset0:32 offset1:40
	ds_read2_b32 v[46:47], v17 offset0:32 offset1:40
	ds_read2_b32 v[48:49], v10 offset0:48 offset1:56
	ds_read2_b32 v[50:51], v17 offset0:48 offset1:56
	s_waitcnt lgkmcnt(7)
	v_add3_u32 v2, v36, v2, v37
	s_waitcnt lgkmcnt(6)
	v_add3_u32 v3, v38, v3, v39
	;; [unrolled: 2-line block ×3, first 2 shown]
	v_add3_u32 v2, v40, v2, v41
	s_add_i32 s21, s21, 16
	s_add_i32 s20, s20, 16
	s_add_i32 s10, s10, -8
	s_waitcnt lgkmcnt(3)
	v_add3_u32 v2, v44, v2, v45
	s_waitcnt lgkmcnt(2)
	v_add3_u32 v3, v46, v3, v47
	s_cmp_lg_u32 s10, 0
	s_waitcnt lgkmcnt(0)
	v_add3_u32 v3, v50, v3, v51
	v_add3_u32 v2, v48, v2, v49
	s_cbranch_scc1 .LBB30_70
	s_branch .LBB30_73
.LBB30_71:                              ;   in Loop: Header=BB30_6 Depth=1
	s_cbranch_execnz .LBB30_76
	s_branch .LBB30_78
.LBB30_72:                              ;   in Loop: Header=BB30_6 Depth=1
	s_mov_b32 s10, s20
	s_mov_b32 s21, s20
	v_writelane_b32 v52, s10, 4
	v_pk_mov_b32 v[2:3], s[20:21], s[20:21] op_sel:[0,1]
	s_mov_b32 s21, 1
	v_writelane_b32 v52, s11, 5
.LBB30_73:                              ;   in Loop: Header=BB30_6 Depth=1
	v_readlane_b32 s10, v52, 32
	v_readlane_b32 s11, v52, 33
	s_andn2_b64 vcc, exec, s[10:11]
	v_readlane_b32 s10, v52, 31
	s_cbranch_vccnz .LBB30_75
.LBB30_74:                              ;   Parent Loop BB30_6 Depth=1
                                        ; =>  This Inner Loop Header: Depth=2
	v_lshl_add_u32 v10, s20, 4, v5
	v_lshl_add_u32 v17, s21, 4, v5
	ds_read_b32 v17, v17
	ds_read_b32 v10, v10
	s_add_i32 s21, s21, 2
	s_add_i32 s20, s20, 2
	s_add_i32 s10, s10, -1
	s_cmp_lg_u32 s10, 0
	s_waitcnt lgkmcnt(1)
	v_add_u32_e32 v3, v17, v3
	s_waitcnt lgkmcnt(0)
	v_add_u32_e32 v2, v10, v2
	s_cbranch_scc1 .LBB30_74
.LBB30_75:                              ;   in Loop: Header=BB30_6 Depth=1
	v_readlane_b32 s16, v52, 36
	v_add_u32_e32 v2, v2, v3
	v_readlane_b32 s10, v52, 35
	v_readlane_b32 s17, v52, 37
	s_and_b64 vcc, exec, s[16:17]
	s_cbranch_vccz .LBB30_78
.LBB30_76:                              ;   in Loop: Header=BB30_6 Depth=1
	s_lshl_b32 s11, s6, 8
	s_lshl_b32 s16, s10, 4
	s_add_i32 s11, s11, s16
	v_add_u32_e32 v3, s11, v31
	v_readlane_b32 s11, v52, 34
	s_sub_i32 s10, s11, s10
.LBB30_77:                              ;   Parent Loop BB30_6 Depth=1
                                        ; =>  This Inner Loop Header: Depth=2
	ds_read_b32 v5, v3
	s_add_i32 s10, s10, -1
	v_add_u32_e32 v3, 16, v3
	s_cmp_eq_u32 s10, 0
	s_waitcnt lgkmcnt(0)
	v_add_u32_e32 v2, v5, v2
	s_cbranch_scc0 .LBB30_77
.LBB30_78:                              ;   in Loop: Header=BB30_6 Depth=1
	v_lshlrev_b32_e32 v3, 2, v4
	ds_write_b32 v3, v2 offset:3072
.LBB30_79:                              ;   in Loop: Header=BB30_6 Depth=1
	s_or_b64 exec, exec, s[18:19]
	s_lshl_b32 s7, s7, 2
	s_waitcnt vmcnt(0)
	v_mov_b32_e32 v2, s7
	s_waitcnt lgkmcnt(0)
	s_barrier
	ds_read_b128 v[2:5], v2 offset:3072
	s_and_b32 s10, s13, 0xfe
	s_lshl_b32 s69, 3, s10
	s_not_b32 s74, s69
	s_andn2_b64 vcc, exec, s[62:63]
	s_waitcnt lgkmcnt(0)
	v_readfirstlane_b32 s7, v2
	v_readfirstlane_b32 s68, v3
	;; [unrolled: 1-line block ×4, first 2 shown]
	v_cmp_eq_u32_e64 s[18:19], 1, v35
	s_cbranch_vccnz .LBB30_92
; %bb.80:                               ;   in Loop: Header=BB30_6 Depth=1
	s_cmp_eq_u32 s7, 1
	s_cselect_b64 s[16:17], -1, 0
	s_and_b64 s[36:37], s[16:17], s[18:19]
	s_mov_b64 s[38:39], -1
	v_mov_b32_e32 v4, v34
	v_mov_b32_e32 v5, v33
	;; [unrolled: 1-line block ×3, first 2 shown]
                                        ; implicit-def: $sgpr22_sgpr23
                                        ; implicit-def: $sgpr28_sgpr29
                                        ; implicit-def: $sgpr26_sgpr27
	s_and_saveexec_b64 s[24:25], s[36:37]
	s_cbranch_execz .LBB30_108
; %bb.81:                               ;   in Loop: Header=BB30_6 Depth=1
	ds_read_b32 v2, v11 offset:4096
	s_waitcnt lgkmcnt(0)
	s_barrier
	v_readfirstlane_b32 s28, v2
	s_mov_b64 s[16:17], exec
	v_readlane_b32 s20, v52, 26
	v_readlane_b32 s21, v52, 27
	s_and_b64 s[20:21], s[16:17], s[20:21]
	s_mov_b64 exec, s[20:21]
	s_cbranch_execz .LBB30_83
; %bb.82:                               ;   in Loop: Header=BB30_6 Depth=1
	ds_write_b32 v23, v11
.LBB30_83:                              ;   in Loop: Header=BB30_6 Depth=1
	s_or_b64 exec, exec, s[16:17]
	v_and_b32_e32 v4, s74, v34
	v_or_b32_e32 v5, s69, v33
	s_cmp_eq_u32 s28, 0
	s_waitcnt lgkmcnt(0)
	s_barrier
	s_cbranch_scc1 .LBB30_94
; %bb.84:                               ;   in Loop: Header=BB30_6 Depth=1
	v_readlane_b32 s16, v52, 19
	s_add_i32 s16, s28, s16
	v_readlane_b32 s17, v52, 41
	s_mul_hi_u32 s17, s16, s17
	s_mul_i32 s17, s17, s9
	s_sub_i32 s17, s16, s17
	s_sub_i32 s20, s17, s9
	s_cmp_ge_u32 s17, s9
	s_cselect_b32 s17, s20, s17
	s_sub_i32 s20, s17, s9
	s_cmp_ge_u32 s17, s9
	s_cselect_b32 s17, s20, s17
	s_sub_i32 s29, s16, s17
	v_cmp_gt_u32_e32 vcc, s29, v0
	s_mov_b64 s[20:21], 0
                                        ; implicit-def: $vgpr3
	s_and_saveexec_b64 s[22:23], vcc
	s_cbranch_execz .LBB30_96
; %bb.85:                               ;   in Loop: Header=BB30_6 Depth=1
	v_mov_b32_e32 v10, v21
	v_mov_b32_e32 v18, v0
                                        ; implicit-def: $sgpr26_sgpr27
	s_branch .LBB30_87
.LBB30_86:                              ;   in Loop: Header=BB30_87 Depth=2
	s_or_b64 exec, exec, s[16:17]
	s_waitcnt lgkmcnt(0)
	s_barrier
	ds_read_b64 v[2:3], v11 offset:3072
	v_add_u32_e32 v18, s9, v18
	v_cmp_le_u32_e32 vcc, s29, v18
	v_add_u32_e32 v10, s73, v10
	s_waitcnt lgkmcnt(0)
	v_readfirstlane_b32 s16, v2
	s_cmp_lg_u32 s16, 0
	s_cselect_b64 s[16:17], -1, 0
	s_or_b64 s[30:31], vcc, s[16:17]
	s_and_b64 s[30:31], exec, s[30:31]
	s_or_b64 s[20:21], s[30:31], s[20:21]
	s_andn2_b64 s[26:27], s[26:27], exec
	s_and_b64 s[16:17], s[16:17], exec
	s_or_b64 s[26:27], s[26:27], s[16:17]
	s_barrier
	s_andn2_b64 exec, exec, s[20:21]
	s_cbranch_execz .LBB30_95
.LBB30_87:                              ;   Parent Loop BB30_6 Depth=1
                                        ; =>  This Inner Loop Header: Depth=2
	v_cmp_gt_u32_e32 vcc, s28, v18
	v_mov_b32_e32 v17, 0
	s_and_saveexec_b64 s[16:17], vcc
	s_cbranch_execz .LBB30_89
; %bb.88:                               ;   in Loop: Header=BB30_87 Depth=2
	ds_read_b32 v17, v10
.LBB30_89:                              ;   in Loop: Header=BB30_87 Depth=2
	s_or_b64 exec, exec, s[16:17]
	s_and_saveexec_b64 s[16:17], vcc
	s_cbranch_execz .LBB30_86
; %bb.90:                               ;   in Loop: Header=BB30_87 Depth=2
	s_waitcnt lgkmcnt(0)
	v_xor_b32_e32 v2, 0x80000000, v17
	v_and_b32_e32 v2, v2, v5
	v_cmp_eq_u32_e32 vcc, v2, v4
	s_and_b64 exec, exec, vcc
	s_cbranch_execz .LBB30_86
; %bb.91:                               ;   in Loop: Header=BB30_87 Depth=2
	ds_write_b64 v11, v[16:17] offset:3072
	s_branch .LBB30_86
.LBB30_92:                              ;   in Loop: Header=BB30_6 Depth=1
	s_mov_b64 s[24:25], 0
	s_mov_b64 s[20:21], 0
                                        ; implicit-def: $sgpr26_sgpr27
                                        ; implicit-def: $sgpr28_sgpr29
                                        ; implicit-def: $sgpr22_sgpr23
                                        ; implicit-def: $vgpr2
                                        ; implicit-def: $vgpr36
                                        ; implicit-def: $vgpr4
                                        ; implicit-def: $vgpr5
                                        ; implicit-def: $vgpr3
	s_cbranch_execnz .LBB30_244
.LBB30_93:                              ;   in Loop: Header=BB30_6 Depth=1
	s_mov_b64 s[30:31], s[22:23]
	s_mov_b64 s[34:35], s[22:23]
	s_and_saveexec_b64 s[16:17], s[24:25]
	s_cbranch_execnz .LBB30_406
	s_branch .LBB30_407
.LBB30_94:                              ;   in Loop: Header=BB30_6 Depth=1
	s_mov_b64 s[22:23], -1
	s_mov_b64 s[20:21], 0
                                        ; implicit-def: $sgpr26_sgpr27
                                        ; implicit-def: $vgpr3
	s_mov_b64 s[28:29], s[22:23]
	s_cbranch_execnz .LBB30_97
	s_branch .LBB30_107
.LBB30_95:                              ;   in Loop: Header=BB30_6 Depth=1
	s_or_b64 exec, exec, s[20:21]
	s_and_b64 s[20:21], s[26:27], exec
.LBB30_96:                              ;   in Loop: Header=BB30_6 Depth=1
	s_or_b64 exec, exec, s[22:23]
	s_mov_b64 s[26:27], -1
	s_mov_b64 s[22:23], 0
	s_mov_b64 s[28:29], s[22:23]
	s_branch .LBB30_107
.LBB30_97:                              ;   in Loop: Header=BB30_6 Depth=1
	s_mov_b64 s[20:21], 0
                                        ; implicit-def: $vgpr3
	s_mov_b64 s[22:23], exec
	v_readlane_b32 s16, v52, 42
	v_readlane_b32 s17, v52, 43
	s_and_b64 s[16:17], s[22:23], s[16:17]
	s_mov_b64 exec, s[16:17]
	s_cbranch_execz .LBB30_106
; %bb.98:                               ;   in Loop: Header=BB30_6 Depth=1
	s_mov_b64 s[26:27], 0
	v_mov_b32_e32 v10, v12
	v_mov_b32_e32 v18, v0
                                        ; implicit-def: $sgpr28_sgpr29
	s_branch .LBB30_100
.LBB30_99:                              ;   in Loop: Header=BB30_100 Depth=2
	s_or_b64 exec, exec, s[16:17]
	s_waitcnt lgkmcnt(0)
	s_barrier
	ds_read_b64 v[2:3], v11 offset:3072
	v_add_u32_e32 v18, s9, v18
	v_cmp_le_u32_e32 vcc, s4, v18
	v_add_u32_e32 v10, s72, v10
	s_waitcnt lgkmcnt(0)
	v_readfirstlane_b32 s16, v2
	s_cmp_lg_u32 s16, 0
	s_cselect_b64 s[16:17], -1, 0
	s_or_b64 s[20:21], vcc, s[16:17]
	s_and_b64 s[20:21], exec, s[20:21]
	s_or_b64 s[26:27], s[20:21], s[26:27]
	s_andn2_b64 s[20:21], s[28:29], exec
	s_and_b64 s[16:17], s[16:17], exec
	s_or_b64 s[28:29], s[20:21], s[16:17]
	s_barrier
	s_andn2_b64 exec, exec, s[26:27]
	s_cbranch_execz .LBB30_105
.LBB30_100:                             ;   Parent Loop BB30_6 Depth=1
                                        ; =>  This Inner Loop Header: Depth=2
	v_cmp_gt_u32_e32 vcc, s60, v18
	s_waitcnt vmcnt(0)
	v_mov_b32_e32 v17, 0
	s_and_saveexec_b64 s[16:17], vcc
	s_cbranch_execz .LBB30_102
; %bb.101:                              ;   in Loop: Header=BB30_100 Depth=2
	v_lshlrev_b64 v[2:3], 2, v[10:11]
	v_mov_b32_e32 v17, s8
	v_add_co_u32_e64 v2, s[20:21], s33, v2
	v_addc_co_u32_e64 v3, s[20:21], v17, v3, s[20:21]
	global_load_dword v17, v[2:3], off
.LBB30_102:                             ;   in Loop: Header=BB30_100 Depth=2
	s_or_b64 exec, exec, s[16:17]
	s_and_saveexec_b64 s[16:17], vcc
	s_cbranch_execz .LBB30_99
; %bb.103:                              ;   in Loop: Header=BB30_100 Depth=2
	s_waitcnt vmcnt(0)
	v_xor_b32_e32 v2, 0x80000000, v17
	v_and_b32_e32 v2, v2, v5
	v_cmp_eq_u32_e32 vcc, v2, v4
	s_and_b64 exec, exec, vcc
	s_cbranch_execz .LBB30_99
; %bb.104:                              ;   in Loop: Header=BB30_100 Depth=2
	ds_write_b64 v11, v[16:17] offset:3072
	s_branch .LBB30_99
.LBB30_105:                             ;   in Loop: Header=BB30_6 Depth=1
	s_or_b64 exec, exec, s[26:27]
	s_and_b64 s[20:21], s[28:29], exec
.LBB30_106:                             ;   in Loop: Header=BB30_6 Depth=1
	s_or_b64 exec, exec, s[22:23]
	s_mov_b64 s[28:29], -1
	s_mov_b64 s[22:23], 0
	s_mov_b64 s[26:27], 0
.LBB30_107:                             ;   in Loop: Header=BB30_6 Depth=1
	s_orn2_b64 s[38:39], s[20:21], exec
.LBB30_108:                             ;   in Loop: Header=BB30_6 Depth=1
	s_or_b64 exec, exec, s[24:25]
	s_mov_b64 s[30:31], 0
	s_mov_b64 s[24:25], 0
	;; [unrolled: 1-line block ×3, first 2 shown]
                                        ; implicit-def: $vgpr2
                                        ; implicit-def: $vgpr36
	s_and_saveexec_b64 s[34:35], s[38:39]
	s_cbranch_execz .LBB30_243
; %bb.109:                              ;   in Loop: Header=BB30_6 Depth=1
	s_xor_b64 s[24:25], s[36:37], -1
	s_mov_b64 s[16:17], 0
	v_mov_b32_e32 v36, 1
	v_mov_b32_e32 v2, 1
	s_and_saveexec_b64 s[20:21], s[24:25]
	s_cbranch_execz .LBB30_119
; %bb.110:                              ;   in Loop: Header=BB30_6 Depth=1
	v_cmp_ge_u32_e32 vcc, s7, v35
                                        ; implicit-def: $sgpr38
                                        ; implicit-def: $sgpr24_sgpr25
	s_and_saveexec_b64 s[16:17], vcc
	s_xor_b64 s[36:37], exec, s[16:17]
	s_cbranch_execz .LBB30_116
; %bb.111:                              ;   in Loop: Header=BB30_6 Depth=1
	ds_read_b32 v2, v11 offset:4096
	s_waitcnt lgkmcnt(0)
	v_cmp_ne_u32_e32 vcc, 0, v2
	s_cbranch_vccnz .LBB30_115
; %bb.112:                              ;   in Loop: Header=BB30_6 Depth=1
	s_mov_b64 s[16:17], exec
	v_readlane_b32 s24, v52, 6
	v_readlane_b32 s25, v52, 7
	s_and_b64 s[24:25], s[16:17], s[24:25]
	s_mov_b64 exec, s[24:25]
	s_cbranch_execz .LBB30_114
; %bb.113:                              ;   in Loop: Header=BB30_6 Depth=1
	v_mov_b32_e32 v2, s7
	ds_write_b32 v11, v2 offset:4100
.LBB30_114:                             ;   in Loop: Header=BB30_6 Depth=1
	s_or_b64 exec, exec, s[16:17]
	s_waitcnt lgkmcnt(0)
	s_barrier
.LBB30_115:                             ;   in Loop: Header=BB30_6 Depth=1
	v_and_b32_e32 v4, s74, v4
	v_or_b32_e32 v5, s69, v5
	s_mov_b64 s[24:25], 0
	s_mov_b32 s38, 8
.LBB30_116:                             ;   in Loop: Header=BB30_6 Depth=1
	s_or_saveexec_b64 s[16:17], s[36:37]
	v_mov_b32_e32 v2, s38
	v_mov_b32_e32 v36, v35
	s_xor_b64 exec, exec, s[16:17]
; %bb.117:                              ;   in Loop: Header=BB30_6 Depth=1
	v_subrev_u32_e32 v36, s7, v35
	v_mov_b32_e32 v2, 0
	s_or_b64 s[24:25], s[24:25], exec
; %bb.118:                              ;   in Loop: Header=BB30_6 Depth=1
	s_or_b64 exec, exec, s[16:17]
	s_and_b64 s[16:17], s[24:25], exec
.LBB30_119:                             ;   in Loop: Header=BB30_6 Depth=1
	s_or_b64 exec, exec, s[20:21]
	s_mov_b64 s[38:39], -1
                                        ; implicit-def: $sgpr36_sgpr37
                                        ; implicit-def: $sgpr40_sgpr41
                                        ; implicit-def: $sgpr42_sgpr43
	s_and_saveexec_b64 s[20:21], s[16:17]
	s_xor_b64 s[24:25], exec, s[20:21]
	s_cbranch_execz .LBB30_240
; %bb.120:                              ;   in Loop: Header=BB30_6 Depth=1
	s_cmp_eq_u32 s68, 1
	s_cselect_b64 s[16:17], -1, 0
	v_cmp_eq_u32_e32 vcc, 1, v36
	s_and_b64 s[44:45], s[16:17], vcc
	s_mov_b64 s[46:47], -1
                                        ; implicit-def: $sgpr36_sgpr37
                                        ; implicit-def: $sgpr40_sgpr41
                                        ; implicit-def: $sgpr38_sgpr39
	s_and_saveexec_b64 s[42:43], s[44:45]
	s_cbranch_execz .LBB30_146
; %bb.121:                              ;   in Loop: Header=BB30_6 Depth=1
	ds_read_b32 v2, v11 offset:4096
	s_waitcnt lgkmcnt(0)
	s_barrier
	v_readfirstlane_b32 s40, v2
	s_mov_b64 s[16:17], exec
	v_readlane_b32 s20, v52, 26
	v_readlane_b32 s21, v52, 27
	s_and_b64 s[20:21], s[16:17], s[20:21]
	s_mov_b64 exec, s[20:21]
	s_cbranch_execz .LBB30_123
; %bb.122:                              ;   in Loop: Header=BB30_6 Depth=1
	ds_write_b32 v23, v11
.LBB30_123:                             ;   in Loop: Header=BB30_6 Depth=1
	s_or_b64 exec, exec, s[16:17]
	v_and_b32_e32 v2, s74, v4
	v_lshl_or_b32 v4, 1, s10, v2
	v_or_b32_e32 v5, s69, v5
	s_cmp_eq_u32 s40, 0
	s_waitcnt lgkmcnt(0)
	s_barrier
	s_cbranch_scc1 .LBB30_132
; %bb.124:                              ;   in Loop: Header=BB30_6 Depth=1
	v_readlane_b32 s16, v52, 19
	s_add_i32 s16, s40, s16
	v_readlane_b32 s17, v52, 41
	s_mul_hi_u32 s17, s16, s17
	s_mul_i32 s17, s17, s9
	s_sub_i32 s17, s16, s17
	s_sub_i32 s20, s17, s9
	s_cmp_ge_u32 s17, s9
	s_cselect_b32 s17, s20, s17
	s_sub_i32 s20, s17, s9
	s_cmp_ge_u32 s17, s9
	s_cselect_b32 s17, s20, s17
	s_sub_i32 s41, s16, s17
	v_cmp_gt_u32_e32 vcc, s41, v0
	s_mov_b64 s[20:21], 0
                                        ; implicit-def: $vgpr3
	s_and_saveexec_b64 s[36:37], vcc
	s_cbranch_execz .LBB30_134
; %bb.125:                              ;   in Loop: Header=BB30_6 Depth=1
	v_mov_b32_e32 v10, v21
	v_mov_b32_e32 v18, v0
                                        ; implicit-def: $sgpr38_sgpr39
	s_branch .LBB30_127
.LBB30_126:                             ;   in Loop: Header=BB30_127 Depth=2
	s_or_b64 exec, exec, s[16:17]
	s_waitcnt lgkmcnt(0)
	s_barrier
	ds_read_b64 v[2:3], v11 offset:3072
	v_add_u32_e32 v18, s9, v18
	v_cmp_le_u32_e32 vcc, s41, v18
	v_add_u32_e32 v10, s73, v10
	s_waitcnt lgkmcnt(0)
	v_readfirstlane_b32 s16, v2
	s_cmp_lg_u32 s16, 0
	s_cselect_b64 s[16:17], -1, 0
	s_or_b64 s[46:47], vcc, s[16:17]
	s_and_b64 s[46:47], exec, s[46:47]
	s_or_b64 s[20:21], s[46:47], s[20:21]
	s_andn2_b64 s[38:39], s[38:39], exec
	s_and_b64 s[16:17], s[16:17], exec
	s_or_b64 s[38:39], s[38:39], s[16:17]
	s_barrier
	s_andn2_b64 exec, exec, s[20:21]
	s_cbranch_execz .LBB30_133
.LBB30_127:                             ;   Parent Loop BB30_6 Depth=1
                                        ; =>  This Inner Loop Header: Depth=2
	v_cmp_gt_u32_e32 vcc, s40, v18
	s_waitcnt vmcnt(0)
	v_mov_b32_e32 v17, 0
	s_and_saveexec_b64 s[16:17], vcc
	s_cbranch_execz .LBB30_129
; %bb.128:                              ;   in Loop: Header=BB30_127 Depth=2
	ds_read_b32 v17, v10
.LBB30_129:                             ;   in Loop: Header=BB30_127 Depth=2
	s_or_b64 exec, exec, s[16:17]
	s_and_saveexec_b64 s[16:17], vcc
	s_cbranch_execz .LBB30_126
; %bb.130:                              ;   in Loop: Header=BB30_127 Depth=2
	s_waitcnt lgkmcnt(0)
	v_xor_b32_e32 v2, 0x80000000, v17
	v_and_b32_e32 v2, v2, v5
	v_cmp_eq_u32_e32 vcc, v2, v4
	s_and_b64 exec, exec, vcc
	s_cbranch_execz .LBB30_126
; %bb.131:                              ;   in Loop: Header=BB30_127 Depth=2
	ds_write_b64 v11, v[16:17] offset:3072
	s_branch .LBB30_126
.LBB30_132:                             ;   in Loop: Header=BB30_6 Depth=1
	s_mov_b64 s[36:37], -1
	s_mov_b64 s[20:21], 0
                                        ; implicit-def: $sgpr38_sgpr39
                                        ; implicit-def: $vgpr3
	s_mov_b64 s[40:41], s[36:37]
	s_cbranch_execnz .LBB30_135
	s_branch .LBB30_145
.LBB30_133:                             ;   in Loop: Header=BB30_6 Depth=1
	s_or_b64 exec, exec, s[20:21]
	s_and_b64 s[20:21], s[38:39], exec
.LBB30_134:                             ;   in Loop: Header=BB30_6 Depth=1
	s_or_b64 exec, exec, s[36:37]
	s_mov_b64 s[38:39], -1
	s_mov_b64 s[36:37], 0
	s_mov_b64 s[40:41], s[36:37]
	s_branch .LBB30_145
.LBB30_135:                             ;   in Loop: Header=BB30_6 Depth=1
	s_mov_b64 s[20:21], 0
                                        ; implicit-def: $vgpr3
	s_mov_b64 s[36:37], exec
	v_readlane_b32 s16, v52, 42
	v_readlane_b32 s17, v52, 43
	s_and_b64 s[16:17], s[36:37], s[16:17]
	s_mov_b64 exec, s[16:17]
	s_cbranch_execz .LBB30_144
; %bb.136:                              ;   in Loop: Header=BB30_6 Depth=1
	s_mov_b64 s[38:39], 0
	v_mov_b32_e32 v10, v12
	v_mov_b32_e32 v18, v0
                                        ; implicit-def: $sgpr40_sgpr41
	s_branch .LBB30_138
.LBB30_137:                             ;   in Loop: Header=BB30_138 Depth=2
	s_or_b64 exec, exec, s[16:17]
	s_waitcnt lgkmcnt(0)
	s_barrier
	ds_read_b64 v[2:3], v11 offset:3072
	v_add_u32_e32 v18, s9, v18
	v_cmp_le_u32_e32 vcc, s4, v18
	v_add_u32_e32 v10, s72, v10
	s_waitcnt lgkmcnt(0)
	v_readfirstlane_b32 s16, v2
	s_cmp_lg_u32 s16, 0
	s_cselect_b64 s[16:17], -1, 0
	s_or_b64 s[20:21], vcc, s[16:17]
	s_and_b64 s[20:21], exec, s[20:21]
	s_or_b64 s[38:39], s[20:21], s[38:39]
	s_andn2_b64 s[20:21], s[40:41], exec
	s_and_b64 s[16:17], s[16:17], exec
	s_or_b64 s[40:41], s[20:21], s[16:17]
	s_barrier
	s_andn2_b64 exec, exec, s[38:39]
	s_cbranch_execz .LBB30_143
.LBB30_138:                             ;   Parent Loop BB30_6 Depth=1
                                        ; =>  This Inner Loop Header: Depth=2
	v_cmp_gt_u32_e32 vcc, s60, v18
	s_waitcnt vmcnt(0)
	v_mov_b32_e32 v17, 0
	s_and_saveexec_b64 s[16:17], vcc
	s_cbranch_execz .LBB30_140
; %bb.139:                              ;   in Loop: Header=BB30_138 Depth=2
	v_lshlrev_b64 v[2:3], 2, v[10:11]
	v_mov_b32_e32 v17, s8
	v_add_co_u32_e64 v2, s[20:21], s33, v2
	v_addc_co_u32_e64 v3, s[20:21], v17, v3, s[20:21]
	global_load_dword v17, v[2:3], off
.LBB30_140:                             ;   in Loop: Header=BB30_138 Depth=2
	s_or_b64 exec, exec, s[16:17]
	s_and_saveexec_b64 s[16:17], vcc
	s_cbranch_execz .LBB30_137
; %bb.141:                              ;   in Loop: Header=BB30_138 Depth=2
	s_waitcnt vmcnt(0)
	v_xor_b32_e32 v2, 0x80000000, v17
	v_and_b32_e32 v2, v2, v5
	v_cmp_eq_u32_e32 vcc, v2, v4
	s_and_b64 exec, exec, vcc
	s_cbranch_execz .LBB30_137
; %bb.142:                              ;   in Loop: Header=BB30_138 Depth=2
	ds_write_b64 v11, v[16:17] offset:3072
	s_branch .LBB30_137
.LBB30_143:                             ;   in Loop: Header=BB30_6 Depth=1
	s_or_b64 exec, exec, s[38:39]
	s_and_b64 s[20:21], s[40:41], exec
.LBB30_144:                             ;   in Loop: Header=BB30_6 Depth=1
	s_or_b64 exec, exec, s[36:37]
	s_mov_b64 s[40:41], -1
	s_mov_b64 s[36:37], 0
	s_mov_b64 s[38:39], 0
.LBB30_145:                             ;   in Loop: Header=BB30_6 Depth=1
	s_orn2_b64 s[46:47], s[20:21], exec
.LBB30_146:                             ;   in Loop: Header=BB30_6 Depth=1
	s_or_b64 exec, exec, s[42:43]
	s_mov_b64 s[20:21], 0
                                        ; implicit-def: $vgpr2
	s_and_saveexec_b64 s[42:43], s[46:47]
	s_cbranch_execz .LBB30_239
; %bb.147:                              ;   in Loop: Header=BB30_6 Depth=1
	s_xor_b64 s[44:45], s[44:45], -1
	s_mov_b64 s[16:17], 0
	v_mov_b32_e32 v18, 1
	v_mov_b32_e32 v2, 1
	s_and_saveexec_b64 s[20:21], s[44:45]
	s_cbranch_execz .LBB30_157
; %bb.148:                              ;   in Loop: Header=BB30_6 Depth=1
	v_cmp_ge_u32_e32 vcc, s68, v36
                                        ; implicit-def: $sgpr48
                                        ; implicit-def: $sgpr44_sgpr45
	s_and_saveexec_b64 s[16:17], vcc
	s_xor_b64 s[46:47], exec, s[16:17]
	s_cbranch_execz .LBB30_154
; %bb.149:                              ;   in Loop: Header=BB30_6 Depth=1
	ds_read_b32 v2, v11 offset:4096
	s_waitcnt lgkmcnt(0)
	v_cmp_ne_u32_e32 vcc, 0, v2
	s_cbranch_vccnz .LBB30_153
; %bb.150:                              ;   in Loop: Header=BB30_6 Depth=1
	s_mov_b64 s[16:17], exec
	v_readlane_b32 s44, v52, 6
	v_readlane_b32 s45, v52, 7
	s_and_b64 s[44:45], s[16:17], s[44:45]
	s_mov_b64 exec, s[44:45]
	s_cbranch_execz .LBB30_152
; %bb.151:                              ;   in Loop: Header=BB30_6 Depth=1
	v_mov_b32_e32 v2, s68
	ds_write_b32 v11, v2 offset:4100
.LBB30_152:                             ;   in Loop: Header=BB30_6 Depth=1
	s_or_b64 exec, exec, s[16:17]
	s_waitcnt lgkmcnt(0)
	s_barrier
.LBB30_153:                             ;   in Loop: Header=BB30_6 Depth=1
	v_and_b32_e32 v2, s74, v4
	v_lshl_or_b32 v4, 1, s10, v2
	v_or_b32_e32 v5, s69, v5
	s_mov_b64 s[44:45], 0
	s_mov_b32 s48, 8
.LBB30_154:                             ;   in Loop: Header=BB30_6 Depth=1
	s_or_saveexec_b64 s[16:17], s[46:47]
	v_mov_b32_e32 v2, s48
	s_xor_b64 exec, exec, s[16:17]
; %bb.155:                              ;   in Loop: Header=BB30_6 Depth=1
	v_subrev_u32_e32 v36, s68, v36
	v_mov_b32_e32 v2, 0
	s_or_b64 s[44:45], s[44:45], exec
; %bb.156:                              ;   in Loop: Header=BB30_6 Depth=1
	s_or_b64 exec, exec, s[16:17]
	s_and_b64 s[16:17], s[44:45], exec
	v_mov_b32_e32 v18, v36
.LBB30_157:                             ;   in Loop: Header=BB30_6 Depth=1
	s_or_b64 exec, exec, s[20:21]
	s_mov_b64 s[20:21], -1
                                        ; implicit-def: $sgpr46_sgpr47
                                        ; implicit-def: $sgpr50_sgpr51
                                        ; implicit-def: $sgpr52_sgpr53
	s_and_saveexec_b64 s[44:45], s[16:17]
	s_cbranch_execz .LBB30_238
; %bb.158:                              ;   in Loop: Header=BB30_6 Depth=1
	s_cmp_eq_u32 s11, 1
	s_cselect_b64 s[16:17], -1, 0
	v_cmp_eq_u32_e32 vcc, 1, v18
	s_and_b64 s[54:55], s[16:17], vcc
	s_mov_b64 s[56:57], -1
                                        ; implicit-def: $sgpr46_sgpr47
                                        ; implicit-def: $sgpr50_sgpr51
                                        ; implicit-def: $sgpr48_sgpr49
	s_and_saveexec_b64 s[52:53], s[54:55]
	s_cbranch_execz .LBB30_184
; %bb.159:                              ;   in Loop: Header=BB30_6 Depth=1
	ds_read_b32 v2, v11 offset:4096
	s_waitcnt lgkmcnt(0)
	s_barrier
	v_readfirstlane_b32 s50, v2
	s_mov_b64 s[16:17], exec
	v_readlane_b32 s20, v52, 26
	v_readlane_b32 s21, v52, 27
	s_and_b64 s[20:21], s[16:17], s[20:21]
	s_mov_b64 exec, s[20:21]
	s_cbranch_execz .LBB30_161
; %bb.160:                              ;   in Loop: Header=BB30_6 Depth=1
	ds_write_b32 v23, v11
.LBB30_161:                             ;   in Loop: Header=BB30_6 Depth=1
	s_or_b64 exec, exec, s[16:17]
	v_and_b32_e32 v2, s74, v4
	v_lshl_or_b32 v4, 2, s10, v2
	v_or_b32_e32 v5, s69, v5
	s_cmp_eq_u32 s50, 0
	s_waitcnt lgkmcnt(0)
	s_barrier
	s_cbranch_scc1 .LBB30_170
; %bb.162:                              ;   in Loop: Header=BB30_6 Depth=1
	v_readlane_b32 s16, v52, 19
	s_add_i32 s16, s50, s16
	v_readlane_b32 s17, v52, 41
	s_mul_hi_u32 s17, s16, s17
	s_mul_i32 s17, s17, s9
	s_sub_i32 s17, s16, s17
	s_sub_i32 s20, s17, s9
	s_cmp_ge_u32 s17, s9
	s_cselect_b32 s17, s20, s17
	s_sub_i32 s20, s17, s9
	s_cmp_ge_u32 s17, s9
	s_cselect_b32 s17, s20, s17
	s_sub_i32 s51, s16, s17
	v_cmp_gt_u32_e32 vcc, s51, v0
	s_mov_b64 s[20:21], 0
                                        ; implicit-def: $vgpr3
	s_and_saveexec_b64 s[46:47], vcc
	s_cbranch_execz .LBB30_172
; %bb.163:                              ;   in Loop: Header=BB30_6 Depth=1
	v_mov_b32_e32 v10, v21
	v_mov_b32_e32 v36, v0
                                        ; implicit-def: $sgpr48_sgpr49
	s_branch .LBB30_165
.LBB30_164:                             ;   in Loop: Header=BB30_165 Depth=2
	s_or_b64 exec, exec, s[16:17]
	s_waitcnt lgkmcnt(0)
	s_barrier
	ds_read_b64 v[2:3], v11 offset:3072
	v_add_u32_e32 v36, s9, v36
	v_cmp_le_u32_e32 vcc, s51, v36
	v_add_u32_e32 v10, s73, v10
	s_waitcnt lgkmcnt(0)
	v_readfirstlane_b32 s16, v2
	s_cmp_lg_u32 s16, 0
	s_cselect_b64 s[16:17], -1, 0
	s_or_b64 s[56:57], vcc, s[16:17]
	s_and_b64 s[56:57], exec, s[56:57]
	s_or_b64 s[20:21], s[56:57], s[20:21]
	s_andn2_b64 s[48:49], s[48:49], exec
	s_and_b64 s[16:17], s[16:17], exec
	s_or_b64 s[48:49], s[48:49], s[16:17]
	s_barrier
	s_andn2_b64 exec, exec, s[20:21]
	s_cbranch_execz .LBB30_171
.LBB30_165:                             ;   Parent Loop BB30_6 Depth=1
                                        ; =>  This Inner Loop Header: Depth=2
	v_cmp_gt_u32_e32 vcc, s50, v36
	s_waitcnt vmcnt(0)
	v_mov_b32_e32 v17, 0
	s_and_saveexec_b64 s[16:17], vcc
	s_cbranch_execz .LBB30_167
; %bb.166:                              ;   in Loop: Header=BB30_165 Depth=2
	ds_read_b32 v17, v10
.LBB30_167:                             ;   in Loop: Header=BB30_165 Depth=2
	s_or_b64 exec, exec, s[16:17]
	s_and_saveexec_b64 s[16:17], vcc
	s_cbranch_execz .LBB30_164
; %bb.168:                              ;   in Loop: Header=BB30_165 Depth=2
	s_waitcnt lgkmcnt(0)
	v_xor_b32_e32 v2, 0x80000000, v17
	v_and_b32_e32 v2, v2, v5
	v_cmp_eq_u32_e32 vcc, v2, v4
	s_and_b64 exec, exec, vcc
	s_cbranch_execz .LBB30_164
; %bb.169:                              ;   in Loop: Header=BB30_165 Depth=2
	ds_write_b64 v11, v[16:17] offset:3072
	s_branch .LBB30_164
.LBB30_170:                             ;   in Loop: Header=BB30_6 Depth=1
	s_mov_b64 s[46:47], -1
	s_mov_b64 s[20:21], 0
                                        ; implicit-def: $sgpr48_sgpr49
                                        ; implicit-def: $vgpr3
	s_mov_b64 s[50:51], s[46:47]
	s_cbranch_execnz .LBB30_173
	s_branch .LBB30_183
.LBB30_171:                             ;   in Loop: Header=BB30_6 Depth=1
	s_or_b64 exec, exec, s[20:21]
	s_and_b64 s[20:21], s[48:49], exec
.LBB30_172:                             ;   in Loop: Header=BB30_6 Depth=1
	s_or_b64 exec, exec, s[46:47]
	s_mov_b64 s[48:49], -1
	s_mov_b64 s[46:47], 0
	s_mov_b64 s[50:51], s[46:47]
	s_branch .LBB30_183
.LBB30_173:                             ;   in Loop: Header=BB30_6 Depth=1
	s_mov_b64 s[20:21], 0
                                        ; implicit-def: $vgpr3
	s_mov_b64 s[46:47], exec
	v_readlane_b32 s16, v52, 42
	v_readlane_b32 s17, v52, 43
	s_and_b64 s[16:17], s[46:47], s[16:17]
	s_mov_b64 exec, s[16:17]
	s_cbranch_execz .LBB30_182
; %bb.174:                              ;   in Loop: Header=BB30_6 Depth=1
	s_mov_b64 s[48:49], 0
	v_mov_b32_e32 v10, v12
	v_mov_b32_e32 v36, v0
                                        ; implicit-def: $sgpr50_sgpr51
	s_branch .LBB30_176
.LBB30_175:                             ;   in Loop: Header=BB30_176 Depth=2
	s_or_b64 exec, exec, s[16:17]
	s_waitcnt lgkmcnt(0)
	s_barrier
	ds_read_b64 v[2:3], v11 offset:3072
	v_add_u32_e32 v36, s9, v36
	v_cmp_le_u32_e32 vcc, s4, v36
	v_add_u32_e32 v10, s72, v10
	s_waitcnt lgkmcnt(0)
	v_readfirstlane_b32 s16, v2
	s_cmp_lg_u32 s16, 0
	s_cselect_b64 s[16:17], -1, 0
	s_or_b64 s[20:21], vcc, s[16:17]
	s_and_b64 s[20:21], exec, s[20:21]
	s_or_b64 s[48:49], s[20:21], s[48:49]
	s_andn2_b64 s[20:21], s[50:51], exec
	s_and_b64 s[16:17], s[16:17], exec
	s_or_b64 s[50:51], s[20:21], s[16:17]
	s_barrier
	s_andn2_b64 exec, exec, s[48:49]
	s_cbranch_execz .LBB30_181
.LBB30_176:                             ;   Parent Loop BB30_6 Depth=1
                                        ; =>  This Inner Loop Header: Depth=2
	v_cmp_gt_u32_e32 vcc, s60, v36
	s_waitcnt vmcnt(0)
	v_mov_b32_e32 v17, 0
	s_and_saveexec_b64 s[16:17], vcc
	s_cbranch_execz .LBB30_178
; %bb.177:                              ;   in Loop: Header=BB30_176 Depth=2
	v_lshlrev_b64 v[2:3], 2, v[10:11]
	v_mov_b32_e32 v17, s8
	v_add_co_u32_e64 v2, s[20:21], s33, v2
	v_addc_co_u32_e64 v3, s[20:21], v17, v3, s[20:21]
	global_load_dword v17, v[2:3], off
.LBB30_178:                             ;   in Loop: Header=BB30_176 Depth=2
	s_or_b64 exec, exec, s[16:17]
	s_and_saveexec_b64 s[16:17], vcc
	s_cbranch_execz .LBB30_175
; %bb.179:                              ;   in Loop: Header=BB30_176 Depth=2
	s_waitcnt vmcnt(0)
	v_xor_b32_e32 v2, 0x80000000, v17
	v_and_b32_e32 v2, v2, v5
	v_cmp_eq_u32_e32 vcc, v2, v4
	s_and_b64 exec, exec, vcc
	s_cbranch_execz .LBB30_175
; %bb.180:                              ;   in Loop: Header=BB30_176 Depth=2
	ds_write_b64 v11, v[16:17] offset:3072
	s_branch .LBB30_175
.LBB30_181:                             ;   in Loop: Header=BB30_6 Depth=1
	s_or_b64 exec, exec, s[48:49]
	s_and_b64 s[20:21], s[50:51], exec
.LBB30_182:                             ;   in Loop: Header=BB30_6 Depth=1
	s_or_b64 exec, exec, s[46:47]
	s_mov_b64 s[50:51], -1
	s_mov_b64 s[46:47], 0
	s_mov_b64 s[48:49], 0
.LBB30_183:                             ;   in Loop: Header=BB30_6 Depth=1
	s_orn2_b64 s[56:57], s[20:21], exec
.LBB30_184:                             ;   in Loop: Header=BB30_6 Depth=1
	s_or_b64 exec, exec, s[52:53]
	s_mov_b64 s[20:21], 0
                                        ; implicit-def: $vgpr2
	s_and_saveexec_b64 s[52:53], s[56:57]
	s_cbranch_execz .LBB30_237
; %bb.185:                              ;   in Loop: Header=BB30_6 Depth=1
	s_xor_b64 s[54:55], s[54:55], -1
	s_mov_b64 s[16:17], 0
	v_mov_b32_e32 v36, 1
	v_mov_b32_e32 v2, 1
	s_and_saveexec_b64 s[20:21], s[54:55]
	s_cbranch_execz .LBB30_195
; %bb.186:                              ;   in Loop: Header=BB30_6 Depth=1
	v_cmp_ge_u32_e32 vcc, s11, v18
                                        ; implicit-def: $sgpr59
                                        ; implicit-def: $sgpr54_sgpr55
	s_and_saveexec_b64 s[16:17], vcc
	s_xor_b64 s[56:57], exec, s[16:17]
	s_cbranch_execz .LBB30_192
; %bb.187:                              ;   in Loop: Header=BB30_6 Depth=1
	ds_read_b32 v2, v11 offset:4096
	s_waitcnt lgkmcnt(0)
	v_cmp_ne_u32_e32 vcc, 0, v2
	s_cbranch_vccnz .LBB30_191
; %bb.188:                              ;   in Loop: Header=BB30_6 Depth=1
	s_mov_b64 s[16:17], exec
	v_readlane_b32 s54, v52, 6
	v_readlane_b32 s55, v52, 7
	s_and_b64 s[54:55], s[16:17], s[54:55]
	s_mov_b64 exec, s[54:55]
	s_cbranch_execz .LBB30_190
; %bb.189:                              ;   in Loop: Header=BB30_6 Depth=1
	v_mov_b32_e32 v2, s11
	ds_write_b32 v11, v2 offset:4100
.LBB30_190:                             ;   in Loop: Header=BB30_6 Depth=1
	s_or_b64 exec, exec, s[16:17]
	s_waitcnt lgkmcnt(0)
	s_barrier
.LBB30_191:                             ;   in Loop: Header=BB30_6 Depth=1
	v_and_b32_e32 v2, s74, v4
	v_lshl_or_b32 v4, 2, s10, v2
	v_or_b32_e32 v5, s69, v5
	s_mov_b64 s[54:55], 0
	s_mov_b32 s59, 8
.LBB30_192:                             ;   in Loop: Header=BB30_6 Depth=1
	s_or_saveexec_b64 s[16:17], s[56:57]
	v_mov_b32_e32 v2, s59
	s_xor_b64 exec, exec, s[16:17]
; %bb.193:                              ;   in Loop: Header=BB30_6 Depth=1
	v_subrev_u32_e32 v18, s11, v18
	v_mov_b32_e32 v2, 0
	s_or_b64 s[54:55], s[54:55], exec
; %bb.194:                              ;   in Loop: Header=BB30_6 Depth=1
	s_or_b64 exec, exec, s[16:17]
	s_and_b64 s[16:17], s[54:55], exec
	v_mov_b32_e32 v36, v18
.LBB30_195:                             ;   in Loop: Header=BB30_6 Depth=1
	s_or_b64 exec, exec, s[20:21]
	s_mov_b64 s[56:57], -1
                                        ; implicit-def: $sgpr20_sgpr21
                                        ; implicit-def: $sgpr78_sgpr79
                                        ; implicit-def: $vcc
	s_and_saveexec_b64 s[54:55], s[16:17]
	s_cbranch_execz .LBB30_236
; %bb.196:                              ;   in Loop: Header=BB30_6 Depth=1
	s_cmp_eq_u32 s58, 1
	s_cselect_b64 s[16:17], -1, 0
	v_cmp_eq_u32_e32 vcc, 1, v36
	s_and_b64 s[56:57], s[16:17], vcc
	s_mov_b64 s[16:17], -1
                                        ; implicit-def: $sgpr20_sgpr21
                                        ; implicit-def: $sgpr78_sgpr79
                                        ; implicit-def: $vcc
	s_mov_b64 s[76:77], exec
	v_writelane_b32 v52, s56, 47
	v_writelane_b32 v52, s57, 48
	;; [unrolled: 1-line block ×3, first 2 shown]
	s_and_b64 s[56:57], s[76:77], s[56:57]
	v_writelane_b32 v52, s77, 50
	s_mov_b64 exec, s[56:57]
	s_cbranch_execz .LBB30_223
; %bb.197:                              ;   in Loop: Header=BB30_6 Depth=1
	ds_read_b32 v2, v11 offset:4096
	s_waitcnt lgkmcnt(0)
	s_barrier
	v_readfirstlane_b32 s59, v2
	s_mov_b64 s[16:17], exec
	v_readlane_b32 s20, v52, 26
	v_readlane_b32 s21, v52, 27
	s_and_b64 s[20:21], s[16:17], s[20:21]
	s_mov_b64 exec, s[20:21]
	s_cbranch_execz .LBB30_199
; %bb.198:                              ;   in Loop: Header=BB30_6 Depth=1
	ds_write_b32 v23, v11
.LBB30_199:                             ;   in Loop: Header=BB30_6 Depth=1
	s_or_b64 exec, exec, s[16:17]
	v_or_b32_e32 v4, s69, v4
	v_or_b32_e32 v5, s69, v5
	s_cmp_eq_u32 s59, 0
	s_waitcnt lgkmcnt(0)
	s_barrier
	s_cbranch_scc1 .LBB30_208
; %bb.200:                              ;   in Loop: Header=BB30_6 Depth=1
	v_readlane_b32 s16, v52, 19
	s_add_i32 s16, s59, s16
	v_readlane_b32 s17, v52, 41
	s_mul_hi_u32 s17, s16, s17
	s_mul_i32 s17, s17, s9
	s_sub_i32 s17, s16, s17
	s_sub_i32 s20, s17, s9
	s_cmp_ge_u32 s17, s9
	s_cselect_b32 s17, s20, s17
	s_sub_i32 s20, s17, s9
	s_cmp_ge_u32 s17, s9
	s_cselect_b32 s17, s20, s17
	s_sub_i32 s78, s16, s17
	s_mov_b64 s[56:57], 0
	v_cmp_gt_u32_e32 vcc, s78, v0
                                        ; implicit-def: $vgpr3
	s_mov_b64 s[16:17], exec
	v_writelane_b32 v52, s16, 51
	v_writelane_b32 v52, s17, 52
	s_and_b64 s[16:17], s[16:17], vcc
	s_mov_b64 exec, s[16:17]
	s_cbranch_execz .LBB30_210
; %bb.201:                              ;   in Loop: Header=BB30_6 Depth=1
	v_mov_b32_e32 v10, v21
	v_mov_b32_e32 v18, v0
                                        ; implicit-def: $sgpr76_sgpr77
	s_branch .LBB30_203
.LBB30_202:                             ;   in Loop: Header=BB30_203 Depth=2
	s_or_b64 exec, exec, s[16:17]
	s_waitcnt lgkmcnt(0)
	s_barrier
	ds_read_b64 v[2:3], v11 offset:3072
	v_add_u32_e32 v18, s9, v18
	v_cmp_le_u32_e32 vcc, s78, v18
	v_add_u32_e32 v10, s73, v10
	s_waitcnt lgkmcnt(0)
	v_readfirstlane_b32 s16, v2
	s_cmp_lg_u32 s16, 0
	s_cselect_b64 s[16:17], -1, 0
	s_or_b64 s[20:21], vcc, s[16:17]
	s_and_b64 s[20:21], exec, s[20:21]
	s_or_b64 s[56:57], s[20:21], s[56:57]
	s_andn2_b64 s[20:21], s[76:77], exec
	s_and_b64 s[16:17], s[16:17], exec
	s_or_b64 s[76:77], s[20:21], s[16:17]
	s_barrier
	s_andn2_b64 exec, exec, s[56:57]
	s_cbranch_execz .LBB30_209
.LBB30_203:                             ;   Parent Loop BB30_6 Depth=1
                                        ; =>  This Inner Loop Header: Depth=2
	v_cmp_gt_u32_e32 vcc, s59, v18
	s_waitcnt vmcnt(0)
	v_mov_b32_e32 v17, 0
	s_and_saveexec_b64 s[16:17], vcc
	s_cbranch_execz .LBB30_205
; %bb.204:                              ;   in Loop: Header=BB30_203 Depth=2
	ds_read_b32 v17, v10
.LBB30_205:                             ;   in Loop: Header=BB30_203 Depth=2
	s_or_b64 exec, exec, s[16:17]
	s_and_saveexec_b64 s[16:17], vcc
	s_cbranch_execz .LBB30_202
; %bb.206:                              ;   in Loop: Header=BB30_203 Depth=2
	s_waitcnt lgkmcnt(0)
	v_xor_b32_e32 v2, 0x80000000, v17
	v_and_b32_e32 v2, v2, v5
	v_cmp_eq_u32_e32 vcc, v2, v4
	s_and_b64 exec, exec, vcc
	s_cbranch_execz .LBB30_202
; %bb.207:                              ;   in Loop: Header=BB30_203 Depth=2
	ds_write_b64 v11, v[16:17] offset:3072
	s_branch .LBB30_202
.LBB30_208:                             ;   in Loop: Header=BB30_6 Depth=1
	s_mov_b64 s[20:21], -1
	s_mov_b64 s[56:57], 0
                                        ; implicit-def: $sgpr76_sgpr77
                                        ; implicit-def: $vgpr3
	s_branch .LBB30_211
.LBB30_209:                             ;   in Loop: Header=BB30_6 Depth=1
	s_or_b64 exec, exec, s[56:57]
	s_and_b64 s[56:57], s[76:77], exec
.LBB30_210:                             ;   in Loop: Header=BB30_6 Depth=1
	v_readlane_b32 s16, v52, 51
	v_readlane_b32 s17, v52, 52
	s_or_b64 exec, exec, s[16:17]
	s_mov_b64 s[76:77], -1
	s_mov_b64 s[20:21], 0
.LBB30_211:                             ;   in Loop: Header=BB30_6 Depth=1
	s_and_b64 vcc, exec, s[20:21]
	s_mov_b64 s[78:79], s[20:21]
	s_cbranch_vccz .LBB30_222
; %bb.212:                              ;   in Loop: Header=BB30_6 Depth=1
	s_mov_b64 s[56:57], 0
                                        ; implicit-def: $vgpr3
	s_mov_b64 s[76:77], exec
	v_readlane_b32 s16, v52, 42
	v_readlane_b32 s17, v52, 43
	s_and_b64 s[16:17], s[76:77], s[16:17]
	s_mov_b64 exec, s[16:17]
	s_cbranch_execz .LBB30_221
; %bb.213:                              ;   in Loop: Header=BB30_6 Depth=1
	v_mov_b32_e32 v10, v12
	v_mov_b32_e32 v18, v0
                                        ; implicit-def: $sgpr78_sgpr79
	s_branch .LBB30_215
.LBB30_214:                             ;   in Loop: Header=BB30_215 Depth=2
	s_or_b64 exec, exec, s[16:17]
	s_waitcnt lgkmcnt(0)
	s_barrier
	ds_read_b64 v[2:3], v11 offset:3072
	v_add_u32_e32 v18, s9, v18
	v_cmp_le_u32_e32 vcc, s4, v18
	v_add_u32_e32 v10, s72, v10
	s_waitcnt lgkmcnt(0)
	v_readfirstlane_b32 s16, v2
	s_cmp_lg_u32 s16, 0
	s_cselect_b64 s[16:17], -1, 0
	s_or_b64 s[20:21], vcc, s[16:17]
	s_and_b64 s[20:21], exec, s[20:21]
	s_or_b64 s[56:57], s[20:21], s[56:57]
	s_andn2_b64 s[20:21], s[78:79], exec
	s_and_b64 s[16:17], s[16:17], exec
	s_or_b64 s[78:79], s[20:21], s[16:17]
	s_barrier
	s_andn2_b64 exec, exec, s[56:57]
	s_cbranch_execz .LBB30_220
.LBB30_215:                             ;   Parent Loop BB30_6 Depth=1
                                        ; =>  This Inner Loop Header: Depth=2
	v_cmp_gt_u32_e32 vcc, s60, v18
	s_waitcnt vmcnt(0)
	v_mov_b32_e32 v17, 0
	s_and_saveexec_b64 s[16:17], vcc
	s_cbranch_execz .LBB30_217
; %bb.216:                              ;   in Loop: Header=BB30_215 Depth=2
	v_lshlrev_b64 v[2:3], 2, v[10:11]
	v_mov_b32_e32 v17, s8
	v_add_co_u32_e64 v2, s[20:21], s33, v2
	v_addc_co_u32_e64 v3, s[20:21], v17, v3, s[20:21]
	global_load_dword v17, v[2:3], off
.LBB30_217:                             ;   in Loop: Header=BB30_215 Depth=2
	s_or_b64 exec, exec, s[16:17]
	s_and_saveexec_b64 s[16:17], vcc
	s_cbranch_execz .LBB30_214
; %bb.218:                              ;   in Loop: Header=BB30_215 Depth=2
	s_waitcnt vmcnt(0)
	v_xor_b32_e32 v2, 0x80000000, v17
	v_and_b32_e32 v2, v2, v5
	v_cmp_eq_u32_e32 vcc, v2, v4
	s_and_b64 exec, exec, vcc
	s_cbranch_execz .LBB30_214
; %bb.219:                              ;   in Loop: Header=BB30_215 Depth=2
	ds_write_b64 v11, v[16:17] offset:3072
	s_branch .LBB30_214
.LBB30_220:                             ;   in Loop: Header=BB30_6 Depth=1
	s_or_b64 exec, exec, s[56:57]
	s_and_b64 s[56:57], s[78:79], exec
.LBB30_221:                             ;   in Loop: Header=BB30_6 Depth=1
	s_or_b64 exec, exec, s[76:77]
	s_mov_b64 s[78:79], -1
	s_mov_b64 s[20:21], 0
	s_mov_b64 s[76:77], 0
.LBB30_222:                             ;   in Loop: Header=BB30_6 Depth=1
	s_orn2_b64 s[16:17], s[56:57], exec
	s_mov_b64 vcc, s[76:77]
.LBB30_223:                             ;   in Loop: Header=BB30_6 Depth=1
	v_readlane_b32 s56, v52, 49
	v_readlane_b32 s57, v52, 50
	s_or_b64 exec, exec, s[56:57]
	s_mov_b64 s[56:57], 0
                                        ; implicit-def: $vgpr2
                                        ; implicit-def: $vgpr10
	s_and_saveexec_b64 s[76:77], s[16:17]
	s_cbranch_execz .LBB30_235
; %bb.224:                              ;   in Loop: Header=BB30_6 Depth=1
	v_readlane_b32 s16, v52, 47
	v_readlane_b32 s17, v52, 48
	s_xor_b64 s[16:17], s[16:17], -1
	v_mov_b32_e32 v2, 1
	v_mov_b32_e32 v10, 1
	s_and_saveexec_b64 s[56:57], s[16:17]
	s_cbranch_execz .LBB30_234
; %bb.225:                              ;   in Loop: Header=BB30_6 Depth=1
	v_writelane_b32 v52, vcc_lo, 53
	v_writelane_b32 v52, vcc_hi, 54
	v_cmp_ge_u32_e32 vcc, s58, v36
                                        ; implicit-def: $sgpr59
	s_and_saveexec_b64 s[16:17], vcc
	s_xor_b64 s[16:17], exec, s[16:17]
	s_cbranch_execz .LBB30_231
; %bb.226:                              ;   in Loop: Header=BB30_6 Depth=1
	ds_read_b32 v2, v11 offset:4096
	s_waitcnt lgkmcnt(0)
	v_cmp_ne_u32_e32 vcc, 0, v2
	s_cbranch_vccnz .LBB30_230
; %bb.227:                              ;   in Loop: Header=BB30_6 Depth=1
	v_writelane_b32 v52, s16, 55
	v_writelane_b32 v52, s17, 56
	s_mov_b64 s[16:17], exec
	v_writelane_b32 v52, s16, 57
	v_writelane_b32 v52, s17, 58
	v_readlane_b32 vcc_lo, v52, 6
	v_readlane_b32 s16, v52, 57
	v_readlane_b32 vcc_hi, v52, 7
	v_readlane_b32 s17, v52, 58
	s_and_b64 vcc, s[16:17], vcc
	s_mov_b64 exec, vcc
	s_cbranch_execz .LBB30_229
; %bb.228:                              ;   in Loop: Header=BB30_6 Depth=1
	v_mov_b32_e32 v2, s58
	ds_write_b32 v11, v2 offset:4100
.LBB30_229:                             ;   in Loop: Header=BB30_6 Depth=1
	v_readlane_b32 vcc_lo, v52, 57
	v_readlane_b32 vcc_hi, v52, 58
	s_or_b64 exec, exec, vcc
	v_readlane_b32 s16, v52, 55
	v_readlane_b32 s17, v52, 56
	s_waitcnt lgkmcnt(0)
	s_barrier
.LBB30_230:                             ;   in Loop: Header=BB30_6 Depth=1
	v_or_b32_e32 v4, s69, v4
	v_or_b32_e32 v5, s69, v5
	s_mov_b32 s59, 8
.LBB30_231:                             ;   in Loop: Header=BB30_6 Depth=1
	s_or_saveexec_b64 s[16:17], s[16:17]
	v_mov_b32_e32 v2, s59
	s_xor_b64 exec, exec, s[16:17]
; %bb.232:                              ;   in Loop: Header=BB30_6 Depth=1
	v_subrev_u32_e32 v36, s58, v36
	v_mov_b32_e32 v2, 8
; %bb.233:                              ;   in Loop: Header=BB30_6 Depth=1
	s_or_b64 exec, exec, s[16:17]
	v_readlane_b32 vcc_lo, v52, 53
	v_mov_b32_e32 v10, v36
	v_readlane_b32 vcc_hi, v52, 54
.LBB30_234:                             ;   in Loop: Header=BB30_6 Depth=1
	s_or_b64 exec, exec, s[56:57]
	s_mov_b64 s[56:57], exec
.LBB30_235:                             ;   in Loop: Header=BB30_6 Depth=1
	s_or_b64 exec, exec, s[76:77]
	s_orn2_b64 s[56:57], s[56:57], exec
	v_mov_b32_e32 v36, v10
.LBB30_236:                             ;   in Loop: Header=BB30_6 Depth=1
	s_or_b64 exec, exec, s[54:55]
	s_andn2_b64 s[16:17], s[46:47], exec
	s_and_b64 s[20:21], s[20:21], exec
	s_or_b64 s[46:47], s[16:17], s[20:21]
	s_andn2_b64 s[16:17], s[50:51], exec
	s_and_b64 s[20:21], s[78:79], exec
	s_or_b64 s[50:51], s[16:17], s[20:21]
	s_andn2_b64 s[16:17], s[48:49], exec
	s_and_b64 s[20:21], vcc, exec
	s_or_b64 s[48:49], s[16:17], s[20:21]
	s_and_b64 s[20:21], s[56:57], exec
	v_mov_b32_e32 v18, v36
.LBB30_237:                             ;   in Loop: Header=BB30_6 Depth=1
	s_or_b64 exec, exec, s[52:53]
	s_and_b64 s[52:53], s[46:47], exec
	s_and_b64 s[50:51], s[50:51], exec
	;; [unrolled: 1-line block ×3, first 2 shown]
	s_orn2_b64 s[20:21], s[20:21], exec
.LBB30_238:                             ;   in Loop: Header=BB30_6 Depth=1
	s_or_b64 exec, exec, s[44:45]
	s_andn2_b64 s[16:17], s[36:37], exec
	s_and_b64 s[36:37], s[52:53], exec
	s_or_b64 s[36:37], s[16:17], s[36:37]
	s_andn2_b64 s[16:17], s[40:41], exec
	s_and_b64 s[40:41], s[50:51], exec
	s_or_b64 s[40:41], s[16:17], s[40:41]
	;; [unrolled: 3-line block ×3, first 2 shown]
	s_and_b64 s[20:21], s[20:21], exec
	v_mov_b32_e32 v36, v18
.LBB30_239:                             ;   in Loop: Header=BB30_6 Depth=1
	s_or_b64 exec, exec, s[42:43]
	s_and_b64 s[42:43], s[36:37], exec
	s_and_b64 s[40:41], s[40:41], exec
	;; [unrolled: 1-line block ×3, first 2 shown]
	s_orn2_b64 s[38:39], s[20:21], exec
.LBB30_240:                             ;   in Loop: Header=BB30_6 Depth=1
	s_or_b64 exec, exec, s[24:25]
	s_mov_b64 s[24:25], 0
	s_mov_b64 s[20:21], 0
	s_and_saveexec_b64 s[16:17], s[38:39]
	s_xor_b64 s[16:17], exec, s[16:17]
; %bb.241:                              ;   in Loop: Header=BB30_6 Depth=1
	v_cmp_eq_u32_e32 vcc, 8, v2
	v_cmp_ne_u32_e64 s[20:21], 8, v2
	s_andn2_b64 s[42:43], s[42:43], exec
	s_andn2_b64 s[40:41], s[40:41], exec
	;; [unrolled: 1-line block ×3, first 2 shown]
	s_and_b64 s[20:21], s[20:21], exec
	s_and_b64 s[24:25], vcc, exec
; %bb.242:                              ;   in Loop: Header=BB30_6 Depth=1
	s_or_b64 exec, exec, s[16:17]
	s_andn2_b64 s[16:17], s[22:23], exec
	s_and_b64 s[22:23], s[42:43], exec
	s_or_b64 s[22:23], s[16:17], s[22:23]
	s_andn2_b64 s[16:17], s[28:29], exec
	s_and_b64 s[28:29], s[40:41], exec
	s_or_b64 s[28:29], s[16:17], s[28:29]
	;; [unrolled: 3-line block ×3, first 2 shown]
	s_and_b64 s[20:21], s[20:21], exec
	s_and_b64 s[24:25], s[24:25], exec
.LBB30_243:                             ;   in Loop: Header=BB30_6 Depth=1
	s_or_b64 exec, exec, s[34:35]
	s_and_b64 vcc, exec, s[30:31]
	s_cbranch_vccz .LBB30_93
.LBB30_244:                             ;   in Loop: Header=BB30_6 Depth=1
	s_cmp_eq_u32 s58, 1
	s_cselect_b64 s[16:17], -1, 0
	s_and_b64 s[28:29], s[16:17], s[18:19]
	s_mov_b64 s[18:19], -1
                                        ; implicit-def: $sgpr30_sgpr31
                                        ; implicit-def: $sgpr34_sgpr35
                                        ; implicit-def: $sgpr22_sgpr23
	s_and_saveexec_b64 s[26:27], s[28:29]
	s_cbranch_execz .LBB30_270
; %bb.245:                              ;   in Loop: Header=BB30_6 Depth=1
	ds_read_b32 v2, v11 offset:4096
	s_waitcnt lgkmcnt(0)
	s_barrier
	v_readfirstlane_b32 s34, v2
	s_mov_b64 s[16:17], exec
	v_readlane_b32 s18, v52, 26
	v_readlane_b32 s19, v52, 27
	s_and_b64 s[18:19], s[16:17], s[18:19]
	s_mov_b64 exec, s[18:19]
	s_cbranch_execz .LBB30_247
; %bb.246:                              ;   in Loop: Header=BB30_6 Depth=1
	ds_write_b32 v23, v11
.LBB30_247:                             ;   in Loop: Header=BB30_6 Depth=1
	s_or_b64 exec, exec, s[16:17]
	v_or_b32_e32 v34, s69, v34
	v_or_b32_e32 v33, s69, v33
	s_cmp_eq_u32 s34, 0
	s_waitcnt lgkmcnt(0)
	s_barrier
	s_cbranch_scc1 .LBB30_256
; %bb.248:                              ;   in Loop: Header=BB30_6 Depth=1
	v_readlane_b32 s16, v52, 19
	s_add_i32 s16, s34, s16
	v_readlane_b32 s17, v52, 41
	s_mul_hi_u32 s17, s16, s17
	s_mul_i32 s17, s17, s9
	s_sub_i32 s17, s16, s17
	s_sub_i32 s18, s17, s9
	s_cmp_ge_u32 s17, s9
	s_cselect_b32 s17, s18, s17
	s_sub_i32 s18, s17, s9
	s_cmp_ge_u32 s17, s9
	s_cselect_b32 s17, s18, s17
	s_sub_i32 s35, s16, s17
	v_cmp_gt_u32_e32 vcc, s35, v0
	s_mov_b64 s[18:19], 0
                                        ; implicit-def: $vgpr19
	s_and_saveexec_b64 s[22:23], vcc
	s_cbranch_execz .LBB30_258
; %bb.249:                              ;   in Loop: Header=BB30_6 Depth=1
	v_mov_b32_e32 v2, v21
	v_mov_b32_e32 v3, v0
                                        ; implicit-def: $sgpr30_sgpr31
	s_branch .LBB30_251
.LBB30_250:                             ;   in Loop: Header=BB30_251 Depth=2
	s_or_b64 exec, exec, s[16:17]
	s_waitcnt lgkmcnt(0)
	s_barrier
	ds_read_b64 v[18:19], v11 offset:3072
	v_add_u32_e32 v3, s9, v3
	v_cmp_le_u32_e32 vcc, s35, v3
	v_add_u32_e32 v2, s73, v2
	s_waitcnt lgkmcnt(0)
	v_readfirstlane_b32 s16, v18
	s_cmp_lg_u32 s16, 0
	s_cselect_b64 s[16:17], -1, 0
	s_or_b64 s[36:37], vcc, s[16:17]
	s_and_b64 s[36:37], exec, s[36:37]
	s_or_b64 s[18:19], s[36:37], s[18:19]
	s_andn2_b64 s[30:31], s[30:31], exec
	s_and_b64 s[16:17], s[16:17], exec
	s_or_b64 s[30:31], s[30:31], s[16:17]
	s_barrier
	s_andn2_b64 exec, exec, s[18:19]
	s_cbranch_execz .LBB30_257
.LBB30_251:                             ;   Parent Loop BB30_6 Depth=1
                                        ; =>  This Inner Loop Header: Depth=2
	v_cmp_gt_u32_e32 vcc, s34, v3
	s_waitcnt vmcnt(0)
	v_mov_b32_e32 v17, 0
	s_and_saveexec_b64 s[16:17], vcc
	s_cbranch_execz .LBB30_253
; %bb.252:                              ;   in Loop: Header=BB30_251 Depth=2
	ds_read_b32 v17, v2
.LBB30_253:                             ;   in Loop: Header=BB30_251 Depth=2
	s_or_b64 exec, exec, s[16:17]
	s_and_saveexec_b64 s[16:17], vcc
	s_cbranch_execz .LBB30_250
; %bb.254:                              ;   in Loop: Header=BB30_251 Depth=2
	s_waitcnt lgkmcnt(0)
	v_xor_b32_e32 v4, 0x80000000, v17
	v_and_b32_e32 v4, v4, v33
	v_cmp_eq_u32_e32 vcc, v4, v34
	s_and_b64 exec, exec, vcc
	s_cbranch_execz .LBB30_250
; %bb.255:                              ;   in Loop: Header=BB30_251 Depth=2
	ds_write_b64 v11, v[16:17] offset:3072
	s_branch .LBB30_250
.LBB30_256:                             ;   in Loop: Header=BB30_6 Depth=1
	s_mov_b64 s[30:31], -1
	s_mov_b64 s[18:19], 0
                                        ; implicit-def: $sgpr34_sgpr35
                                        ; implicit-def: $vgpr19
	s_mov_b64 s[22:23], s[30:31]
	s_cbranch_execnz .LBB30_259
	s_branch .LBB30_269
.LBB30_257:                             ;   in Loop: Header=BB30_6 Depth=1
	s_or_b64 exec, exec, s[18:19]
	s_and_b64 s[18:19], s[30:31], exec
.LBB30_258:                             ;   in Loop: Header=BB30_6 Depth=1
	s_or_b64 exec, exec, s[22:23]
	s_mov_b64 s[30:31], 0
	s_mov_b64 s[34:35], -1
	s_mov_b64 s[22:23], s[30:31]
	s_branch .LBB30_269
.LBB30_259:                             ;   in Loop: Header=BB30_6 Depth=1
	s_mov_b64 s[18:19], 0
                                        ; implicit-def: $vgpr19
	s_mov_b64 s[22:23], exec
	v_readlane_b32 s16, v52, 42
	v_readlane_b32 s17, v52, 43
	s_and_b64 s[16:17], s[22:23], s[16:17]
	s_mov_b64 exec, s[16:17]
	s_cbranch_execz .LBB30_268
; %bb.260:                              ;   in Loop: Header=BB30_6 Depth=1
	s_mov_b64 s[30:31], 0
	v_mov_b32_e32 v10, v12
	v_mov_b32_e32 v2, v0
                                        ; implicit-def: $sgpr34_sgpr35
	s_branch .LBB30_262
.LBB30_261:                             ;   in Loop: Header=BB30_262 Depth=2
	s_or_b64 exec, exec, s[16:17]
	s_waitcnt lgkmcnt(0)
	s_barrier
	ds_read_b64 v[18:19], v11 offset:3072
	v_add_u32_e32 v2, s9, v2
	v_cmp_le_u32_e32 vcc, s4, v2
	v_add_u32_e32 v10, s72, v10
	s_waitcnt lgkmcnt(0)
	v_readfirstlane_b32 s16, v18
	s_cmp_lg_u32 s16, 0
	s_cselect_b64 s[16:17], -1, 0
	s_or_b64 s[18:19], vcc, s[16:17]
	s_and_b64 s[18:19], exec, s[18:19]
	s_or_b64 s[30:31], s[18:19], s[30:31]
	s_andn2_b64 s[18:19], s[34:35], exec
	s_and_b64 s[16:17], s[16:17], exec
	s_or_b64 s[34:35], s[18:19], s[16:17]
	s_barrier
	s_andn2_b64 exec, exec, s[30:31]
	s_cbranch_execz .LBB30_267
.LBB30_262:                             ;   Parent Loop BB30_6 Depth=1
                                        ; =>  This Inner Loop Header: Depth=2
	v_cmp_gt_u32_e32 vcc, s60, v2
	s_waitcnt vmcnt(0)
	v_mov_b32_e32 v17, 0
	s_and_saveexec_b64 s[16:17], vcc
	s_cbranch_execz .LBB30_264
; %bb.263:                              ;   in Loop: Header=BB30_262 Depth=2
	v_lshlrev_b64 v[4:5], 2, v[10:11]
	v_mov_b32_e32 v3, s8
	v_add_co_u32_e64 v4, s[18:19], s33, v4
	v_addc_co_u32_e64 v5, s[18:19], v3, v5, s[18:19]
	global_load_dword v17, v[4:5], off
.LBB30_264:                             ;   in Loop: Header=BB30_262 Depth=2
	s_or_b64 exec, exec, s[16:17]
	s_and_saveexec_b64 s[16:17], vcc
	s_cbranch_execz .LBB30_261
; %bb.265:                              ;   in Loop: Header=BB30_262 Depth=2
	s_waitcnt vmcnt(0)
	v_xor_b32_e32 v3, 0x80000000, v17
	v_and_b32_e32 v3, v3, v33
	v_cmp_eq_u32_e32 vcc, v3, v34
	s_and_b64 exec, exec, vcc
	s_cbranch_execz .LBB30_261
; %bb.266:                              ;   in Loop: Header=BB30_262 Depth=2
	ds_write_b64 v11, v[16:17] offset:3072
	s_branch .LBB30_261
.LBB30_267:                             ;   in Loop: Header=BB30_6 Depth=1
	s_or_b64 exec, exec, s[30:31]
	s_and_b64 s[18:19], s[34:35], exec
.LBB30_268:                             ;   in Loop: Header=BB30_6 Depth=1
	s_or_b64 exec, exec, s[22:23]
	s_mov_b64 s[34:35], 0
	s_mov_b64 s[30:31], -1
	s_mov_b64 s[22:23], 0
.LBB30_269:                             ;   in Loop: Header=BB30_6 Depth=1
	s_orn2_b64 s[18:19], s[18:19], exec
.LBB30_270:                             ;   in Loop: Header=BB30_6 Depth=1
	s_or_b64 exec, exec, s[26:27]
                                        ; implicit-def: $vgpr2
                                        ; implicit-def: $vgpr36
                                        ; implicit-def: $vgpr4
                                        ; implicit-def: $vgpr5
                                        ; implicit-def: $vgpr3
	s_and_saveexec_b64 s[26:27], s[18:19]
	s_cbranch_execz .LBB30_405
; %bb.271:                              ;   in Loop: Header=BB30_6 Depth=1
	s_xor_b64 s[28:29], s[28:29], -1
	s_mov_b64 s[16:17], 0
	v_mov_b32_e32 v36, 1
	v_mov_b32_e32 v2, 1
	s_and_saveexec_b64 s[18:19], s[28:29]
	s_cbranch_execz .LBB30_281
; %bb.272:                              ;   in Loop: Header=BB30_6 Depth=1
	v_cmp_ge_u32_e32 vcc, s58, v35
                                        ; implicit-def: $sgpr38
                                        ; implicit-def: $sgpr28_sgpr29
	s_and_saveexec_b64 s[16:17], vcc
	s_xor_b64 s[36:37], exec, s[16:17]
	s_cbranch_execz .LBB30_278
; %bb.273:                              ;   in Loop: Header=BB30_6 Depth=1
	ds_read_b32 v2, v11 offset:4096
	s_waitcnt lgkmcnt(0)
	v_cmp_ne_u32_e32 vcc, 0, v2
	s_cbranch_vccnz .LBB30_277
; %bb.274:                              ;   in Loop: Header=BB30_6 Depth=1
	s_mov_b64 s[16:17], exec
	v_readlane_b32 s28, v52, 6
	v_readlane_b32 s29, v52, 7
	s_and_b64 s[28:29], s[16:17], s[28:29]
	s_mov_b64 exec, s[28:29]
	s_cbranch_execz .LBB30_276
; %bb.275:                              ;   in Loop: Header=BB30_6 Depth=1
	v_mov_b32_e32 v2, s58
	ds_write_b32 v11, v2 offset:4100
.LBB30_276:                             ;   in Loop: Header=BB30_6 Depth=1
	s_or_b64 exec, exec, s[16:17]
	s_waitcnt lgkmcnt(0)
	s_barrier
.LBB30_277:                             ;   in Loop: Header=BB30_6 Depth=1
	v_or_b32_e32 v34, s69, v34
	v_or_b32_e32 v33, s69, v33
	s_mov_b64 s[28:29], 0
	s_mov_b32 s38, 5
.LBB30_278:                             ;   in Loop: Header=BB30_6 Depth=1
	s_or_saveexec_b64 s[16:17], s[36:37]
	v_mov_b32_e32 v2, s38
	s_xor_b64 exec, exec, s[16:17]
; %bb.279:                              ;   in Loop: Header=BB30_6 Depth=1
	v_subrev_u32_e32 v35, s58, v35
	v_mov_b32_e32 v2, 0
	s_or_b64 s[28:29], s[28:29], exec
; %bb.280:                              ;   in Loop: Header=BB30_6 Depth=1
	s_or_b64 exec, exec, s[16:17]
	s_and_b64 s[16:17], s[28:29], exec
	v_mov_b32_e32 v36, v35
.LBB30_281:                             ;   in Loop: Header=BB30_6 Depth=1
	s_or_b64 exec, exec, s[18:19]
	s_mov_b64 s[40:41], -1
                                        ; implicit-def: $sgpr36_sgpr37
                                        ; implicit-def: $sgpr38_sgpr39
                                        ; implicit-def: $sgpr42_sgpr43
	s_and_saveexec_b64 s[18:19], s[16:17]
	s_xor_b64 s[28:29], exec, s[18:19]
	s_cbranch_execz .LBB30_402
; %bb.282:                              ;   in Loop: Header=BB30_6 Depth=1
	s_cmp_eq_u32 s11, 1
	s_cselect_b64 s[16:17], -1, 0
	v_cmp_eq_u32_e32 vcc, 1, v36
	s_and_b64 s[44:45], s[16:17], vcc
	s_mov_b64 s[46:47], -1
                                        ; implicit-def: $sgpr36_sgpr37
                                        ; implicit-def: $sgpr38_sgpr39
                                        ; implicit-def: $sgpr40_sgpr41
	s_and_saveexec_b64 s[42:43], s[44:45]
	s_cbranch_execz .LBB30_308
; %bb.283:                              ;   in Loop: Header=BB30_6 Depth=1
	ds_read_b32 v2, v11 offset:4096
	s_waitcnt lgkmcnt(0)
	s_barrier
	v_readfirstlane_b32 s40, v2
	s_mov_b64 s[16:17], exec
	v_readlane_b32 s18, v52, 26
	v_readlane_b32 s19, v52, 27
	s_and_b64 s[18:19], s[16:17], s[18:19]
	s_mov_b64 exec, s[18:19]
	s_cbranch_execz .LBB30_285
; %bb.284:                              ;   in Loop: Header=BB30_6 Depth=1
	ds_write_b32 v23, v11
.LBB30_285:                             ;   in Loop: Header=BB30_6 Depth=1
	s_or_b64 exec, exec, s[16:17]
	v_and_b32_e32 v2, s74, v34
	v_lshl_or_b32 v34, 2, s10, v2
	v_or_b32_e32 v33, s69, v33
	s_cmp_eq_u32 s40, 0
	s_waitcnt lgkmcnt(0)
	s_barrier
	s_cbranch_scc1 .LBB30_294
; %bb.286:                              ;   in Loop: Header=BB30_6 Depth=1
	v_readlane_b32 s16, v52, 19
	s_add_i32 s16, s40, s16
	v_readlane_b32 s17, v52, 41
	s_mul_hi_u32 s17, s16, s17
	s_mul_i32 s17, s17, s9
	s_sub_i32 s17, s16, s17
	s_sub_i32 s18, s17, s9
	s_cmp_ge_u32 s17, s9
	s_cselect_b32 s17, s18, s17
	s_sub_i32 s18, s17, s9
	s_cmp_ge_u32 s17, s9
	s_cselect_b32 s17, s18, s17
	s_sub_i32 s41, s16, s17
	v_cmp_gt_u32_e32 vcc, s41, v0
	s_mov_b64 s[18:19], 0
                                        ; implicit-def: $vgpr19
	s_and_saveexec_b64 s[36:37], vcc
	s_cbranch_execz .LBB30_296
; %bb.287:                              ;   in Loop: Header=BB30_6 Depth=1
	v_mov_b32_e32 v2, v21
	v_mov_b32_e32 v3, v0
                                        ; implicit-def: $sgpr38_sgpr39
	s_branch .LBB30_289
.LBB30_288:                             ;   in Loop: Header=BB30_289 Depth=2
	s_or_b64 exec, exec, s[16:17]
	s_waitcnt lgkmcnt(0)
	s_barrier
	ds_read_b64 v[18:19], v11 offset:3072
	v_add_u32_e32 v3, s9, v3
	v_cmp_le_u32_e32 vcc, s41, v3
	v_add_u32_e32 v2, s73, v2
	s_waitcnt lgkmcnt(0)
	v_readfirstlane_b32 s16, v18
	s_cmp_lg_u32 s16, 0
	s_cselect_b64 s[16:17], -1, 0
	s_or_b64 s[46:47], vcc, s[16:17]
	s_and_b64 s[46:47], exec, s[46:47]
	s_or_b64 s[18:19], s[46:47], s[18:19]
	s_andn2_b64 s[38:39], s[38:39], exec
	s_and_b64 s[16:17], s[16:17], exec
	s_or_b64 s[38:39], s[38:39], s[16:17]
	s_barrier
	s_andn2_b64 exec, exec, s[18:19]
	s_cbranch_execz .LBB30_295
.LBB30_289:                             ;   Parent Loop BB30_6 Depth=1
                                        ; =>  This Inner Loop Header: Depth=2
	v_cmp_gt_u32_e32 vcc, s40, v3
	s_waitcnt vmcnt(0)
	v_mov_b32_e32 v17, 0
	s_and_saveexec_b64 s[16:17], vcc
	s_cbranch_execz .LBB30_291
; %bb.290:                              ;   in Loop: Header=BB30_289 Depth=2
	ds_read_b32 v17, v2
.LBB30_291:                             ;   in Loop: Header=BB30_289 Depth=2
	s_or_b64 exec, exec, s[16:17]
	s_and_saveexec_b64 s[16:17], vcc
	s_cbranch_execz .LBB30_288
; %bb.292:                              ;   in Loop: Header=BB30_289 Depth=2
	s_waitcnt lgkmcnt(0)
	v_xor_b32_e32 v4, 0x80000000, v17
	v_and_b32_e32 v4, v4, v33
	v_cmp_eq_u32_e32 vcc, v4, v34
	s_and_b64 exec, exec, vcc
	s_cbranch_execz .LBB30_288
; %bb.293:                              ;   in Loop: Header=BB30_289 Depth=2
	ds_write_b64 v11, v[16:17] offset:3072
	s_branch .LBB30_288
.LBB30_294:                             ;   in Loop: Header=BB30_6 Depth=1
	s_mov_b64 s[36:37], -1
	s_mov_b64 s[18:19], 0
                                        ; implicit-def: $sgpr38_sgpr39
                                        ; implicit-def: $vgpr19
	s_mov_b64 s[40:41], s[36:37]
	s_cbranch_execnz .LBB30_297
	s_branch .LBB30_307
.LBB30_295:                             ;   in Loop: Header=BB30_6 Depth=1
	s_or_b64 exec, exec, s[18:19]
	s_and_b64 s[18:19], s[38:39], exec
.LBB30_296:                             ;   in Loop: Header=BB30_6 Depth=1
	s_or_b64 exec, exec, s[36:37]
	s_mov_b64 s[36:37], 0
	s_mov_b64 s[38:39], -1
	s_mov_b64 s[40:41], s[36:37]
	s_branch .LBB30_307
.LBB30_297:                             ;   in Loop: Header=BB30_6 Depth=1
	s_mov_b64 s[18:19], 0
                                        ; implicit-def: $vgpr19
	s_mov_b64 s[36:37], exec
	v_readlane_b32 s16, v52, 42
	v_readlane_b32 s17, v52, 43
	s_and_b64 s[16:17], s[36:37], s[16:17]
	s_mov_b64 exec, s[16:17]
	s_cbranch_execz .LBB30_306
; %bb.298:                              ;   in Loop: Header=BB30_6 Depth=1
	s_mov_b64 s[38:39], 0
	v_mov_b32_e32 v10, v12
	v_mov_b32_e32 v2, v0
                                        ; implicit-def: $sgpr40_sgpr41
	s_branch .LBB30_300
.LBB30_299:                             ;   in Loop: Header=BB30_300 Depth=2
	s_or_b64 exec, exec, s[16:17]
	s_waitcnt lgkmcnt(0)
	s_barrier
	ds_read_b64 v[18:19], v11 offset:3072
	v_add_u32_e32 v2, s9, v2
	v_cmp_le_u32_e32 vcc, s4, v2
	v_add_u32_e32 v10, s72, v10
	s_waitcnt lgkmcnt(0)
	v_readfirstlane_b32 s16, v18
	s_cmp_lg_u32 s16, 0
	s_cselect_b64 s[16:17], -1, 0
	s_or_b64 s[18:19], vcc, s[16:17]
	s_and_b64 s[18:19], exec, s[18:19]
	s_or_b64 s[38:39], s[18:19], s[38:39]
	s_andn2_b64 s[18:19], s[40:41], exec
	s_and_b64 s[16:17], s[16:17], exec
	s_or_b64 s[40:41], s[18:19], s[16:17]
	s_barrier
	s_andn2_b64 exec, exec, s[38:39]
	s_cbranch_execz .LBB30_305
.LBB30_300:                             ;   Parent Loop BB30_6 Depth=1
                                        ; =>  This Inner Loop Header: Depth=2
	v_cmp_gt_u32_e32 vcc, s60, v2
	s_waitcnt vmcnt(0)
	v_mov_b32_e32 v17, 0
	s_and_saveexec_b64 s[16:17], vcc
	s_cbranch_execz .LBB30_302
; %bb.301:                              ;   in Loop: Header=BB30_300 Depth=2
	v_lshlrev_b64 v[4:5], 2, v[10:11]
	v_mov_b32_e32 v3, s8
	v_add_co_u32_e64 v4, s[18:19], s33, v4
	v_addc_co_u32_e64 v5, s[18:19], v3, v5, s[18:19]
	global_load_dword v17, v[4:5], off
.LBB30_302:                             ;   in Loop: Header=BB30_300 Depth=2
	s_or_b64 exec, exec, s[16:17]
	s_and_saveexec_b64 s[16:17], vcc
	s_cbranch_execz .LBB30_299
; %bb.303:                              ;   in Loop: Header=BB30_300 Depth=2
	s_waitcnt vmcnt(0)
	v_xor_b32_e32 v3, 0x80000000, v17
	v_and_b32_e32 v3, v3, v33
	v_cmp_eq_u32_e32 vcc, v3, v34
	s_and_b64 exec, exec, vcc
	s_cbranch_execz .LBB30_299
; %bb.304:                              ;   in Loop: Header=BB30_300 Depth=2
	ds_write_b64 v11, v[16:17] offset:3072
	s_branch .LBB30_299
.LBB30_305:                             ;   in Loop: Header=BB30_6 Depth=1
	s_or_b64 exec, exec, s[38:39]
	s_and_b64 s[18:19], s[40:41], exec
.LBB30_306:                             ;   in Loop: Header=BB30_6 Depth=1
	s_or_b64 exec, exec, s[36:37]
	s_mov_b64 s[38:39], 0
	s_mov_b64 s[36:37], -1
	s_mov_b64 s[40:41], 0
.LBB30_307:                             ;   in Loop: Header=BB30_6 Depth=1
	s_orn2_b64 s[46:47], s[18:19], exec
.LBB30_308:                             ;   in Loop: Header=BB30_6 Depth=1
	s_or_b64 exec, exec, s[42:43]
	s_mov_b64 s[18:19], 0
                                        ; implicit-def: $vgpr2
	s_and_saveexec_b64 s[42:43], s[46:47]
	s_cbranch_execz .LBB30_401
; %bb.309:                              ;   in Loop: Header=BB30_6 Depth=1
	s_xor_b64 s[44:45], s[44:45], -1
	s_mov_b64 s[16:17], 0
	v_mov_b32_e32 v3, 1
	v_mov_b32_e32 v2, 1
	s_and_saveexec_b64 s[18:19], s[44:45]
	s_cbranch_execz .LBB30_319
; %bb.310:                              ;   in Loop: Header=BB30_6 Depth=1
	v_cmp_ge_u32_e32 vcc, s11, v36
                                        ; implicit-def: $sgpr48
                                        ; implicit-def: $sgpr44_sgpr45
	s_and_saveexec_b64 s[16:17], vcc
	s_xor_b64 s[46:47], exec, s[16:17]
	s_cbranch_execz .LBB30_316
; %bb.311:                              ;   in Loop: Header=BB30_6 Depth=1
	ds_read_b32 v2, v11 offset:4096
	s_waitcnt lgkmcnt(0)
	v_cmp_ne_u32_e32 vcc, 0, v2
	s_cbranch_vccnz .LBB30_315
; %bb.312:                              ;   in Loop: Header=BB30_6 Depth=1
	s_mov_b64 s[16:17], exec
	v_readlane_b32 s44, v52, 6
	v_readlane_b32 s45, v52, 7
	s_and_b64 s[44:45], s[16:17], s[44:45]
	s_mov_b64 exec, s[44:45]
	s_cbranch_execz .LBB30_314
; %bb.313:                              ;   in Loop: Header=BB30_6 Depth=1
	v_mov_b32_e32 v2, s11
	ds_write_b32 v11, v2 offset:4100
.LBB30_314:                             ;   in Loop: Header=BB30_6 Depth=1
	s_or_b64 exec, exec, s[16:17]
	s_waitcnt lgkmcnt(0)
	s_barrier
.LBB30_315:                             ;   in Loop: Header=BB30_6 Depth=1
	v_and_b32_e32 v2, s74, v34
	v_lshl_or_b32 v34, 2, s10, v2
	v_or_b32_e32 v33, s69, v33
	s_mov_b64 s[44:45], 0
	s_mov_b32 s48, 5
.LBB30_316:                             ;   in Loop: Header=BB30_6 Depth=1
	s_or_saveexec_b64 s[16:17], s[46:47]
	v_mov_b32_e32 v2, s48
	s_xor_b64 exec, exec, s[16:17]
; %bb.317:                              ;   in Loop: Header=BB30_6 Depth=1
	v_subrev_u32_e32 v36, s11, v36
	v_mov_b32_e32 v2, 0
	s_or_b64 s[44:45], s[44:45], exec
; %bb.318:                              ;   in Loop: Header=BB30_6 Depth=1
	s_or_b64 exec, exec, s[16:17]
	s_and_b64 s[16:17], s[44:45], exec
	v_mov_b32_e32 v3, v36
.LBB30_319:                             ;   in Loop: Header=BB30_6 Depth=1
	s_or_b64 exec, exec, s[18:19]
	s_mov_b64 s[18:19], -1
                                        ; implicit-def: $sgpr46_sgpr47
                                        ; implicit-def: $sgpr48_sgpr49
                                        ; implicit-def: $sgpr52_sgpr53
	s_and_saveexec_b64 s[44:45], s[16:17]
	s_cbranch_execz .LBB30_400
; %bb.320:                              ;   in Loop: Header=BB30_6 Depth=1
	s_cmp_eq_u32 s68, 1
	s_cselect_b64 s[16:17], -1, 0
	v_cmp_eq_u32_e32 vcc, 1, v3
	s_and_b64 s[54:55], s[16:17], vcc
	s_mov_b64 s[56:57], -1
                                        ; implicit-def: $sgpr46_sgpr47
                                        ; implicit-def: $sgpr48_sgpr49
                                        ; implicit-def: $sgpr50_sgpr51
	s_and_saveexec_b64 s[52:53], s[54:55]
	s_cbranch_execz .LBB30_346
; %bb.321:                              ;   in Loop: Header=BB30_6 Depth=1
	ds_read_b32 v2, v11 offset:4096
	s_waitcnt lgkmcnt(0)
	s_barrier
	v_readfirstlane_b32 s11, v2
	s_mov_b64 s[16:17], exec
	v_readlane_b32 s18, v52, 26
	v_readlane_b32 s19, v52, 27
	s_and_b64 s[18:19], s[16:17], s[18:19]
	s_mov_b64 exec, s[18:19]
	s_cbranch_execz .LBB30_323
; %bb.322:                              ;   in Loop: Header=BB30_6 Depth=1
	ds_write_b32 v23, v11
.LBB30_323:                             ;   in Loop: Header=BB30_6 Depth=1
	s_or_b64 exec, exec, s[16:17]
	v_and_b32_e32 v2, s74, v34
	v_lshl_or_b32 v34, 1, s10, v2
	v_or_b32_e32 v33, s69, v33
	s_cmp_eq_u32 s11, 0
	s_waitcnt lgkmcnt(0)
	s_barrier
	s_cbranch_scc1 .LBB30_332
; %bb.324:                              ;   in Loop: Header=BB30_6 Depth=1
	v_readlane_b32 s16, v52, 19
	s_add_i32 s16, s11, s16
	v_readlane_b32 s17, v52, 41
	s_mul_hi_u32 s17, s16, s17
	s_mul_i32 s17, s17, s9
	s_sub_i32 s17, s16, s17
	s_sub_i32 s18, s17, s9
	s_cmp_ge_u32 s17, s9
	s_cselect_b32 s17, s18, s17
	s_sub_i32 s18, s17, s9
	s_cmp_ge_u32 s17, s9
	s_cselect_b32 s17, s18, s17
	s_sub_i32 s50, s16, s17
	v_cmp_gt_u32_e32 vcc, s50, v0
	s_mov_b64 s[18:19], 0
                                        ; implicit-def: $vgpr19
	s_and_saveexec_b64 s[46:47], vcc
	s_cbranch_execz .LBB30_334
; %bb.325:                              ;   in Loop: Header=BB30_6 Depth=1
	v_mov_b32_e32 v2, v21
	v_mov_b32_e32 v4, v0
                                        ; implicit-def: $sgpr48_sgpr49
	s_branch .LBB30_327
.LBB30_326:                             ;   in Loop: Header=BB30_327 Depth=2
	s_or_b64 exec, exec, s[16:17]
	s_waitcnt lgkmcnt(0)
	s_barrier
	ds_read_b64 v[18:19], v11 offset:3072
	v_add_u32_e32 v4, s9, v4
	v_cmp_le_u32_e32 vcc, s50, v4
	v_add_u32_e32 v2, s73, v2
	s_waitcnt lgkmcnt(0)
	v_readfirstlane_b32 s16, v18
	s_cmp_lg_u32 s16, 0
	s_cselect_b64 s[16:17], -1, 0
	s_or_b64 s[56:57], vcc, s[16:17]
	s_and_b64 s[56:57], exec, s[56:57]
	s_or_b64 s[18:19], s[56:57], s[18:19]
	s_andn2_b64 s[48:49], s[48:49], exec
	s_and_b64 s[16:17], s[16:17], exec
	s_or_b64 s[48:49], s[48:49], s[16:17]
	s_barrier
	s_andn2_b64 exec, exec, s[18:19]
	s_cbranch_execz .LBB30_333
.LBB30_327:                             ;   Parent Loop BB30_6 Depth=1
                                        ; =>  This Inner Loop Header: Depth=2
	v_cmp_gt_u32_e32 vcc, s11, v4
	s_waitcnt vmcnt(0)
	v_mov_b32_e32 v17, 0
	s_and_saveexec_b64 s[16:17], vcc
	s_cbranch_execz .LBB30_329
; %bb.328:                              ;   in Loop: Header=BB30_327 Depth=2
	ds_read_b32 v17, v2
.LBB30_329:                             ;   in Loop: Header=BB30_327 Depth=2
	s_or_b64 exec, exec, s[16:17]
	s_and_saveexec_b64 s[16:17], vcc
	s_cbranch_execz .LBB30_326
; %bb.330:                              ;   in Loop: Header=BB30_327 Depth=2
	s_waitcnt lgkmcnt(0)
	v_xor_b32_e32 v5, 0x80000000, v17
	v_and_b32_e32 v5, v5, v33
	v_cmp_eq_u32_e32 vcc, v5, v34
	s_and_b64 exec, exec, vcc
	s_cbranch_execz .LBB30_326
; %bb.331:                              ;   in Loop: Header=BB30_327 Depth=2
	ds_write_b64 v11, v[16:17] offset:3072
	s_branch .LBB30_326
.LBB30_332:                             ;   in Loop: Header=BB30_6 Depth=1
	s_mov_b64 s[46:47], -1
	s_mov_b64 s[18:19], 0
                                        ; implicit-def: $sgpr48_sgpr49
                                        ; implicit-def: $vgpr19
	s_mov_b64 s[50:51], s[46:47]
	s_cbranch_execnz .LBB30_335
	s_branch .LBB30_345
.LBB30_333:                             ;   in Loop: Header=BB30_6 Depth=1
	s_or_b64 exec, exec, s[18:19]
	s_and_b64 s[18:19], s[48:49], exec
.LBB30_334:                             ;   in Loop: Header=BB30_6 Depth=1
	s_or_b64 exec, exec, s[46:47]
	s_mov_b64 s[46:47], 0
	s_mov_b64 s[48:49], -1
	s_mov_b64 s[50:51], s[46:47]
	s_branch .LBB30_345
.LBB30_335:                             ;   in Loop: Header=BB30_6 Depth=1
	s_mov_b64 s[18:19], 0
                                        ; implicit-def: $vgpr19
	s_mov_b64 s[46:47], exec
	v_readlane_b32 s16, v52, 42
	v_readlane_b32 s17, v52, 43
	s_and_b64 s[16:17], s[46:47], s[16:17]
	s_mov_b64 exec, s[16:17]
	s_cbranch_execz .LBB30_344
; %bb.336:                              ;   in Loop: Header=BB30_6 Depth=1
	s_mov_b64 s[48:49], 0
	v_mov_b32_e32 v10, v12
	v_mov_b32_e32 v2, v0
                                        ; implicit-def: $sgpr50_sgpr51
	s_branch .LBB30_338
.LBB30_337:                             ;   in Loop: Header=BB30_338 Depth=2
	s_or_b64 exec, exec, s[16:17]
	s_waitcnt lgkmcnt(0)
	s_barrier
	ds_read_b64 v[18:19], v11 offset:3072
	v_add_u32_e32 v2, s9, v2
	v_cmp_le_u32_e32 vcc, s4, v2
	v_add_u32_e32 v10, s72, v10
	s_waitcnt lgkmcnt(0)
	v_readfirstlane_b32 s11, v18
	s_cmp_lg_u32 s11, 0
	s_cselect_b64 s[16:17], -1, 0
	s_or_b64 s[18:19], vcc, s[16:17]
	s_and_b64 s[18:19], exec, s[18:19]
	s_or_b64 s[48:49], s[18:19], s[48:49]
	s_andn2_b64 s[18:19], s[50:51], exec
	s_and_b64 s[16:17], s[16:17], exec
	s_or_b64 s[50:51], s[18:19], s[16:17]
	s_barrier
	s_andn2_b64 exec, exec, s[48:49]
	s_cbranch_execz .LBB30_343
.LBB30_338:                             ;   Parent Loop BB30_6 Depth=1
                                        ; =>  This Inner Loop Header: Depth=2
	v_cmp_gt_u32_e32 vcc, s60, v2
	s_waitcnt vmcnt(0)
	v_mov_b32_e32 v17, 0
	s_and_saveexec_b64 s[16:17], vcc
	s_cbranch_execz .LBB30_340
; %bb.339:                              ;   in Loop: Header=BB30_338 Depth=2
	v_lshlrev_b64 v[4:5], 2, v[10:11]
	v_mov_b32_e32 v17, s8
	v_add_co_u32_e64 v4, s[18:19], s33, v4
	v_addc_co_u32_e64 v5, s[18:19], v17, v5, s[18:19]
	global_load_dword v17, v[4:5], off
.LBB30_340:                             ;   in Loop: Header=BB30_338 Depth=2
	s_or_b64 exec, exec, s[16:17]
	s_and_saveexec_b64 s[16:17], vcc
	s_cbranch_execz .LBB30_337
; %bb.341:                              ;   in Loop: Header=BB30_338 Depth=2
	s_waitcnt vmcnt(0)
	v_xor_b32_e32 v4, 0x80000000, v17
	v_and_b32_e32 v4, v4, v33
	v_cmp_eq_u32_e32 vcc, v4, v34
	s_and_b64 exec, exec, vcc
	s_cbranch_execz .LBB30_337
; %bb.342:                              ;   in Loop: Header=BB30_338 Depth=2
	ds_write_b64 v11, v[16:17] offset:3072
	s_branch .LBB30_337
.LBB30_343:                             ;   in Loop: Header=BB30_6 Depth=1
	s_or_b64 exec, exec, s[48:49]
	s_and_b64 s[18:19], s[50:51], exec
.LBB30_344:                             ;   in Loop: Header=BB30_6 Depth=1
	s_or_b64 exec, exec, s[46:47]
	s_mov_b64 s[48:49], 0
	s_mov_b64 s[46:47], -1
	s_mov_b64 s[50:51], 0
.LBB30_345:                             ;   in Loop: Header=BB30_6 Depth=1
	s_orn2_b64 s[56:57], s[18:19], exec
.LBB30_346:                             ;   in Loop: Header=BB30_6 Depth=1
	s_or_b64 exec, exec, s[52:53]
	s_mov_b64 s[18:19], 0
                                        ; implicit-def: $vgpr2
	s_and_saveexec_b64 s[52:53], s[56:57]
	s_cbranch_execz .LBB30_399
; %bb.347:                              ;   in Loop: Header=BB30_6 Depth=1
	s_xor_b64 s[54:55], s[54:55], -1
	s_mov_b64 s[16:17], 0
	v_mov_b32_e32 v4, 1
	v_mov_b32_e32 v2, 1
	s_and_saveexec_b64 s[18:19], s[54:55]
	s_cbranch_execz .LBB30_357
; %bb.348:                              ;   in Loop: Header=BB30_6 Depth=1
	v_cmp_ge_u32_e32 vcc, s68, v3
                                        ; implicit-def: $sgpr11
                                        ; implicit-def: $sgpr54_sgpr55
	s_and_saveexec_b64 s[16:17], vcc
	s_xor_b64 s[56:57], exec, s[16:17]
	s_cbranch_execz .LBB30_354
; %bb.349:                              ;   in Loop: Header=BB30_6 Depth=1
	ds_read_b32 v2, v11 offset:4096
	s_waitcnt lgkmcnt(0)
	v_cmp_ne_u32_e32 vcc, 0, v2
	s_cbranch_vccnz .LBB30_353
; %bb.350:                              ;   in Loop: Header=BB30_6 Depth=1
	s_mov_b64 s[16:17], exec
	v_readlane_b32 s54, v52, 6
	v_readlane_b32 s55, v52, 7
	s_and_b64 s[54:55], s[16:17], s[54:55]
	s_mov_b64 exec, s[54:55]
	s_cbranch_execz .LBB30_352
; %bb.351:                              ;   in Loop: Header=BB30_6 Depth=1
	v_mov_b32_e32 v2, s68
	ds_write_b32 v11, v2 offset:4100
.LBB30_352:                             ;   in Loop: Header=BB30_6 Depth=1
	s_or_b64 exec, exec, s[16:17]
	s_waitcnt lgkmcnt(0)
	s_barrier
.LBB30_353:                             ;   in Loop: Header=BB30_6 Depth=1
	v_and_b32_e32 v2, s74, v34
	v_lshl_or_b32 v34, 1, s10, v2
	v_or_b32_e32 v33, s69, v33
	s_mov_b64 s[54:55], 0
	s_mov_b32 s11, 5
.LBB30_354:                             ;   in Loop: Header=BB30_6 Depth=1
	s_or_saveexec_b64 s[16:17], s[56:57]
	v_mov_b32_e32 v2, s11
	s_xor_b64 exec, exec, s[16:17]
; %bb.355:                              ;   in Loop: Header=BB30_6 Depth=1
	v_subrev_u32_e32 v3, s68, v3
	v_mov_b32_e32 v2, 0
	s_or_b64 s[54:55], s[54:55], exec
; %bb.356:                              ;   in Loop: Header=BB30_6 Depth=1
	s_or_b64 exec, exec, s[16:17]
	s_and_b64 s[16:17], s[54:55], exec
	v_mov_b32_e32 v4, v3
.LBB30_357:                             ;   in Loop: Header=BB30_6 Depth=1
	s_or_b64 exec, exec, s[18:19]
	s_mov_b64 s[56:57], -1
                                        ; implicit-def: $sgpr18_sgpr19
                                        ; implicit-def: $sgpr76_sgpr77
                                        ; implicit-def: $sgpr78_sgpr79
	s_and_saveexec_b64 s[54:55], s[16:17]
	s_cbranch_execz .LBB30_398
; %bb.358:                              ;   in Loop: Header=BB30_6 Depth=1
	s_cmp_eq_u32 s7, 1
	s_cselect_b64 s[10:11], -1, 0
	v_cmp_eq_u32_e32 vcc, 1, v4
	s_mov_b64 s[16:17], -1
	s_and_b64 s[10:11], s[10:11], vcc
                                        ; implicit-def: $sgpr18_sgpr19
                                        ; implicit-def: $sgpr76_sgpr77
                                        ; implicit-def: $sgpr78_sgpr79
	s_mov_b64 s[58:59], exec
	v_writelane_b32 v52, s10, 45
	v_writelane_b32 v52, s11, 46
	s_and_b64 s[10:11], s[58:59], s[10:11]
	s_mov_b64 exec, s[10:11]
	s_cbranch_execz .LBB30_385
; %bb.359:                              ;   in Loop: Header=BB30_6 Depth=1
	ds_read_b32 v2, v11 offset:4096
	s_waitcnt lgkmcnt(0)
	s_barrier
	v_readfirstlane_b32 s10, v2
	s_mov_b64 s[16:17], exec
	v_readlane_b32 s18, v52, 26
	v_readlane_b32 s19, v52, 27
	s_and_b64 s[18:19], s[16:17], s[18:19]
	s_mov_b64 exec, s[18:19]
	s_cbranch_execz .LBB30_361
; %bb.360:                              ;   in Loop: Header=BB30_6 Depth=1
	ds_write_b32 v23, v11
.LBB30_361:                             ;   in Loop: Header=BB30_6 Depth=1
	s_or_b64 exec, exec, s[16:17]
	v_and_b32_e32 v34, s74, v34
	v_or_b32_e32 v33, s69, v33
	s_cmp_eq_u32 s10, 0
	s_waitcnt lgkmcnt(0)
	s_barrier
	s_cbranch_scc1 .LBB30_370
; %bb.362:                              ;   in Loop: Header=BB30_6 Depth=1
	v_readlane_b32 s11, v52, 19
	s_add_i32 s11, s10, s11
	v_readlane_b32 s16, v52, 41
	s_mul_hi_u32 s16, s11, s16
	s_mul_i32 s16, s16, s9
	s_sub_i32 s16, s11, s16
	s_sub_i32 s17, s16, s9
	s_cmp_ge_u32 s16, s9
	s_cselect_b32 s16, s17, s16
	s_sub_i32 s17, s16, s9
	s_cmp_ge_u32 s16, s9
	s_cselect_b32 s16, s17, s16
	s_sub_i32 s11, s11, s16
	v_cmp_gt_u32_e32 vcc, s11, v0
	s_mov_b64 s[56:57], 0
                                        ; implicit-def: $vgpr19
	s_and_saveexec_b64 s[18:19], vcc
	s_cbranch_execz .LBB30_372
; %bb.363:                              ;   in Loop: Header=BB30_6 Depth=1
	v_mov_b32_e32 v2, v21
	v_mov_b32_e32 v3, v0
                                        ; implicit-def: $sgpr76_sgpr77
	s_branch .LBB30_365
.LBB30_364:                             ;   in Loop: Header=BB30_365 Depth=2
	s_or_b64 exec, exec, s[16:17]
	s_waitcnt lgkmcnt(0)
	s_barrier
	ds_read_b64 v[18:19], v11 offset:3072
	v_add_u32_e32 v3, s9, v3
	v_cmp_le_u32_e32 vcc, s11, v3
	v_add_u32_e32 v2, s73, v2
	s_waitcnt lgkmcnt(0)
	v_readfirstlane_b32 s16, v18
	s_cmp_lg_u32 s16, 0
	s_cselect_b64 s[16:17], -1, 0
	s_or_b64 s[78:79], vcc, s[16:17]
	s_and_b64 s[78:79], exec, s[78:79]
	s_or_b64 s[56:57], s[78:79], s[56:57]
	s_andn2_b64 s[76:77], s[76:77], exec
	s_and_b64 s[16:17], s[16:17], exec
	s_or_b64 s[76:77], s[76:77], s[16:17]
	s_barrier
	s_andn2_b64 exec, exec, s[56:57]
	s_cbranch_execz .LBB30_371
.LBB30_365:                             ;   Parent Loop BB30_6 Depth=1
                                        ; =>  This Inner Loop Header: Depth=2
	v_cmp_gt_u32_e32 vcc, s10, v3
	s_waitcnt vmcnt(0)
	v_mov_b32_e32 v17, 0
	s_and_saveexec_b64 s[16:17], vcc
	s_cbranch_execz .LBB30_367
; %bb.366:                              ;   in Loop: Header=BB30_365 Depth=2
	ds_read_b32 v17, v2
.LBB30_367:                             ;   in Loop: Header=BB30_365 Depth=2
	s_or_b64 exec, exec, s[16:17]
	s_and_saveexec_b64 s[16:17], vcc
	s_cbranch_execz .LBB30_364
; %bb.368:                              ;   in Loop: Header=BB30_365 Depth=2
	s_waitcnt lgkmcnt(0)
	v_xor_b32_e32 v5, 0x80000000, v17
	v_and_b32_e32 v5, v5, v33
	v_cmp_eq_u32_e32 vcc, v5, v34
	s_and_b64 exec, exec, vcc
	s_cbranch_execz .LBB30_364
; %bb.369:                              ;   in Loop: Header=BB30_365 Depth=2
	ds_write_b64 v11, v[16:17] offset:3072
	s_branch .LBB30_364
.LBB30_370:                             ;   in Loop: Header=BB30_6 Depth=1
	s_mov_b64 s[18:19], -1
	s_mov_b64 s[56:57], 0
                                        ; implicit-def: $sgpr76_sgpr77
                                        ; implicit-def: $vgpr19
	s_branch .LBB30_373
.LBB30_371:                             ;   in Loop: Header=BB30_6 Depth=1
	s_or_b64 exec, exec, s[56:57]
	s_and_b64 s[56:57], s[76:77], exec
.LBB30_372:                             ;   in Loop: Header=BB30_6 Depth=1
	s_or_b64 exec, exec, s[18:19]
	s_mov_b64 s[18:19], 0
	s_mov_b64 s[76:77], -1
.LBB30_373:                             ;   in Loop: Header=BB30_6 Depth=1
	s_and_b64 vcc, exec, s[18:19]
	s_mov_b64 s[78:79], s[18:19]
	s_cbranch_vccz .LBB30_384
; %bb.374:                              ;   in Loop: Header=BB30_6 Depth=1
	s_mov_b64 s[56:57], 0
                                        ; implicit-def: $vgpr19
	s_mov_b64 s[76:77], exec
	v_readlane_b32 s10, v52, 42
	v_readlane_b32 s11, v52, 43
	s_and_b64 s[10:11], s[76:77], s[10:11]
	s_mov_b64 exec, s[10:11]
	s_cbranch_execz .LBB30_383
; %bb.375:                              ;   in Loop: Header=BB30_6 Depth=1
	v_mov_b32_e32 v10, v12
	v_mov_b32_e32 v2, v0
                                        ; implicit-def: $sgpr78_sgpr79
	s_branch .LBB30_377
.LBB30_376:                             ;   in Loop: Header=BB30_377 Depth=2
	s_or_b64 exec, exec, s[16:17]
	s_waitcnt lgkmcnt(0)
	s_barrier
	ds_read_b64 v[18:19], v11 offset:3072
	v_add_u32_e32 v2, s9, v2
	v_cmp_le_u32_e32 vcc, s4, v2
	v_add_u32_e32 v10, s72, v10
	s_waitcnt lgkmcnt(0)
	v_readfirstlane_b32 s10, v18
	s_cmp_lg_u32 s10, 0
	s_cselect_b64 s[10:11], -1, 0
	s_or_b64 s[16:17], vcc, s[10:11]
	s_and_b64 s[16:17], exec, s[16:17]
	s_or_b64 s[56:57], s[16:17], s[56:57]
	s_andn2_b64 s[16:17], s[78:79], exec
	s_and_b64 s[10:11], s[10:11], exec
	s_or_b64 s[78:79], s[16:17], s[10:11]
	s_barrier
	s_andn2_b64 exec, exec, s[56:57]
	s_cbranch_execz .LBB30_382
.LBB30_377:                             ;   Parent Loop BB30_6 Depth=1
                                        ; =>  This Inner Loop Header: Depth=2
	v_cmp_gt_u32_e32 vcc, s60, v2
	s_waitcnt vmcnt(0)
	v_mov_b32_e32 v17, 0
	s_and_saveexec_b64 s[16:17], vcc
	s_cbranch_execz .LBB30_379
; %bb.378:                              ;   in Loop: Header=BB30_377 Depth=2
	v_lshlrev_b64 v[18:19], 2, v[10:11]
	v_mov_b32_e32 v3, s8
	v_add_co_u32_e64 v18, s[18:19], s33, v18
	v_addc_co_u32_e64 v19, s[18:19], v3, v19, s[18:19]
	global_load_dword v17, v[18:19], off
.LBB30_379:                             ;   in Loop: Header=BB30_377 Depth=2
	s_or_b64 exec, exec, s[16:17]
	s_and_saveexec_b64 s[16:17], vcc
	s_cbranch_execz .LBB30_376
; %bb.380:                              ;   in Loop: Header=BB30_377 Depth=2
	s_waitcnt vmcnt(0)
	v_xor_b32_e32 v3, 0x80000000, v17
	v_and_b32_e32 v3, v3, v33
	v_cmp_eq_u32_e32 vcc, v3, v34
	s_and_b64 exec, exec, vcc
	s_cbranch_execz .LBB30_376
; %bb.381:                              ;   in Loop: Header=BB30_377 Depth=2
	ds_write_b64 v11, v[16:17] offset:3072
	s_branch .LBB30_376
.LBB30_382:                             ;   in Loop: Header=BB30_6 Depth=1
	s_or_b64 exec, exec, s[56:57]
	s_and_b64 s[56:57], s[78:79], exec
.LBB30_383:                             ;   in Loop: Header=BB30_6 Depth=1
	s_or_b64 exec, exec, s[76:77]
	s_mov_b64 s[76:77], 0
	s_mov_b64 s[18:19], -1
	s_mov_b64 s[78:79], 0
.LBB30_384:                             ;   in Loop: Header=BB30_6 Depth=1
	s_orn2_b64 s[16:17], s[56:57], exec
.LBB30_385:                             ;   in Loop: Header=BB30_6 Depth=1
	s_or_b64 exec, exec, s[58:59]
	s_mov_b64 s[56:57], 0
                                        ; implicit-def: $vgpr2
                                        ; implicit-def: $vgpr3
	s_and_saveexec_b64 s[58:59], s[16:17]
	s_cbranch_execz .LBB30_397
; %bb.386:                              ;   in Loop: Header=BB30_6 Depth=1
	v_readlane_b32 s10, v52, 45
	v_readlane_b32 s11, v52, 46
	s_xor_b64 s[10:11], s[10:11], -1
	v_mov_b32_e32 v2, 1
	v_mov_b32_e32 v3, 1
	s_and_saveexec_b64 s[56:57], s[10:11]
	s_cbranch_execz .LBB30_396
; %bb.387:                              ;   in Loop: Header=BB30_6 Depth=1
	v_cmp_ge_u32_e32 vcc, s7, v4
                                        ; implicit-def: $sgpr10
	s_and_saveexec_b64 s[16:17], vcc
	s_xor_b64 s[16:17], exec, s[16:17]
	s_cbranch_execz .LBB30_393
; %bb.388:                              ;   in Loop: Header=BB30_6 Depth=1
	ds_read_b32 v2, v11 offset:4096
	s_waitcnt lgkmcnt(0)
	v_cmp_ne_u32_e32 vcc, 0, v2
	s_cbranch_vccnz .LBB30_392
; %bb.389:                              ;   in Loop: Header=BB30_6 Depth=1
	s_mov_b64 vcc, exec
	v_readlane_b32 s10, v52, 6
	v_readlane_b32 s11, v52, 7
	s_and_b64 s[10:11], vcc, s[10:11]
	s_mov_b64 exec, s[10:11]
	s_cbranch_execz .LBB30_391
; %bb.390:                              ;   in Loop: Header=BB30_6 Depth=1
	v_mov_b32_e32 v2, s7
	ds_write_b32 v11, v2 offset:4100
.LBB30_391:                             ;   in Loop: Header=BB30_6 Depth=1
	s_or_b64 exec, exec, vcc
	s_waitcnt lgkmcnt(0)
	s_barrier
.LBB30_392:                             ;   in Loop: Header=BB30_6 Depth=1
	v_and_b32_e32 v34, s74, v34
	v_or_b32_e32 v33, s69, v33
	s_mov_b32 s10, 5
.LBB30_393:                             ;   in Loop: Header=BB30_6 Depth=1
	s_or_saveexec_b64 s[16:17], s[16:17]
	v_mov_b32_e32 v2, s10
	s_xor_b64 exec, exec, s[16:17]
; %bb.394:                              ;   in Loop: Header=BB30_6 Depth=1
	v_subrev_u32_e32 v4, s7, v4
	v_mov_b32_e32 v2, 5
; %bb.395:                              ;   in Loop: Header=BB30_6 Depth=1
	s_or_b64 exec, exec, s[16:17]
	v_mov_b32_e32 v3, v4
.LBB30_396:                             ;   in Loop: Header=BB30_6 Depth=1
	s_or_b64 exec, exec, s[56:57]
	s_mov_b64 s[56:57], exec
.LBB30_397:                             ;   in Loop: Header=BB30_6 Depth=1
	s_or_b64 exec, exec, s[58:59]
	s_orn2_b64 s[56:57], s[56:57], exec
	v_mov_b32_e32 v4, v3
.LBB30_398:                             ;   in Loop: Header=BB30_6 Depth=1
	s_or_b64 exec, exec, s[54:55]
	s_andn2_b64 s[10:11], s[46:47], exec
	s_and_b64 s[16:17], s[18:19], exec
	s_or_b64 s[46:47], s[10:11], s[16:17]
	s_andn2_b64 s[10:11], s[48:49], exec
	s_and_b64 s[16:17], s[76:77], exec
	s_or_b64 s[48:49], s[10:11], s[16:17]
	;; [unrolled: 3-line block ×3, first 2 shown]
	s_and_b64 s[18:19], s[56:57], exec
	v_mov_b32_e32 v3, v4
.LBB30_399:                             ;   in Loop: Header=BB30_6 Depth=1
	s_or_b64 exec, exec, s[52:53]
	s_and_b64 s[52:53], s[46:47], exec
	s_and_b64 s[48:49], s[48:49], exec
	;; [unrolled: 1-line block ×3, first 2 shown]
	s_orn2_b64 s[18:19], s[18:19], exec
.LBB30_400:                             ;   in Loop: Header=BB30_6 Depth=1
	s_or_b64 exec, exec, s[44:45]
	s_andn2_b64 s[10:11], s[36:37], exec
	s_and_b64 s[16:17], s[52:53], exec
	s_or_b64 s[36:37], s[10:11], s[16:17]
	s_andn2_b64 s[10:11], s[38:39], exec
	s_and_b64 s[16:17], s[48:49], exec
	s_or_b64 s[38:39], s[10:11], s[16:17]
	;; [unrolled: 3-line block ×3, first 2 shown]
	s_and_b64 s[18:19], s[18:19], exec
	v_mov_b32_e32 v36, v3
.LBB30_401:                             ;   in Loop: Header=BB30_6 Depth=1
	s_or_b64 exec, exec, s[42:43]
	s_and_b64 s[42:43], s[36:37], exec
	s_and_b64 s[38:39], s[38:39], exec
	;; [unrolled: 1-line block ×3, first 2 shown]
	s_orn2_b64 s[40:41], s[18:19], exec
.LBB30_402:                             ;   in Loop: Header=BB30_6 Depth=1
	s_or_b64 exec, exec, s[28:29]
	s_mov_b64 s[18:19], s[24:25]
	s_mov_b64 s[28:29], s[20:21]
	s_and_saveexec_b64 s[16:17], s[40:41]
; %bb.403:                              ;   in Loop: Header=BB30_6 Depth=1
	v_cmp_ne_u32_e64 s[18:19], 5, v2
	v_cmp_eq_u32_e32 vcc, 5, v2
	s_andn2_b64 s[10:11], s[20:21], exec
	s_and_b64 s[18:19], s[18:19], exec
	s_or_b64 s[28:29], s[10:11], s[18:19]
	s_andn2_b64 s[10:11], s[24:25], exec
	s_and_b64 s[18:19], vcc, exec
	s_andn2_b64 s[42:43], s[42:43], exec
	s_andn2_b64 s[38:39], s[38:39], exec
	s_andn2_b64 s[36:37], s[36:37], exec
	s_or_b64 s[18:19], s[10:11], s[18:19]
; %bb.404:                              ;   in Loop: Header=BB30_6 Depth=1
	s_or_b64 exec, exec, s[16:17]
	s_andn2_b64 s[10:11], s[30:31], exec
	s_and_b64 s[16:17], s[42:43], exec
	s_or_b64 s[30:31], s[10:11], s[16:17]
	s_andn2_b64 s[10:11], s[34:35], exec
	s_and_b64 s[16:17], s[38:39], exec
	s_or_b64 s[34:35], s[10:11], s[16:17]
	s_andn2_b64 s[10:11], s[22:23], exec
	s_and_b64 s[16:17], s[36:37], exec
	s_or_b64 s[22:23], s[10:11], s[16:17]
	s_andn2_b64 s[10:11], s[20:21], exec
	s_and_b64 s[16:17], s[28:29], exec
	s_or_b64 s[20:21], s[10:11], s[16:17]
	s_andn2_b64 s[10:11], s[24:25], exec
	s_and_b64 s[16:17], s[18:19], exec
	s_or_b64 s[24:25], s[10:11], s[16:17]
	v_mov_b32_e32 v4, v34
	v_mov_b32_e32 v5, v33
	;; [unrolled: 1-line block ×3, first 2 shown]
.LBB30_405:                             ;   in Loop: Header=BB30_6 Depth=1
	s_or_b64 exec, exec, s[26:27]
	s_mov_b64 s[28:29], s[22:23]
	s_mov_b64 s[26:27], s[22:23]
	s_and_saveexec_b64 s[16:17], s[24:25]
.LBB30_406:                             ;   in Loop: Header=BB30_6 Depth=1
	v_mov_b32_e32 v2, 0
	s_andn2_b64 s[22:23], s[22:23], exec
	s_andn2_b64 s[30:31], s[30:31], exec
	;; [unrolled: 1-line block ×5, first 2 shown]
	s_or_b64 s[20:21], s[20:21], exec
.LBB30_407:                             ;   in Loop: Header=BB30_6 Depth=1
	s_or_b64 exec, exec, s[16:17]
	s_andn2_b64 s[10:11], s[84:85], exec
	s_and_b64 s[16:17], s[22:23], exec
	s_or_b64 s[84:85], s[10:11], s[16:17]
	s_andn2_b64 s[10:11], s[82:83], exec
	s_and_b64 s[16:17], s[30:31], exec
	s_or_b64 s[82:83], s[10:11], s[16:17]
	;; [unrolled: 3-line block ×4, first 2 shown]
	s_andn2_b64 s[10:11], s[66:67], exec
	s_and_b64 s[16:17], s[26:27], exec
	s_mov_b64 s[24:25], -1
	s_or_b64 s[66:67], s[10:11], s[16:17]
                                        ; implicit-def: $vgpr33
                                        ; implicit-def: $vgpr34
                                        ; implicit-def: $vgpr35
                                        ; implicit-def: $vgpr19
	s_and_saveexec_b64 s[10:11], s[20:21]
	s_xor_b64 s[18:19], exec, s[10:11]
	s_cbranch_execz .LBB30_5
; %bb.408:                              ;   in Loop: Header=BB30_6 Depth=1
	v_cmp_eq_u32_e32 vcc, 0, v2
	s_mov_b64 s[20:21], -1
	s_mov_b64 s[16:17], -1
	s_and_saveexec_b64 s[22:23], vcc
	s_cbranch_execz .LBB30_4
; %bb.409:                              ;   in Loop: Header=BB30_6 Depth=1
	s_xor_b32 s6, s6, 1
	s_add_i32 s7, s13, -2
	s_cmp_eq_u32 s13, 0
	s_cselect_b64 s[10:11], -1, 0
	s_xor_b64 s[16:17], exec, -1
	s_orn2_b64 s[20:21], s[10:11], exec
	s_mov_b32 s13, s7
	s_branch .LBB30_4
.LBB30_410:
	s_or_b64 exec, exec, s[86:87]
	s_xor_b64 s[16:17], s[64:65], -1
	s_xor_b64 s[20:21], s[94:95], -1
	;; [unrolled: 1-line block ×5, first 2 shown]
	s_mov_b64 s[12:13], 0
	s_and_saveexec_b64 s[6:7], s[4:5]
	s_xor_b64 s[10:11], exec, s[6:7]
	s_cbranch_execnz .LBB30_415
; %bb.411:
	s_andn2_saveexec_b64 s[0:1], s[10:11]
	s_cbranch_execnz .LBB30_434
.LBB30_412:
	s_or_b64 exec, exec, s[0:1]
	s_and_saveexec_b64 s[0:1], s[12:13]
.LBB30_413:
	; divergent unreachable
.LBB30_414:
	s_endpgm
.LBB30_415:
	s_mov_b64 s[14:15], 0
	s_and_saveexec_b64 s[4:5], s[18:19]
	s_xor_b64 s[12:13], exec, s[4:5]
	s_cbranch_execz .LBB30_432
; %bb.416:
	s_mov_b64 s[18:19], 0
	s_and_saveexec_b64 s[4:5], s[20:21]
	s_xor_b64 s[14:15], exec, s[4:5]
	s_cbranch_execz .LBB30_430
; %bb.417:
	s_and_saveexec_b64 s[4:5], s[16:17]
	s_xor_b64 s[16:17], exec, s[4:5]
	s_cbranch_execz .LBB30_428
; %bb.418:
	s_and_saveexec_b64 s[4:5], s[2:3]
	s_xor_b64 s[2:3], exec, s[4:5]
; %bb.419:
	v_xor_b32_e32 v3, 0x80000000, v4
; %bb.420:
	s_or_b64 exec, exec, s[2:3]
	s_mov_b64 s[2:3], exec
	v_readlane_b32 s4, v52, 6
	v_readlane_b32 s5, v52, 7
	;; [unrolled: 1-line block ×3, first 2 shown]
	s_and_b64 s[4:5], s[2:3], s[4:5]
	v_readlane_b32 s35, v52, 14
	v_readlane_b32 s20, v52, 44
	s_mov_b64 exec, s[4:5]
	s_cbranch_execz .LBB30_422
; %bb.421:
	v_mov_b32_e32 v1, 0
	ds_write_b32 v1, v1 offset:4108
.LBB30_422:
	s_or_b64 exec, exec, s[2:3]
	v_mov_b32_e32 v2, 0
	s_waitcnt lgkmcnt(0)
	s_barrier
	s_mov_b64 s[2:3], exec
	v_readlane_b32 s4, v52, 24
	v_readlane_b32 s5, v52, 25
	s_and_b64 s[4:5], s[2:3], s[4:5]
	s_mov_b64 exec, s[4:5]
	s_cbranch_execz .LBB30_424
; %bb.423:
	global_load_dword v2, v[8:9], off
.LBB30_424:
	s_or_b64 exec, exec, s[2:3]
	v_readlane_b32 s3, v52, 12
	v_readlane_b32 s2, v52, 11
	;; [unrolled: 1-line block ×3, first 2 shown]
	s_add_i32 s42, s60, 63
	s_mul_i32 s2, s2, s3
	s_mul_i32 s4, s4, s3
	s_mov_b32 s3, 0
	s_andn2_b32 s42, s42, 63
	s_lshl_b64 s[6:7], s[2:3], 2
	v_readlane_b32 s18, v52, 2
	v_readlane_b32 s19, v52, 3
	s_add_u32 s43, s18, s6
	s_mov_b32 s5, s3
	s_addc_u32 s44, s19, s7
	s_lshl_b64 s[2:3], s[4:5], 3
	v_readlane_b32 s4, v52, 0
	v_readlane_b32 s5, v52, 1
	s_add_u32 s45, s4, s2
	s_addc_u32 s46, s5, s3
	v_readlane_b32 s2, v52, 9
	v_readlane_b32 s3, v52, 10
	s_load_dword s47, s[2:3], 0x1c8
	s_load_dword s48, s[2:3], 0x2a8
	v_add_u32_e32 v5, s9, v0
	v_cmp_gt_u32_e32 vcc, s42, v0
	s_mov_b64 s[18:19], -1
	s_mov_b64 s[2:3], 0
	v_mul_lo_u32 v4, s20, v5
	s_mov_b64 s[4:5], 0
	s_and_saveexec_b64 s[30:31], vcc
	s_cbranch_execnz .LBB30_435
; %bb.425:
	s_or_b64 exec, exec, s[30:31]
	s_and_saveexec_b64 s[40:41], s[18:19]
	s_cbranch_execnz .LBB30_450
.LBB30_426:
	s_or_b64 exec, exec, s[40:41]
	s_and_saveexec_b64 s[0:1], s[4:5]
	s_xor_b64 s[0:1], exec, s[0:1]
	s_cbranch_execnz .LBB30_472
.LBB30_427:
	s_or_b64 exec, exec, s[0:1]
	s_and_b64 s[18:19], s[2:3], exec
.LBB30_428:
	s_andn2_saveexec_b64 s[0:1], s[16:17]
	s_cbranch_execnz .LBB30_475
.LBB30_429:
	s_or_b64 exec, exec, s[0:1]
	s_and_b64 s[18:19], s[18:19], exec
.LBB30_430:
	s_andn2_saveexec_b64 s[0:1], s[14:15]
	s_cbranch_execnz .LBB30_474
.LBB30_431:
	s_or_b64 exec, exec, s[0:1]
	s_and_b64 s[14:15], s[18:19], exec
.LBB30_432:
	s_andn2_saveexec_b64 s[0:1], s[12:13]
	s_cbranch_execnz .LBB30_473
.LBB30_433:
	s_or_b64 exec, exec, s[0:1]
	s_and_b64 s[12:13], s[14:15], exec
	s_andn2_saveexec_b64 s[0:1], s[10:11]
	s_cbranch_execz .LBB30_412
.LBB30_434:
	s_or_b64 s[12:13], s[12:13], exec
	s_trap 2
	s_or_b64 exec, exec, s[0:1]
	s_and_saveexec_b64 s[0:1], s[12:13]
	s_cbranch_execnz .LBB30_413
	s_branch .LBB30_414
.LBB30_435:
	v_xor_b32_e32 v1, 0x80000000, v3
	v_mul_lo_u32 v10, s20, v5
	s_mov_b64 s[18:19], 0
	v_mov_b32_e32 v11, 0
	v_mov_b32_e32 v12, v0
                                        ; implicit-def: $sgpr20_sgpr21
                                        ; implicit-def: $vgpr14
	s_branch .LBB30_437
.LBB30_436:                             ;   in Loop: Header=BB30_437 Depth=1
	s_or_b64 exec, exec, s[22:23]
	s_xor_b64 s[6:7], s[26:27], -1
	s_and_b64 s[4:5], exec, s[4:5]
	s_or_b64 s[18:19], s[4:5], s[18:19]
	s_andn2_b64 s[4:5], s[20:21], exec
	s_and_b64 s[6:7], s[6:7], exec
	s_or_b64 s[20:21], s[4:5], s[6:7]
	v_mov_b32_e32 v2, v15
	v_mov_b32_e32 v12, v5
	s_andn2_b64 exec, exec, s[18:19]
	s_cbranch_execz .LBB30_449
.LBB30_437:                             ; =>This Inner Loop Header: Depth=1
	v_add_u32_e32 v5, s9, v12
	v_cmp_gt_u32_e32 vcc, s60, v5
	v_mov_b32_e32 v15, 0
	s_and_saveexec_b64 s[4:5], vcc
	s_cbranch_execz .LBB30_439
; %bb.438:                              ;   in Loop: Header=BB30_437 Depth=1
	s_waitcnt vmcnt(0)
	v_lshlrev_b64 v[16:17], 2, v[10:11]
	v_mov_b32_e32 v13, s8
	v_add_co_u32_e32 v16, vcc, s33, v16
	v_addc_co_u32_e32 v17, vcc, v13, v17, vcc
	global_load_dword v15, v[16:17], off
.LBB30_439:                             ;   in Loop: Header=BB30_437 Depth=1
	s_or_b64 exec, exec, s[4:5]
	s_waitcnt vmcnt(0)
	v_xor_b32_e32 v13, 0x80000000, v2
	v_cmp_gt_u32_e64 s[4:5], v13, v1
	v_cndmask_b32_e64 v16, 0, 1, s[4:5]
	v_cmp_lt_u32_e64 s[4:5], v13, v1
	v_cndmask_b32_e64 v13, 0, 1, s[4:5]
	v_cndmask_b32_e64 v13, v13, v16, s[34:35]
	v_and_b32_e32 v13, 1, v13
	v_cmp_gt_u32_e32 vcc, s60, v12
	v_cmp_eq_u32_e64 s[4:5], 1, v13
	s_and_b64 s[24:25], vcc, s[4:5]
	v_cndmask_b32_e64 v13, 0, 1, s[24:25]
	v_cmp_ne_u32_e32 vcc, 0, v13
	s_cmp_lg_u64 vcc, 0
	s_cselect_b64 s[4:5], -1, 0
	s_and_b64 s[4:5], s[0:1], s[4:5]
	s_and_saveexec_b64 s[22:23], s[4:5]
	s_cbranch_execz .LBB30_443
; %bb.440:                              ;   in Loop: Header=BB30_437 Depth=1
	s_mov_b64 s[28:29], exec
	v_mbcnt_lo_u32_b32 v13, s28, 0
	v_mbcnt_hi_u32_b32 v13, s29, v13
	s_bcnt1_i32_b64 s6, vcc
	v_cmp_eq_u32_e64 s[4:5], 0, v13
                                        ; implicit-def: $vgpr14
	s_and_saveexec_b64 s[26:27], s[4:5]
	s_cbranch_execz .LBB30_442
; %bb.441:                              ;   in Loop: Header=BB30_437 Depth=1
	s_bcnt1_i32_b64 s4, s[28:29]
	s_mul_i32 s4, s6, s4
	s_waitcnt lgkmcnt(0)
	v_mov_b32_e32 v14, s4
	ds_add_rtn_u32 v14, v11, v14 offset:4108
.LBB30_442:                             ;   in Loop: Header=BB30_437 Depth=1
	s_or_b64 exec, exec, s[26:27]
	s_waitcnt lgkmcnt(0)
	v_readfirstlane_b32 s4, v14
	v_mov_b32_e32 v14, s4
	v_mad_u32_u24 v14, s6, v13, v14
.LBB30_443:                             ;   in Loop: Header=BB30_437 Depth=1
	s_or_b64 exec, exec, s[22:23]
	s_waitcnt lgkmcnt(0)
	ds_bpermute_b32 v14, v20, v14
	s_mov_b64 s[4:5], -1
	s_mov_b64 s[28:29], -1
                                        ; implicit-def: $sgpr26_sgpr27
	s_and_saveexec_b64 s[22:23], s[24:25]
	s_cbranch_execz .LBB30_447
; %bb.444:                              ;   in Loop: Header=BB30_437 Depth=1
	v_and_b32_e32 v16, vcc_lo, v6
	v_and_b32_e32 v13, vcc_hi, v7
	v_bcnt_u32_b32 v16, v16, 0
	v_bcnt_u32_b32 v13, v13, v16
	s_waitcnt lgkmcnt(0)
	v_add_u32_e32 v13, v14, v13
	v_cmp_gt_u32_e32 vcc, s61, v13
	s_mov_b64 s[24:25], 0
	s_and_saveexec_b64 s[26:27], vcc
	s_cbranch_execz .LBB30_446
; %bb.445:                              ;   in Loop: Header=BB30_437 Depth=1
	v_mul_lo_u32 v16, v13, s47
	v_mov_b32_e32 v17, v11
	v_lshlrev_b64 v[16:17], 2, v[16:17]
	v_mul_lo_u32 v18, v13, s48
	v_mov_b32_e32 v13, s44
	v_add_co_u32_e32 v16, vcc, s43, v16
	v_addc_co_u32_e32 v17, vcc, v13, v17, vcc
	v_mov_b32_e32 v19, v11
	global_store_dword v[16:17], v2, off
	v_lshlrev_b64 v[16:17], 3, v[18:19]
	v_mov_b32_e32 v2, s46
	v_add_co_u32_e32 v16, vcc, s45, v16
	s_mov_b64 s[24:25], exec
	v_mov_b32_e32 v13, v11
	v_addc_co_u32_e32 v17, vcc, v2, v17, vcc
	global_store_dwordx2 v[16:17], v[12:13], off
.LBB30_446:                             ;   in Loop: Header=BB30_437 Depth=1
	s_or_b64 exec, exec, s[26:27]
	s_mov_b64 s[26:27], -1
	s_orn2_b64 s[28:29], s[24:25], exec
.LBB30_447:                             ;   in Loop: Header=BB30_437 Depth=1
	s_or_b64 exec, exec, s[22:23]
	s_and_saveexec_b64 s[22:23], s[28:29]
	s_cbranch_execz .LBB30_436
; %bb.448:                              ;   in Loop: Header=BB30_437 Depth=1
	v_cmp_le_u32_e32 vcc, s42, v5
	v_add_u32_e32 v10, s72, v10
	s_andn2_b64 s[26:27], s[26:27], exec
	s_orn2_b64 s[4:5], vcc, exec
	s_branch .LBB30_436
.LBB30_449:
	s_or_b64 exec, exec, s[18:19]
	s_mov_b64 s[4:5], exec
	s_orn2_b64 s[18:19], s[20:21], exec
	s_or_b64 exec, exec, s[30:31]
	s_and_saveexec_b64 s[40:41], s[18:19]
	s_cbranch_execz .LBB30_426
.LBB30_450:
	v_mov_b32_e32 v5, 0
	v_mov_b32_e32 v1, 0
	s_waitcnt lgkmcnt(0)
	s_barrier
	s_mov_b64 s[2:3], exec
	v_readlane_b32 s6, v52, 24
	v_readlane_b32 s7, v52, 25
	s_and_b64 s[6:7], s[2:3], s[6:7]
	s_mov_b64 exec, s[6:7]
	s_cbranch_execz .LBB30_452
; %bb.451:
	global_load_dword v1, v[8:9], off
.LBB30_452:
	s_or_b64 exec, exec, s[2:3]
	s_mov_b64 s[18:19], 0
                                        ; implicit-def: $sgpr6_sgpr7
                                        ; implicit-def: $sgpr20_sgpr21
                                        ; implicit-def: $sgpr22_sgpr23
                                        ; implicit-def: $vgpr2
	s_branch .LBB30_455
.LBB30_453:                             ;   in Loop: Header=BB30_455 Depth=1
	s_or_b64 exec, exec, s[28:29]
	s_andn2_b64 s[2:3], s[22:23], exec
	s_and_b64 s[22:23], s[34:35], exec
	s_or_b64 s[22:23], s[2:3], s[22:23]
	s_andn2_b64 s[2:3], s[20:21], exec
	s_and_b64 s[20:21], s[26:27], exec
	s_or_b64 s[20:21], s[2:3], s[20:21]
	v_mov_b32_e32 v0, v8
.LBB30_454:                             ;   in Loop: Header=BB30_455 Depth=1
	s_or_b64 exec, exec, s[24:25]
	s_xor_b64 s[2:3], s[22:23], -1
	s_and_b64 s[24:25], exec, s[20:21]
	s_or_b64 s[18:19], s[24:25], s[18:19]
	s_andn2_b64 s[6:7], s[6:7], exec
	s_and_b64 s[2:3], s[2:3], exec
	s_or_b64 s[6:7], s[6:7], s[2:3]
	s_andn2_b64 exec, exec, s[18:19]
	s_cbranch_execz .LBB30_470
.LBB30_455:                             ; =>This Inner Loop Header: Depth=1
	v_cmp_gt_u32_e32 vcc, s42, v0
	s_or_b64 s[22:23], s[22:23], exec
	s_or_b64 s[20:21], s[20:21], exec
	s_and_saveexec_b64 s[24:25], vcc
	s_cbranch_execz .LBB30_454
; %bb.456:                              ;   in Loop: Header=BB30_455 Depth=1
	v_add_u32_e32 v8, s9, v0
	v_cmp_gt_u32_e32 vcc, s60, v8
	v_mov_b32_e32 v9, 0
	s_and_saveexec_b64 s[2:3], vcc
	s_cbranch_execz .LBB30_458
; %bb.457:                              ;   in Loop: Header=BB30_455 Depth=1
	v_lshlrev_b64 v[10:11], 2, v[4:5]
	v_mov_b32_e32 v9, s8
	v_add_co_u32_e32 v10, vcc, s33, v10
	v_addc_co_u32_e32 v11, vcc, v9, v11, vcc
	global_load_dword v9, v[10:11], off
.LBB30_458:                             ;   in Loop: Header=BB30_455 Depth=1
	s_or_b64 exec, exec, s[2:3]
	v_cmp_gt_u32_e32 vcc, s60, v0
	s_waitcnt vmcnt(0)
	v_cmp_eq_u32_e64 s[2:3], v1, v3
	s_and_b64 s[28:29], vcc, s[2:3]
	v_cndmask_b32_e64 v10, 0, 1, s[28:29]
	v_cmp_ne_u32_e32 vcc, 0, v10
	s_cmp_lg_u64 vcc, 0
	s_cselect_b64 s[2:3], -1, 0
	s_and_b64 s[2:3], s[0:1], s[2:3]
	s_and_saveexec_b64 s[26:27], s[2:3]
	s_cbranch_execz .LBB30_462
; %bb.459:                              ;   in Loop: Header=BB30_455 Depth=1
	s_mov_b64 s[34:35], exec
	v_mbcnt_lo_u32_b32 v2, s34, 0
	v_mbcnt_hi_u32_b32 v2, s35, v2
	s_bcnt1_i32_b64 s36, vcc
	v_cmp_eq_u32_e64 s[2:3], 0, v2
                                        ; implicit-def: $vgpr10
	s_and_saveexec_b64 s[30:31], s[2:3]
	s_cbranch_execz .LBB30_461
; %bb.460:                              ;   in Loop: Header=BB30_455 Depth=1
	s_bcnt1_i32_b64 s2, s[34:35]
	s_mul_i32 s2, s36, s2
	v_mov_b32_e32 v10, s2
	ds_add_rtn_u32 v10, v5, v10 offset:4108
.LBB30_461:                             ;   in Loop: Header=BB30_455 Depth=1
	s_or_b64 exec, exec, s[30:31]
	s_waitcnt lgkmcnt(0)
	v_readfirstlane_b32 s2, v10
	v_mov_b32_e32 v10, s2
	v_mad_u32_u24 v2, s36, v2, v10
.LBB30_462:                             ;   in Loop: Header=BB30_455 Depth=1
	s_or_b64 exec, exec, s[26:27]
	ds_bpermute_b32 v2, v20, v2
	s_cmp_eq_u64 vcc, 0
	s_cselect_b64 s[30:31], -1, 0
	s_mov_b64 s[26:27], -1
	s_mov_b64 s[34:35], -1
	s_waitcnt lgkmcnt(0)
	v_cmp_gt_u32_e64 s[2:3], s61, v2
	s_or_b64 s[2:3], s[30:31], s[2:3]
	v_cndmask_b32_e64 v1, v1, v9, s[2:3]
	s_and_b64 s[36:37], s[28:29], s[2:3]
	s_mov_b64 s[30:31], -1
	s_and_saveexec_b64 s[28:29], s[36:37]
	s_cbranch_execz .LBB30_468
; %bb.463:                              ;   in Loop: Header=BB30_455 Depth=1
	v_and_b32_e32 v10, vcc_lo, v6
	v_and_b32_e32 v1, vcc_hi, v7
	v_bcnt_u32_b32 v10, v10, 0
	v_bcnt_u32_b32 v1, v1, v10
	v_sub_u32_e32 v10, s61, v2
	v_cmp_le_u32_e64 s[30:31], v10, v1
	v_cmp_gt_u32_e32 vcc, v10, v1
	s_mov_b64 s[36:37], -1
	s_and_saveexec_b64 s[34:35], vcc
	s_cbranch_execz .LBB30_467
; %bb.464:                              ;   in Loop: Header=BB30_455 Depth=1
	v_add_u32_e32 v1, v2, v1
	v_cmp_gt_u32_e32 vcc, s61, v1
	s_mov_b64 s[38:39], s[30:31]
	s_and_saveexec_b64 s[36:37], vcc
	s_cbranch_execz .LBB30_466
; %bb.465:                              ;   in Loop: Header=BB30_455 Depth=1
	v_mul_lo_u32 v10, v1, s47
	v_mov_b32_e32 v11, v5
	v_lshlrev_b64 v[10:11], 2, v[10:11]
	v_mul_lo_u32 v12, v1, s48
	v_mov_b32_e32 v1, s44
	v_add_co_u32_e32 v10, vcc, s43, v10
	v_addc_co_u32_e32 v11, vcc, v1, v11, vcc
	v_mov_b32_e32 v13, v5
	global_store_dword v[10:11], v3, off
	v_lshlrev_b64 v[10:11], 3, v[12:13]
	v_mov_b32_e32 v12, s46
	v_add_co_u32_e32 v10, vcc, s45, v10
	v_mov_b32_e32 v1, v5
	v_addc_co_u32_e32 v11, vcc, v12, v11, vcc
	s_or_b64 s[38:39], s[30:31], exec
	global_store_dwordx2 v[10:11], v[0:1], off
.LBB30_466:                             ;   in Loop: Header=BB30_455 Depth=1
	s_or_b64 exec, exec, s[36:37]
	s_andn2_b64 s[30:31], s[30:31], exec
	s_and_b64 s[38:39], s[38:39], exec
	s_xor_b64 s[36:37], exec, -1
	s_or_b64 s[30:31], s[30:31], s[38:39]
.LBB30_467:                             ;   in Loop: Header=BB30_455 Depth=1
	s_or_b64 exec, exec, s[34:35]
	s_orn2_b64 s[34:35], s[36:37], exec
	s_or_b64 s[2:3], s[2:3], exec
	s_orn2_b64 s[30:31], s[30:31], exec
	v_mov_b32_e32 v1, v9
.LBB30_468:                             ;   in Loop: Header=BB30_455 Depth=1
	s_or_b64 exec, exec, s[28:29]
	s_and_saveexec_b64 s[28:29], s[30:31]
	s_cbranch_execz .LBB30_453
; %bb.469:                              ;   in Loop: Header=BB30_455 Depth=1
	s_xor_b64 s[2:3], s[2:3], -1
	v_add_u32_e32 v4, s72, v4
	s_or_b64 s[34:35], s[34:35], exec
	s_orn2_b64 s[26:27], s[2:3], exec
	s_branch .LBB30_453
.LBB30_470:
	s_or_b64 exec, exec, s[18:19]
	s_mov_b64 s[0:1], 0
	s_and_saveexec_b64 s[2:3], s[6:7]
	s_xor_b64 s[2:3], exec, s[2:3]
	s_cbranch_execnz .LBB30_476
.LBB30_471:
	s_or_b64 exec, exec, s[2:3]
	s_and_b64 s[2:3], s[0:1], exec
	s_andn2_b64 s[4:5], s[4:5], exec
	s_or_b64 exec, exec, s[40:41]
	s_and_saveexec_b64 s[0:1], s[4:5]
	s_xor_b64 s[0:1], exec, s[0:1]
	s_cbranch_execz .LBB30_427
.LBB30_472:
	s_or_b64 s[2:3], s[2:3], exec
	s_trap 2
	s_branch .LBB30_427
.LBB30_473:
	s_or_b64 s[14:15], s[14:15], exec
	s_trap 2
	s_branch .LBB30_433
.LBB30_474:
	s_or_b64 s[18:19], s[18:19], exec
	s_trap 2
	s_branch .LBB30_431
.LBB30_475:
	s_trap 2
	s_or_b64 s[18:19], s[18:19], exec
	s_branch .LBB30_429
.LBB30_476:
	s_mov_b64 s[0:1], exec
	s_trap 2
	s_branch .LBB30_471
	.section	.rodata,"a",@progbits
	.p2align	6, 0x0
	.amdhsa_kernel _ZN2at6native6sbtopk10gatherTopKIijLi1ELb0EEEvNS_4cuda6detail10TensorInfoIKT_T0_EES8_S8_bS8_S8_NS5_IS6_S8_EES8_NS5_IlS8_EES8_PS6_
		.amdhsa_group_segment_fixed_size 4112
		.amdhsa_private_segment_fixed_size 0
		.amdhsa_kernarg_size 952
		.amdhsa_user_sgpr_count 6
		.amdhsa_user_sgpr_private_segment_buffer 1
		.amdhsa_user_sgpr_dispatch_ptr 0
		.amdhsa_user_sgpr_queue_ptr 0
		.amdhsa_user_sgpr_kernarg_segment_ptr 1
		.amdhsa_user_sgpr_dispatch_id 0
		.amdhsa_user_sgpr_flat_scratch_init 0
		.amdhsa_user_sgpr_kernarg_preload_length 0
		.amdhsa_user_sgpr_kernarg_preload_offset 0
		.amdhsa_user_sgpr_private_segment_size 0
		.amdhsa_uses_dynamic_stack 0
		.amdhsa_system_sgpr_private_segment_wavefront_offset 0
		.amdhsa_system_sgpr_workgroup_id_x 1
		.amdhsa_system_sgpr_workgroup_id_y 1
		.amdhsa_system_sgpr_workgroup_id_z 1
		.amdhsa_system_sgpr_workgroup_info 0
		.amdhsa_system_vgpr_workitem_id 0
		.amdhsa_next_free_vgpr 53
		.amdhsa_next_free_sgpr 96
		.amdhsa_accum_offset 56
		.amdhsa_reserve_vcc 1
		.amdhsa_reserve_flat_scratch 0
		.amdhsa_float_round_mode_32 0
		.amdhsa_float_round_mode_16_64 0
		.amdhsa_float_denorm_mode_32 3
		.amdhsa_float_denorm_mode_16_64 3
		.amdhsa_dx10_clamp 1
		.amdhsa_ieee_mode 1
		.amdhsa_fp16_overflow 0
		.amdhsa_tg_split 0
		.amdhsa_exception_fp_ieee_invalid_op 0
		.amdhsa_exception_fp_denorm_src 0
		.amdhsa_exception_fp_ieee_div_zero 0
		.amdhsa_exception_fp_ieee_overflow 0
		.amdhsa_exception_fp_ieee_underflow 0
		.amdhsa_exception_fp_ieee_inexact 0
		.amdhsa_exception_int_div_zero 0
	.end_amdhsa_kernel
	.section	.text._ZN2at6native6sbtopk10gatherTopKIijLi1ELb0EEEvNS_4cuda6detail10TensorInfoIKT_T0_EES8_S8_bS8_S8_NS5_IS6_S8_EES8_NS5_IlS8_EES8_PS6_,"axG",@progbits,_ZN2at6native6sbtopk10gatherTopKIijLi1ELb0EEEvNS_4cuda6detail10TensorInfoIKT_T0_EES8_S8_bS8_S8_NS5_IS6_S8_EES8_NS5_IlS8_EES8_PS6_,comdat
.Lfunc_end30:
	.size	_ZN2at6native6sbtopk10gatherTopKIijLi1ELb0EEEvNS_4cuda6detail10TensorInfoIKT_T0_EES8_S8_bS8_S8_NS5_IS6_S8_EES8_NS5_IlS8_EES8_PS6_, .Lfunc_end30-_ZN2at6native6sbtopk10gatherTopKIijLi1ELb0EEEvNS_4cuda6detail10TensorInfoIKT_T0_EES8_S8_bS8_S8_NS5_IS6_S8_EES8_NS5_IlS8_EES8_PS6_
                                        ; -- End function
	.section	.AMDGPU.csdata,"",@progbits
; Kernel info:
; codeLenInByte = 15556
; NumSgprs: 100
; NumVgprs: 53
; NumAgprs: 0
; TotalNumVgprs: 53
; ScratchSize: 0
; MemoryBound: 0
; FloatMode: 240
; IeeeMode: 1
; LDSByteSize: 4112 bytes/workgroup (compile time only)
; SGPRBlocks: 12
; VGPRBlocks: 6
; NumSGPRsForWavesPerEU: 100
; NumVGPRsForWavesPerEU: 53
; AccumOffset: 56
; Occupancy: 8
; WaveLimiterHint : 1
; COMPUTE_PGM_RSRC2:SCRATCH_EN: 0
; COMPUTE_PGM_RSRC2:USER_SGPR: 6
; COMPUTE_PGM_RSRC2:TRAP_HANDLER: 0
; COMPUTE_PGM_RSRC2:TGID_X_EN: 1
; COMPUTE_PGM_RSRC2:TGID_Y_EN: 1
; COMPUTE_PGM_RSRC2:TGID_Z_EN: 1
; COMPUTE_PGM_RSRC2:TIDIG_COMP_CNT: 0
; COMPUTE_PGM_RSRC3_GFX90A:ACCUM_OFFSET: 13
; COMPUTE_PGM_RSRC3_GFX90A:TG_SPLIT: 0
	.section	.text._ZN2at6native6mbtopk23computeBlockDigitCountsIijjLi2EEEvNS_4cuda6detail10TensorInfoIKT_T0_EEjPjjS8_iijT1_PSB_Ps,"axG",@progbits,_ZN2at6native6mbtopk23computeBlockDigitCountsIijjLi2EEEvNS_4cuda6detail10TensorInfoIKT_T0_EEjPjjS8_iijT1_PSB_Ps,comdat
	.protected	_ZN2at6native6mbtopk23computeBlockDigitCountsIijjLi2EEEvNS_4cuda6detail10TensorInfoIKT_T0_EEjPjjS8_iijT1_PSB_Ps ; -- Begin function _ZN2at6native6mbtopk23computeBlockDigitCountsIijjLi2EEEvNS_4cuda6detail10TensorInfoIKT_T0_EEjPjjS8_iijT1_PSB_Ps
	.globl	_ZN2at6native6mbtopk23computeBlockDigitCountsIijjLi2EEEvNS_4cuda6detail10TensorInfoIKT_T0_EEjPjjS8_iijT1_PSB_Ps
	.p2align	8
	.type	_ZN2at6native6mbtopk23computeBlockDigitCountsIijjLi2EEEvNS_4cuda6detail10TensorInfoIKT_T0_EEjPjjS8_iijT1_PSB_Ps,@function
_ZN2at6native6mbtopk23computeBlockDigitCountsIijjLi2EEEvNS_4cuda6detail10TensorInfoIKT_T0_EEjPjjS8_iijT1_PSB_Ps: ; @_ZN2at6native6mbtopk23computeBlockDigitCountsIijjLi2EEEvNS_4cuda6detail10TensorInfoIKT_T0_EEjPjjS8_iijT1_PSB_Ps
; %bb.0:
	s_load_dwordx2 s[10:11], s[4:5], 0xf8
	s_load_dwordx4 s[12:15], s[4:5], 0xe8
	s_load_dwordx2 s[0:1], s[4:5], 0x110
	s_waitcnt lgkmcnt(0)
	v_cvt_f32_u32_e32 v1, s10
	s_sub_i32 s2, 0, s10
	s_mul_i32 s1, s1, s8
	s_add_i32 s1, s1, s7
	v_rcp_iflag_f32_e32 v1, v1
	s_mul_i32 s16, s1, s0
	s_add_i32 s16, s16, s6
	s_mov_b32 s7, 0
	v_mul_f32_e32 v1, 0x4f7ffffe, v1
	v_cvt_u32_f32_e32 v1, v1
	v_readfirstlane_b32 s0, v1
	s_mul_i32 s2, s2, s0
	s_mul_hi_u32 s1, s0, s2
	s_add_i32 s0, s0, s1
	s_mul_hi_u32 s0, s16, s0
	s_mul_i32 s1, s0, s10
	s_sub_i32 s1, s16, s1
	s_add_i32 s2, s0, 1
	s_sub_i32 s3, s1, s10
	s_cmp_ge_u32 s1, s10
	s_cselect_b32 s0, s2, s0
	s_cselect_b32 s1, s3, s1
	s_add_i32 s2, s0, 1
	s_cmp_ge_u32 s1, s10
	s_cselect_b32 s6, s2, s0
	s_cmp_ge_u32 s6, s12
	s_cbranch_scc1 .LBB31_29
; %bb.1:
	s_load_dword s12, s[4:5], 0xc
	s_load_dwordx4 s[0:3], s[4:5], 0x100
	s_lshl_b64 s[8:9], s[6:7], 2
	s_movk_i32 s7, 0x100
	v_cmp_gt_u32_e32 vcc, s7, v0
	s_waitcnt lgkmcnt(0)
	v_cvt_f32_u32_e32 v1, s12
	s_add_u32 s0, s0, s8
	s_addc_u32 s1, s1, s9
	v_rcp_iflag_f32_e32 v1, v1
	v_mul_f32_e32 v1, 0x4f7ffffe, v1
	v_cvt_u32_f32_e32 v1, v1
	v_readfirstlane_b32 s18, v1
	v_lshlrev_b32_e32 v1, 2, v0
	s_and_saveexec_b64 s[8:9], vcc
	s_cbranch_execz .LBB31_3
; %bb.2:
	v_mov_b32_e32 v2, 0
	ds_write_b32 v1, v2
.LBB31_3:
	s_or_b64 exec, exec, s[8:9]
	s_load_dword s8, s[4:5], 0xd8
	s_mul_i32 s7, s6, s10
	s_sub_i32 s7, s16, s7
	s_add_i32 s9, s7, 1
	s_mul_i32 s7, s15, s7
	s_lshl_b32 s17, s7, 8
	s_waitcnt lgkmcnt(0)
	s_sub_i32 s7, s8, s17
	s_add_u32 s7, s7, 0xff
	s_addc_u32 s19, 0, 0
	v_mov_b32_e32 v2, s7
	v_alignbit_b32 v2, s19, v2, 8
	s_cmp_lt_u32 s9, s10
	v_readfirstlane_b32 s7, v2
	s_cselect_b32 s15, s15, s7
	s_cmp_lt_i32 s15, 1
	s_mov_b32 s7, 0
	s_barrier
	s_cbranch_scc1 .LBB31_25
; %bb.4:
	s_sub_i32 s9, 0, s12
	s_mul_i32 s9, s9, s18
	s_mul_hi_u32 s9, s18, s9
	s_add_i32 s9, s18, s9
	s_load_dwordx2 s[18:19], s[4:5], 0x6c
	s_load_dwordx2 s[20:21], s[4:5], 0x0
	s_mul_hi_u32 s4, s6, s9
	s_load_dword s9, s[0:1], 0x0
	s_mul_i32 s0, s4, s12
	s_sub_i32 s0, s6, s0
	s_add_i32 s1, s4, 1
	s_sub_i32 s5, s0, s12
	s_cmp_ge_u32 s0, s12
	s_cselect_b32 s1, s1, s4
	s_cselect_b32 s0, s5, s0
	s_add_i32 s4, s1, 1
	s_cmp_ge_u32 s0, s12
	s_cselect_b32 s0, s4, s1
	s_mul_i32 s1, s0, s12
	s_sub_i32 s1, s6, s1
	s_waitcnt lgkmcnt(0)
	s_mul_i32 s1, s1, s19
	s_mul_i32 s0, s0, s18
	s_add_i32 s6, s0, s1
	s_lshl_b64 s[0:1], s[6:7], 2
	s_add_u32 s6, s20, s0
	s_addc_u32 s10, s21, s1
	s_and_b32 s12, s14, 0xff
	s_cmp_lt_u32 s15, 4
	s_cbranch_scc1 .LBB31_19
; %bb.5:
	v_add_u32_e32 v2, s17, v0
	v_add_u32_e32 v3, 0x200, v2
	;; [unrolled: 1-line block ×3, first 2 shown]
	v_mul_lo_u32 v6, s13, v3
	v_add_u32_e32 v3, 0x100, v2
	s_and_b32 s7, s15, 0x7ffffffc
	v_mul_lo_u32 v5, s13, v4
	s_lshl_b32 s14, s13, 10
	v_mul_lo_u32 v7, s13, v3
	v_mul_lo_u32 v8, s13, v2
	s_mov_b32 s18, 0
	v_mov_b32_e32 v3, 0
	v_mov_b32_e32 v9, 1
	s_mov_b32 s19, 0
	s_branch .LBB31_7
.LBB31_6:                               ;   in Loop: Header=BB31_7 Depth=1
	s_or_b64 exec, exec, s[4:5]
	s_add_i32 s19, s19, 4
	s_add_i32 s18, s18, s14
	s_cmp_eq_u32 s7, s19
	v_add_u32_e32 v4, 0x400, v4
	s_cbranch_scc1 .LBB31_19
.LBB31_7:                               ; =>This Inner Loop Header: Depth=1
	v_add_u32_e32 v2, 0xfffffd00, v4
	v_cmp_gt_u32_e64 s[0:1], s8, v2
	s_and_saveexec_b64 s[4:5], s[0:1]
	s_cbranch_execz .LBB31_10
; %bb.8:                                ;   in Loop: Header=BB31_7 Depth=1
	v_add_u32_e32 v2, s18, v8
	v_lshlrev_b64 v[10:11], 2, v[2:3]
	v_mov_b32_e32 v2, s10
	v_add_co_u32_e64 v10, s[0:1], s6, v10
	v_addc_co_u32_e64 v11, s[0:1], v2, v11, s[0:1]
	global_load_dword v2, v[10:11], off
	s_waitcnt vmcnt(0)
	v_xor_b32_e32 v2, 0x80000000, v2
	v_xor_b32_e32 v10, s9, v2
	v_and_b32_e32 v10, s11, v10
	v_cmp_eq_u32_e64 s[0:1], 0, v10
	s_and_b64 exec, exec, s[0:1]
	s_cbranch_execz .LBB31_10
; %bb.9:                                ;   in Loop: Header=BB31_7 Depth=1
	v_bfe_u32 v2, v2, s12, 8
	v_lshlrev_b32_e32 v2, 2, v2
	ds_add_u32 v2, v9
.LBB31_10:                              ;   in Loop: Header=BB31_7 Depth=1
	s_or_b64 exec, exec, s[4:5]
	v_add_u32_e32 v2, 0xfffffe00, v4
	v_cmp_gt_u32_e64 s[0:1], s8, v2
	s_and_saveexec_b64 s[4:5], s[0:1]
	s_cbranch_execz .LBB31_13
; %bb.11:                               ;   in Loop: Header=BB31_7 Depth=1
	v_add_u32_e32 v2, s18, v7
	v_lshlrev_b64 v[10:11], 2, v[2:3]
	v_mov_b32_e32 v2, s10
	v_add_co_u32_e64 v10, s[0:1], s6, v10
	v_addc_co_u32_e64 v11, s[0:1], v2, v11, s[0:1]
	global_load_dword v2, v[10:11], off
	s_waitcnt vmcnt(0)
	v_xor_b32_e32 v2, 0x80000000, v2
	v_xor_b32_e32 v10, s9, v2
	v_and_b32_e32 v10, s11, v10
	v_cmp_eq_u32_e64 s[0:1], 0, v10
	s_and_b64 exec, exec, s[0:1]
	s_cbranch_execz .LBB31_13
; %bb.12:                               ;   in Loop: Header=BB31_7 Depth=1
	v_bfe_u32 v2, v2, s12, 8
	v_lshlrev_b32_e32 v2, 2, v2
	ds_add_u32 v2, v9
.LBB31_13:                              ;   in Loop: Header=BB31_7 Depth=1
	s_or_b64 exec, exec, s[4:5]
	v_add_u32_e32 v2, 0xffffff00, v4
	v_cmp_gt_u32_e64 s[0:1], s8, v2
	s_and_saveexec_b64 s[4:5], s[0:1]
	s_cbranch_execz .LBB31_16
; %bb.14:                               ;   in Loop: Header=BB31_7 Depth=1
	v_add_u32_e32 v2, s18, v6
	v_lshlrev_b64 v[10:11], 2, v[2:3]
	v_mov_b32_e32 v2, s10
	v_add_co_u32_e64 v10, s[0:1], s6, v10
	v_addc_co_u32_e64 v11, s[0:1], v2, v11, s[0:1]
	global_load_dword v2, v[10:11], off
	s_waitcnt vmcnt(0)
	v_xor_b32_e32 v2, 0x80000000, v2
	v_xor_b32_e32 v10, s9, v2
	v_and_b32_e32 v10, s11, v10
	v_cmp_eq_u32_e64 s[0:1], 0, v10
	s_and_b64 exec, exec, s[0:1]
	s_cbranch_execz .LBB31_16
; %bb.15:                               ;   in Loop: Header=BB31_7 Depth=1
	v_bfe_u32 v2, v2, s12, 8
	v_lshlrev_b32_e32 v2, 2, v2
	ds_add_u32 v2, v9
.LBB31_16:                              ;   in Loop: Header=BB31_7 Depth=1
	s_or_b64 exec, exec, s[4:5]
	v_cmp_gt_u32_e64 s[0:1], s8, v4
	s_and_saveexec_b64 s[4:5], s[0:1]
	s_cbranch_execz .LBB31_6
; %bb.17:                               ;   in Loop: Header=BB31_7 Depth=1
	v_add_u32_e32 v2, s18, v5
	v_lshlrev_b64 v[10:11], 2, v[2:3]
	v_mov_b32_e32 v2, s10
	v_add_co_u32_e64 v10, s[0:1], s6, v10
	v_addc_co_u32_e64 v11, s[0:1], v2, v11, s[0:1]
	global_load_dword v2, v[10:11], off
	s_waitcnt vmcnt(0)
	v_xor_b32_e32 v2, 0x80000000, v2
	v_xor_b32_e32 v10, s9, v2
	v_and_b32_e32 v10, s11, v10
	v_cmp_eq_u32_e64 s[0:1], 0, v10
	s_and_b64 exec, exec, s[0:1]
	s_cbranch_execz .LBB31_6
; %bb.18:                               ;   in Loop: Header=BB31_7 Depth=1
	v_bfe_u32 v2, v2, s12, 8
	v_lshlrev_b32_e32 v2, 2, v2
	ds_add_u32 v2, v9
	s_branch .LBB31_6
.LBB31_19:
	s_and_b32 s14, s15, 3
	s_cmp_eq_u32 s14, 0
	s_cbranch_scc1 .LBB31_25
; %bb.20:
	s_lshl_b32 s0, s7, 8
	s_add_i32 s0, s0, s17
	v_add_u32_e32 v4, s0, v0
	v_mul_lo_u32 v2, s13, v4
	s_lshl_b32 s7, s13, 8
	v_mov_b32_e32 v3, 0
	v_mov_b32_e32 v5, 1
	s_branch .LBB31_22
.LBB31_21:                              ;   in Loop: Header=BB31_22 Depth=1
	s_or_b64 exec, exec, s[4:5]
	s_add_i32 s14, s14, -1
	v_add_u32_e32 v2, s7, v2
	s_cmp_lg_u32 s14, 0
	v_add_u32_e32 v4, 0x100, v4
	s_cbranch_scc0 .LBB31_25
.LBB31_22:                              ; =>This Inner Loop Header: Depth=1
	v_cmp_gt_u32_e64 s[0:1], s8, v4
	s_and_saveexec_b64 s[4:5], s[0:1]
	s_cbranch_execz .LBB31_21
; %bb.23:                               ;   in Loop: Header=BB31_22 Depth=1
	v_lshlrev_b64 v[6:7], 2, v[2:3]
	v_mov_b32_e32 v8, s10
	v_add_co_u32_e64 v6, s[0:1], s6, v6
	v_addc_co_u32_e64 v7, s[0:1], v8, v7, s[0:1]
	global_load_dword v6, v[6:7], off
	s_waitcnt vmcnt(0)
	v_xor_b32_e32 v6, 0x80000000, v6
	v_xor_b32_e32 v7, s9, v6
	v_and_b32_e32 v7, s11, v7
	v_cmp_eq_u32_e64 s[0:1], 0, v7
	s_and_b64 exec, exec, s[0:1]
	s_cbranch_execz .LBB31_21
; %bb.24:                               ;   in Loop: Header=BB31_22 Depth=1
	v_bfe_u32 v6, v6, s12, 8
	v_lshlrev_b32_e32 v6, 2, v6
	ds_add_u32 v6, v5
	s_branch .LBB31_21
.LBB31_25:
	v_mov_b32_e32 v2, 0
	s_waitcnt lgkmcnt(0)
	s_barrier
	s_and_saveexec_b64 s[0:1], vcc
	s_cbranch_execz .LBB31_27
; %bb.26:
	ds_read_b32 v2, v1
.LBB31_27:
	s_or_b64 exec, exec, s[0:1]
	s_and_saveexec_b64 s[0:1], vcc
	s_cbranch_execz .LBB31_29
; %bb.28:
	v_lshl_or_b32 v0, s16, 8, v0
	v_mov_b32_e32 v1, 0
	v_lshlrev_b64 v[0:1], 1, v[0:1]
	v_mov_b32_e32 v3, s3
	v_add_co_u32_e32 v0, vcc, s2, v0
	v_addc_co_u32_e32 v1, vcc, v3, v1, vcc
	s_waitcnt lgkmcnt(0)
	global_store_short v[0:1], v2, off
.LBB31_29:
	s_endpgm
	.section	.rodata,"a",@progbits
	.p2align	6, 0x0
	.amdhsa_kernel _ZN2at6native6mbtopk23computeBlockDigitCountsIijjLi2EEEvNS_4cuda6detail10TensorInfoIKT_T0_EEjPjjS8_iijT1_PSB_Ps
		.amdhsa_group_segment_fixed_size 1024
		.amdhsa_private_segment_fixed_size 0
		.amdhsa_kernarg_size 528
		.amdhsa_user_sgpr_count 6
		.amdhsa_user_sgpr_private_segment_buffer 1
		.amdhsa_user_sgpr_dispatch_ptr 0
		.amdhsa_user_sgpr_queue_ptr 0
		.amdhsa_user_sgpr_kernarg_segment_ptr 1
		.amdhsa_user_sgpr_dispatch_id 0
		.amdhsa_user_sgpr_flat_scratch_init 0
		.amdhsa_user_sgpr_kernarg_preload_length 0
		.amdhsa_user_sgpr_kernarg_preload_offset 0
		.amdhsa_user_sgpr_private_segment_size 0
		.amdhsa_uses_dynamic_stack 0
		.amdhsa_system_sgpr_private_segment_wavefront_offset 0
		.amdhsa_system_sgpr_workgroup_id_x 1
		.amdhsa_system_sgpr_workgroup_id_y 1
		.amdhsa_system_sgpr_workgroup_id_z 1
		.amdhsa_system_sgpr_workgroup_info 0
		.amdhsa_system_vgpr_workitem_id 0
		.amdhsa_next_free_vgpr 12
		.amdhsa_next_free_sgpr 22
		.amdhsa_accum_offset 12
		.amdhsa_reserve_vcc 1
		.amdhsa_reserve_flat_scratch 0
		.amdhsa_float_round_mode_32 0
		.amdhsa_float_round_mode_16_64 0
		.amdhsa_float_denorm_mode_32 3
		.amdhsa_float_denorm_mode_16_64 3
		.amdhsa_dx10_clamp 1
		.amdhsa_ieee_mode 1
		.amdhsa_fp16_overflow 0
		.amdhsa_tg_split 0
		.amdhsa_exception_fp_ieee_invalid_op 0
		.amdhsa_exception_fp_denorm_src 0
		.amdhsa_exception_fp_ieee_div_zero 0
		.amdhsa_exception_fp_ieee_overflow 0
		.amdhsa_exception_fp_ieee_underflow 0
		.amdhsa_exception_fp_ieee_inexact 0
		.amdhsa_exception_int_div_zero 0
	.end_amdhsa_kernel
	.section	.text._ZN2at6native6mbtopk23computeBlockDigitCountsIijjLi2EEEvNS_4cuda6detail10TensorInfoIKT_T0_EEjPjjS8_iijT1_PSB_Ps,"axG",@progbits,_ZN2at6native6mbtopk23computeBlockDigitCountsIijjLi2EEEvNS_4cuda6detail10TensorInfoIKT_T0_EEjPjjS8_iijT1_PSB_Ps,comdat
.Lfunc_end31:
	.size	_ZN2at6native6mbtopk23computeBlockDigitCountsIijjLi2EEEvNS_4cuda6detail10TensorInfoIKT_T0_EEjPjjS8_iijT1_PSB_Ps, .Lfunc_end31-_ZN2at6native6mbtopk23computeBlockDigitCountsIijjLi2EEEvNS_4cuda6detail10TensorInfoIKT_T0_EEjPjjS8_iijT1_PSB_Ps
                                        ; -- End function
	.section	.AMDGPU.csdata,"",@progbits
; Kernel info:
; codeLenInByte = 1340
; NumSgprs: 26
; NumVgprs: 12
; NumAgprs: 0
; TotalNumVgprs: 12
; ScratchSize: 0
; MemoryBound: 0
; FloatMode: 240
; IeeeMode: 1
; LDSByteSize: 1024 bytes/workgroup (compile time only)
; SGPRBlocks: 3
; VGPRBlocks: 1
; NumSGPRsForWavesPerEU: 26
; NumVGPRsForWavesPerEU: 12
; AccumOffset: 12
; Occupancy: 8
; WaveLimiterHint : 1
; COMPUTE_PGM_RSRC2:SCRATCH_EN: 0
; COMPUTE_PGM_RSRC2:USER_SGPR: 6
; COMPUTE_PGM_RSRC2:TRAP_HANDLER: 0
; COMPUTE_PGM_RSRC2:TGID_X_EN: 1
; COMPUTE_PGM_RSRC2:TGID_Y_EN: 1
; COMPUTE_PGM_RSRC2:TGID_Z_EN: 1
; COMPUTE_PGM_RSRC2:TIDIG_COMP_CNT: 0
; COMPUTE_PGM_RSRC3_GFX90A:ACCUM_OFFSET: 2
; COMPUTE_PGM_RSRC3_GFX90A:TG_SPLIT: 0
	.section	.text._ZN2at6native6mbtopk10gatherTopKIijLi2EEEvNS_4cuda6detail10TensorInfoIKT_T0_EES8_S8_bjS8_NS5_IS6_S8_EES8_NS5_IlS8_EES8_jjPS6_PjSD_j,"axG",@progbits,_ZN2at6native6mbtopk10gatherTopKIijLi2EEEvNS_4cuda6detail10TensorInfoIKT_T0_EES8_S8_bjS8_NS5_IS6_S8_EES8_NS5_IlS8_EES8_jjPS6_PjSD_j,comdat
	.protected	_ZN2at6native6mbtopk10gatherTopKIijLi2EEEvNS_4cuda6detail10TensorInfoIKT_T0_EES8_S8_bjS8_NS5_IS6_S8_EES8_NS5_IlS8_EES8_jjPS6_PjSD_j ; -- Begin function _ZN2at6native6mbtopk10gatherTopKIijLi2EEEvNS_4cuda6detail10TensorInfoIKT_T0_EES8_S8_bjS8_NS5_IS6_S8_EES8_NS5_IlS8_EES8_jjPS6_PjSD_j
	.globl	_ZN2at6native6mbtopk10gatherTopKIijLi2EEEvNS_4cuda6detail10TensorInfoIKT_T0_EES8_S8_bjS8_NS5_IS6_S8_EES8_NS5_IlS8_EES8_jjPS6_PjSD_j
	.p2align	8
	.type	_ZN2at6native6mbtopk10gatherTopKIijLi2EEEvNS_4cuda6detail10TensorInfoIKT_T0_EES8_S8_bjS8_NS5_IS6_S8_EES8_NS5_IlS8_EES8_jjPS6_PjSD_j,@function
_ZN2at6native6mbtopk10gatherTopKIijLi2EEEvNS_4cuda6detail10TensorInfoIKT_T0_EES8_S8_bjS8_NS5_IS6_S8_EES8_NS5_IlS8_EES8_jjPS6_PjSD_j: ; @_ZN2at6native6mbtopk10gatherTopKIijLi2EEEvNS_4cuda6detail10TensorInfoIKT_T0_EES8_S8_bjS8_NS5_IS6_S8_EES8_NS5_IlS8_EES8_jjPS6_PjSD_j
; %bb.0:
	s_load_dwordx2 s[0:1], s[4:5], 0x2d8
	s_load_dword s2, s[4:5], 0x2d0
	s_waitcnt lgkmcnt(0)
	s_mul_i32 s1, s1, s8
	s_add_i32 s1, s1, s7
	s_mul_i32 s0, s1, s0
	s_add_i32 s0, s0, s6
	s_cmp_ge_u32 s0, s2
	s_cbranch_scc1 .LBB32_40
; %bb.1:
	s_load_dwordx8 s[8:15], s[4:5], 0x2a8
	s_load_dwordx2 s[20:21], s[4:5], 0x23c
	s_load_dword s40, s[4:5], 0x1dc
	s_load_dwordx2 s[6:7], s[4:5], 0x1d0
	s_load_dwordx2 s[28:29], s[4:5], 0x15c
	s_load_dword s41, s[4:5], 0xfc
	s_load_dwordx2 s[24:25], s[4:5], 0x0
	s_load_dwordx2 s[22:23], s[4:5], 0xf0
	;; [unrolled: 1-line block ×3, first 2 shown]
	s_load_dword s42, s[4:5], 0xc
	s_mov_b32 s27, 0
	s_waitcnt lgkmcnt(0)
	v_cvt_f32_u32_e32 v1, s10
	s_sub_i32 s1, 0, s10
	v_cvt_f32_u32_e32 v2, s42
	v_rcp_iflag_f32_e32 v1, v1
	v_mul_f32_e32 v1, 0x4f7ffffe, v1
	v_cvt_u32_f32_e32 v1, v1
	v_readfirstlane_b32 s2, v1
	s_mul_i32 s1, s1, s2
	s_mul_hi_u32 s1, s2, s1
	s_add_i32 s2, s2, s1
	v_rcp_iflag_f32_e32 v1, v2
	s_mul_hi_u32 s1, s0, s2
	s_mul_i32 s2, s1, s10
	s_sub_i32 s2, s0, s2
	s_add_i32 s3, s1, 1
	s_sub_i32 s11, s2, s10
	v_mul_f32_e32 v1, 0x4f7ffffe, v1
	s_cmp_ge_u32 s2, s10
	v_cvt_u32_f32_e32 v1, v1
	v_cvt_f32_u32_e32 v2, s41
	s_cselect_b32 s1, s3, s1
	s_cselect_b32 s2, s11, s2
	s_add_i32 s3, s1, 1
	s_cmp_ge_u32 s2, s10
	s_cselect_b32 s26, s3, s1
	v_readfirstlane_b32 s1, v1
	v_rcp_iflag_f32_e32 v1, v2
	v_cvt_f32_u32_e32 v2, s40
	s_mul_i32 s16, s26, s10
	s_sub_i32 s11, s0, s16
	v_mul_f32_e32 v1, 0x4f7ffffe, v1
	s_sub_i32 s0, 0, s42
	v_cvt_u32_f32_e32 v1, v1
	v_rcp_iflag_f32_e32 v2, v2
	s_mul_i32 s0, s0, s1
	s_mul_hi_u32 s0, s1, s0
	s_add_i32 s1, s1, s0
	s_mul_hi_u32 s44, s26, s1
	v_readfirstlane_b32 s1, v1
	v_mul_f32_e32 v1, 0x4f7ffffe, v2
	v_cvt_u32_f32_e32 v1, v1
	s_sub_i32 s0, 0, s41
	s_mul_i32 s0, s0, s1
	s_mul_hi_u32 s0, s1, s0
	s_add_i32 s2, s1, s0
	s_sub_i32 s0, 0, s40
	v_readfirstlane_b32 s1, v1
	s_mul_i32 s0, s0, s1
	s_mul_hi_u32 s0, s1, s0
	s_add_i32 s3, s1, s0
	s_lshl_b64 s[0:1], s[26:27], 2
	s_add_u32 s0, s12, s0
	s_addc_u32 s1, s13, s1
	s_load_dword s33, s[0:1], 0x0
	s_mul_hi_u32 s45, s26, s2
	s_mul_hi_u32 s43, s26, s3
	v_cmp_ne_u32_e64 s[0:1], 0, v0
	v_cmp_eq_u32_e64 s[2:3], 0, v0
	s_and_saveexec_b64 s[12:13], s[2:3]
	s_cbranch_execz .LBB32_17
; %bb.2:
	s_load_dwordx2 s[34:35], s[4:5], 0x2c8
	s_mov_b32 s17, s27
	s_lshl_b64 s[36:37], s[16:17], 2
	s_add_u32 s16, s14, s36
	s_addc_u32 s17, s15, s37
	s_waitcnt lgkmcnt(0)
	s_add_u32 s18, s34, s36
	s_addc_u32 s19, s35, s37
	s_cmp_lt_u32 s10, 4
	s_cbranch_scc1 .LBB32_14
; %bb.3:
	s_mov_b32 s46, s27
	s_mov_b32 s47, s27
	;; [unrolled: 1-line block ×3, first 2 shown]
.LBB32_4:                               ; =>This Inner Loop Header: Depth=1
	s_add_u32 s16, s14, s36
	s_addc_u32 s17, s15, s37
	s_load_dwordx4 s[16:19], s[16:17], 0x0
	s_add_u32 s38, s34, s36
	s_addc_u32 s39, s35, s37
	s_cmp_ge_u32 s48, s11
	s_cbranch_scc0 .LBB32_11
; %bb.5:                                ;   in Loop: Header=BB32_4 Depth=1
	s_add_i32 s49, s48, 1
	s_cmp_ge_u32 s49, s11
	s_cbranch_scc0 .LBB32_12
.LBB32_6:                               ;   in Loop: Header=BB32_4 Depth=1
	s_add_i32 s49, s49, 1
	s_cmp_ge_u32 s49, s11
	s_cbranch_scc0 .LBB32_13
.LBB32_7:                               ;   in Loop: Header=BB32_4 Depth=1
	s_add_i32 s49, s49, 1
	s_cmp_ge_u32 s49, s11
	s_cbranch_scc1 .LBB32_9
.LBB32_8:                               ;   in Loop: Header=BB32_4 Depth=1
	s_load_dword s38, s[38:39], 0xc
	s_waitcnt lgkmcnt(0)
	s_add_i32 s27, s27, s19
	s_add_i32 s46, s38, s46
.LBB32_9:                               ;   in Loop: Header=BB32_4 Depth=1
	s_waitcnt lgkmcnt(0)
	s_add_i32 s16, s16, s47
	s_add_i32 s16, s16, s17
	;; [unrolled: 1-line block ×4, first 2 shown]
	s_add_u32 s14, s14, 16
	s_addc_u32 s15, s15, 0
	s_add_u32 s34, s34, 16
	s_addc_u32 s35, s35, 0
	s_add_i32 s39, s49, 4
	s_add_u32 s18, s34, s36
	s_addc_u32 s19, s35, s37
	s_add_u32 s16, s14, s36
	s_addc_u32 s17, s15, s37
	s_add_i32 s38, s49, 1
	s_cmp_ge_u32 s39, s10
	s_cbranch_scc1 .LBB32_15
; %bb.10:                               ;   in Loop: Header=BB32_4 Depth=1
	s_mov_b32 s48, s38
	s_branch .LBB32_4
.LBB32_11:                              ;   in Loop: Header=BB32_4 Depth=1
	s_load_dword s49, s[38:39], 0x0
	s_waitcnt lgkmcnt(0)
	s_add_i32 s27, s16, s27
	s_add_i32 s46, s49, s46
	;; [unrolled: 1-line block ×3, first 2 shown]
	s_cmp_ge_u32 s49, s11
	s_cbranch_scc1 .LBB32_6
.LBB32_12:                              ;   in Loop: Header=BB32_4 Depth=1
	s_load_dword s50, s[38:39], 0x4
	s_waitcnt lgkmcnt(0)
	s_add_i32 s27, s27, s17
	s_add_i32 s46, s50, s46
	;; [unrolled: 1-line block ×3, first 2 shown]
	s_cmp_ge_u32 s49, s11
	s_cbranch_scc1 .LBB32_7
.LBB32_13:                              ;   in Loop: Header=BB32_4 Depth=1
	s_load_dword s50, s[38:39], 0x8
	s_waitcnt lgkmcnt(0)
	s_add_i32 s27, s27, s18
	s_add_i32 s46, s50, s46
	;; [unrolled: 1-line block ×3, first 2 shown]
	s_cmp_ge_u32 s49, s11
	s_cbranch_scc0 .LBB32_8
	s_branch .LBB32_9
.LBB32_14:
	s_mov_b32 s46, 0
	s_mov_b32 s47, 0
	;; [unrolled: 1-line block ×3, first 2 shown]
	s_cmp_ge_u32 s14, s10
	s_cbranch_scc0 .LBB32_38
	s_branch .LBB32_16
.LBB32_15:
	s_add_i32 s14, s48, 4
	s_cmp_ge_u32 s14, s10
	s_cbranch_scc0 .LBB32_38
.LBB32_16:
	v_mov_b32_e32 v2, s46
	v_mov_b32_e32 v3, s47
	;; [unrolled: 1-line block ×4, first 2 shown]
	ds_write_b96 v1, v[2:4] offset:1056
.LBB32_17:
	s_or_b64 exec, exec, s[12:13]
	s_load_dwordx4 s[12:15], s[4:5], 0xd8
	s_mul_i32 s16, s9, s11
	s_lshl_b32 s27, s16, 8
	s_waitcnt lgkmcnt(0)
	s_add_i32 s15, s11, 1
	s_mov_b32 s11, 0
	s_sub_i32 s16, s12, s27
	s_add_u32 s16, s16, 0xff
	s_addc_u32 s17, 0, 0
	v_mov_b32_e32 v1, s16
	v_alignbit_b32 v1, s17, v1, 8
	s_cmp_lt_u32 s15, s10
	v_readfirstlane_b32 s10, v1
	s_cselect_b32 s9, s9, s10
	s_cmp_eq_u32 s9, 0
	s_barrier
	s_cbranch_scc1 .LBB32_40
; %bb.18:
	s_mul_i32 s10, s44, s42
	s_sub_i32 s10, s26, s10
	s_add_i32 s15, s44, 1
	s_sub_i32 s16, s10, s42
	s_cmp_ge_u32 s10, s42
	s_cselect_b32 s15, s15, s44
	s_cselect_b32 s10, s16, s10
	s_add_i32 s16, s15, 1
	s_cmp_ge_u32 s10, s42
	s_cselect_b32 s10, s16, s15
	s_mul_i32 s15, s10, s42
	s_sub_i32 s15, s26, s15
	s_mul_i32 s15, s15, s31
	s_mul_i32 s10, s10, s30
	s_add_i32 s10, s10, s15
	s_mul_i32 s15, s45, s41
	s_sub_i32 s15, s26, s15
	s_add_i32 s16, s45, 1
	s_sub_i32 s17, s15, s41
	s_cmp_ge_u32 s15, s41
	s_cselect_b32 s16, s16, s45
	s_cselect_b32 s15, s17, s15
	s_add_i32 s17, s16, 1
	s_cmp_ge_u32 s15, s41
	s_cselect_b32 s15, s17, s16
	s_mul_i32 s16, s15, s41
	s_sub_i32 s16, s26, s16
	s_mul_i32 s16, s16, s29
	s_mul_i32 s15, s15, s28
	s_add_i32 s18, s15, s16
	s_mul_i32 s15, s43, s40
	s_sub_i32 s15, s26, s15
	s_add_i32 s16, s43, 1
	s_sub_i32 s17, s15, s40
	s_cmp_ge_u32 s15, s40
	s_cselect_b32 s16, s16, s43
	s_cselect_b32 s15, s17, s15
	s_add_i32 s17, s16, 1
	s_cmp_ge_u32 s15, s40
	s_cselect_b32 s15, s17, s16
	s_mul_i32 s16, s15, s40
	s_sub_i32 s16, s26, s16
	s_mul_i32 s16, s16, s21
	s_mul_i32 s15, s15, s20
	v_mov_b32_e32 v1, 0
	s_add_i32 s20, s15, s16
	s_lshl_b64 s[16:17], s[10:11], 2
	ds_read_b96 v[2:4], v1 offset:1056
	s_add_u32 s15, s24, s16
	s_mov_b32 s19, s11
	s_addc_u32 s16, s25, s17
	s_lshl_b64 s[18:19], s[18:19], 2
	s_add_u32 s17, s22, s18
	s_mov_b32 s21, s11
	s_addc_u32 s18, s23, s19
	s_lshl_b64 s[10:11], s[20:21], 3
	s_add_u32 s19, s6, s10
	s_waitcnt lgkmcnt(0)
	v_add_u32_e32 v5, v2, v3
	v_lshrrev_b32_e32 v2, 5, v0
	s_addc_u32 s20, s7, s11
	s_xor_b32 s21, s33, 0x80000000
	v_add_lshl_u32 v6, v2, v0, 2
	v_lshlrev_b32_e32 v2, 2, v0
	v_lshrrev_b32_e32 v3, 3, v0
	s_bitcmp1_b32 s14, 0
	s_load_dword s10, s[4:5], 0xe8
	s_load_dword s14, s[4:5], 0x1c8
	v_add_lshl_u32 v7, v3, v2, 2
	v_add_u32_e32 v2, -1, v0
	v_lshrrev_b32_e32 v3, 5, v2
	v_add_lshl_u32 v8, v3, v2, 2
	v_mbcnt_lo_u32_b32 v3, -1, 0
	v_add_u32_e32 v2, s27, v0
	v_mbcnt_hi_u32_b32 v9, -1, v3
	s_cselect_b64 s[6:7], -1, 0
	v_cmp_gt_u32_e64 s[4:5], 64, v0
	s_waitcnt lgkmcnt(0)
	v_mul_lo_u32 v0, s10, v2
	s_lshl_b32 s22, s10, 8
	v_and_b32_e32 v10, 15, v9
	v_bfe_i32 v11, v9, 4, 1
	v_add_u32_e32 v12, -1, v9
	v_and_b32_e32 v13, 64, v9
                                        ; implicit-def: $vgpr14
	s_branch .LBB32_21
.LBB32_19:                              ;   in Loop: Header=BB32_21 Depth=1
	s_or_b64 exec, exec, s[10:11]
	v_add_u32_e32 v5, v17, v5
.LBB32_20:                              ;   in Loop: Header=BB32_21 Depth=1
	s_add_i32 s9, s9, -1
	v_add_u32_e32 v4, v16, v4
	v_add_u32_e32 v0, s22, v0
	s_cmp_lg_u32 s9, 0
	v_add_u32_e32 v2, 0x100, v2
	s_cbranch_scc0 .LBB32_40
.LBB32_21:                              ; =>This Inner Loop Header: Depth=1
	v_cmp_gt_u32_e32 vcc, s12, v2
	v_mov_b32_e32 v3, 0
	v_mov_b32_e32 v15, 0
	s_and_saveexec_b64 s[10:11], vcc
	s_cbranch_execz .LBB32_23
; %bb.22:                               ;   in Loop: Header=BB32_21 Depth=1
	v_lshlrev_b64 v[14:15], 2, v[0:1]
	v_mov_b32_e32 v3, s16
	v_add_co_u32_e32 v14, vcc, s15, v14
	v_addc_co_u32_e32 v15, vcc, v3, v15, vcc
	global_load_dword v14, v[14:15], off
	s_waitcnt vmcnt(0)
	v_xor_b32_e32 v3, 0x80000000, v14
	v_cmp_lt_u32_e32 vcc, s21, v3
	v_cndmask_b32_e64 v15, 0, 1, vcc
	v_cmp_gt_u32_e32 vcc, s21, v3
	v_cndmask_b32_e64 v3, 0, 1, vcc
	v_cndmask_b32_e64 v3, v3, v15, s[6:7]
	v_cmp_eq_u32_e32 vcc, s33, v14
	v_and_b32_e32 v3, 1, v3
	v_cndmask_b32_e64 v15, 0, 1, vcc
.LBB32_23:                              ;   in Loop: Header=BB32_21 Depth=1
	s_or_b64 exec, exec, s[10:11]
	ds_write_b32 v6, v3
	s_waitcnt lgkmcnt(0)
	s_barrier
	s_and_saveexec_b64 s[10:11], s[4:5]
	s_cbranch_execz .LBB32_25
; %bb.24:                               ;   in Loop: Header=BB32_21 Depth=1
	ds_read2_b32 v[16:17], v7 offset1:1
	ds_read2_b32 v[18:19], v7 offset0:2 offset1:3
	v_cmp_ne_u32_e32 vcc, 0, v10
	; wave barrier
	s_waitcnt lgkmcnt(1)
	v_add_u32_e32 v17, v17, v16
	s_waitcnt lgkmcnt(0)
	v_add3_u32 v17, v17, v18, v19
	s_nop 1
	v_mov_b32_dpp v18, v17 row_shr:1 row_mask:0xf bank_mask:0xf
	v_cndmask_b32_e32 v18, 0, v18, vcc
	v_add_u32_e32 v17, v18, v17
	v_cmp_lt_u32_e32 vcc, 1, v10
	s_nop 0
	v_mov_b32_dpp v18, v17 row_shr:2 row_mask:0xf bank_mask:0xf
	v_cndmask_b32_e32 v18, 0, v18, vcc
	v_add_u32_e32 v17, v17, v18
	v_cmp_lt_u32_e32 vcc, 3, v10
	s_nop 0
	v_mov_b32_dpp v18, v17 row_shr:4 row_mask:0xf bank_mask:0xf
	v_cndmask_b32_e32 v18, 0, v18, vcc
	v_add_u32_e32 v17, v17, v18
	v_cmp_lt_u32_e32 vcc, 7, v10
	s_nop 0
	v_mov_b32_dpp v18, v17 row_shr:8 row_mask:0xf bank_mask:0xf
	v_cndmask_b32_e32 v18, 0, v18, vcc
	v_add_u32_e32 v17, v17, v18
	v_cmp_lt_u32_e32 vcc, 31, v9
	s_nop 0
	v_mov_b32_dpp v18, v17 row_bcast:15 row_mask:0xf bank_mask:0xf
	v_and_b32_e32 v18, v11, v18
	v_add_u32_e32 v17, v17, v18
	s_nop 1
	v_mov_b32_dpp v18, v17 row_bcast:31 row_mask:0xf bank_mask:0xf
	v_cndmask_b32_e32 v18, 0, v18, vcc
	v_cmp_lt_i32_e32 vcc, v12, v13
	v_add_u32_e32 v17, v17, v18
	v_cndmask_b32_e32 v18, v12, v9, vcc
	v_lshlrev_b32_e32 v18, 2, v18
	ds_bpermute_b32 v17, v18, v17
	s_waitcnt lgkmcnt(0)
	v_add_u32_e32 v16, v17, v16
	v_cndmask_b32_e64 v18, v16, v3, s[2:3]
	ds_write_b32 v7, v18
	; wave barrier
	ds_read2_b32 v[16:17], v7 offset0:1 offset1:2
	ds_read_b32 v19, v7 offset:12
	s_waitcnt lgkmcnt(1)
	v_add_u32_e32 v16, v16, v18
	v_add_u32_e32 v17, v17, v16
	ds_write2_b32 v7, v16, v17 offset0:1 offset1:2
	s_waitcnt lgkmcnt(1)
	v_add_u32_e32 v16, v19, v17
	ds_write_b32 v7, v16 offset:12
.LBB32_25:                              ;   in Loop: Header=BB32_21 Depth=1
	s_or_b64 exec, exec, s[10:11]
	v_mov_b32_e32 v17, 0
	s_waitcnt lgkmcnt(0)
	s_barrier
	s_and_saveexec_b64 s[10:11], s[0:1]
	s_cbranch_execz .LBB32_27
; %bb.26:                               ;   in Loop: Header=BB32_21 Depth=1
	ds_read_b32 v17, v8
.LBB32_27:                              ;   in Loop: Header=BB32_21 Depth=1
	s_or_b64 exec, exec, s[10:11]
	ds_read_b32 v16, v1 offset:1048
	v_cmp_ne_u32_e32 vcc, 0, v3
	s_waitcnt lgkmcnt(0)
	s_barrier
	s_and_saveexec_b64 s[10:11], vcc
	s_cbranch_execz .LBB32_29
; %bb.28:                               ;   in Loop: Header=BB32_21 Depth=1
	v_add_u32_e32 v17, v17, v4
	v_mul_lo_u32 v18, v17, s14
	v_mov_b32_e32 v19, v1
	v_lshlrev_b64 v[18:19], 2, v[18:19]
	v_mov_b32_e32 v3, s18
	v_add_co_u32_e32 v18, vcc, s17, v18
	v_addc_co_u32_e32 v19, vcc, v3, v19, vcc
	global_store_dword v[18:19], v14, off
	v_mul_lo_u32 v18, v17, s8
	v_mov_b32_e32 v19, v1
	v_lshlrev_b64 v[18:19], 3, v[18:19]
	v_mov_b32_e32 v17, s20
	v_add_co_u32_e32 v18, vcc, s19, v18
	v_mov_b32_e32 v3, v1
	v_addc_co_u32_e32 v19, vcc, v17, v19, vcc
	global_store_dwordx2 v[18:19], v[2:3], off
.LBB32_29:                              ;   in Loop: Header=BB32_21 Depth=1
	s_or_b64 exec, exec, s[10:11]
	v_cmp_le_u32_e32 vcc, s13, v5
	s_cbranch_vccnz .LBB32_20
; %bb.30:                               ;   in Loop: Header=BB32_21 Depth=1
	ds_write_b32 v6, v15
	s_waitcnt lgkmcnt(0)
	s_barrier
	s_and_saveexec_b64 s[10:11], s[4:5]
	s_cbranch_execz .LBB32_32
; %bb.31:                               ;   in Loop: Header=BB32_21 Depth=1
	ds_read2_b32 v[18:19], v7 offset1:1
	ds_read2_b32 v[20:21], v7 offset0:2 offset1:3
	v_cmp_ne_u32_e32 vcc, 0, v10
	; wave barrier
	s_waitcnt lgkmcnt(1)
	v_add_u32_e32 v3, v19, v18
	s_waitcnt lgkmcnt(0)
	v_add3_u32 v3, v3, v20, v21
	s_nop 1
	v_mov_b32_dpp v17, v3 row_shr:1 row_mask:0xf bank_mask:0xf
	v_cndmask_b32_e32 v17, 0, v17, vcc
	v_add_u32_e32 v3, v17, v3
	v_cmp_lt_u32_e32 vcc, 1, v10
	s_nop 0
	v_mov_b32_dpp v17, v3 row_shr:2 row_mask:0xf bank_mask:0xf
	v_cndmask_b32_e32 v17, 0, v17, vcc
	v_add_u32_e32 v3, v3, v17
	v_cmp_lt_u32_e32 vcc, 3, v10
	;; [unrolled: 5-line block ×4, first 2 shown]
	s_nop 0
	v_mov_b32_dpp v17, v3 row_bcast:15 row_mask:0xf bank_mask:0xf
	v_and_b32_e32 v17, v11, v17
	v_add_u32_e32 v3, v3, v17
	s_nop 1
	v_mov_b32_dpp v17, v3 row_bcast:31 row_mask:0xf bank_mask:0xf
	v_cndmask_b32_e32 v17, 0, v17, vcc
	v_cmp_lt_i32_e32 vcc, v12, v13
	v_add_u32_e32 v3, v3, v17
	v_cndmask_b32_e32 v17, v12, v9, vcc
	v_lshlrev_b32_e32 v17, 2, v17
	ds_bpermute_b32 v3, v17, v3
	s_waitcnt lgkmcnt(0)
	v_add_u32_e32 v3, v3, v18
	v_cndmask_b32_e64 v3, v3, v15, s[2:3]
	ds_write_b32 v7, v3
	; wave barrier
	ds_read2_b32 v[18:19], v7 offset0:1 offset1:2
	ds_read_b32 v17, v7 offset:12
	s_waitcnt lgkmcnt(1)
	v_add_u32_e32 v3, v18, v3
	v_add_u32_e32 v18, v19, v3
	ds_write2_b32 v7, v3, v18 offset0:1 offset1:2
	s_waitcnt lgkmcnt(1)
	v_add_u32_e32 v3, v17, v18
	ds_write_b32 v7, v3 offset:12
.LBB32_32:                              ;   in Loop: Header=BB32_21 Depth=1
	s_or_b64 exec, exec, s[10:11]
	v_mov_b32_e32 v3, 0
	s_waitcnt lgkmcnt(0)
	s_barrier
	s_and_saveexec_b64 s[10:11], s[0:1]
	s_cbranch_execz .LBB32_34
; %bb.33:                               ;   in Loop: Header=BB32_21 Depth=1
	ds_read_b32 v3, v8
.LBB32_34:                              ;   in Loop: Header=BB32_21 Depth=1
	s_or_b64 exec, exec, s[10:11]
	ds_read_b32 v17, v1 offset:1048
	v_cmp_ne_u32_e32 vcc, 0, v15
	s_waitcnt lgkmcnt(0)
	s_barrier
	s_and_saveexec_b64 s[10:11], vcc
	s_cbranch_execz .LBB32_19
; %bb.35:                               ;   in Loop: Header=BB32_21 Depth=1
	v_add_u32_e32 v15, v3, v5
	v_cmp_gt_u32_e32 vcc, s13, v15
	s_and_b64 exec, exec, vcc
	s_cbranch_execz .LBB32_19
; %bb.36:                               ;   in Loop: Header=BB32_21 Depth=1
	v_mul_lo_u32 v18, v15, s14
	v_mov_b32_e32 v19, v1
	v_lshlrev_b64 v[18:19], 2, v[18:19]
	v_mov_b32_e32 v3, s18
	v_add_co_u32_e32 v18, vcc, s17, v18
	v_addc_co_u32_e32 v19, vcc, v3, v19, vcc
	global_store_dword v[18:19], v14, off
	v_mul_lo_u32 v18, v15, s8
	v_mov_b32_e32 v19, v1
	v_lshlrev_b64 v[18:19], 3, v[18:19]
	v_mov_b32_e32 v15, s20
	v_add_co_u32_e32 v18, vcc, s19, v18
	v_mov_b32_e32 v3, v1
	v_addc_co_u32_e32 v19, vcc, v15, v19, vcc
	global_store_dwordx2 v[18:19], v[2:3], off
	s_branch .LBB32_19
.LBB32_37:                              ;   in Loop: Header=BB32_38 Depth=1
	s_add_u32 s16, s16, 4
	s_addc_u32 s17, s17, 0
	s_waitcnt lgkmcnt(0)
	s_add_i32 s47, s15, s47
	s_add_u32 s18, s18, 4
	s_addc_u32 s19, s19, 0
	s_add_i32 s14, s14, 1
	s_cmp_lt_u32 s14, s10
	s_cbranch_scc0 .LBB32_16
.LBB32_38:                              ; =>This Inner Loop Header: Depth=1
	s_load_dword s15, s[16:17], 0x0
	s_cmp_ge_u32 s14, s11
	s_cbranch_scc1 .LBB32_37
; %bb.39:                               ;   in Loop: Header=BB32_38 Depth=1
	s_load_dword s34, s[18:19], 0x0
	s_waitcnt lgkmcnt(0)
	s_add_i32 s27, s15, s27
	s_add_i32 s46, s34, s46
	s_branch .LBB32_37
.LBB32_40:
	s_endpgm
	.section	.rodata,"a",@progbits
	.p2align	6, 0x0
	.amdhsa_kernel _ZN2at6native6mbtopk10gatherTopKIijLi2EEEvNS_4cuda6detail10TensorInfoIKT_T0_EES8_S8_bjS8_NS5_IS6_S8_EES8_NS5_IlS8_EES8_jjPS6_PjSD_j
		.amdhsa_group_segment_fixed_size 1068
		.amdhsa_private_segment_fixed_size 0
		.amdhsa_kernarg_size 984
		.amdhsa_user_sgpr_count 6
		.amdhsa_user_sgpr_private_segment_buffer 1
		.amdhsa_user_sgpr_dispatch_ptr 0
		.amdhsa_user_sgpr_queue_ptr 0
		.amdhsa_user_sgpr_kernarg_segment_ptr 1
		.amdhsa_user_sgpr_dispatch_id 0
		.amdhsa_user_sgpr_flat_scratch_init 0
		.amdhsa_user_sgpr_kernarg_preload_length 0
		.amdhsa_user_sgpr_kernarg_preload_offset 0
		.amdhsa_user_sgpr_private_segment_size 0
		.amdhsa_uses_dynamic_stack 0
		.amdhsa_system_sgpr_private_segment_wavefront_offset 0
		.amdhsa_system_sgpr_workgroup_id_x 1
		.amdhsa_system_sgpr_workgroup_id_y 1
		.amdhsa_system_sgpr_workgroup_id_z 1
		.amdhsa_system_sgpr_workgroup_info 0
		.amdhsa_system_vgpr_workitem_id 0
		.amdhsa_next_free_vgpr 22
		.amdhsa_next_free_sgpr 51
		.amdhsa_accum_offset 24
		.amdhsa_reserve_vcc 1
		.amdhsa_reserve_flat_scratch 0
		.amdhsa_float_round_mode_32 0
		.amdhsa_float_round_mode_16_64 0
		.amdhsa_float_denorm_mode_32 3
		.amdhsa_float_denorm_mode_16_64 3
		.amdhsa_dx10_clamp 1
		.amdhsa_ieee_mode 1
		.amdhsa_fp16_overflow 0
		.amdhsa_tg_split 0
		.amdhsa_exception_fp_ieee_invalid_op 0
		.amdhsa_exception_fp_denorm_src 0
		.amdhsa_exception_fp_ieee_div_zero 0
		.amdhsa_exception_fp_ieee_overflow 0
		.amdhsa_exception_fp_ieee_underflow 0
		.amdhsa_exception_fp_ieee_inexact 0
		.amdhsa_exception_int_div_zero 0
	.end_amdhsa_kernel
	.section	.text._ZN2at6native6mbtopk10gatherTopKIijLi2EEEvNS_4cuda6detail10TensorInfoIKT_T0_EES8_S8_bjS8_NS5_IS6_S8_EES8_NS5_IlS8_EES8_jjPS6_PjSD_j,"axG",@progbits,_ZN2at6native6mbtopk10gatherTopKIijLi2EEEvNS_4cuda6detail10TensorInfoIKT_T0_EES8_S8_bjS8_NS5_IS6_S8_EES8_NS5_IlS8_EES8_jjPS6_PjSD_j,comdat
.Lfunc_end32:
	.size	_ZN2at6native6mbtopk10gatherTopKIijLi2EEEvNS_4cuda6detail10TensorInfoIKT_T0_EES8_S8_bjS8_NS5_IS6_S8_EES8_NS5_IlS8_EES8_jjPS6_PjSD_j, .Lfunc_end32-_ZN2at6native6mbtopk10gatherTopKIijLi2EEEvNS_4cuda6detail10TensorInfoIKT_T0_EES8_S8_bjS8_NS5_IS6_S8_EES8_NS5_IlS8_EES8_jjPS6_PjSD_j
                                        ; -- End function
	.section	.AMDGPU.csdata,"",@progbits
; Kernel info:
; codeLenInByte = 2404
; NumSgprs: 55
; NumVgprs: 22
; NumAgprs: 0
; TotalNumVgprs: 22
; ScratchSize: 0
; MemoryBound: 0
; FloatMode: 240
; IeeeMode: 1
; LDSByteSize: 1068 bytes/workgroup (compile time only)
; SGPRBlocks: 6
; VGPRBlocks: 2
; NumSGPRsForWavesPerEU: 55
; NumVGPRsForWavesPerEU: 22
; AccumOffset: 24
; Occupancy: 8
; WaveLimiterHint : 1
; COMPUTE_PGM_RSRC2:SCRATCH_EN: 0
; COMPUTE_PGM_RSRC2:USER_SGPR: 6
; COMPUTE_PGM_RSRC2:TRAP_HANDLER: 0
; COMPUTE_PGM_RSRC2:TGID_X_EN: 1
; COMPUTE_PGM_RSRC2:TGID_Y_EN: 1
; COMPUTE_PGM_RSRC2:TGID_Z_EN: 1
; COMPUTE_PGM_RSRC2:TIDIG_COMP_CNT: 0
; COMPUTE_PGM_RSRC3_GFX90A:ACCUM_OFFSET: 5
; COMPUTE_PGM_RSRC3_GFX90A:TG_SPLIT: 0
	.section	.text._ZN2at6native6sbtopk10gatherTopKIijLi2ELb0EEEvNS_4cuda6detail10TensorInfoIKT_T0_EES8_S8_bS8_S8_NS5_IS6_S8_EES8_NS5_IlS8_EES8_PS6_,"axG",@progbits,_ZN2at6native6sbtopk10gatherTopKIijLi2ELb0EEEvNS_4cuda6detail10TensorInfoIKT_T0_EES8_S8_bS8_S8_NS5_IS6_S8_EES8_NS5_IlS8_EES8_PS6_,comdat
	.protected	_ZN2at6native6sbtopk10gatherTopKIijLi2ELb0EEEvNS_4cuda6detail10TensorInfoIKT_T0_EES8_S8_bS8_S8_NS5_IS6_S8_EES8_NS5_IlS8_EES8_PS6_ ; -- Begin function _ZN2at6native6sbtopk10gatherTopKIijLi2ELb0EEEvNS_4cuda6detail10TensorInfoIKT_T0_EES8_S8_bS8_S8_NS5_IS6_S8_EES8_NS5_IlS8_EES8_PS6_
	.globl	_ZN2at6native6sbtopk10gatherTopKIijLi2ELb0EEEvNS_4cuda6detail10TensorInfoIKT_T0_EES8_S8_bS8_S8_NS5_IS6_S8_EES8_NS5_IlS8_EES8_PS6_
	.p2align	8
	.type	_ZN2at6native6sbtopk10gatherTopKIijLi2ELb0EEEvNS_4cuda6detail10TensorInfoIKT_T0_EES8_S8_bS8_S8_NS5_IS6_S8_EES8_NS5_IlS8_EES8_PS6_,@function
_ZN2at6native6sbtopk10gatherTopKIijLi2ELb0EEEvNS_4cuda6detail10TensorInfoIKT_T0_EES8_S8_bS8_S8_NS5_IS6_S8_EES8_NS5_IlS8_EES8_PS6_: ; @_ZN2at6native6sbtopk10gatherTopKIijLi2ELb0EEEvNS_4cuda6detail10TensorInfoIKT_T0_EES8_S8_bS8_S8_NS5_IS6_S8_EES8_NS5_IlS8_EES8_PS6_
; %bb.0:
	s_load_dwordx2 s[10:11], s[4:5], 0x2b8
	s_load_dwordx4 s[60:63], s[4:5], 0xd8
	s_add_u32 s2, s4, 0x2b8
	s_addc_u32 s3, s5, 0
	s_waitcnt lgkmcnt(0)
	s_mul_i32 s0, s11, s8
	s_add_i32 s0, s0, s7
	s_mul_i32 s0, s0, s10
	s_add_i32 s17, s0, s6
	s_cmp_ge_u32 s17, s63
	s_cbranch_scc1 .LBB33_414
; %bb.1:
	s_load_dwordx2 s[8:9], s[4:5], 0x1d0
                                        ; implicit-def: $vgpr53 : SGPR spill to VGPR lane
	s_load_dword s11, s[4:5], 0xc
	s_load_dword s16, s[4:5], 0xe8
	s_load_dwordx2 s[12:13], s[4:5], 0x6c
	s_load_dwordx2 s[0:1], s[4:5], 0x0
	s_mov_b32 s18, 0
	s_waitcnt lgkmcnt(0)
	v_cvt_f32_u32_e32 v1, s11
	s_load_dword s14, s[4:5], 0xfc
	v_writelane_b32 v53, s8, 0
	v_writelane_b32 v53, s9, 1
	s_load_dwordx2 s[8:9], s[4:5], 0x15c
	v_rcp_iflag_f32_e32 v1, v1
	s_waitcnt lgkmcnt(0)
	v_cvt_f32_u32_e32 v2, s14
	v_writelane_b32 v53, s8, 2
	v_writelane_b32 v53, s9, 3
	s_load_dwordx2 s[8:9], s[4:5], 0x23c
	v_mul_f32_e32 v1, 0x4f7ffffe, v1
	v_cvt_u32_f32_e32 v1, v1
	v_rcp_iflag_f32_e32 v2, v2
	s_waitcnt lgkmcnt(0)
	v_writelane_b32 v53, s8, 4
	v_writelane_b32 v53, s9, 5
	s_load_dword s9, s[4:5], 0x1dc
	v_writelane_b32 v53, s4, 6
	v_writelane_b32 v53, s5, 7
	s_load_dwordx2 s[4:5], s[4:5], 0xf0
	v_readfirstlane_b32 s7, v1
	v_mul_f32_e32 v1, 0x4f7ffffe, v2
	s_waitcnt lgkmcnt(0)
	v_cvt_f32_u32_e32 v2, s9
	v_cvt_u32_f32_e32 v1, v1
	v_writelane_b32 v53, s4, 8
	v_writelane_b32 v53, s5, 9
	v_rcp_iflag_f32_e32 v2, v2
	s_sub_i32 s5, 0, s11
	s_mul_i32 s5, s5, s7
	s_mul_hi_u32 s5, s7, s5
	s_add_i32 s7, s7, s5
	v_readfirstlane_b32 s8, v1
	v_mul_f32_e32 v1, 0x4f7ffffe, v2
	s_mul_hi_u32 s5, s17, s7
	s_sub_i32 s7, 0, s14
	v_cvt_u32_f32_e32 v1, v1
	s_mul_i32 s7, s7, s8
	s_mul_hi_u32 s7, s8, s7
	s_add_i32 s8, s8, s7
	s_mul_hi_u32 s4, s17, s8
	s_sub_i32 s7, 0, s9
	v_readfirstlane_b32 s8, v1
	s_mul_i32 s7, s7, s8
	v_writelane_b32 v53, s14, 10
	s_mul_hi_u32 s7, s8, s7
	v_writelane_b32 v53, s4, 11
	s_add_i32 s8, s8, s7
	v_writelane_b32 v53, s9, 12
	s_mul_hi_u32 s4, s17, s8
	v_writelane_b32 v53, s4, 13
	v_cmp_eq_u32_e64 s[8:9], 0, v0
	s_mov_b64 s[14:15], exec
	v_writelane_b32 v53, s8, 14
	v_writelane_b32 v53, s9, 15
	s_and_b64 s[8:9], s[14:15], s[8:9]
	s_mov_b64 exec, s[8:9]
	s_cbranch_execz .LBB33_3
; %bb.2:
	v_mov_b32_e32 v2, 0
	v_mov_b32_e32 v3, s60
	;; [unrolled: 1-line block ×3, first 2 shown]
	ds_write_b96 v2, v[2:4] offset:4096
.LBB33_3:
	s_or_b64 exec, exec, s[14:15]
	s_mul_i32 s7, s5, s11
	s_sub_i32 s7, s17, s7
	s_add_i32 s8, s5, 1
	s_sub_i32 s9, s7, s11
	s_cmp_ge_u32 s7, s11
	s_cselect_b32 s5, s8, s5
	s_cselect_b32 s7, s9, s7
	s_add_i32 s8, s5, 1
	s_cmp_ge_u32 s7, s11
	s_cselect_b32 s5, s8, s5
	s_mul_i32 s4, s5, s11
	s_sub_i32 s4, s17, s4
	s_mul_i32 s4, s4, s13
	s_mul_i32 s5, s5, s12
	s_add_i32 s4, s5, s4
	s_mov_b32 s5, s18
	v_writelane_b32 v53, s17, 16
	s_mov_b32 s8, 0
	s_lshl_b64 s[4:5], s[4:5], 2
	v_writelane_b32 v53, s8, 17
	s_add_u32 s33, s0, s4
	s_waitcnt lgkmcnt(0)
	s_barrier
	s_load_dword s0, s[2:3], 0xc
	v_writelane_b32 v53, s9, 18
	s_addc_u32 s8, s1, s5
	s_bitcmp1_b32 s62, 0
	s_cselect_b64 s[4:5], -1, 0
	v_mbcnt_lo_u32_b32 v1, -1, 0
	v_writelane_b32 v53, s4, 19
	v_mbcnt_hi_u32_b32 v1, -1, v1
	v_writelane_b32 v53, s5, 20
	s_xor_b64 s[62:63], s[4:5], -1
	s_waitcnt lgkmcnt(0)
	s_and_b32 s9, s0, 0xffff
	s_bfe_u32 s5, s0, 0xa0006
	v_cmp_gt_u32_e32 vcc, 64, v0
	v_cmp_gt_i32_e64 s[0:1], 4, v1
	s_lshl_b32 s77, s9, 2
	s_and_b64 s[74:75], vcc, s[0:1]
	s_cmpk_gt_u32 s60, 0x300
	s_cselect_b64 s[0:1], -1, 0
	v_writelane_b32 v53, s0, 21
	s_cmp_gt_u32 s9, 63
	v_writelane_b32 v53, s1, 22
	s_cselect_b64 s[0:1], -1, 0
	v_writelane_b32 v53, s0, 23
	v_writelane_b32 v53, s1, 24
	s_add_i32 s0, s9, -1
	s_add_i32 s4, s0, s60
	s_cmp_lt_u32 s6, s10
	v_writelane_b32 v53, s0, 25
	s_cselect_b32 s0, 12, 18
	s_add_u32 s0, s2, s0
	s_addc_u32 s1, s3, 0
	v_writelane_b32 v53, s0, 26
	s_add_i32 s2, s5, -2
	v_writelane_b32 v53, s1, 27
	s_lshr_b32 s0, s2, 1
	s_add_i32 s3, s0, 1
	s_cmpk_gt_u32 s9, 0x7f
	v_mov_b32_e32 v11, 0
	s_cselect_b64 s[0:1], -1, 0
	v_writelane_b32 v53, s0, 28
	v_mul_lo_u32 v12, v0, s16
	v_mov_b32_e32 v13, v11
	v_writelane_b32 v53, s1, 29
	v_cmp_gt_u32_e64 s[6:7], s60, v0
	v_lshlrev_b64 v[2:3], 2, v[12:13]
	v_writelane_b32 v53, s6, 30
	v_mov_b32_e32 v13, s8
	v_add_co_u32_e32 v8, vcc, s33, v2
	v_lshrrev_b32_e32 v2, 4, v0
	v_writelane_b32 v53, s7, 31
	v_addc_co_u32_e32 v9, vcc, v13, v3, vcc
	v_and_b32_e32 v22, 60, v2
	v_cmp_gt_u32_e64 s[6:7], 2, v0
	v_lshlrev_b64 v[2:3], v1, -1
	v_writelane_b32 v53, s6, 32
	v_not_b32_e32 v6, v2
	v_cvt_f32_u32_e32 v2, s77
	v_writelane_b32 v53, s7, 33
	s_and_b32 s6, s5, 0x3fe
	s_and_b32 s7, s3, 7
	s_cmp_gt_u32 s2, 13
	s_cselect_b64 s[10:11], -1, 0
	v_writelane_b32 v53, s10, 34
	v_rcp_iflag_f32_e32 v2, v2
	v_writelane_b32 v53, s11, 35
	s_and_b32 s2, s3, -8
	v_writelane_b32 v53, s2, 36
	s_cmp_lg_u32 s7, 0
	v_writelane_b32 v53, s7, 37
	s_cselect_b64 s[2:3], -1, 0
	v_writelane_b32 v53, s2, 38
	v_mul_f32_e32 v2, 0x4f7ffffe, v2
	v_writelane_b32 v53, s3, 39
	v_cvt_u32_f32_e32 v2, v2
	v_writelane_b32 v53, s5, 40
	s_cmp_lg_u32 s6, s5
	v_writelane_b32 v53, s6, 41
	s_cselect_b64 s[2:3], -1, 0
	v_writelane_b32 v53, s2, 42
	v_writelane_b32 v53, s3, 43
	s_sub_i32 s2, 0, s77
	v_readfirstlane_b32 s3, v2
	v_cvt_f32_u32_e32 v2, s9
	s_mul_i32 s2, s2, s3
	s_mul_hi_u32 s2, s3, s2
	s_add_i32 s2, s3, s2
	v_writelane_b32 v53, s2, 44
	s_mul_hi_u32 s2, s60, s2
	v_rcp_iflag_f32_e32 v5, v2
	s_mul_i32 s2, s2, s77
	s_sub_i32 s2, s60, s2
	s_sub_i32 s3, s2, s77
	s_cmp_ge_u32 s2, s77
	v_mul_f32_e32 v5, 0x4f7ffffe, v5
	s_cselect_b32 s2, s3, s2
	v_cvt_u32_f32_e32 v5, v5
	s_sub_i32 s3, s2, s77
	s_cmp_ge_u32 s2, s77
	s_cselect_b32 s2, s3, s2
	v_lshlrev_b32_e32 v21, 2, v0
	s_sub_i32 s79, s60, s2
	s_sub_i32 s3, 0, s9
	v_readfirstlane_b32 s5, v5
	v_cmp_gt_u32_e64 s[6:7], s79, v21
	s_mul_i32 s3, s3, s5
	v_writelane_b32 v53, s6, 45
	s_mul_hi_u32 s3, s5, s3
	v_writelane_b32 v53, s7, 46
	s_add_i32 s3, s5, s3
	v_writelane_b32 v53, s3, 47
	s_mul_hi_u32 s3, s4, s3
	s_mul_i32 s3, s3, s9
	s_sub_i32 s3, s4, s3
	s_sub_i32 s5, s3, s9
	v_add_u32_e32 v24, s79, v0
	s_cmp_ge_u32 s3, s9
	v_mul_lo_u32 v10, v24, s16
	s_cselect_b32 s3, s5, s3
	v_not_b32_e32 v7, v3
	v_lshlrev_b64 v[2:3], 2, v[10:11]
	s_sub_i32 s5, s3, s9
	v_add_co_u32_e32 v14, vcc, s33, v2
	s_cmp_ge_u32 s3, s9
	v_mul_lo_u32 v2, s16, v21
	s_cselect_b32 s3, s5, s3
	v_add_u32_e32 v25, s16, v2
	v_or_b32_e32 v2, 2, v21
	s_sub_i32 s12, s4, s3
	v_mul_lo_u32 v26, s16, v2
	v_or_b32_e32 v2, 3, v21
	s_add_i32 s3, s9, s60
	v_cmp_gt_u32_e64 s[4:5], s12, v0
	v_mul_lo_u32 v27, s16, v2
	v_add_u32_e32 v2, s3, v0
	v_lshlrev_b32_e32 v4, 2, v1
	v_mov_b32_e32 v10, s8
	v_writelane_b32 v53, s4, 48
	s_mul_i32 s76, s16, s9
	v_subrev_u32_e32 v2, s2, v2
	v_cmp_eq_u32_e64 s[0:1], 0, v1
	v_add_u32_e32 v23, 0xc00, v21
	v_and_b32_e32 v20, 0x100, v4
	v_cmp_gt_u32_e64 s[14:15], s60, v24
	v_addc_co_u32_e32 v15, vcc, v10, v3, vcc
	v_writelane_b32 v53, s5, 49
	s_lshl_b32 s13, s76, 2
	v_lshlrev_b32_e32 v28, 2, v12
	v_mul_lo_u32 v29, s16, v2
	v_lshlrev_b32_e32 v30, 4, v0
	s_lshl_b32 s6, s9, 4
	v_or_b32_e32 v31, 0xc00, v4
	s_mov_b32 s7, 30
	s_mov_b64 s[90:91], 0
	v_mov_b32_e32 v35, s61
	v_mov_b32_e32 v16, 1
	;; [unrolled: 1-line block ×4, first 2 shown]
	s_mov_b32 s78, 0
	v_mov_b32_e32 v34, 0
	v_mov_b32_e32 v33, 0
	v_writelane_b32 v53, s16, 50
                                        ; implicit-def: $sgpr92_sgpr93
                                        ; implicit-def: $sgpr94_sgpr95
                                        ; implicit-def: $sgpr66_sgpr67
                                        ; implicit-def: $sgpr68_sgpr69
                                        ; implicit-def: $sgpr64_sgpr65
                                        ; implicit-def: $sgpr70_sgpr71
                                        ; implicit-def: $sgpr2_sgpr3
                                        ; implicit-def: $sgpr84_sgpr85
                                        ; implicit-def: $sgpr86_sgpr87
                                        ; implicit-def: $sgpr88_sgpr89
	s_branch .LBB33_6
.LBB33_4:                               ;   in Loop: Header=BB33_6 Depth=1
	s_or_b64 exec, exec, s[22:23]
	s_andn2_b64 s[4:5], s[88:89], exec
	s_and_b64 s[10:11], s[16:17], exec
	s_or_b64 s[88:89], s[4:5], s[10:11]
	s_andn2_b64 s[86:87], s[86:87], exec
	s_andn2_b64 s[84:85], s[84:85], exec
	;; [unrolled: 1-line block ×4, first 2 shown]
	s_orn2_b64 s[24:25], s[20:21], exec
	v_mov_b32_e32 v33, v5
	v_mov_b32_e32 v34, v4
	;; [unrolled: 1-line block ×4, first 2 shown]
.LBB33_5:                               ;   in Loop: Header=BB33_6 Depth=1
	s_or_b64 exec, exec, s[18:19]
	s_and_b64 s[4:5], exec, s[24:25]
	s_or_b64 s[90:91], s[4:5], s[90:91]
	s_andn2_b64 s[4:5], s[64:65], exec
	s_and_b64 s[10:11], s[88:89], exec
	s_or_b64 s[64:65], s[4:5], s[10:11]
	s_andn2_b64 s[4:5], s[68:69], exec
	s_and_b64 s[10:11], s[86:87], exec
	;; [unrolled: 3-line block ×5, first 2 shown]
	s_or_b64 s[92:93], s[4:5], s[10:11]
	s_andn2_b64 exec, exec, s[90:91]
	s_cbranch_execz .LBB33_410
.LBB33_6:                               ; =>This Loop Header: Depth=1
                                        ;     Child Loop BB33_14 Depth 2
                                        ;     Child Loop BB33_32 Depth 2
	;; [unrolled: 1-line block ×25, first 2 shown]
	ds_read_b64 v[2:3], v11 offset:4096
	s_waitcnt lgkmcnt(0)
	v_readfirstlane_b32 s4, v2
	s_cmp_lg_u32 s4, 0
	s_cbranch_scc1 .LBB33_39
; %bb.7:                                ;   in Loop: Header=BB33_6 Depth=1
	v_readlane_b32 s4, v53, 21
	v_readlane_b32 s5, v53, 22
	s_and_b64 vcc, exec, s[4:5]
	s_cbranch_vccz .LBB33_22
; %bb.8:                                ;   in Loop: Header=BB33_6 Depth=1
	s_movk_i32 s4, 0x301
	v_cmp_gt_u32_e32 vcc, s4, v3
	s_mov_b64 s[22:23], 0
	s_mov_b64 s[16:17], 0
	s_cbranch_vccz .LBB33_23
; %bb.9:                                ;   in Loop: Header=BB33_6 Depth=1
	v_mov_b32_e32 v2, 0
	s_mov_b64 s[16:17], exec
	v_readlane_b32 s4, v53, 30
	v_readlane_b32 s5, v53, 31
	s_and_b64 s[4:5], s[16:17], s[4:5]
	s_mov_b64 exec, s[4:5]
	s_cbranch_execz .LBB33_11
; %bb.10:                               ;   in Loop: Header=BB33_6 Depth=1
	global_load_dword v2, v[8:9], off
.LBB33_11:                              ;   in Loop: Header=BB33_6 Depth=1
	s_or_b64 exec, exec, s[16:17]
	s_mov_b64 s[24:25], exec
	v_readlane_b32 s4, v53, 30
	v_readlane_b32 s5, v53, 31
	s_and_b64 s[4:5], s[24:25], s[4:5]
	s_mov_b64 exec, s[4:5]
	s_cbranch_execz .LBB33_24
; %bb.12:                               ;   in Loop: Header=BB33_6 Depth=1
	v_readlane_b32 s4, v53, 26
	v_readlane_b32 s5, v53, 27
	s_mov_b64 s[26:27], 0
	s_nop 3
	global_load_ushort v3, v11, s[4:5]
	v_readlane_b32 s4, v53, 50
	s_waitcnt vmcnt(0)
	v_add_u32_e32 v5, v0, v3
	v_mul_lo_u32 v4, s4, v3
	v_mul_lo_u32 v10, s4, v5
	v_mov_b32_e32 v5, v0
	s_branch .LBB33_14
.LBB33_13:                              ;   in Loop: Header=BB33_14 Depth=2
	s_or_b64 exec, exec, s[16:17]
	v_add_u32_e32 v10, v10, v4
	s_waitcnt vmcnt(0)
	v_mov_b32_e32 v2, v17
	s_andn2_b64 exec, exec, s[26:27]
	s_cbranch_execz .LBB33_24
.LBB33_14:                              ;   Parent Loop BB33_6 Depth=1
                                        ; =>  This Inner Loop Header: Depth=2
	v_add_u32_e32 v5, v5, v3
	v_cmp_gt_u32_e64 s[18:19], s60, v5
	v_cmp_le_u32_e32 vcc, s60, v5
	s_waitcnt lgkmcnt(0)
	v_mov_b32_e32 v18, 0
	v_mov_b32_e32 v17, 0
	s_and_saveexec_b64 s[16:17], s[18:19]
	s_cbranch_execz .LBB33_16
; %bb.15:                               ;   in Loop: Header=BB33_14 Depth=2
	v_lshlrev_b64 v[36:37], 2, v[10:11]
	v_add_co_u32_e64 v36, s[18:19], s33, v36
	v_addc_co_u32_e64 v37, s[18:19], v13, v37, s[18:19]
	global_load_dword v17, v[36:37], off
.LBB33_16:                              ;   in Loop: Header=BB33_14 Depth=2
	s_or_b64 exec, exec, s[16:17]
	v_xor_b32_e32 v36, 0x80000000, v2
	v_and_b32_e32 v36, v36, v33
	v_cmp_eq_u32_e64 s[18:19], v36, v34
	s_cmp_lg_u64 s[18:19], 0
	s_cselect_b64 s[4:5], -1, 0
	s_and_b64 s[4:5], s[0:1], s[4:5]
	s_and_saveexec_b64 s[16:17], s[4:5]
	s_cbranch_execz .LBB33_20
; %bb.17:                               ;   in Loop: Header=BB33_14 Depth=2
	s_mov_b64 s[30:31], exec
	v_mbcnt_lo_u32_b32 v18, s30, 0
	v_mbcnt_hi_u32_b32 v18, s31, v18
	s_bcnt1_i32_b64 s4, s[18:19]
	v_cmp_eq_u32_e64 s[20:21], 0, v18
                                        ; implicit-def: $vgpr36
	s_and_saveexec_b64 s[28:29], s[20:21]
	s_cbranch_execz .LBB33_19
; %bb.18:                               ;   in Loop: Header=BB33_14 Depth=2
	s_bcnt1_i32_b64 s5, s[30:31]
	s_mul_i32 s5, s4, s5
	v_mov_b32_e32 v36, s5
	ds_add_rtn_u32 v36, v11, v36 offset:4104
.LBB33_19:                              ;   in Loop: Header=BB33_14 Depth=2
	s_or_b64 exec, exec, s[28:29]
	s_waitcnt lgkmcnt(0)
	v_readfirstlane_b32 s5, v36
	v_mov_b32_e32 v36, s5
	v_mad_u32_u24 v18, s4, v18, v36
.LBB33_20:                              ;   in Loop: Header=BB33_14 Depth=2
	s_or_b64 exec, exec, s[16:17]
	ds_bpermute_b32 v18, v20, v18
	s_and_b64 s[4:5], exec, vcc
	s_or_b64 s[26:27], s[4:5], s[26:27]
	s_and_saveexec_b64 s[16:17], s[18:19]
	s_cbranch_execz .LBB33_13
; %bb.21:                               ;   in Loop: Header=BB33_14 Depth=2
	v_and_b32_e32 v37, s18, v6
	v_and_b32_e32 v36, s19, v7
	v_bcnt_u32_b32 v37, v37, 0
	v_bcnt_u32_b32 v36, v36, v37
	v_lshlrev_b32_e32 v36, 2, v36
	s_waitcnt lgkmcnt(0)
	v_lshl_add_u32 v18, v18, 2, v36
	ds_write_b32 v18, v2
	s_branch .LBB33_13
.LBB33_22:                              ;   in Loop: Header=BB33_6 Depth=1
	s_mov_b64 s[16:17], 0
                                        ; implicit-def: $sgpr4
	s_cbranch_execnz .LBB33_27
	s_branch .LBB33_37
.LBB33_23:                              ;   in Loop: Header=BB33_6 Depth=1
	s_mov_b32 s4, 0
	s_and_b64 vcc, exec, s[22:23]
	s_cbranch_vccnz .LBB33_27
	s_branch .LBB33_37
.LBB33_24:                              ;   in Loop: Header=BB33_6 Depth=1
	s_or_b64 exec, exec, s[24:25]
	s_waitcnt lgkmcnt(0)
	s_barrier
	s_mov_b64 s[16:17], exec
	v_readlane_b32 s4, v53, 14
	v_readlane_b32 s5, v53, 15
	s_and_b64 s[4:5], s[16:17], s[4:5]
	s_mov_b64 exec, s[4:5]
	s_cbranch_execz .LBB33_26
; %bb.25:                               ;   in Loop: Header=BB33_6 Depth=1
	s_waitcnt vmcnt(0)
	ds_read_b32 v2, v11 offset:4104
	s_waitcnt lgkmcnt(0)
	ds_write_b32 v11, v2 offset:4096
.LBB33_26:                              ;   in Loop: Header=BB33_6 Depth=1
	s_or_b64 exec, exec, s[16:17]
	s_waitcnt lgkmcnt(0)
	s_barrier
	s_mov_b64 s[16:17], -1
	s_mov_b32 s4, 0
	s_and_b64 vcc, exec, s[22:23]
	s_cbranch_vccz .LBB33_37
.LBB33_27:                              ;   in Loop: Header=BB33_6 Depth=1
	s_waitcnt vmcnt(0)
	v_mov_b32_e32 v2, 0
	s_mov_b64 s[16:17], exec
	v_readlane_b32 s4, v53, 30
	v_readlane_b32 s5, v53, 31
	s_and_b64 s[4:5], s[16:17], s[4:5]
	s_mov_b64 exec, s[4:5]
	s_cbranch_execz .LBB33_29
; %bb.28:                               ;   in Loop: Header=BB33_6 Depth=1
	global_load_dword v2, v[8:9], off
.LBB33_29:                              ;   in Loop: Header=BB33_6 Depth=1
	s_or_b64 exec, exec, s[16:17]
	s_mov_b64 s[20:21], exec
	v_readlane_b32 s4, v53, 30
	v_readlane_b32 s5, v53, 31
	s_and_b64 s[4:5], s[20:21], s[4:5]
	s_mov_b64 exec, s[4:5]
	s_cbranch_execz .LBB33_34
; %bb.30:                               ;   in Loop: Header=BB33_6 Depth=1
	v_readlane_b32 s4, v53, 26
	v_readlane_b32 s5, v53, 27
	s_mov_b64 s[22:23], 0
	v_mov_b32_e32 v4, v21
	v_mov_b32_e32 v18, v0
	s_nop 1
	global_load_ushort v3, v11, s[4:5]
	v_readlane_b32 s4, v53, 50
	s_waitcnt vmcnt(0)
	v_add_u32_e32 v10, v0, v3
	v_lshlrev_b32_e32 v5, 2, v3
	v_mul_lo_u32 v17, s4, v3
	v_mul_lo_u32 v10, s4, v10
	s_branch .LBB33_32
.LBB33_31:                              ;   in Loop: Header=BB33_32 Depth=2
	s_or_b64 exec, exec, s[16:17]
	s_and_b64 s[4:5], exec, vcc
	s_or_b64 s[22:23], s[4:5], s[22:23]
	ds_write_b32 v4, v2
	v_add_u32_e32 v4, v4, v5
	v_add_u32_e32 v10, v10, v17
	s_waitcnt vmcnt(0)
	v_mov_b32_e32 v2, v36
	s_andn2_b64 exec, exec, s[22:23]
	s_cbranch_execz .LBB33_34
.LBB33_32:                              ;   Parent Loop BB33_6 Depth=1
                                        ; =>  This Inner Loop Header: Depth=2
	v_add_u32_e32 v18, v18, v3
	v_cmp_gt_u32_e64 s[18:19], s60, v18
	v_cmp_le_u32_e32 vcc, s60, v18
	v_mov_b32_e32 v36, 0
	s_and_saveexec_b64 s[16:17], s[18:19]
	s_cbranch_execz .LBB33_31
; %bb.33:                               ;   in Loop: Header=BB33_32 Depth=2
	v_lshlrev_b64 v[36:37], 2, v[10:11]
	v_mov_b32_e32 v38, s8
	v_add_co_u32_e64 v36, s[18:19], s33, v36
	v_addc_co_u32_e64 v37, s[18:19], v38, v37, s[18:19]
	global_load_dword v36, v[36:37], off
	s_branch .LBB33_31
.LBB33_34:                              ;   in Loop: Header=BB33_6 Depth=1
	s_or_b64 exec, exec, s[20:21]
	s_waitcnt lgkmcnt(0)
	s_barrier
	s_mov_b64 s[16:17], exec
	v_readlane_b32 s4, v53, 14
	v_readlane_b32 s5, v53, 15
	s_and_b64 s[4:5], s[16:17], s[4:5]
	s_mov_b64 exec, s[4:5]
	s_cbranch_execz .LBB33_36
; %bb.35:                               ;   in Loop: Header=BB33_6 Depth=1
	s_waitcnt vmcnt(0)
	v_mov_b32_e32 v2, s60
	ds_write_b32 v11, v2 offset:4096
.LBB33_36:                              ;   in Loop: Header=BB33_6 Depth=1
	s_or_b64 exec, exec, s[16:17]
	s_mov_b64 s[16:17], -1
	s_waitcnt lgkmcnt(0)
	s_barrier
                                        ; implicit-def: $sgpr4
.LBB33_37:                              ;   in Loop: Header=BB33_6 Depth=1
	s_and_b64 vcc, exec, s[16:17]
	s_cbranch_vccz .LBB33_39
; %bb.38:                               ;   in Loop: Header=BB33_6 Depth=1
	s_waitcnt vmcnt(0)
	ds_read_b32 v2, v11 offset:4096
	s_waitcnt lgkmcnt(0)
	v_readfirstlane_b32 s4, v2
.LBB33_39:                              ;   in Loop: Header=BB33_6 Depth=1
	s_cmp_lt_i32 s4, 1
	s_cbranch_scc0 .LBB33_43
; %bb.40:                               ;   in Loop: Header=BB33_6 Depth=1
	s_waitcnt vmcnt(0)
	v_mov_b32_e32 v2, 0
	s_mov_b32 s5, 0
	v_mov_b32_e32 v3, 0
	v_mov_b32_e32 v4, v2
	;; [unrolled: 1-line block ×3, first 2 shown]
	s_mov_b64 s[48:49], exec
	v_readlane_b32 s10, v53, 45
	v_readlane_b32 s11, v53, 46
	s_and_b64 s[10:11], s[48:49], s[10:11]
	s_mov_b64 exec, s[10:11]
	s_cbranch_execnz .LBB33_44
; %bb.41:                               ;   in Loop: Header=BB33_6 Depth=1
	s_or_b64 exec, exec, s[48:49]
	v_mov_b32_e32 v18, 0
	s_and_saveexec_b64 s[16:17], s[14:15]
	s_cbranch_execnz .LBB33_47
.LBB33_42:                              ;   in Loop: Header=BB33_6 Depth=1
	s_or_b64 exec, exec, s[16:17]
	s_and_saveexec_b64 s[20:21], s[14:15]
	s_cbranch_execnz .LBB33_48
	s_branch .LBB33_53
.LBB33_43:                              ;   in Loop: Header=BB33_6 Depth=1
                                        ; implicit-def: $vgpr5
	s_cbranch_execnz .LBB33_54
	s_branch .LBB33_63
.LBB33_44:                              ;   in Loop: Header=BB33_6 Depth=1
	s_and_b32 s10, s7, 0xfe
	s_mov_b64 s[50:51], 0
	s_mov_b32 s11, 0
	s_mov_b32 s16, 0
	;; [unrolled: 1-line block ×4, first 2 shown]
	v_mov_b32_e32 v17, v21
.LBB33_45:                              ;   Parent Loop BB33_6 Depth=1
                                        ; =>  This Inner Loop Header: Depth=2
	v_add_u32_e32 v10, s5, v28
	v_lshlrev_b64 v[2:3], 2, v[10:11]
	v_mov_b32_e32 v18, s8
	v_add_u32_e32 v10, s5, v25
	v_add_co_u32_e64 v2, s[18:19], s33, v2
	v_lshlrev_b64 v[4:5], 2, v[10:11]
	v_addc_co_u32_e64 v3, s[18:19], v18, v3, s[18:19]
	v_add_u32_e32 v10, s5, v26
	v_add_co_u32_e64 v4, s[18:19], s33, v4
	v_lshlrev_b64 v[36:37], 2, v[10:11]
	v_add_u32_e32 v10, s5, v27
	v_addc_co_u32_e64 v5, s[18:19], v18, v5, s[18:19]
	global_load_dword v38, v[2:3], off
	v_lshlrev_b64 v[2:3], 2, v[10:11]
	global_load_dword v10, v[4:5], off
	v_add_co_u32_e64 v4, s[18:19], s33, v36
	v_addc_co_u32_e64 v5, s[18:19], v18, v37, s[18:19]
	v_add_co_u32_e64 v2, s[18:19], s33, v2
	global_load_dword v4, v[4:5], off
	v_addc_co_u32_e64 v3, s[18:19], v18, v3, s[18:19]
	global_load_dword v2, v[2:3], off
	v_add_u32_e32 v17, s77, v17
	v_cmp_le_u32_e32 vcc, s79, v17
	s_add_i32 s5, s5, s13
	s_waitcnt vmcnt(3)
	v_xor_b32_e32 v3, 0x80000000, v38
	s_waitcnt vmcnt(2)
	v_xor_b32_e32 v5, 0x80000000, v10
	v_and_b32_e32 v10, v3, v33
	v_bfe_u32 v3, v3, s10, 2
	v_cmp_eq_u32_e64 s[18:19], v10, v34
	v_cmp_eq_u32_e64 s[20:21], 0, v3
	v_and_b32_e32 v10, v5, v33
	v_bfe_u32 v5, v5, s10, 2
	v_cmp_eq_u32_e64 s[22:23], 1, v3
	s_and_b64 s[20:21], s[18:19], s[20:21]
	s_waitcnt vmcnt(1)
	v_xor_b32_e32 v4, 0x80000000, v4
	v_cmp_eq_u32_e64 s[24:25], 2, v3
	v_cmp_eq_u32_e64 s[26:27], 3, v3
	;; [unrolled: 1-line block ×6, first 2 shown]
	v_cndmask_b32_e64 v5, 0, 1, s[20:21]
	s_and_b64 s[20:21], s[18:19], s[22:23]
	s_waitcnt vmcnt(0)
	v_xor_b32_e32 v2, 0x80000000, v2
	v_cmp_eq_u32_e64 s[28:29], v10, v34
	v_and_b32_e32 v3, v4, v33
	v_bfe_u32 v4, v4, s10, 2
	v_cndmask_b32_e64 v10, 0, 1, s[20:21]
	s_and_b64 s[20:21], s[18:19], s[24:25]
	s_and_b64 s[18:19], s[18:19], s[26:27]
	v_cndmask_b32_e64 v18, 0, 1, s[20:21]
	v_cndmask_b32_e64 v36, 0, 1, s[18:19]
	v_cmp_eq_u32_e64 s[18:19], v3, v34
	v_and_b32_e32 v3, v2, v33
	v_bfe_u32 v2, v2, s10, 2
	v_cmp_eq_u32_e64 s[20:21], 0, v4
	s_and_b64 s[30:31], s[28:29], s[30:31]
	s_and_b64 s[34:35], s[28:29], s[34:35]
	;; [unrolled: 1-line block ×4, first 2 shown]
	v_cmp_eq_u32_e64 s[22:23], 1, v4
	v_cmp_eq_u32_e64 s[24:25], 2, v4
	;; [unrolled: 1-line block ×3, first 2 shown]
	v_cmp_ne_u32_e64 s[40:41], 0, v5
	v_cndmask_b32_e64 v5, 0, 1, s[34:35]
	v_cmp_ne_u32_e64 s[34:35], 0, v18
	v_cndmask_b32_e64 v18, 0, 1, s[28:29]
	v_cmp_eq_u32_e64 s[28:29], v3, v34
	v_cmp_eq_u32_e64 s[38:39], 0, v2
	s_and_b64 s[20:21], s[18:19], s[20:21]
	v_cmp_eq_u32_e64 s[42:43], 1, v2
	v_cmp_eq_u32_e64 s[44:45], 2, v2
	;; [unrolled: 1-line block ×3, first 2 shown]
	v_cndmask_b32_e64 v2, 0, 1, s[20:21]
	s_and_b64 s[22:23], s[18:19], s[22:23]
	s_and_b64 s[24:25], s[18:19], s[24:25]
	;; [unrolled: 1-line block ×4, first 2 shown]
	v_cndmask_b32_e64 v4, 0, 1, s[30:31]
	v_cmp_ne_u32_e64 s[30:31], 0, v10
	v_cndmask_b32_e64 v10, 0, 1, s[36:37]
	v_cmp_ne_u32_e64 s[36:37], 0, v36
	v_cmp_ne_u32_e64 s[20:21], 0, v5
	v_cndmask_b32_e64 v3, 0, 1, s[22:23]
	v_cndmask_b32_e64 v5, 0, 1, s[18:19]
	v_cmp_ne_u32_e64 s[18:19], 0, v2
	v_cndmask_b32_e64 v2, 0, 1, s[26:27]
	s_and_b64 s[26:27], s[28:29], s[42:43]
	s_bcnt1_i32_b64 s53, s[40:41]
	v_cmp_ne_u32_e64 s[40:41], 0, v4
	s_bcnt1_i32_b64 s30, s[30:31]
	s_bcnt1_i32_b64 s31, s[34:35]
	v_cmp_ne_u32_e64 s[22:23], 0, v10
	v_cndmask_b32_e64 v4, 0, 1, s[24:25]
	s_bcnt1_i32_b64 s34, s[36:37]
	s_bcnt1_i32_b64 s37, s[20:21]
	v_cmp_ne_u32_e64 s[20:21], 0, v3
	v_cndmask_b32_e64 v3, 0, 1, s[26:27]
	s_and_b64 s[26:27], s[28:29], s[44:45]
	v_cmp_ne_u32_e64 s[24:25], 0, v18
	s_add_i32 s30, s17, s30
	s_bcnt1_i32_b64 s38, s[22:23]
	v_cmp_ne_u32_e64 s[22:23], 0, v4
	v_cndmask_b32_e64 v4, 0, 1, s[26:27]
	s_add_i32 s26, s16, s31
	s_and_b64 s[16:17], s[28:29], s[46:47]
	s_bcnt1_i32_b64 s35, s[40:41]
	s_add_i32 s36, s52, s53
	s_bcnt1_i32_b64 s27, s[24:25]
	v_cmp_ne_u32_e64 s[24:25], 0, v5
	v_cndmask_b32_e64 v5, 0, 1, s[16:17]
	s_add_i32 s11, s11, s34
	s_bcnt1_i32_b64 s16, s[18:19]
	v_cmp_ne_u32_e64 s[18:19], 0, v2
	s_add_i32 s17, s36, s35
	s_bcnt1_i32_b64 s28, s[20:21]
	v_cmp_ne_u32_e64 s[20:21], 0, v3
	;; [unrolled: 3-line block ×4, first 2 shown]
	s_add_i32 s11, s11, s27
	s_bcnt1_i32_b64 s18, s[18:19]
	s_add_i32 s16, s17, s16
	s_bcnt1_i32_b64 s17, s[20:21]
	;; [unrolled: 2-line block ×4, first 2 shown]
	s_add_i32 s11, s11, s31
	s_add_i32 s52, s16, s18
	;; [unrolled: 1-line block ×5, first 2 shown]
	s_or_b64 s[50:51], vcc, s[50:51]
	v_mov_b32_e32 v2, s52
	v_mov_b32_e32 v3, s17
	;; [unrolled: 1-line block ×4, first 2 shown]
	s_andn2_b64 exec, exec, s[50:51]
	s_cbranch_execnz .LBB33_45
; %bb.46:                               ;   in Loop: Header=BB33_6 Depth=1
	s_or_b64 exec, exec, s[50:51]
	s_or_b64 exec, exec, s[48:49]
	v_mov_b32_e32 v18, 0
	s_and_saveexec_b64 s[16:17], s[14:15]
	s_cbranch_execz .LBB33_42
.LBB33_47:                              ;   in Loop: Header=BB33_6 Depth=1
	global_load_dword v18, v[14:15], off
	s_or_b64 exec, exec, s[16:17]
	s_and_saveexec_b64 s[20:21], s[14:15]
	s_cbranch_execz .LBB33_53
.LBB33_48:                              ;   in Loop: Header=BB33_6 Depth=1
	s_and_b32 s5, s7, 0xfe
	s_mov_b64 s[22:23], 0
	v_mov_b32_e32 v10, v29
	v_mov_b32_e32 v17, v24
	s_branch .LBB33_50
.LBB33_49:                              ;   in Loop: Header=BB33_50 Depth=2
	s_or_b64 exec, exec, s[16:17]
	s_waitcnt vmcnt(0)
	v_xor_b32_e32 v18, 0x80000000, v18
	s_and_b64 s[10:11], exec, vcc
	v_and_b32_e32 v37, v18, v33
	v_bfe_u32 v18, v18, s5, 2
	s_or_b64 s[22:23], s[10:11], s[22:23]
	v_cmp_eq_u32_e32 vcc, v37, v34
	v_cmp_eq_u32_e64 s[18:19], 0, v18
	s_and_b64 s[10:11], vcc, s[18:19]
	v_cndmask_b32_e64 v37, 0, 1, s[10:11]
	v_cmp_ne_u32_e64 s[18:19], 0, v37
	s_bcnt1_i32_b64 s10, s[18:19]
	v_cmp_eq_u32_e64 s[18:19], 1, v18
	v_add_u32_e32 v2, s10, v2
	s_and_b64 s[10:11], vcc, s[18:19]
	v_cndmask_b32_e64 v37, 0, 1, s[10:11]
	v_cmp_ne_u32_e64 s[18:19], 0, v37
	s_bcnt1_i32_b64 s10, s[18:19]
	v_cmp_eq_u32_e64 s[18:19], 2, v18
	v_add_u32_e32 v3, s10, v3
	;; [unrolled: 6-line block ×3, first 2 shown]
	s_and_b64 s[10:11], vcc, s[18:19]
	v_cndmask_b32_e64 v18, 0, 1, s[10:11]
	v_cmp_ne_u32_e32 vcc, 0, v18
	s_bcnt1_i32_b64 s10, vcc
	v_add_u32_e32 v5, s10, v5
	v_add_u32_e32 v10, s76, v10
	v_mov_b32_e32 v18, v36
	s_andn2_b64 exec, exec, s[22:23]
	s_cbranch_execz .LBB33_52
.LBB33_50:                              ;   Parent Loop BB33_6 Depth=1
                                        ; =>  This Inner Loop Header: Depth=2
	v_add_u32_e32 v17, s9, v17
	v_cmp_gt_u32_e64 s[18:19], s60, v17
	v_cmp_le_u32_e32 vcc, s60, v17
	v_mov_b32_e32 v36, 0
	s_and_saveexec_b64 s[16:17], s[18:19]
	s_cbranch_execz .LBB33_49
; %bb.51:                               ;   in Loop: Header=BB33_50 Depth=2
	v_lshlrev_b64 v[36:37], 2, v[10:11]
	v_mov_b32_e32 v38, s8
	v_add_co_u32_e64 v36, s[18:19], s33, v36
	v_addc_co_u32_e64 v37, s[18:19], v38, v37, s[18:19]
	global_load_dword v36, v[36:37], off
	s_branch .LBB33_49
.LBB33_52:                              ;   in Loop: Header=BB33_6 Depth=1
	s_or_b64 exec, exec, s[22:23]
.LBB33_53:                              ;   in Loop: Header=BB33_6 Depth=1
	s_or_b64 exec, exec, s[20:21]
	s_branch .LBB33_63
.LBB33_54:                              ;   in Loop: Header=BB33_6 Depth=1
	v_readlane_b32 s5, v53, 44
	s_mul_hi_u32 s5, s4, s5
	s_mul_i32 s5, s5, s77
	s_sub_i32 s5, s4, s5
	s_sub_i32 s10, s5, s77
	s_cmp_ge_u32 s5, s77
	s_cselect_b32 s5, s10, s5
	s_sub_i32 s10, s5, s77
	s_cmp_ge_u32 s5, s77
	s_cselect_b32 s5, s10, s5
	s_sub_i32 s5, s4, s5
	v_cmp_gt_u32_e32 vcc, s5, v21
	s_mov_b32 s11, 0
	s_waitcnt vmcnt(0)
	v_mov_b32_e32 v2, 0
	v_mov_b32_e32 v3, 0
	;; [unrolled: 1-line block ×4, first 2 shown]
	s_and_saveexec_b64 s[80:81], vcc
	s_cbranch_execz .LBB33_58
; %bb.55:                               ;   in Loop: Header=BB33_6 Depth=1
	s_and_b32 s10, s7, 0xfe
	s_mov_b64 s[82:83], 0
	v_mov_b32_e32 v10, v30
	s_mov_b32 s16, 0
	s_mov_b32 s17, 0
	;; [unrolled: 1-line block ×3, first 2 shown]
	v_mov_b32_e32 v17, v21
.LBB33_56:                              ;   Parent Loop BB33_6 Depth=1
                                        ; =>  This Inner Loop Header: Depth=2
	ds_read_b128 v[2:5], v10
	v_add_u32_e32 v17, s77, v17
	v_cmp_le_u32_e32 vcc, s5, v17
	v_add_u32_e32 v10, s6, v10
	s_waitcnt lgkmcnt(0)
	v_xor_b32_e32 v2, 0x80000000, v2
	v_xor_b32_e32 v3, 0x80000000, v3
	v_and_b32_e32 v18, v2, v33
	v_bfe_u32 v2, v2, s10, 2
	v_xor_b32_e32 v4, 0x80000000, v4
	v_and_b32_e32 v36, v3, v33
	v_bfe_u32 v3, v3, s10, 2
	v_cmp_eq_u32_e64 s[18:19], v18, v34
	v_cmp_eq_u32_e64 s[26:27], 0, v2
	v_xor_b32_e32 v5, 0x80000000, v5
	v_and_b32_e32 v37, v4, v33
	v_bfe_u32 v4, v4, s10, 2
	v_cmp_eq_u32_e64 s[20:21], v36, v34
	v_cmp_eq_u32_e64 s[28:29], 0, v3
	s_and_b64 s[26:27], s[18:19], s[26:27]
	v_and_b32_e32 v38, v5, v33
	v_bfe_u32 v5, v5, s10, 2
	v_cmp_eq_u32_e64 s[22:23], v37, v34
	v_cmp_eq_u32_e64 s[30:31], 0, v4
	;; [unrolled: 1-line block ×5, first 2 shown]
	v_cndmask_b32_e64 v2, 0, 1, s[26:27]
	s_and_b64 s[26:27], s[20:21], s[28:29]
	v_cmp_eq_u32_e64 s[24:25], v38, v34
	v_cmp_eq_u32_e64 s[34:35], 0, v5
	;; [unrolled: 1-line block ×5, first 2 shown]
	v_cndmask_b32_e64 v3, 0, 1, s[26:27]
	s_and_b64 s[26:27], s[22:23], s[30:31]
	v_cmp_eq_u32_e64 s[40:41], 1, v4
	v_cmp_eq_u32_e64 s[48:49], 2, v4
	;; [unrolled: 1-line block ×3, first 2 shown]
	v_cndmask_b32_e64 v4, 0, 1, s[26:27]
	s_and_b64 s[26:27], s[24:25], s[34:35]
	v_cmp_eq_u32_e64 s[42:43], 1, v5
	v_cmp_eq_u32_e64 s[50:51], 2, v5
	;; [unrolled: 1-line block ×3, first 2 shown]
	v_cndmask_b32_e64 v5, 0, 1, s[26:27]
	s_and_b64 s[26:27], s[18:19], s[36:37]
	v_cndmask_b32_e64 v18, 0, 1, s[26:27]
	s_and_b64 s[26:27], s[20:21], s[38:39]
	;; [unrolled: 2-line block ×5, first 2 shown]
	s_and_b64 s[18:19], s[18:19], s[52:53]
	v_cndmask_b32_e64 v39, 0, 1, s[26:27]
	s_and_b64 s[26:27], s[20:21], s[46:47]
	v_cndmask_b32_e64 v43, 0, 1, s[18:19]
	;; [unrolled: 2-line block ×7, first 2 shown]
	v_cndmask_b32_e64 v46, 0, 1, s[18:19]
	v_cmp_ne_u32_e64 s[18:19], 0, v2
	v_cmp_ne_u32_e64 s[20:21], 0, v3
	;; [unrolled: 1-line block ×11, first 2 shown]
	s_bcnt1_i32_b64 s18, s[18:19]
	s_bcnt1_i32_b64 s19, s[20:21]
	;; [unrolled: 1-line block ×8, first 2 shown]
	v_cmp_ne_u32_e64 s[34:35], 0, v38
	v_cmp_ne_u32_e64 s[40:41], 0, v41
	;; [unrolled: 1-line block ×3, first 2 shown]
	s_bcnt1_i32_b64 s23, s[28:29]
	s_bcnt1_i32_b64 s27, s[38:39]
	;; [unrolled: 1-line block ×3, first 2 shown]
	s_add_i32 s18, s72, s18
	s_add_i32 s17, s17, s22
	;; [unrolled: 1-line block ×4, first 2 shown]
	v_cmp_ne_u32_e64 s[42:43], 0, v42
	v_cmp_ne_u32_e64 s[50:51], 0, v46
	s_bcnt1_i32_b64 s25, s[34:35]
	s_bcnt1_i32_b64 s28, s[40:41]
	;; [unrolled: 1-line block ×3, first 2 shown]
	s_add_i32 s18, s18, s19
	s_add_i32 s17, s17, s23
	;; [unrolled: 1-line block ×4, first 2 shown]
	s_bcnt1_i32_b64 s29, s[42:43]
	s_bcnt1_i32_b64 s35, s[50:51]
	s_add_i32 s18, s18, s20
	s_add_i32 s17, s17, s24
	s_add_i32 s16, s16, s28
	s_add_i32 s11, s11, s34
	s_add_i32 s72, s18, s21
	s_add_i32 s17, s17, s25
	s_add_i32 s16, s16, s29
	s_add_i32 s11, s11, s35
	s_or_b64 s[82:83], vcc, s[82:83]
	v_mov_b32_e32 v2, s72
	v_mov_b32_e32 v3, s17
	;; [unrolled: 1-line block ×4, first 2 shown]
	s_andn2_b64 exec, exec, s[82:83]
	s_cbranch_execnz .LBB33_56
; %bb.57:                               ;   in Loop: Header=BB33_6 Depth=1
	s_or_b64 exec, exec, s[82:83]
.LBB33_58:                              ;   in Loop: Header=BB33_6 Depth=1
	s_or_b64 exec, exec, s[80:81]
	v_add_u32_e32 v10, s5, v0
	v_cmp_gt_u32_e32 vcc, s4, v10
	s_and_saveexec_b64 s[28:29], vcc
	s_cbranch_execz .LBB33_62
; %bb.59:                               ;   in Loop: Header=BB33_6 Depth=1
	s_and_b32 s5, s7, 0xfe
	v_lshlrev_b32_e32 v17, 2, v10
	s_mov_b64 s[30:31], 0
.LBB33_60:                              ;   Parent Loop BB33_6 Depth=1
                                        ; =>  This Inner Loop Header: Depth=2
	ds_read_b32 v18, v17
	v_add_u32_e32 v10, s9, v10
	v_cmp_le_u32_e32 vcc, s4, v10
	v_add_u32_e32 v17, s77, v17
	s_waitcnt lgkmcnt(0)
	v_xor_b32_e32 v18, 0x80000000, v18
	v_and_b32_e32 v36, v18, v33
	v_bfe_u32 v18, v18, s5, 2
	v_cmp_eq_u32_e64 s[18:19], v36, v34
	v_cmp_eq_u32_e64 s[20:21], 0, v18
	;; [unrolled: 1-line block ×3, first 2 shown]
	s_and_b64 s[10:11], s[18:19], s[20:21]
	v_cmp_eq_u32_e64 s[24:25], 2, v18
	v_cmp_eq_u32_e64 s[26:27], 3, v18
	v_cndmask_b32_e64 v18, 0, 1, s[10:11]
	s_and_b64 s[10:11], s[18:19], s[22:23]
	v_cndmask_b32_e64 v36, 0, 1, s[10:11]
	s_and_b64 s[10:11], s[18:19], s[24:25]
	;; [unrolled: 2-line block ×3, first 2 shown]
	v_cndmask_b32_e64 v38, 0, 1, s[10:11]
	v_cmp_ne_u32_e64 s[18:19], 0, v18
	v_cmp_ne_u32_e64 s[20:21], 0, v36
	;; [unrolled: 1-line block ×4, first 2 shown]
	s_bcnt1_i32_b64 s10, s[18:19]
	s_bcnt1_i32_b64 s11, s[20:21]
	;; [unrolled: 1-line block ×4, first 2 shown]
	v_add_u32_e32 v2, s10, v2
	v_add_u32_e32 v3, s11, v3
	;; [unrolled: 1-line block ×3, first 2 shown]
	s_or_b64 s[30:31], vcc, s[30:31]
	v_add_u32_e32 v5, s17, v5
	s_andn2_b64 exec, exec, s[30:31]
	s_cbranch_execnz .LBB33_60
; %bb.61:                               ;   in Loop: Header=BB33_6 Depth=1
	s_or_b64 exec, exec, s[30:31]
.LBB33_62:                              ;   in Loop: Header=BB33_6 Depth=1
	s_or_b64 exec, exec, s[28:29]
.LBB33_63:                              ;   in Loop: Header=BB33_6 Depth=1
	s_lshl_b32 s4, s78, 6
	s_and_saveexec_b64 s[16:17], s[0:1]
	s_cbranch_execz .LBB33_65
; %bb.64:                               ;   in Loop: Header=BB33_6 Depth=1
	v_or_b32_e32 v10, s4, v22
	v_lshlrev_b32_e32 v10, 2, v10
	s_waitcnt vmcnt(0)
	ds_write_b128 v10, v[2:5] offset:3072
.LBB33_65:                              ;   in Loop: Header=BB33_6 Depth=1
	s_or_b64 exec, exec, s[16:17]
	s_waitcnt lgkmcnt(0)
	s_barrier
	s_and_saveexec_b64 s[18:19], s[74:75]
	s_cbranch_execz .LBB33_79
; %bb.66:                               ;   in Loop: Header=BB33_6 Depth=1
	v_readlane_b32 s10, v53, 23
	v_readlane_b32 s11, v53, 24
	v_add_u32_e32 v4, s4, v1
	s_andn2_b64 vcc, exec, s[10:11]
	s_waitcnt vmcnt(0)
	v_mov_b32_e32 v2, 0
	s_cbranch_vccnz .LBB33_78
; %bb.67:                               ;   in Loop: Header=BB33_6 Depth=1
	v_readlane_b32 s10, v53, 28
	v_readlane_b32 s11, v53, 29
	s_mov_b32 s5, 0
	s_and_b64 vcc, exec, s[10:11]
	v_mov_b32_e32 v2, 0
	s_cbranch_vccz .LBB33_71
; %bb.68:                               ;   in Loop: Header=BB33_6 Depth=1
	v_readlane_b32 s10, v53, 34
	v_readlane_b32 s20, v53, 17
	;; [unrolled: 1-line block ×3, first 2 shown]
	v_lshl_add_u32 v5, v4, 2, v32
	v_readlane_b32 s21, v53, 18
	s_andn2_b64 vcc, exec, s[10:11]
	s_cbranch_vccnz .LBB33_72
; %bb.69:                               ;   in Loop: Header=BB33_6 Depth=1
	v_writelane_b32 v53, s20, 17
	v_writelane_b32 v53, s21, 18
	s_mov_b32 s21, 1
	s_mov_b32 s20, 0
	v_mov_b32_e32 v2, 0
	v_readlane_b32 s5, v53, 36
	v_mov_b32_e32 v3, 0
.LBB33_70:                              ;   Parent Loop BB33_6 Depth=1
                                        ; =>  This Inner Loop Header: Depth=2
	v_lshl_add_u32 v10, s20, 4, v5
	v_lshl_add_u32 v17, s21, 4, v5
	ds_read2_b32 v[36:37], v10 offset1:8
	ds_read2_b32 v[38:39], v17 offset1:8
	ds_read2_b32 v[40:41], v10 offset0:16 offset1:24
	ds_read2_b32 v[42:43], v17 offset0:16 offset1:24
	ds_read2_b32 v[44:45], v10 offset0:32 offset1:40
	ds_read2_b32 v[46:47], v17 offset0:32 offset1:40
	ds_read2_b32 v[48:49], v10 offset0:48 offset1:56
	ds_read2_b32 v[50:51], v17 offset0:48 offset1:56
	s_waitcnt lgkmcnt(7)
	v_add3_u32 v2, v36, v2, v37
	s_waitcnt lgkmcnt(6)
	v_add3_u32 v3, v38, v3, v39
	s_waitcnt lgkmcnt(4)
	v_add3_u32 v3, v42, v3, v43
	v_add3_u32 v2, v40, v2, v41
	s_add_i32 s21, s21, 16
	s_add_i32 s20, s20, 16
	s_add_i32 s5, s5, -8
	s_waitcnt lgkmcnt(3)
	v_add3_u32 v2, v44, v2, v45
	s_waitcnt lgkmcnt(2)
	v_add3_u32 v3, v46, v3, v47
	s_cmp_lg_u32 s5, 0
	s_waitcnt lgkmcnt(0)
	v_add3_u32 v3, v50, v3, v51
	v_add3_u32 v2, v48, v2, v49
	s_cbranch_scc1 .LBB33_70
	s_branch .LBB33_73
.LBB33_71:                              ;   in Loop: Header=BB33_6 Depth=1
	s_cbranch_execnz .LBB33_76
	s_branch .LBB33_78
.LBB33_72:                              ;   in Loop: Header=BB33_6 Depth=1
	s_mov_b32 s10, s20
	s_mov_b32 s21, s20
	v_writelane_b32 v53, s10, 17
	v_pk_mov_b32 v[2:3], s[20:21], s[20:21] op_sel:[0,1]
	s_mov_b32 s21, 1
	v_writelane_b32 v53, s11, 18
.LBB33_73:                              ;   in Loop: Header=BB33_6 Depth=1
	v_readlane_b32 s10, v53, 38
	v_readlane_b32 s11, v53, 39
	s_andn2_b64 vcc, exec, s[10:11]
	v_readlane_b32 s5, v53, 37
	s_cbranch_vccnz .LBB33_75
.LBB33_74:                              ;   Parent Loop BB33_6 Depth=1
                                        ; =>  This Inner Loop Header: Depth=2
	v_lshl_add_u32 v10, s20, 4, v5
	v_lshl_add_u32 v17, s21, 4, v5
	ds_read_b32 v17, v17
	ds_read_b32 v10, v10
	s_add_i32 s21, s21, 2
	s_add_i32 s20, s20, 2
	s_add_i32 s5, s5, -1
	s_cmp_lg_u32 s5, 0
	s_waitcnt lgkmcnt(1)
	v_add_u32_e32 v3, v17, v3
	s_waitcnt lgkmcnt(0)
	v_add_u32_e32 v2, v10, v2
	s_cbranch_scc1 .LBB33_74
.LBB33_75:                              ;   in Loop: Header=BB33_6 Depth=1
	v_readlane_b32 s16, v53, 42
	v_add_u32_e32 v2, v2, v3
	v_readlane_b32 s5, v53, 41
	v_readlane_b32 s17, v53, 43
	s_and_b64 vcc, exec, s[16:17]
	s_cbranch_vccz .LBB33_78
.LBB33_76:                              ;   in Loop: Header=BB33_6 Depth=1
	s_lshl_b32 s10, s78, 8
	s_lshl_b32 s11, s5, 4
	s_add_i32 s10, s10, s11
	v_add_u32_e32 v3, s10, v31
	v_readlane_b32 s10, v53, 40
	s_sub_i32 s5, s10, s5
.LBB33_77:                              ;   Parent Loop BB33_6 Depth=1
                                        ; =>  This Inner Loop Header: Depth=2
	ds_read_b32 v5, v3
	s_add_i32 s5, s5, -1
	v_add_u32_e32 v3, 16, v3
	s_cmp_eq_u32 s5, 0
	s_waitcnt lgkmcnt(0)
	v_add_u32_e32 v2, v5, v2
	s_cbranch_scc0 .LBB33_77
.LBB33_78:                              ;   in Loop: Header=BB33_6 Depth=1
	v_lshlrev_b32_e32 v3, 2, v4
	ds_write_b32 v3, v2 offset:3072
.LBB33_79:                              ;   in Loop: Header=BB33_6 Depth=1
	s_or_b64 exec, exec, s[18:19]
	s_lshl_b32 s4, s4, 2
	s_waitcnt vmcnt(0)
	v_mov_b32_e32 v2, s4
	s_waitcnt lgkmcnt(0)
	s_barrier
	ds_read_b128 v[2:5], v2 offset:3072
	s_and_b32 s10, s7, 0xfe
	s_lshl_b32 s72, 3, s10
	s_not_b32 s5, s72
	s_andn2_b64 vcc, exec, s[62:63]
	s_waitcnt lgkmcnt(0)
	v_readfirstlane_b32 s73, v2
	v_readfirstlane_b32 s4, v3
	;; [unrolled: 1-line block ×4, first 2 shown]
	v_cmp_eq_u32_e64 s[18:19], 1, v35
	s_cbranch_vccnz .LBB33_92
; %bb.80:                               ;   in Loop: Header=BB33_6 Depth=1
	s_cmp_eq_u32 s73, 1
	s_cselect_b64 s[16:17], -1, 0
	s_and_b64 s[36:37], s[16:17], s[18:19]
	s_mov_b64 s[38:39], -1
	v_mov_b32_e32 v4, v34
	v_mov_b32_e32 v5, v33
	;; [unrolled: 1-line block ×3, first 2 shown]
                                        ; implicit-def: $sgpr22_sgpr23
                                        ; implicit-def: $sgpr28_sgpr29
                                        ; implicit-def: $sgpr26_sgpr27
	s_and_saveexec_b64 s[24:25], s[36:37]
	s_cbranch_execz .LBB33_108
; %bb.81:                               ;   in Loop: Header=BB33_6 Depth=1
	ds_read_b32 v2, v11 offset:4096
	s_waitcnt lgkmcnt(0)
	s_barrier
	v_readfirstlane_b32 s28, v2
	s_mov_b64 s[16:17], exec
	v_readlane_b32 s20, v53, 32
	v_readlane_b32 s21, v53, 33
	s_and_b64 s[20:21], s[16:17], s[20:21]
	s_mov_b64 exec, s[20:21]
	s_cbranch_execz .LBB33_83
; %bb.82:                               ;   in Loop: Header=BB33_6 Depth=1
	ds_write_b32 v23, v11
.LBB33_83:                              ;   in Loop: Header=BB33_6 Depth=1
	s_or_b64 exec, exec, s[16:17]
	v_and_b32_e32 v4, s5, v34
	v_or_b32_e32 v5, s72, v33
	s_cmp_eq_u32 s28, 0
	s_waitcnt lgkmcnt(0)
	s_barrier
	s_cbranch_scc1 .LBB33_94
; %bb.84:                               ;   in Loop: Header=BB33_6 Depth=1
	v_readlane_b32 s16, v53, 25
	s_add_i32 s16, s28, s16
	v_readlane_b32 s17, v53, 47
	s_mul_hi_u32 s17, s16, s17
	s_mul_i32 s17, s17, s9
	s_sub_i32 s17, s16, s17
	s_sub_i32 s20, s17, s9
	s_cmp_ge_u32 s17, s9
	s_cselect_b32 s17, s20, s17
	s_sub_i32 s20, s17, s9
	s_cmp_ge_u32 s17, s9
	s_cselect_b32 s17, s20, s17
	s_sub_i32 s29, s16, s17
	v_cmp_gt_u32_e32 vcc, s29, v0
	s_mov_b64 s[20:21], 0
                                        ; implicit-def: $vgpr3
	s_and_saveexec_b64 s[22:23], vcc
	s_cbranch_execz .LBB33_96
; %bb.85:                               ;   in Loop: Header=BB33_6 Depth=1
	v_mov_b32_e32 v10, v21
	v_mov_b32_e32 v18, v0
                                        ; implicit-def: $sgpr26_sgpr27
	s_branch .LBB33_87
.LBB33_86:                              ;   in Loop: Header=BB33_87 Depth=2
	s_or_b64 exec, exec, s[16:17]
	s_waitcnt lgkmcnt(0)
	s_barrier
	ds_read_b64 v[2:3], v11 offset:3072
	v_add_u32_e32 v18, s9, v18
	v_cmp_le_u32_e32 vcc, s29, v18
	v_add_u32_e32 v10, s77, v10
	s_waitcnt lgkmcnt(0)
	v_readfirstlane_b32 s16, v2
	s_cmp_lg_u32 s16, 0
	s_cselect_b64 s[16:17], -1, 0
	s_or_b64 s[30:31], vcc, s[16:17]
	s_and_b64 s[30:31], exec, s[30:31]
	s_or_b64 s[20:21], s[30:31], s[20:21]
	s_andn2_b64 s[26:27], s[26:27], exec
	s_and_b64 s[16:17], s[16:17], exec
	s_or_b64 s[26:27], s[26:27], s[16:17]
	s_barrier
	s_andn2_b64 exec, exec, s[20:21]
	s_cbranch_execz .LBB33_95
.LBB33_87:                              ;   Parent Loop BB33_6 Depth=1
                                        ; =>  This Inner Loop Header: Depth=2
	v_cmp_gt_u32_e32 vcc, s28, v18
	v_mov_b32_e32 v17, 0
	s_and_saveexec_b64 s[16:17], vcc
	s_cbranch_execz .LBB33_89
; %bb.88:                               ;   in Loop: Header=BB33_87 Depth=2
	ds_read_b32 v17, v10
.LBB33_89:                              ;   in Loop: Header=BB33_87 Depth=2
	s_or_b64 exec, exec, s[16:17]
	s_and_saveexec_b64 s[16:17], vcc
	s_cbranch_execz .LBB33_86
; %bb.90:                               ;   in Loop: Header=BB33_87 Depth=2
	s_waitcnt lgkmcnt(0)
	v_xor_b32_e32 v2, 0x80000000, v17
	v_and_b32_e32 v2, v2, v5
	v_cmp_eq_u32_e32 vcc, v2, v4
	s_and_b64 exec, exec, vcc
	s_cbranch_execz .LBB33_86
; %bb.91:                               ;   in Loop: Header=BB33_87 Depth=2
	ds_write_b64 v11, v[16:17] offset:3072
	s_branch .LBB33_86
.LBB33_92:                              ;   in Loop: Header=BB33_6 Depth=1
	s_mov_b64 s[24:25], 0
	s_mov_b64 s[20:21], 0
                                        ; implicit-def: $sgpr26_sgpr27
                                        ; implicit-def: $sgpr28_sgpr29
                                        ; implicit-def: $sgpr22_sgpr23
                                        ; implicit-def: $vgpr2
                                        ; implicit-def: $vgpr36
                                        ; implicit-def: $vgpr4
                                        ; implicit-def: $vgpr5
                                        ; implicit-def: $vgpr3
	s_cbranch_execnz .LBB33_244
.LBB33_93:                              ;   in Loop: Header=BB33_6 Depth=1
	s_mov_b64 s[30:31], s[22:23]
	s_mov_b64 s[34:35], s[22:23]
	s_and_saveexec_b64 s[16:17], s[24:25]
	s_cbranch_execnz .LBB33_406
	s_branch .LBB33_407
.LBB33_94:                              ;   in Loop: Header=BB33_6 Depth=1
	s_mov_b64 s[22:23], -1
	s_mov_b64 s[20:21], 0
                                        ; implicit-def: $sgpr26_sgpr27
                                        ; implicit-def: $vgpr3
	s_mov_b64 s[28:29], s[22:23]
	s_cbranch_execnz .LBB33_97
	s_branch .LBB33_107
.LBB33_95:                              ;   in Loop: Header=BB33_6 Depth=1
	s_or_b64 exec, exec, s[20:21]
	s_and_b64 s[20:21], s[26:27], exec
.LBB33_96:                              ;   in Loop: Header=BB33_6 Depth=1
	s_or_b64 exec, exec, s[22:23]
	s_mov_b64 s[26:27], -1
	s_mov_b64 s[22:23], 0
	s_mov_b64 s[28:29], s[22:23]
	s_branch .LBB33_107
.LBB33_97:                              ;   in Loop: Header=BB33_6 Depth=1
	s_mov_b64 s[20:21], 0
                                        ; implicit-def: $vgpr3
	s_mov_b64 s[22:23], exec
	v_readlane_b32 s16, v53, 48
	v_readlane_b32 s17, v53, 49
	s_and_b64 s[16:17], s[22:23], s[16:17]
	s_mov_b64 exec, s[16:17]
	s_cbranch_execz .LBB33_106
; %bb.98:                               ;   in Loop: Header=BB33_6 Depth=1
	s_mov_b64 s[26:27], 0
	v_mov_b32_e32 v10, v12
	v_mov_b32_e32 v18, v0
                                        ; implicit-def: $sgpr28_sgpr29
	s_branch .LBB33_100
.LBB33_99:                              ;   in Loop: Header=BB33_100 Depth=2
	s_or_b64 exec, exec, s[16:17]
	s_waitcnt lgkmcnt(0)
	s_barrier
	ds_read_b64 v[2:3], v11 offset:3072
	v_add_u32_e32 v18, s9, v18
	v_cmp_le_u32_e32 vcc, s12, v18
	v_add_u32_e32 v10, s76, v10
	s_waitcnt lgkmcnt(0)
	v_readfirstlane_b32 s16, v2
	s_cmp_lg_u32 s16, 0
	s_cselect_b64 s[16:17], -1, 0
	s_or_b64 s[20:21], vcc, s[16:17]
	s_and_b64 s[20:21], exec, s[20:21]
	s_or_b64 s[26:27], s[20:21], s[26:27]
	s_andn2_b64 s[20:21], s[28:29], exec
	s_and_b64 s[16:17], s[16:17], exec
	s_or_b64 s[28:29], s[20:21], s[16:17]
	s_barrier
	s_andn2_b64 exec, exec, s[26:27]
	s_cbranch_execz .LBB33_105
.LBB33_100:                             ;   Parent Loop BB33_6 Depth=1
                                        ; =>  This Inner Loop Header: Depth=2
	v_cmp_gt_u32_e32 vcc, s60, v18
	s_waitcnt vmcnt(0)
	v_mov_b32_e32 v17, 0
	s_and_saveexec_b64 s[16:17], vcc
	s_cbranch_execz .LBB33_102
; %bb.101:                              ;   in Loop: Header=BB33_100 Depth=2
	v_lshlrev_b64 v[2:3], 2, v[10:11]
	v_mov_b32_e32 v17, s8
	v_add_co_u32_e64 v2, s[20:21], s33, v2
	v_addc_co_u32_e64 v3, s[20:21], v17, v3, s[20:21]
	global_load_dword v17, v[2:3], off
.LBB33_102:                             ;   in Loop: Header=BB33_100 Depth=2
	s_or_b64 exec, exec, s[16:17]
	s_and_saveexec_b64 s[16:17], vcc
	s_cbranch_execz .LBB33_99
; %bb.103:                              ;   in Loop: Header=BB33_100 Depth=2
	s_waitcnt vmcnt(0)
	v_xor_b32_e32 v2, 0x80000000, v17
	v_and_b32_e32 v2, v2, v5
	v_cmp_eq_u32_e32 vcc, v2, v4
	s_and_b64 exec, exec, vcc
	s_cbranch_execz .LBB33_99
; %bb.104:                              ;   in Loop: Header=BB33_100 Depth=2
	ds_write_b64 v11, v[16:17] offset:3072
	s_branch .LBB33_99
.LBB33_105:                             ;   in Loop: Header=BB33_6 Depth=1
	s_or_b64 exec, exec, s[26:27]
	s_and_b64 s[20:21], s[28:29], exec
.LBB33_106:                             ;   in Loop: Header=BB33_6 Depth=1
	s_or_b64 exec, exec, s[22:23]
	s_mov_b64 s[28:29], -1
	s_mov_b64 s[22:23], 0
	s_mov_b64 s[26:27], 0
.LBB33_107:                             ;   in Loop: Header=BB33_6 Depth=1
	s_orn2_b64 s[38:39], s[20:21], exec
.LBB33_108:                             ;   in Loop: Header=BB33_6 Depth=1
	s_or_b64 exec, exec, s[24:25]
	s_mov_b64 s[30:31], 0
	s_mov_b64 s[24:25], 0
	;; [unrolled: 1-line block ×3, first 2 shown]
                                        ; implicit-def: $vgpr2
                                        ; implicit-def: $vgpr36
	s_and_saveexec_b64 s[34:35], s[38:39]
	s_cbranch_execz .LBB33_243
; %bb.109:                              ;   in Loop: Header=BB33_6 Depth=1
	s_xor_b64 s[24:25], s[36:37], -1
	s_mov_b64 s[16:17], 0
	v_mov_b32_e32 v36, 1
	v_mov_b32_e32 v2, 1
	s_and_saveexec_b64 s[20:21], s[24:25]
	s_cbranch_execz .LBB33_119
; %bb.110:                              ;   in Loop: Header=BB33_6 Depth=1
	v_cmp_ge_u32_e32 vcc, s73, v35
                                        ; implicit-def: $sgpr38
                                        ; implicit-def: $sgpr24_sgpr25
	s_and_saveexec_b64 s[16:17], vcc
	s_xor_b64 s[36:37], exec, s[16:17]
	s_cbranch_execz .LBB33_116
; %bb.111:                              ;   in Loop: Header=BB33_6 Depth=1
	ds_read_b32 v2, v11 offset:4096
	s_waitcnt lgkmcnt(0)
	v_cmp_ne_u32_e32 vcc, 0, v2
	s_cbranch_vccnz .LBB33_115
; %bb.112:                              ;   in Loop: Header=BB33_6 Depth=1
	s_mov_b64 s[16:17], exec
	v_readlane_b32 s24, v53, 14
	v_readlane_b32 s25, v53, 15
	s_and_b64 s[24:25], s[16:17], s[24:25]
	s_mov_b64 exec, s[24:25]
	s_cbranch_execz .LBB33_114
; %bb.113:                              ;   in Loop: Header=BB33_6 Depth=1
	v_mov_b32_e32 v2, s73
	ds_write_b32 v11, v2 offset:4100
.LBB33_114:                             ;   in Loop: Header=BB33_6 Depth=1
	s_or_b64 exec, exec, s[16:17]
	s_waitcnt lgkmcnt(0)
	s_barrier
.LBB33_115:                             ;   in Loop: Header=BB33_6 Depth=1
	v_and_b32_e32 v4, s5, v4
	v_or_b32_e32 v5, s72, v5
	s_mov_b64 s[24:25], 0
	s_mov_b32 s38, 8
.LBB33_116:                             ;   in Loop: Header=BB33_6 Depth=1
	s_or_saveexec_b64 s[16:17], s[36:37]
	v_mov_b32_e32 v2, s38
	v_mov_b32_e32 v36, v35
	s_xor_b64 exec, exec, s[16:17]
; %bb.117:                              ;   in Loop: Header=BB33_6 Depth=1
	v_subrev_u32_e32 v36, s73, v35
	v_mov_b32_e32 v2, 0
	s_or_b64 s[24:25], s[24:25], exec
; %bb.118:                              ;   in Loop: Header=BB33_6 Depth=1
	s_or_b64 exec, exec, s[16:17]
	s_and_b64 s[16:17], s[24:25], exec
.LBB33_119:                             ;   in Loop: Header=BB33_6 Depth=1
	s_or_b64 exec, exec, s[20:21]
	s_mov_b64 s[38:39], -1
                                        ; implicit-def: $sgpr36_sgpr37
                                        ; implicit-def: $sgpr40_sgpr41
                                        ; implicit-def: $sgpr42_sgpr43
	s_and_saveexec_b64 s[20:21], s[16:17]
	s_xor_b64 s[24:25], exec, s[20:21]
	s_cbranch_execz .LBB33_240
; %bb.120:                              ;   in Loop: Header=BB33_6 Depth=1
	s_cmp_eq_u32 s4, 1
	s_cselect_b64 s[16:17], -1, 0
	v_cmp_eq_u32_e32 vcc, 1, v36
	s_and_b64 s[44:45], s[16:17], vcc
	s_mov_b64 s[46:47], -1
                                        ; implicit-def: $sgpr36_sgpr37
                                        ; implicit-def: $sgpr40_sgpr41
                                        ; implicit-def: $sgpr38_sgpr39
	s_and_saveexec_b64 s[42:43], s[44:45]
	s_cbranch_execz .LBB33_146
; %bb.121:                              ;   in Loop: Header=BB33_6 Depth=1
	ds_read_b32 v2, v11 offset:4096
	s_waitcnt lgkmcnt(0)
	s_barrier
	v_readfirstlane_b32 s40, v2
	s_mov_b64 s[16:17], exec
	v_readlane_b32 s20, v53, 32
	v_readlane_b32 s21, v53, 33
	s_and_b64 s[20:21], s[16:17], s[20:21]
	s_mov_b64 exec, s[20:21]
	s_cbranch_execz .LBB33_123
; %bb.122:                              ;   in Loop: Header=BB33_6 Depth=1
	ds_write_b32 v23, v11
.LBB33_123:                             ;   in Loop: Header=BB33_6 Depth=1
	s_or_b64 exec, exec, s[16:17]
	v_and_b32_e32 v2, s5, v4
	v_lshl_or_b32 v4, 1, s10, v2
	v_or_b32_e32 v5, s72, v5
	s_cmp_eq_u32 s40, 0
	s_waitcnt lgkmcnt(0)
	s_barrier
	s_cbranch_scc1 .LBB33_132
; %bb.124:                              ;   in Loop: Header=BB33_6 Depth=1
	v_readlane_b32 s16, v53, 25
	s_add_i32 s16, s40, s16
	v_readlane_b32 s17, v53, 47
	s_mul_hi_u32 s17, s16, s17
	s_mul_i32 s17, s17, s9
	s_sub_i32 s17, s16, s17
	s_sub_i32 s20, s17, s9
	s_cmp_ge_u32 s17, s9
	s_cselect_b32 s17, s20, s17
	s_sub_i32 s20, s17, s9
	s_cmp_ge_u32 s17, s9
	s_cselect_b32 s17, s20, s17
	s_sub_i32 s41, s16, s17
	v_cmp_gt_u32_e32 vcc, s41, v0
	s_mov_b64 s[20:21], 0
                                        ; implicit-def: $vgpr3
	s_and_saveexec_b64 s[36:37], vcc
	s_cbranch_execz .LBB33_134
; %bb.125:                              ;   in Loop: Header=BB33_6 Depth=1
	v_mov_b32_e32 v10, v21
	v_mov_b32_e32 v18, v0
                                        ; implicit-def: $sgpr38_sgpr39
	s_branch .LBB33_127
.LBB33_126:                             ;   in Loop: Header=BB33_127 Depth=2
	s_or_b64 exec, exec, s[16:17]
	s_waitcnt lgkmcnt(0)
	s_barrier
	ds_read_b64 v[2:3], v11 offset:3072
	v_add_u32_e32 v18, s9, v18
	v_cmp_le_u32_e32 vcc, s41, v18
	v_add_u32_e32 v10, s77, v10
	s_waitcnt lgkmcnt(0)
	v_readfirstlane_b32 s16, v2
	s_cmp_lg_u32 s16, 0
	s_cselect_b64 s[16:17], -1, 0
	s_or_b64 s[46:47], vcc, s[16:17]
	s_and_b64 s[46:47], exec, s[46:47]
	s_or_b64 s[20:21], s[46:47], s[20:21]
	s_andn2_b64 s[38:39], s[38:39], exec
	s_and_b64 s[16:17], s[16:17], exec
	s_or_b64 s[38:39], s[38:39], s[16:17]
	s_barrier
	s_andn2_b64 exec, exec, s[20:21]
	s_cbranch_execz .LBB33_133
.LBB33_127:                             ;   Parent Loop BB33_6 Depth=1
                                        ; =>  This Inner Loop Header: Depth=2
	v_cmp_gt_u32_e32 vcc, s40, v18
	s_waitcnt vmcnt(0)
	v_mov_b32_e32 v17, 0
	s_and_saveexec_b64 s[16:17], vcc
	s_cbranch_execz .LBB33_129
; %bb.128:                              ;   in Loop: Header=BB33_127 Depth=2
	ds_read_b32 v17, v10
.LBB33_129:                             ;   in Loop: Header=BB33_127 Depth=2
	s_or_b64 exec, exec, s[16:17]
	s_and_saveexec_b64 s[16:17], vcc
	s_cbranch_execz .LBB33_126
; %bb.130:                              ;   in Loop: Header=BB33_127 Depth=2
	s_waitcnt lgkmcnt(0)
	v_xor_b32_e32 v2, 0x80000000, v17
	v_and_b32_e32 v2, v2, v5
	v_cmp_eq_u32_e32 vcc, v2, v4
	s_and_b64 exec, exec, vcc
	s_cbranch_execz .LBB33_126
; %bb.131:                              ;   in Loop: Header=BB33_127 Depth=2
	ds_write_b64 v11, v[16:17] offset:3072
	s_branch .LBB33_126
.LBB33_132:                             ;   in Loop: Header=BB33_6 Depth=1
	s_mov_b64 s[36:37], -1
	s_mov_b64 s[20:21], 0
                                        ; implicit-def: $sgpr38_sgpr39
                                        ; implicit-def: $vgpr3
	s_mov_b64 s[40:41], s[36:37]
	s_cbranch_execnz .LBB33_135
	s_branch .LBB33_145
.LBB33_133:                             ;   in Loop: Header=BB33_6 Depth=1
	s_or_b64 exec, exec, s[20:21]
	s_and_b64 s[20:21], s[38:39], exec
.LBB33_134:                             ;   in Loop: Header=BB33_6 Depth=1
	s_or_b64 exec, exec, s[36:37]
	s_mov_b64 s[38:39], -1
	s_mov_b64 s[36:37], 0
	s_mov_b64 s[40:41], s[36:37]
	s_branch .LBB33_145
.LBB33_135:                             ;   in Loop: Header=BB33_6 Depth=1
	s_mov_b64 s[20:21], 0
                                        ; implicit-def: $vgpr3
	s_mov_b64 s[36:37], exec
	v_readlane_b32 s16, v53, 48
	v_readlane_b32 s17, v53, 49
	s_and_b64 s[16:17], s[36:37], s[16:17]
	s_mov_b64 exec, s[16:17]
	s_cbranch_execz .LBB33_144
; %bb.136:                              ;   in Loop: Header=BB33_6 Depth=1
	s_mov_b64 s[38:39], 0
	v_mov_b32_e32 v10, v12
	v_mov_b32_e32 v18, v0
                                        ; implicit-def: $sgpr40_sgpr41
	s_branch .LBB33_138
.LBB33_137:                             ;   in Loop: Header=BB33_138 Depth=2
	s_or_b64 exec, exec, s[16:17]
	s_waitcnt lgkmcnt(0)
	s_barrier
	ds_read_b64 v[2:3], v11 offset:3072
	v_add_u32_e32 v18, s9, v18
	v_cmp_le_u32_e32 vcc, s12, v18
	v_add_u32_e32 v10, s76, v10
	s_waitcnt lgkmcnt(0)
	v_readfirstlane_b32 s16, v2
	s_cmp_lg_u32 s16, 0
	s_cselect_b64 s[16:17], -1, 0
	s_or_b64 s[20:21], vcc, s[16:17]
	s_and_b64 s[20:21], exec, s[20:21]
	s_or_b64 s[38:39], s[20:21], s[38:39]
	s_andn2_b64 s[20:21], s[40:41], exec
	s_and_b64 s[16:17], s[16:17], exec
	s_or_b64 s[40:41], s[20:21], s[16:17]
	s_barrier
	s_andn2_b64 exec, exec, s[38:39]
	s_cbranch_execz .LBB33_143
.LBB33_138:                             ;   Parent Loop BB33_6 Depth=1
                                        ; =>  This Inner Loop Header: Depth=2
	v_cmp_gt_u32_e32 vcc, s60, v18
	s_waitcnt vmcnt(0)
	v_mov_b32_e32 v17, 0
	s_and_saveexec_b64 s[16:17], vcc
	s_cbranch_execz .LBB33_140
; %bb.139:                              ;   in Loop: Header=BB33_138 Depth=2
	v_lshlrev_b64 v[2:3], 2, v[10:11]
	v_mov_b32_e32 v17, s8
	v_add_co_u32_e64 v2, s[20:21], s33, v2
	v_addc_co_u32_e64 v3, s[20:21], v17, v3, s[20:21]
	global_load_dword v17, v[2:3], off
.LBB33_140:                             ;   in Loop: Header=BB33_138 Depth=2
	s_or_b64 exec, exec, s[16:17]
	s_and_saveexec_b64 s[16:17], vcc
	s_cbranch_execz .LBB33_137
; %bb.141:                              ;   in Loop: Header=BB33_138 Depth=2
	s_waitcnt vmcnt(0)
	v_xor_b32_e32 v2, 0x80000000, v17
	v_and_b32_e32 v2, v2, v5
	v_cmp_eq_u32_e32 vcc, v2, v4
	s_and_b64 exec, exec, vcc
	s_cbranch_execz .LBB33_137
; %bb.142:                              ;   in Loop: Header=BB33_138 Depth=2
	ds_write_b64 v11, v[16:17] offset:3072
	s_branch .LBB33_137
.LBB33_143:                             ;   in Loop: Header=BB33_6 Depth=1
	s_or_b64 exec, exec, s[38:39]
	s_and_b64 s[20:21], s[40:41], exec
.LBB33_144:                             ;   in Loop: Header=BB33_6 Depth=1
	s_or_b64 exec, exec, s[36:37]
	s_mov_b64 s[40:41], -1
	s_mov_b64 s[36:37], 0
	s_mov_b64 s[38:39], 0
.LBB33_145:                             ;   in Loop: Header=BB33_6 Depth=1
	s_orn2_b64 s[46:47], s[20:21], exec
.LBB33_146:                             ;   in Loop: Header=BB33_6 Depth=1
	s_or_b64 exec, exec, s[42:43]
	s_mov_b64 s[20:21], 0
                                        ; implicit-def: $vgpr2
	s_and_saveexec_b64 s[42:43], s[46:47]
	s_cbranch_execz .LBB33_239
; %bb.147:                              ;   in Loop: Header=BB33_6 Depth=1
	s_xor_b64 s[44:45], s[44:45], -1
	s_mov_b64 s[16:17], 0
	v_mov_b32_e32 v18, 1
	v_mov_b32_e32 v2, 1
	s_and_saveexec_b64 s[20:21], s[44:45]
	s_cbranch_execz .LBB33_157
; %bb.148:                              ;   in Loop: Header=BB33_6 Depth=1
	v_cmp_ge_u32_e32 vcc, s4, v36
                                        ; implicit-def: $sgpr48
                                        ; implicit-def: $sgpr44_sgpr45
	s_and_saveexec_b64 s[16:17], vcc
	s_xor_b64 s[46:47], exec, s[16:17]
	s_cbranch_execz .LBB33_154
; %bb.149:                              ;   in Loop: Header=BB33_6 Depth=1
	ds_read_b32 v2, v11 offset:4096
	s_waitcnt lgkmcnt(0)
	v_cmp_ne_u32_e32 vcc, 0, v2
	s_cbranch_vccnz .LBB33_153
; %bb.150:                              ;   in Loop: Header=BB33_6 Depth=1
	s_mov_b64 s[16:17], exec
	v_readlane_b32 s44, v53, 14
	v_readlane_b32 s45, v53, 15
	s_and_b64 s[44:45], s[16:17], s[44:45]
	s_mov_b64 exec, s[44:45]
	s_cbranch_execz .LBB33_152
; %bb.151:                              ;   in Loop: Header=BB33_6 Depth=1
	v_mov_b32_e32 v2, s4
	ds_write_b32 v11, v2 offset:4100
.LBB33_152:                             ;   in Loop: Header=BB33_6 Depth=1
	s_or_b64 exec, exec, s[16:17]
	s_waitcnt lgkmcnt(0)
	s_barrier
.LBB33_153:                             ;   in Loop: Header=BB33_6 Depth=1
	v_and_b32_e32 v2, s5, v4
	v_lshl_or_b32 v4, 1, s10, v2
	v_or_b32_e32 v5, s72, v5
	s_mov_b64 s[44:45], 0
	s_mov_b32 s48, 8
.LBB33_154:                             ;   in Loop: Header=BB33_6 Depth=1
	s_or_saveexec_b64 s[16:17], s[46:47]
	v_mov_b32_e32 v2, s48
	s_xor_b64 exec, exec, s[16:17]
; %bb.155:                              ;   in Loop: Header=BB33_6 Depth=1
	v_subrev_u32_e32 v36, s4, v36
	v_mov_b32_e32 v2, 0
	s_or_b64 s[44:45], s[44:45], exec
; %bb.156:                              ;   in Loop: Header=BB33_6 Depth=1
	s_or_b64 exec, exec, s[16:17]
	s_and_b64 s[16:17], s[44:45], exec
	v_mov_b32_e32 v18, v36
.LBB33_157:                             ;   in Loop: Header=BB33_6 Depth=1
	s_or_b64 exec, exec, s[20:21]
	s_mov_b64 s[20:21], -1
                                        ; implicit-def: $sgpr46_sgpr47
                                        ; implicit-def: $sgpr50_sgpr51
                                        ; implicit-def: $sgpr52_sgpr53
	s_and_saveexec_b64 s[44:45], s[16:17]
	s_cbranch_execz .LBB33_238
; %bb.158:                              ;   in Loop: Header=BB33_6 Depth=1
	s_cmp_eq_u32 s11, 1
	s_cselect_b64 s[16:17], -1, 0
	v_cmp_eq_u32_e32 vcc, 1, v18
	s_and_b64 s[54:55], s[16:17], vcc
	s_mov_b64 s[56:57], -1
                                        ; implicit-def: $sgpr46_sgpr47
                                        ; implicit-def: $sgpr50_sgpr51
                                        ; implicit-def: $sgpr48_sgpr49
	s_and_saveexec_b64 s[52:53], s[54:55]
	s_cbranch_execz .LBB33_184
; %bb.159:                              ;   in Loop: Header=BB33_6 Depth=1
	ds_read_b32 v2, v11 offset:4096
	s_waitcnt lgkmcnt(0)
	s_barrier
	v_readfirstlane_b32 s50, v2
	s_mov_b64 s[16:17], exec
	v_readlane_b32 s20, v53, 32
	v_readlane_b32 s21, v53, 33
	s_and_b64 s[20:21], s[16:17], s[20:21]
	s_mov_b64 exec, s[20:21]
	s_cbranch_execz .LBB33_161
; %bb.160:                              ;   in Loop: Header=BB33_6 Depth=1
	ds_write_b32 v23, v11
.LBB33_161:                             ;   in Loop: Header=BB33_6 Depth=1
	s_or_b64 exec, exec, s[16:17]
	v_and_b32_e32 v2, s5, v4
	v_lshl_or_b32 v4, 2, s10, v2
	v_or_b32_e32 v5, s72, v5
	s_cmp_eq_u32 s50, 0
	s_waitcnt lgkmcnt(0)
	s_barrier
	s_cbranch_scc1 .LBB33_170
; %bb.162:                              ;   in Loop: Header=BB33_6 Depth=1
	v_readlane_b32 s16, v53, 25
	s_add_i32 s16, s50, s16
	v_readlane_b32 s17, v53, 47
	s_mul_hi_u32 s17, s16, s17
	s_mul_i32 s17, s17, s9
	s_sub_i32 s17, s16, s17
	s_sub_i32 s20, s17, s9
	s_cmp_ge_u32 s17, s9
	s_cselect_b32 s17, s20, s17
	s_sub_i32 s20, s17, s9
	s_cmp_ge_u32 s17, s9
	s_cselect_b32 s17, s20, s17
	s_sub_i32 s51, s16, s17
	v_cmp_gt_u32_e32 vcc, s51, v0
	s_mov_b64 s[20:21], 0
                                        ; implicit-def: $vgpr3
	s_and_saveexec_b64 s[46:47], vcc
	s_cbranch_execz .LBB33_172
; %bb.163:                              ;   in Loop: Header=BB33_6 Depth=1
	v_mov_b32_e32 v10, v21
	v_mov_b32_e32 v36, v0
                                        ; implicit-def: $sgpr48_sgpr49
	s_branch .LBB33_165
.LBB33_164:                             ;   in Loop: Header=BB33_165 Depth=2
	s_or_b64 exec, exec, s[16:17]
	s_waitcnt lgkmcnt(0)
	s_barrier
	ds_read_b64 v[2:3], v11 offset:3072
	v_add_u32_e32 v36, s9, v36
	v_cmp_le_u32_e32 vcc, s51, v36
	v_add_u32_e32 v10, s77, v10
	s_waitcnt lgkmcnt(0)
	v_readfirstlane_b32 s16, v2
	s_cmp_lg_u32 s16, 0
	s_cselect_b64 s[16:17], -1, 0
	s_or_b64 s[56:57], vcc, s[16:17]
	s_and_b64 s[56:57], exec, s[56:57]
	s_or_b64 s[20:21], s[56:57], s[20:21]
	s_andn2_b64 s[48:49], s[48:49], exec
	s_and_b64 s[16:17], s[16:17], exec
	s_or_b64 s[48:49], s[48:49], s[16:17]
	s_barrier
	s_andn2_b64 exec, exec, s[20:21]
	s_cbranch_execz .LBB33_171
.LBB33_165:                             ;   Parent Loop BB33_6 Depth=1
                                        ; =>  This Inner Loop Header: Depth=2
	v_cmp_gt_u32_e32 vcc, s50, v36
	s_waitcnt vmcnt(0)
	v_mov_b32_e32 v17, 0
	s_and_saveexec_b64 s[16:17], vcc
	s_cbranch_execz .LBB33_167
; %bb.166:                              ;   in Loop: Header=BB33_165 Depth=2
	ds_read_b32 v17, v10
.LBB33_167:                             ;   in Loop: Header=BB33_165 Depth=2
	s_or_b64 exec, exec, s[16:17]
	s_and_saveexec_b64 s[16:17], vcc
	s_cbranch_execz .LBB33_164
; %bb.168:                              ;   in Loop: Header=BB33_165 Depth=2
	s_waitcnt lgkmcnt(0)
	v_xor_b32_e32 v2, 0x80000000, v17
	v_and_b32_e32 v2, v2, v5
	v_cmp_eq_u32_e32 vcc, v2, v4
	s_and_b64 exec, exec, vcc
	s_cbranch_execz .LBB33_164
; %bb.169:                              ;   in Loop: Header=BB33_165 Depth=2
	ds_write_b64 v11, v[16:17] offset:3072
	s_branch .LBB33_164
.LBB33_170:                             ;   in Loop: Header=BB33_6 Depth=1
	s_mov_b64 s[46:47], -1
	s_mov_b64 s[20:21], 0
                                        ; implicit-def: $sgpr48_sgpr49
                                        ; implicit-def: $vgpr3
	s_mov_b64 s[50:51], s[46:47]
	s_cbranch_execnz .LBB33_173
	s_branch .LBB33_183
.LBB33_171:                             ;   in Loop: Header=BB33_6 Depth=1
	s_or_b64 exec, exec, s[20:21]
	s_and_b64 s[20:21], s[48:49], exec
.LBB33_172:                             ;   in Loop: Header=BB33_6 Depth=1
	s_or_b64 exec, exec, s[46:47]
	s_mov_b64 s[48:49], -1
	s_mov_b64 s[46:47], 0
	s_mov_b64 s[50:51], s[46:47]
	s_branch .LBB33_183
.LBB33_173:                             ;   in Loop: Header=BB33_6 Depth=1
	s_mov_b64 s[20:21], 0
                                        ; implicit-def: $vgpr3
	s_mov_b64 s[46:47], exec
	v_readlane_b32 s16, v53, 48
	v_readlane_b32 s17, v53, 49
	s_and_b64 s[16:17], s[46:47], s[16:17]
	s_mov_b64 exec, s[16:17]
	s_cbranch_execz .LBB33_182
; %bb.174:                              ;   in Loop: Header=BB33_6 Depth=1
	s_mov_b64 s[48:49], 0
	v_mov_b32_e32 v10, v12
	v_mov_b32_e32 v36, v0
                                        ; implicit-def: $sgpr50_sgpr51
	s_branch .LBB33_176
.LBB33_175:                             ;   in Loop: Header=BB33_176 Depth=2
	s_or_b64 exec, exec, s[16:17]
	s_waitcnt lgkmcnt(0)
	s_barrier
	ds_read_b64 v[2:3], v11 offset:3072
	v_add_u32_e32 v36, s9, v36
	v_cmp_le_u32_e32 vcc, s12, v36
	v_add_u32_e32 v10, s76, v10
	s_waitcnt lgkmcnt(0)
	v_readfirstlane_b32 s16, v2
	s_cmp_lg_u32 s16, 0
	s_cselect_b64 s[16:17], -1, 0
	s_or_b64 s[20:21], vcc, s[16:17]
	s_and_b64 s[20:21], exec, s[20:21]
	s_or_b64 s[48:49], s[20:21], s[48:49]
	s_andn2_b64 s[20:21], s[50:51], exec
	s_and_b64 s[16:17], s[16:17], exec
	s_or_b64 s[50:51], s[20:21], s[16:17]
	s_barrier
	s_andn2_b64 exec, exec, s[48:49]
	s_cbranch_execz .LBB33_181
.LBB33_176:                             ;   Parent Loop BB33_6 Depth=1
                                        ; =>  This Inner Loop Header: Depth=2
	v_cmp_gt_u32_e32 vcc, s60, v36
	s_waitcnt vmcnt(0)
	v_mov_b32_e32 v17, 0
	s_and_saveexec_b64 s[16:17], vcc
	s_cbranch_execz .LBB33_178
; %bb.177:                              ;   in Loop: Header=BB33_176 Depth=2
	v_lshlrev_b64 v[2:3], 2, v[10:11]
	v_mov_b32_e32 v17, s8
	v_add_co_u32_e64 v2, s[20:21], s33, v2
	v_addc_co_u32_e64 v3, s[20:21], v17, v3, s[20:21]
	global_load_dword v17, v[2:3], off
.LBB33_178:                             ;   in Loop: Header=BB33_176 Depth=2
	s_or_b64 exec, exec, s[16:17]
	s_and_saveexec_b64 s[16:17], vcc
	s_cbranch_execz .LBB33_175
; %bb.179:                              ;   in Loop: Header=BB33_176 Depth=2
	s_waitcnt vmcnt(0)
	v_xor_b32_e32 v2, 0x80000000, v17
	v_and_b32_e32 v2, v2, v5
	v_cmp_eq_u32_e32 vcc, v2, v4
	s_and_b64 exec, exec, vcc
	s_cbranch_execz .LBB33_175
; %bb.180:                              ;   in Loop: Header=BB33_176 Depth=2
	ds_write_b64 v11, v[16:17] offset:3072
	s_branch .LBB33_175
.LBB33_181:                             ;   in Loop: Header=BB33_6 Depth=1
	s_or_b64 exec, exec, s[48:49]
	s_and_b64 s[20:21], s[50:51], exec
.LBB33_182:                             ;   in Loop: Header=BB33_6 Depth=1
	s_or_b64 exec, exec, s[46:47]
	s_mov_b64 s[50:51], -1
	s_mov_b64 s[46:47], 0
	s_mov_b64 s[48:49], 0
.LBB33_183:                             ;   in Loop: Header=BB33_6 Depth=1
	s_orn2_b64 s[56:57], s[20:21], exec
.LBB33_184:                             ;   in Loop: Header=BB33_6 Depth=1
	s_or_b64 exec, exec, s[52:53]
	s_mov_b64 s[20:21], 0
                                        ; implicit-def: $vgpr2
	s_and_saveexec_b64 s[52:53], s[56:57]
	s_cbranch_execz .LBB33_237
; %bb.185:                              ;   in Loop: Header=BB33_6 Depth=1
	s_xor_b64 s[54:55], s[54:55], -1
	s_mov_b64 s[16:17], 0
	v_mov_b32_e32 v36, 1
	v_mov_b32_e32 v2, 1
	s_and_saveexec_b64 s[20:21], s[54:55]
	s_cbranch_execz .LBB33_195
; %bb.186:                              ;   in Loop: Header=BB33_6 Depth=1
	v_cmp_ge_u32_e32 vcc, s11, v18
                                        ; implicit-def: $sgpr59
                                        ; implicit-def: $sgpr54_sgpr55
	s_and_saveexec_b64 s[16:17], vcc
	s_xor_b64 s[56:57], exec, s[16:17]
	s_cbranch_execz .LBB33_192
; %bb.187:                              ;   in Loop: Header=BB33_6 Depth=1
	ds_read_b32 v2, v11 offset:4096
	s_waitcnt lgkmcnt(0)
	v_cmp_ne_u32_e32 vcc, 0, v2
	s_cbranch_vccnz .LBB33_191
; %bb.188:                              ;   in Loop: Header=BB33_6 Depth=1
	s_mov_b64 s[16:17], exec
	v_readlane_b32 s54, v53, 14
	v_readlane_b32 s55, v53, 15
	s_and_b64 s[54:55], s[16:17], s[54:55]
	s_mov_b64 exec, s[54:55]
	s_cbranch_execz .LBB33_190
; %bb.189:                              ;   in Loop: Header=BB33_6 Depth=1
	v_mov_b32_e32 v2, s11
	ds_write_b32 v11, v2 offset:4100
.LBB33_190:                             ;   in Loop: Header=BB33_6 Depth=1
	s_or_b64 exec, exec, s[16:17]
	s_waitcnt lgkmcnt(0)
	s_barrier
.LBB33_191:                             ;   in Loop: Header=BB33_6 Depth=1
	v_and_b32_e32 v2, s5, v4
	v_lshl_or_b32 v4, 2, s10, v2
	v_or_b32_e32 v5, s72, v5
	s_mov_b64 s[54:55], 0
	s_mov_b32 s59, 8
.LBB33_192:                             ;   in Loop: Header=BB33_6 Depth=1
	s_or_saveexec_b64 s[16:17], s[56:57]
	v_mov_b32_e32 v2, s59
	s_xor_b64 exec, exec, s[16:17]
; %bb.193:                              ;   in Loop: Header=BB33_6 Depth=1
	v_subrev_u32_e32 v18, s11, v18
	v_mov_b32_e32 v2, 0
	s_or_b64 s[54:55], s[54:55], exec
; %bb.194:                              ;   in Loop: Header=BB33_6 Depth=1
	s_or_b64 exec, exec, s[16:17]
	s_and_b64 s[16:17], s[54:55], exec
	v_mov_b32_e32 v36, v18
.LBB33_195:                             ;   in Loop: Header=BB33_6 Depth=1
	s_or_b64 exec, exec, s[20:21]
	s_mov_b64 s[56:57], -1
                                        ; implicit-def: $sgpr20_sgpr21
                                        ; implicit-def: $sgpr82_sgpr83
                                        ; implicit-def: $vcc
	s_and_saveexec_b64 s[54:55], s[16:17]
	s_cbranch_execz .LBB33_236
; %bb.196:                              ;   in Loop: Header=BB33_6 Depth=1
	s_cmp_eq_u32 s58, 1
	s_cselect_b64 s[16:17], -1, 0
	v_cmp_eq_u32_e32 vcc, 1, v36
	s_and_b64 s[56:57], s[16:17], vcc
	s_mov_b64 s[16:17], -1
                                        ; implicit-def: $sgpr20_sgpr21
                                        ; implicit-def: $sgpr82_sgpr83
                                        ; implicit-def: $vcc
	s_mov_b64 s[80:81], exec
	v_writelane_b32 v53, s56, 53
	v_writelane_b32 v53, s57, 54
	;; [unrolled: 1-line block ×3, first 2 shown]
	s_and_b64 s[56:57], s[80:81], s[56:57]
	v_writelane_b32 v53, s81, 56
	s_mov_b64 exec, s[56:57]
	s_cbranch_execz .LBB33_223
; %bb.197:                              ;   in Loop: Header=BB33_6 Depth=1
	ds_read_b32 v2, v11 offset:4096
	s_waitcnt lgkmcnt(0)
	s_barrier
	v_readfirstlane_b32 s59, v2
	s_mov_b64 s[16:17], exec
	v_readlane_b32 s20, v53, 32
	v_readlane_b32 s21, v53, 33
	s_and_b64 s[20:21], s[16:17], s[20:21]
	s_mov_b64 exec, s[20:21]
	s_cbranch_execz .LBB33_199
; %bb.198:                              ;   in Loop: Header=BB33_6 Depth=1
	ds_write_b32 v23, v11
.LBB33_199:                             ;   in Loop: Header=BB33_6 Depth=1
	s_or_b64 exec, exec, s[16:17]
	v_or_b32_e32 v4, s72, v4
	v_or_b32_e32 v5, s72, v5
	s_cmp_eq_u32 s59, 0
	s_waitcnt lgkmcnt(0)
	s_barrier
	s_cbranch_scc1 .LBB33_208
; %bb.200:                              ;   in Loop: Header=BB33_6 Depth=1
	v_readlane_b32 s16, v53, 25
	s_add_i32 s16, s59, s16
	v_readlane_b32 s17, v53, 47
	s_mul_hi_u32 s17, s16, s17
	s_mul_i32 s17, s17, s9
	s_sub_i32 s17, s16, s17
	s_sub_i32 s20, s17, s9
	s_cmp_ge_u32 s17, s9
	s_cselect_b32 s17, s20, s17
	s_sub_i32 s20, s17, s9
	s_cmp_ge_u32 s17, s9
	s_cselect_b32 s17, s20, s17
	s_sub_i32 s82, s16, s17
	s_mov_b64 s[56:57], 0
	v_cmp_gt_u32_e32 vcc, s82, v0
                                        ; implicit-def: $vgpr3
	s_mov_b64 s[16:17], exec
	v_writelane_b32 v53, s16, 57
	v_writelane_b32 v53, s17, 58
	s_and_b64 s[16:17], s[16:17], vcc
	s_mov_b64 exec, s[16:17]
	s_cbranch_execz .LBB33_210
; %bb.201:                              ;   in Loop: Header=BB33_6 Depth=1
	v_mov_b32_e32 v10, v21
	v_mov_b32_e32 v18, v0
                                        ; implicit-def: $sgpr80_sgpr81
	s_branch .LBB33_203
.LBB33_202:                             ;   in Loop: Header=BB33_203 Depth=2
	s_or_b64 exec, exec, s[16:17]
	s_waitcnt lgkmcnt(0)
	s_barrier
	ds_read_b64 v[2:3], v11 offset:3072
	v_add_u32_e32 v18, s9, v18
	v_cmp_le_u32_e32 vcc, s82, v18
	v_add_u32_e32 v10, s77, v10
	s_waitcnt lgkmcnt(0)
	v_readfirstlane_b32 s16, v2
	s_cmp_lg_u32 s16, 0
	s_cselect_b64 s[16:17], -1, 0
	s_or_b64 s[20:21], vcc, s[16:17]
	s_and_b64 s[20:21], exec, s[20:21]
	s_or_b64 s[56:57], s[20:21], s[56:57]
	s_andn2_b64 s[20:21], s[80:81], exec
	s_and_b64 s[16:17], s[16:17], exec
	s_or_b64 s[80:81], s[20:21], s[16:17]
	s_barrier
	s_andn2_b64 exec, exec, s[56:57]
	s_cbranch_execz .LBB33_209
.LBB33_203:                             ;   Parent Loop BB33_6 Depth=1
                                        ; =>  This Inner Loop Header: Depth=2
	v_cmp_gt_u32_e32 vcc, s59, v18
	s_waitcnt vmcnt(0)
	v_mov_b32_e32 v17, 0
	s_and_saveexec_b64 s[16:17], vcc
	s_cbranch_execz .LBB33_205
; %bb.204:                              ;   in Loop: Header=BB33_203 Depth=2
	ds_read_b32 v17, v10
.LBB33_205:                             ;   in Loop: Header=BB33_203 Depth=2
	s_or_b64 exec, exec, s[16:17]
	s_and_saveexec_b64 s[16:17], vcc
	s_cbranch_execz .LBB33_202
; %bb.206:                              ;   in Loop: Header=BB33_203 Depth=2
	s_waitcnt lgkmcnt(0)
	v_xor_b32_e32 v2, 0x80000000, v17
	v_and_b32_e32 v2, v2, v5
	v_cmp_eq_u32_e32 vcc, v2, v4
	s_and_b64 exec, exec, vcc
	s_cbranch_execz .LBB33_202
; %bb.207:                              ;   in Loop: Header=BB33_203 Depth=2
	ds_write_b64 v11, v[16:17] offset:3072
	s_branch .LBB33_202
.LBB33_208:                             ;   in Loop: Header=BB33_6 Depth=1
	s_mov_b64 s[20:21], -1
	s_mov_b64 s[56:57], 0
                                        ; implicit-def: $sgpr80_sgpr81
                                        ; implicit-def: $vgpr3
	s_branch .LBB33_211
.LBB33_209:                             ;   in Loop: Header=BB33_6 Depth=1
	s_or_b64 exec, exec, s[56:57]
	s_and_b64 s[56:57], s[80:81], exec
.LBB33_210:                             ;   in Loop: Header=BB33_6 Depth=1
	v_readlane_b32 s16, v53, 57
	v_readlane_b32 s17, v53, 58
	s_or_b64 exec, exec, s[16:17]
	s_mov_b64 s[80:81], -1
	s_mov_b64 s[20:21], 0
.LBB33_211:                             ;   in Loop: Header=BB33_6 Depth=1
	s_and_b64 vcc, exec, s[20:21]
	s_mov_b64 s[82:83], s[20:21]
	s_cbranch_vccz .LBB33_222
; %bb.212:                              ;   in Loop: Header=BB33_6 Depth=1
	s_mov_b64 s[56:57], 0
                                        ; implicit-def: $vgpr3
	s_mov_b64 s[80:81], exec
	v_readlane_b32 s16, v53, 48
	v_readlane_b32 s17, v53, 49
	s_and_b64 s[16:17], s[80:81], s[16:17]
	s_mov_b64 exec, s[16:17]
	s_cbranch_execz .LBB33_221
; %bb.213:                              ;   in Loop: Header=BB33_6 Depth=1
	v_mov_b32_e32 v10, v12
	v_mov_b32_e32 v18, v0
                                        ; implicit-def: $sgpr82_sgpr83
	s_branch .LBB33_215
.LBB33_214:                             ;   in Loop: Header=BB33_215 Depth=2
	s_or_b64 exec, exec, s[16:17]
	s_waitcnt lgkmcnt(0)
	s_barrier
	ds_read_b64 v[2:3], v11 offset:3072
	v_add_u32_e32 v18, s9, v18
	v_cmp_le_u32_e32 vcc, s12, v18
	v_add_u32_e32 v10, s76, v10
	s_waitcnt lgkmcnt(0)
	v_readfirstlane_b32 s16, v2
	s_cmp_lg_u32 s16, 0
	s_cselect_b64 s[16:17], -1, 0
	s_or_b64 s[20:21], vcc, s[16:17]
	s_and_b64 s[20:21], exec, s[20:21]
	s_or_b64 s[56:57], s[20:21], s[56:57]
	s_andn2_b64 s[20:21], s[82:83], exec
	s_and_b64 s[16:17], s[16:17], exec
	s_or_b64 s[82:83], s[20:21], s[16:17]
	s_barrier
	s_andn2_b64 exec, exec, s[56:57]
	s_cbranch_execz .LBB33_220
.LBB33_215:                             ;   Parent Loop BB33_6 Depth=1
                                        ; =>  This Inner Loop Header: Depth=2
	v_cmp_gt_u32_e32 vcc, s60, v18
	s_waitcnt vmcnt(0)
	v_mov_b32_e32 v17, 0
	s_and_saveexec_b64 s[16:17], vcc
	s_cbranch_execz .LBB33_217
; %bb.216:                              ;   in Loop: Header=BB33_215 Depth=2
	v_lshlrev_b64 v[2:3], 2, v[10:11]
	v_mov_b32_e32 v17, s8
	v_add_co_u32_e64 v2, s[20:21], s33, v2
	v_addc_co_u32_e64 v3, s[20:21], v17, v3, s[20:21]
	global_load_dword v17, v[2:3], off
.LBB33_217:                             ;   in Loop: Header=BB33_215 Depth=2
	s_or_b64 exec, exec, s[16:17]
	s_and_saveexec_b64 s[16:17], vcc
	s_cbranch_execz .LBB33_214
; %bb.218:                              ;   in Loop: Header=BB33_215 Depth=2
	s_waitcnt vmcnt(0)
	v_xor_b32_e32 v2, 0x80000000, v17
	v_and_b32_e32 v2, v2, v5
	v_cmp_eq_u32_e32 vcc, v2, v4
	s_and_b64 exec, exec, vcc
	s_cbranch_execz .LBB33_214
; %bb.219:                              ;   in Loop: Header=BB33_215 Depth=2
	ds_write_b64 v11, v[16:17] offset:3072
	s_branch .LBB33_214
.LBB33_220:                             ;   in Loop: Header=BB33_6 Depth=1
	s_or_b64 exec, exec, s[56:57]
	s_and_b64 s[56:57], s[82:83], exec
.LBB33_221:                             ;   in Loop: Header=BB33_6 Depth=1
	s_or_b64 exec, exec, s[80:81]
	s_mov_b64 s[82:83], -1
	s_mov_b64 s[20:21], 0
	s_mov_b64 s[80:81], 0
.LBB33_222:                             ;   in Loop: Header=BB33_6 Depth=1
	s_orn2_b64 s[16:17], s[56:57], exec
	s_mov_b64 vcc, s[80:81]
.LBB33_223:                             ;   in Loop: Header=BB33_6 Depth=1
	v_readlane_b32 s56, v53, 55
	v_readlane_b32 s57, v53, 56
	s_or_b64 exec, exec, s[56:57]
	s_mov_b64 s[56:57], 0
                                        ; implicit-def: $vgpr2
                                        ; implicit-def: $vgpr10
	s_and_saveexec_b64 s[80:81], s[16:17]
	s_cbranch_execz .LBB33_235
; %bb.224:                              ;   in Loop: Header=BB33_6 Depth=1
	v_readlane_b32 s16, v53, 53
	v_readlane_b32 s17, v53, 54
	s_xor_b64 s[16:17], s[16:17], -1
	v_mov_b32_e32 v2, 1
	v_mov_b32_e32 v10, 1
	s_and_saveexec_b64 s[56:57], s[16:17]
	s_cbranch_execz .LBB33_234
; %bb.225:                              ;   in Loop: Header=BB33_6 Depth=1
	v_writelane_b32 v53, vcc_lo, 59
	v_writelane_b32 v53, vcc_hi, 60
	v_cmp_ge_u32_e32 vcc, s58, v36
                                        ; implicit-def: $sgpr59
	s_and_saveexec_b64 s[16:17], vcc
	s_xor_b64 s[16:17], exec, s[16:17]
	s_cbranch_execz .LBB33_231
; %bb.226:                              ;   in Loop: Header=BB33_6 Depth=1
	ds_read_b32 v2, v11 offset:4096
	s_waitcnt lgkmcnt(0)
	v_cmp_ne_u32_e32 vcc, 0, v2
	s_cbranch_vccnz .LBB33_230
; %bb.227:                              ;   in Loop: Header=BB33_6 Depth=1
	v_writelane_b32 v53, s16, 61
	v_writelane_b32 v53, s17, 62
	s_mov_b64 s[16:17], exec
                                        ; implicit-def: $vgpr52 : SGPR spill to VGPR lane
	v_writelane_b32 v53, s16, 63
	v_writelane_b32 v52, s17, 0
	v_readlane_b32 vcc_lo, v53, 14
	v_readlane_b32 s16, v53, 63
	v_readlane_b32 vcc_hi, v53, 15
	v_readlane_b32 s17, v52, 0
	s_and_b64 vcc, s[16:17], vcc
	s_mov_b64 exec, vcc
	s_cbranch_execz .LBB33_229
; %bb.228:                              ;   in Loop: Header=BB33_6 Depth=1
	v_mov_b32_e32 v2, s58
	ds_write_b32 v11, v2 offset:4100
.LBB33_229:                             ;   in Loop: Header=BB33_6 Depth=1
	v_readlane_b32 vcc_lo, v53, 63
	v_readlane_b32 vcc_hi, v52, 0
	s_or_b64 exec, exec, vcc
	v_readlane_b32 s16, v53, 61
	v_readlane_b32 s17, v53, 62
	s_waitcnt lgkmcnt(0)
	s_barrier
.LBB33_230:                             ;   in Loop: Header=BB33_6 Depth=1
	v_or_b32_e32 v4, s72, v4
	v_or_b32_e32 v5, s72, v5
	s_mov_b32 s59, 8
.LBB33_231:                             ;   in Loop: Header=BB33_6 Depth=1
	s_or_saveexec_b64 s[16:17], s[16:17]
	v_mov_b32_e32 v2, s59
	s_xor_b64 exec, exec, s[16:17]
; %bb.232:                              ;   in Loop: Header=BB33_6 Depth=1
	v_subrev_u32_e32 v36, s58, v36
	v_mov_b32_e32 v2, 8
; %bb.233:                              ;   in Loop: Header=BB33_6 Depth=1
	s_or_b64 exec, exec, s[16:17]
	v_readlane_b32 vcc_lo, v53, 59
	v_mov_b32_e32 v10, v36
	v_readlane_b32 vcc_hi, v53, 60
.LBB33_234:                             ;   in Loop: Header=BB33_6 Depth=1
	s_or_b64 exec, exec, s[56:57]
	s_mov_b64 s[56:57], exec
.LBB33_235:                             ;   in Loop: Header=BB33_6 Depth=1
	s_or_b64 exec, exec, s[80:81]
	s_orn2_b64 s[56:57], s[56:57], exec
	v_mov_b32_e32 v36, v10
.LBB33_236:                             ;   in Loop: Header=BB33_6 Depth=1
	s_or_b64 exec, exec, s[54:55]
	s_andn2_b64 s[16:17], s[46:47], exec
	s_and_b64 s[20:21], s[20:21], exec
	s_or_b64 s[46:47], s[16:17], s[20:21]
	s_andn2_b64 s[16:17], s[50:51], exec
	s_and_b64 s[20:21], s[82:83], exec
	s_or_b64 s[50:51], s[16:17], s[20:21]
	s_andn2_b64 s[16:17], s[48:49], exec
	s_and_b64 s[20:21], vcc, exec
	s_or_b64 s[48:49], s[16:17], s[20:21]
	s_and_b64 s[20:21], s[56:57], exec
	v_mov_b32_e32 v18, v36
.LBB33_237:                             ;   in Loop: Header=BB33_6 Depth=1
	s_or_b64 exec, exec, s[52:53]
	s_and_b64 s[52:53], s[46:47], exec
	s_and_b64 s[50:51], s[50:51], exec
	s_and_b64 s[46:47], s[48:49], exec
	s_orn2_b64 s[20:21], s[20:21], exec
.LBB33_238:                             ;   in Loop: Header=BB33_6 Depth=1
	s_or_b64 exec, exec, s[44:45]
	s_andn2_b64 s[16:17], s[36:37], exec
	s_and_b64 s[36:37], s[52:53], exec
	s_or_b64 s[36:37], s[16:17], s[36:37]
	s_andn2_b64 s[16:17], s[40:41], exec
	s_and_b64 s[40:41], s[50:51], exec
	s_or_b64 s[40:41], s[16:17], s[40:41]
	s_andn2_b64 s[16:17], s[38:39], exec
	s_and_b64 s[38:39], s[46:47], exec
	s_or_b64 s[38:39], s[16:17], s[38:39]
	s_and_b64 s[20:21], s[20:21], exec
	v_mov_b32_e32 v36, v18
.LBB33_239:                             ;   in Loop: Header=BB33_6 Depth=1
	s_or_b64 exec, exec, s[42:43]
	s_and_b64 s[42:43], s[36:37], exec
	s_and_b64 s[40:41], s[40:41], exec
	;; [unrolled: 1-line block ×3, first 2 shown]
	s_orn2_b64 s[38:39], s[20:21], exec
.LBB33_240:                             ;   in Loop: Header=BB33_6 Depth=1
	s_or_b64 exec, exec, s[24:25]
	s_mov_b64 s[24:25], 0
	s_mov_b64 s[20:21], 0
	s_and_saveexec_b64 s[16:17], s[38:39]
	s_xor_b64 s[16:17], exec, s[16:17]
; %bb.241:                              ;   in Loop: Header=BB33_6 Depth=1
	v_cmp_eq_u32_e32 vcc, 8, v2
	v_cmp_ne_u32_e64 s[20:21], 8, v2
	s_andn2_b64 s[42:43], s[42:43], exec
	s_andn2_b64 s[40:41], s[40:41], exec
	;; [unrolled: 1-line block ×3, first 2 shown]
	s_and_b64 s[20:21], s[20:21], exec
	s_and_b64 s[24:25], vcc, exec
; %bb.242:                              ;   in Loop: Header=BB33_6 Depth=1
	s_or_b64 exec, exec, s[16:17]
	s_andn2_b64 s[16:17], s[22:23], exec
	s_and_b64 s[22:23], s[42:43], exec
	s_or_b64 s[22:23], s[16:17], s[22:23]
	s_andn2_b64 s[16:17], s[28:29], exec
	s_and_b64 s[28:29], s[40:41], exec
	s_or_b64 s[28:29], s[16:17], s[28:29]
	;; [unrolled: 3-line block ×3, first 2 shown]
	s_and_b64 s[20:21], s[20:21], exec
	s_and_b64 s[24:25], s[24:25], exec
.LBB33_243:                             ;   in Loop: Header=BB33_6 Depth=1
	s_or_b64 exec, exec, s[34:35]
	s_and_b64 vcc, exec, s[30:31]
	s_cbranch_vccz .LBB33_93
.LBB33_244:                             ;   in Loop: Header=BB33_6 Depth=1
	s_cmp_eq_u32 s58, 1
	s_cselect_b64 s[16:17], -1, 0
	s_and_b64 s[28:29], s[16:17], s[18:19]
	s_mov_b64 s[18:19], -1
                                        ; implicit-def: $sgpr30_sgpr31
                                        ; implicit-def: $sgpr34_sgpr35
                                        ; implicit-def: $sgpr22_sgpr23
	s_and_saveexec_b64 s[26:27], s[28:29]
	s_cbranch_execz .LBB33_270
; %bb.245:                              ;   in Loop: Header=BB33_6 Depth=1
	ds_read_b32 v2, v11 offset:4096
	s_waitcnt lgkmcnt(0)
	s_barrier
	v_readfirstlane_b32 s34, v2
	s_mov_b64 s[16:17], exec
	v_readlane_b32 s18, v53, 32
	v_readlane_b32 s19, v53, 33
	s_and_b64 s[18:19], s[16:17], s[18:19]
	s_mov_b64 exec, s[18:19]
	s_cbranch_execz .LBB33_247
; %bb.246:                              ;   in Loop: Header=BB33_6 Depth=1
	ds_write_b32 v23, v11
.LBB33_247:                             ;   in Loop: Header=BB33_6 Depth=1
	s_or_b64 exec, exec, s[16:17]
	v_or_b32_e32 v34, s72, v34
	v_or_b32_e32 v33, s72, v33
	s_cmp_eq_u32 s34, 0
	s_waitcnt lgkmcnt(0)
	s_barrier
	s_cbranch_scc1 .LBB33_256
; %bb.248:                              ;   in Loop: Header=BB33_6 Depth=1
	v_readlane_b32 s16, v53, 25
	s_add_i32 s16, s34, s16
	v_readlane_b32 s17, v53, 47
	s_mul_hi_u32 s17, s16, s17
	s_mul_i32 s17, s17, s9
	s_sub_i32 s17, s16, s17
	s_sub_i32 s18, s17, s9
	s_cmp_ge_u32 s17, s9
	s_cselect_b32 s17, s18, s17
	s_sub_i32 s18, s17, s9
	s_cmp_ge_u32 s17, s9
	s_cselect_b32 s17, s18, s17
	s_sub_i32 s35, s16, s17
	v_cmp_gt_u32_e32 vcc, s35, v0
	s_mov_b64 s[18:19], 0
                                        ; implicit-def: $vgpr19
	s_and_saveexec_b64 s[22:23], vcc
	s_cbranch_execz .LBB33_258
; %bb.249:                              ;   in Loop: Header=BB33_6 Depth=1
	v_mov_b32_e32 v2, v21
	v_mov_b32_e32 v3, v0
                                        ; implicit-def: $sgpr30_sgpr31
	s_branch .LBB33_251
.LBB33_250:                             ;   in Loop: Header=BB33_251 Depth=2
	s_or_b64 exec, exec, s[16:17]
	s_waitcnt lgkmcnt(0)
	s_barrier
	ds_read_b64 v[18:19], v11 offset:3072
	v_add_u32_e32 v3, s9, v3
	v_cmp_le_u32_e32 vcc, s35, v3
	v_add_u32_e32 v2, s77, v2
	s_waitcnt lgkmcnt(0)
	v_readfirstlane_b32 s16, v18
	s_cmp_lg_u32 s16, 0
	s_cselect_b64 s[16:17], -1, 0
	s_or_b64 s[36:37], vcc, s[16:17]
	s_and_b64 s[36:37], exec, s[36:37]
	s_or_b64 s[18:19], s[36:37], s[18:19]
	s_andn2_b64 s[30:31], s[30:31], exec
	s_and_b64 s[16:17], s[16:17], exec
	s_or_b64 s[30:31], s[30:31], s[16:17]
	s_barrier
	s_andn2_b64 exec, exec, s[18:19]
	s_cbranch_execz .LBB33_257
.LBB33_251:                             ;   Parent Loop BB33_6 Depth=1
                                        ; =>  This Inner Loop Header: Depth=2
	v_cmp_gt_u32_e32 vcc, s34, v3
	s_waitcnt vmcnt(0)
	v_mov_b32_e32 v17, 0
	s_and_saveexec_b64 s[16:17], vcc
	s_cbranch_execz .LBB33_253
; %bb.252:                              ;   in Loop: Header=BB33_251 Depth=2
	ds_read_b32 v17, v2
.LBB33_253:                             ;   in Loop: Header=BB33_251 Depth=2
	s_or_b64 exec, exec, s[16:17]
	s_and_saveexec_b64 s[16:17], vcc
	s_cbranch_execz .LBB33_250
; %bb.254:                              ;   in Loop: Header=BB33_251 Depth=2
	s_waitcnt lgkmcnt(0)
	v_xor_b32_e32 v4, 0x80000000, v17
	v_and_b32_e32 v4, v4, v33
	v_cmp_eq_u32_e32 vcc, v4, v34
	s_and_b64 exec, exec, vcc
	s_cbranch_execz .LBB33_250
; %bb.255:                              ;   in Loop: Header=BB33_251 Depth=2
	ds_write_b64 v11, v[16:17] offset:3072
	s_branch .LBB33_250
.LBB33_256:                             ;   in Loop: Header=BB33_6 Depth=1
	s_mov_b64 s[30:31], -1
	s_mov_b64 s[18:19], 0
                                        ; implicit-def: $sgpr34_sgpr35
                                        ; implicit-def: $vgpr19
	s_mov_b64 s[22:23], s[30:31]
	s_cbranch_execnz .LBB33_259
	s_branch .LBB33_269
.LBB33_257:                             ;   in Loop: Header=BB33_6 Depth=1
	s_or_b64 exec, exec, s[18:19]
	s_and_b64 s[18:19], s[30:31], exec
.LBB33_258:                             ;   in Loop: Header=BB33_6 Depth=1
	s_or_b64 exec, exec, s[22:23]
	s_mov_b64 s[30:31], 0
	s_mov_b64 s[34:35], -1
	s_mov_b64 s[22:23], s[30:31]
	s_branch .LBB33_269
.LBB33_259:                             ;   in Loop: Header=BB33_6 Depth=1
	s_mov_b64 s[18:19], 0
                                        ; implicit-def: $vgpr19
	s_mov_b64 s[22:23], exec
	v_readlane_b32 s16, v53, 48
	v_readlane_b32 s17, v53, 49
	s_and_b64 s[16:17], s[22:23], s[16:17]
	s_mov_b64 exec, s[16:17]
	s_cbranch_execz .LBB33_268
; %bb.260:                              ;   in Loop: Header=BB33_6 Depth=1
	s_mov_b64 s[30:31], 0
	v_mov_b32_e32 v10, v12
	v_mov_b32_e32 v2, v0
                                        ; implicit-def: $sgpr34_sgpr35
	s_branch .LBB33_262
.LBB33_261:                             ;   in Loop: Header=BB33_262 Depth=2
	s_or_b64 exec, exec, s[16:17]
	s_waitcnt lgkmcnt(0)
	s_barrier
	ds_read_b64 v[18:19], v11 offset:3072
	v_add_u32_e32 v2, s9, v2
	v_cmp_le_u32_e32 vcc, s12, v2
	v_add_u32_e32 v10, s76, v10
	s_waitcnt lgkmcnt(0)
	v_readfirstlane_b32 s16, v18
	s_cmp_lg_u32 s16, 0
	s_cselect_b64 s[16:17], -1, 0
	s_or_b64 s[18:19], vcc, s[16:17]
	s_and_b64 s[18:19], exec, s[18:19]
	s_or_b64 s[30:31], s[18:19], s[30:31]
	s_andn2_b64 s[18:19], s[34:35], exec
	s_and_b64 s[16:17], s[16:17], exec
	s_or_b64 s[34:35], s[18:19], s[16:17]
	s_barrier
	s_andn2_b64 exec, exec, s[30:31]
	s_cbranch_execz .LBB33_267
.LBB33_262:                             ;   Parent Loop BB33_6 Depth=1
                                        ; =>  This Inner Loop Header: Depth=2
	v_cmp_gt_u32_e32 vcc, s60, v2
	s_waitcnt vmcnt(0)
	v_mov_b32_e32 v17, 0
	s_and_saveexec_b64 s[16:17], vcc
	s_cbranch_execz .LBB33_264
; %bb.263:                              ;   in Loop: Header=BB33_262 Depth=2
	v_lshlrev_b64 v[4:5], 2, v[10:11]
	v_mov_b32_e32 v3, s8
	v_add_co_u32_e64 v4, s[18:19], s33, v4
	v_addc_co_u32_e64 v5, s[18:19], v3, v5, s[18:19]
	global_load_dword v17, v[4:5], off
.LBB33_264:                             ;   in Loop: Header=BB33_262 Depth=2
	s_or_b64 exec, exec, s[16:17]
	s_and_saveexec_b64 s[16:17], vcc
	s_cbranch_execz .LBB33_261
; %bb.265:                              ;   in Loop: Header=BB33_262 Depth=2
	s_waitcnt vmcnt(0)
	v_xor_b32_e32 v3, 0x80000000, v17
	v_and_b32_e32 v3, v3, v33
	v_cmp_eq_u32_e32 vcc, v3, v34
	s_and_b64 exec, exec, vcc
	s_cbranch_execz .LBB33_261
; %bb.266:                              ;   in Loop: Header=BB33_262 Depth=2
	ds_write_b64 v11, v[16:17] offset:3072
	s_branch .LBB33_261
.LBB33_267:                             ;   in Loop: Header=BB33_6 Depth=1
	s_or_b64 exec, exec, s[30:31]
	s_and_b64 s[18:19], s[34:35], exec
.LBB33_268:                             ;   in Loop: Header=BB33_6 Depth=1
	s_or_b64 exec, exec, s[22:23]
	s_mov_b64 s[34:35], 0
	s_mov_b64 s[30:31], -1
	s_mov_b64 s[22:23], 0
.LBB33_269:                             ;   in Loop: Header=BB33_6 Depth=1
	s_orn2_b64 s[18:19], s[18:19], exec
.LBB33_270:                             ;   in Loop: Header=BB33_6 Depth=1
	s_or_b64 exec, exec, s[26:27]
                                        ; implicit-def: $vgpr2
                                        ; implicit-def: $vgpr36
                                        ; implicit-def: $vgpr4
                                        ; implicit-def: $vgpr5
                                        ; implicit-def: $vgpr3
	s_and_saveexec_b64 s[26:27], s[18:19]
	s_cbranch_execz .LBB33_405
; %bb.271:                              ;   in Loop: Header=BB33_6 Depth=1
	s_xor_b64 s[28:29], s[28:29], -1
	s_mov_b64 s[16:17], 0
	v_mov_b32_e32 v36, 1
	v_mov_b32_e32 v2, 1
	s_and_saveexec_b64 s[18:19], s[28:29]
	s_cbranch_execz .LBB33_281
; %bb.272:                              ;   in Loop: Header=BB33_6 Depth=1
	v_cmp_ge_u32_e32 vcc, s58, v35
                                        ; implicit-def: $sgpr38
                                        ; implicit-def: $sgpr28_sgpr29
	s_and_saveexec_b64 s[16:17], vcc
	s_xor_b64 s[36:37], exec, s[16:17]
	s_cbranch_execz .LBB33_278
; %bb.273:                              ;   in Loop: Header=BB33_6 Depth=1
	ds_read_b32 v2, v11 offset:4096
	s_waitcnt lgkmcnt(0)
	v_cmp_ne_u32_e32 vcc, 0, v2
	s_cbranch_vccnz .LBB33_277
; %bb.274:                              ;   in Loop: Header=BB33_6 Depth=1
	s_mov_b64 s[16:17], exec
	v_readlane_b32 s28, v53, 14
	v_readlane_b32 s29, v53, 15
	s_and_b64 s[28:29], s[16:17], s[28:29]
	s_mov_b64 exec, s[28:29]
	s_cbranch_execz .LBB33_276
; %bb.275:                              ;   in Loop: Header=BB33_6 Depth=1
	v_mov_b32_e32 v2, s58
	ds_write_b32 v11, v2 offset:4100
.LBB33_276:                             ;   in Loop: Header=BB33_6 Depth=1
	s_or_b64 exec, exec, s[16:17]
	s_waitcnt lgkmcnt(0)
	s_barrier
.LBB33_277:                             ;   in Loop: Header=BB33_6 Depth=1
	v_or_b32_e32 v34, s72, v34
	v_or_b32_e32 v33, s72, v33
	s_mov_b64 s[28:29], 0
	s_mov_b32 s38, 5
.LBB33_278:                             ;   in Loop: Header=BB33_6 Depth=1
	s_or_saveexec_b64 s[16:17], s[36:37]
	v_mov_b32_e32 v2, s38
	s_xor_b64 exec, exec, s[16:17]
; %bb.279:                              ;   in Loop: Header=BB33_6 Depth=1
	v_subrev_u32_e32 v35, s58, v35
	v_mov_b32_e32 v2, 0
	s_or_b64 s[28:29], s[28:29], exec
; %bb.280:                              ;   in Loop: Header=BB33_6 Depth=1
	s_or_b64 exec, exec, s[16:17]
	s_and_b64 s[16:17], s[28:29], exec
	v_mov_b32_e32 v36, v35
.LBB33_281:                             ;   in Loop: Header=BB33_6 Depth=1
	s_or_b64 exec, exec, s[18:19]
	s_mov_b64 s[40:41], -1
                                        ; implicit-def: $sgpr36_sgpr37
                                        ; implicit-def: $sgpr38_sgpr39
                                        ; implicit-def: $sgpr42_sgpr43
	s_and_saveexec_b64 s[18:19], s[16:17]
	s_xor_b64 s[28:29], exec, s[18:19]
	s_cbranch_execz .LBB33_402
; %bb.282:                              ;   in Loop: Header=BB33_6 Depth=1
	s_cmp_eq_u32 s11, 1
	s_cselect_b64 s[16:17], -1, 0
	v_cmp_eq_u32_e32 vcc, 1, v36
	s_and_b64 s[44:45], s[16:17], vcc
	s_mov_b64 s[46:47], -1
                                        ; implicit-def: $sgpr36_sgpr37
                                        ; implicit-def: $sgpr38_sgpr39
                                        ; implicit-def: $sgpr40_sgpr41
	s_and_saveexec_b64 s[42:43], s[44:45]
	s_cbranch_execz .LBB33_308
; %bb.283:                              ;   in Loop: Header=BB33_6 Depth=1
	ds_read_b32 v2, v11 offset:4096
	s_waitcnt lgkmcnt(0)
	s_barrier
	v_readfirstlane_b32 s40, v2
	s_mov_b64 s[16:17], exec
	v_readlane_b32 s18, v53, 32
	v_readlane_b32 s19, v53, 33
	s_and_b64 s[18:19], s[16:17], s[18:19]
	s_mov_b64 exec, s[18:19]
	s_cbranch_execz .LBB33_285
; %bb.284:                              ;   in Loop: Header=BB33_6 Depth=1
	ds_write_b32 v23, v11
.LBB33_285:                             ;   in Loop: Header=BB33_6 Depth=1
	s_or_b64 exec, exec, s[16:17]
	v_and_b32_e32 v2, s5, v34
	v_lshl_or_b32 v34, 2, s10, v2
	v_or_b32_e32 v33, s72, v33
	s_cmp_eq_u32 s40, 0
	s_waitcnt lgkmcnt(0)
	s_barrier
	s_cbranch_scc1 .LBB33_294
; %bb.286:                              ;   in Loop: Header=BB33_6 Depth=1
	v_readlane_b32 s16, v53, 25
	s_add_i32 s16, s40, s16
	v_readlane_b32 s17, v53, 47
	s_mul_hi_u32 s17, s16, s17
	s_mul_i32 s17, s17, s9
	s_sub_i32 s17, s16, s17
	s_sub_i32 s18, s17, s9
	s_cmp_ge_u32 s17, s9
	s_cselect_b32 s17, s18, s17
	s_sub_i32 s18, s17, s9
	s_cmp_ge_u32 s17, s9
	s_cselect_b32 s17, s18, s17
	s_sub_i32 s41, s16, s17
	v_cmp_gt_u32_e32 vcc, s41, v0
	s_mov_b64 s[18:19], 0
                                        ; implicit-def: $vgpr19
	s_and_saveexec_b64 s[36:37], vcc
	s_cbranch_execz .LBB33_296
; %bb.287:                              ;   in Loop: Header=BB33_6 Depth=1
	v_mov_b32_e32 v2, v21
	v_mov_b32_e32 v3, v0
                                        ; implicit-def: $sgpr38_sgpr39
	s_branch .LBB33_289
.LBB33_288:                             ;   in Loop: Header=BB33_289 Depth=2
	s_or_b64 exec, exec, s[16:17]
	s_waitcnt lgkmcnt(0)
	s_barrier
	ds_read_b64 v[18:19], v11 offset:3072
	v_add_u32_e32 v3, s9, v3
	v_cmp_le_u32_e32 vcc, s41, v3
	v_add_u32_e32 v2, s77, v2
	s_waitcnt lgkmcnt(0)
	v_readfirstlane_b32 s16, v18
	s_cmp_lg_u32 s16, 0
	s_cselect_b64 s[16:17], -1, 0
	s_or_b64 s[46:47], vcc, s[16:17]
	s_and_b64 s[46:47], exec, s[46:47]
	s_or_b64 s[18:19], s[46:47], s[18:19]
	s_andn2_b64 s[38:39], s[38:39], exec
	s_and_b64 s[16:17], s[16:17], exec
	s_or_b64 s[38:39], s[38:39], s[16:17]
	s_barrier
	s_andn2_b64 exec, exec, s[18:19]
	s_cbranch_execz .LBB33_295
.LBB33_289:                             ;   Parent Loop BB33_6 Depth=1
                                        ; =>  This Inner Loop Header: Depth=2
	v_cmp_gt_u32_e32 vcc, s40, v3
	s_waitcnt vmcnt(0)
	v_mov_b32_e32 v17, 0
	s_and_saveexec_b64 s[16:17], vcc
	s_cbranch_execz .LBB33_291
; %bb.290:                              ;   in Loop: Header=BB33_289 Depth=2
	ds_read_b32 v17, v2
.LBB33_291:                             ;   in Loop: Header=BB33_289 Depth=2
	s_or_b64 exec, exec, s[16:17]
	s_and_saveexec_b64 s[16:17], vcc
	s_cbranch_execz .LBB33_288
; %bb.292:                              ;   in Loop: Header=BB33_289 Depth=2
	s_waitcnt lgkmcnt(0)
	v_xor_b32_e32 v4, 0x80000000, v17
	v_and_b32_e32 v4, v4, v33
	v_cmp_eq_u32_e32 vcc, v4, v34
	s_and_b64 exec, exec, vcc
	s_cbranch_execz .LBB33_288
; %bb.293:                              ;   in Loop: Header=BB33_289 Depth=2
	ds_write_b64 v11, v[16:17] offset:3072
	s_branch .LBB33_288
.LBB33_294:                             ;   in Loop: Header=BB33_6 Depth=1
	s_mov_b64 s[36:37], -1
	s_mov_b64 s[18:19], 0
                                        ; implicit-def: $sgpr38_sgpr39
                                        ; implicit-def: $vgpr19
	s_mov_b64 s[40:41], s[36:37]
	s_cbranch_execnz .LBB33_297
	s_branch .LBB33_307
.LBB33_295:                             ;   in Loop: Header=BB33_6 Depth=1
	s_or_b64 exec, exec, s[18:19]
	s_and_b64 s[18:19], s[38:39], exec
.LBB33_296:                             ;   in Loop: Header=BB33_6 Depth=1
	s_or_b64 exec, exec, s[36:37]
	s_mov_b64 s[36:37], 0
	s_mov_b64 s[38:39], -1
	s_mov_b64 s[40:41], s[36:37]
	s_branch .LBB33_307
.LBB33_297:                             ;   in Loop: Header=BB33_6 Depth=1
	s_mov_b64 s[18:19], 0
                                        ; implicit-def: $vgpr19
	s_mov_b64 s[36:37], exec
	v_readlane_b32 s16, v53, 48
	v_readlane_b32 s17, v53, 49
	s_and_b64 s[16:17], s[36:37], s[16:17]
	s_mov_b64 exec, s[16:17]
	s_cbranch_execz .LBB33_306
; %bb.298:                              ;   in Loop: Header=BB33_6 Depth=1
	s_mov_b64 s[38:39], 0
	v_mov_b32_e32 v10, v12
	v_mov_b32_e32 v2, v0
                                        ; implicit-def: $sgpr40_sgpr41
	s_branch .LBB33_300
.LBB33_299:                             ;   in Loop: Header=BB33_300 Depth=2
	s_or_b64 exec, exec, s[16:17]
	s_waitcnt lgkmcnt(0)
	s_barrier
	ds_read_b64 v[18:19], v11 offset:3072
	v_add_u32_e32 v2, s9, v2
	v_cmp_le_u32_e32 vcc, s12, v2
	v_add_u32_e32 v10, s76, v10
	s_waitcnt lgkmcnt(0)
	v_readfirstlane_b32 s16, v18
	s_cmp_lg_u32 s16, 0
	s_cselect_b64 s[16:17], -1, 0
	s_or_b64 s[18:19], vcc, s[16:17]
	s_and_b64 s[18:19], exec, s[18:19]
	s_or_b64 s[38:39], s[18:19], s[38:39]
	s_andn2_b64 s[18:19], s[40:41], exec
	s_and_b64 s[16:17], s[16:17], exec
	s_or_b64 s[40:41], s[18:19], s[16:17]
	s_barrier
	s_andn2_b64 exec, exec, s[38:39]
	s_cbranch_execz .LBB33_305
.LBB33_300:                             ;   Parent Loop BB33_6 Depth=1
                                        ; =>  This Inner Loop Header: Depth=2
	v_cmp_gt_u32_e32 vcc, s60, v2
	s_waitcnt vmcnt(0)
	v_mov_b32_e32 v17, 0
	s_and_saveexec_b64 s[16:17], vcc
	s_cbranch_execz .LBB33_302
; %bb.301:                              ;   in Loop: Header=BB33_300 Depth=2
	v_lshlrev_b64 v[4:5], 2, v[10:11]
	v_mov_b32_e32 v3, s8
	v_add_co_u32_e64 v4, s[18:19], s33, v4
	v_addc_co_u32_e64 v5, s[18:19], v3, v5, s[18:19]
	global_load_dword v17, v[4:5], off
.LBB33_302:                             ;   in Loop: Header=BB33_300 Depth=2
	s_or_b64 exec, exec, s[16:17]
	s_and_saveexec_b64 s[16:17], vcc
	s_cbranch_execz .LBB33_299
; %bb.303:                              ;   in Loop: Header=BB33_300 Depth=2
	s_waitcnt vmcnt(0)
	v_xor_b32_e32 v3, 0x80000000, v17
	v_and_b32_e32 v3, v3, v33
	v_cmp_eq_u32_e32 vcc, v3, v34
	s_and_b64 exec, exec, vcc
	s_cbranch_execz .LBB33_299
; %bb.304:                              ;   in Loop: Header=BB33_300 Depth=2
	ds_write_b64 v11, v[16:17] offset:3072
	s_branch .LBB33_299
.LBB33_305:                             ;   in Loop: Header=BB33_6 Depth=1
	s_or_b64 exec, exec, s[38:39]
	s_and_b64 s[18:19], s[40:41], exec
.LBB33_306:                             ;   in Loop: Header=BB33_6 Depth=1
	s_or_b64 exec, exec, s[36:37]
	s_mov_b64 s[38:39], 0
	s_mov_b64 s[36:37], -1
	s_mov_b64 s[40:41], 0
.LBB33_307:                             ;   in Loop: Header=BB33_6 Depth=1
	s_orn2_b64 s[46:47], s[18:19], exec
.LBB33_308:                             ;   in Loop: Header=BB33_6 Depth=1
	s_or_b64 exec, exec, s[42:43]
	s_mov_b64 s[18:19], 0
                                        ; implicit-def: $vgpr2
	s_and_saveexec_b64 s[42:43], s[46:47]
	s_cbranch_execz .LBB33_401
; %bb.309:                              ;   in Loop: Header=BB33_6 Depth=1
	s_xor_b64 s[44:45], s[44:45], -1
	s_mov_b64 s[16:17], 0
	v_mov_b32_e32 v3, 1
	v_mov_b32_e32 v2, 1
	s_and_saveexec_b64 s[18:19], s[44:45]
	s_cbranch_execz .LBB33_319
; %bb.310:                              ;   in Loop: Header=BB33_6 Depth=1
	v_cmp_ge_u32_e32 vcc, s11, v36
                                        ; implicit-def: $sgpr48
                                        ; implicit-def: $sgpr44_sgpr45
	s_and_saveexec_b64 s[16:17], vcc
	s_xor_b64 s[46:47], exec, s[16:17]
	s_cbranch_execz .LBB33_316
; %bb.311:                              ;   in Loop: Header=BB33_6 Depth=1
	ds_read_b32 v2, v11 offset:4096
	s_waitcnt lgkmcnt(0)
	v_cmp_ne_u32_e32 vcc, 0, v2
	s_cbranch_vccnz .LBB33_315
; %bb.312:                              ;   in Loop: Header=BB33_6 Depth=1
	s_mov_b64 s[16:17], exec
	v_readlane_b32 s44, v53, 14
	v_readlane_b32 s45, v53, 15
	s_and_b64 s[44:45], s[16:17], s[44:45]
	s_mov_b64 exec, s[44:45]
	s_cbranch_execz .LBB33_314
; %bb.313:                              ;   in Loop: Header=BB33_6 Depth=1
	v_mov_b32_e32 v2, s11
	ds_write_b32 v11, v2 offset:4100
.LBB33_314:                             ;   in Loop: Header=BB33_6 Depth=1
	s_or_b64 exec, exec, s[16:17]
	s_waitcnt lgkmcnt(0)
	s_barrier
.LBB33_315:                             ;   in Loop: Header=BB33_6 Depth=1
	v_and_b32_e32 v2, s5, v34
	v_lshl_or_b32 v34, 2, s10, v2
	v_or_b32_e32 v33, s72, v33
	s_mov_b64 s[44:45], 0
	s_mov_b32 s48, 5
.LBB33_316:                             ;   in Loop: Header=BB33_6 Depth=1
	s_or_saveexec_b64 s[16:17], s[46:47]
	v_mov_b32_e32 v2, s48
	s_xor_b64 exec, exec, s[16:17]
; %bb.317:                              ;   in Loop: Header=BB33_6 Depth=1
	v_subrev_u32_e32 v36, s11, v36
	v_mov_b32_e32 v2, 0
	s_or_b64 s[44:45], s[44:45], exec
; %bb.318:                              ;   in Loop: Header=BB33_6 Depth=1
	s_or_b64 exec, exec, s[16:17]
	s_and_b64 s[16:17], s[44:45], exec
	v_mov_b32_e32 v3, v36
.LBB33_319:                             ;   in Loop: Header=BB33_6 Depth=1
	s_or_b64 exec, exec, s[18:19]
	s_mov_b64 s[18:19], -1
                                        ; implicit-def: $sgpr46_sgpr47
                                        ; implicit-def: $sgpr48_sgpr49
                                        ; implicit-def: $sgpr52_sgpr53
	s_and_saveexec_b64 s[44:45], s[16:17]
	s_cbranch_execz .LBB33_400
; %bb.320:                              ;   in Loop: Header=BB33_6 Depth=1
	s_cmp_eq_u32 s4, 1
	s_cselect_b64 s[16:17], -1, 0
	v_cmp_eq_u32_e32 vcc, 1, v3
	s_and_b64 s[54:55], s[16:17], vcc
	s_mov_b64 s[56:57], -1
                                        ; implicit-def: $sgpr46_sgpr47
                                        ; implicit-def: $sgpr48_sgpr49
                                        ; implicit-def: $sgpr50_sgpr51
	s_and_saveexec_b64 s[52:53], s[54:55]
	s_cbranch_execz .LBB33_346
; %bb.321:                              ;   in Loop: Header=BB33_6 Depth=1
	ds_read_b32 v2, v11 offset:4096
	s_waitcnt lgkmcnt(0)
	s_barrier
	v_readfirstlane_b32 s11, v2
	s_mov_b64 s[16:17], exec
	v_readlane_b32 s18, v53, 32
	v_readlane_b32 s19, v53, 33
	s_and_b64 s[18:19], s[16:17], s[18:19]
	s_mov_b64 exec, s[18:19]
	s_cbranch_execz .LBB33_323
; %bb.322:                              ;   in Loop: Header=BB33_6 Depth=1
	ds_write_b32 v23, v11
.LBB33_323:                             ;   in Loop: Header=BB33_6 Depth=1
	s_or_b64 exec, exec, s[16:17]
	v_and_b32_e32 v2, s5, v34
	v_lshl_or_b32 v34, 1, s10, v2
	v_or_b32_e32 v33, s72, v33
	s_cmp_eq_u32 s11, 0
	s_waitcnt lgkmcnt(0)
	s_barrier
	s_cbranch_scc1 .LBB33_332
; %bb.324:                              ;   in Loop: Header=BB33_6 Depth=1
	v_readlane_b32 s16, v53, 25
	s_add_i32 s16, s11, s16
	v_readlane_b32 s17, v53, 47
	s_mul_hi_u32 s17, s16, s17
	s_mul_i32 s17, s17, s9
	s_sub_i32 s17, s16, s17
	s_sub_i32 s18, s17, s9
	s_cmp_ge_u32 s17, s9
	s_cselect_b32 s17, s18, s17
	s_sub_i32 s18, s17, s9
	s_cmp_ge_u32 s17, s9
	s_cselect_b32 s17, s18, s17
	s_sub_i32 s50, s16, s17
	v_cmp_gt_u32_e32 vcc, s50, v0
	s_mov_b64 s[18:19], 0
                                        ; implicit-def: $vgpr19
	s_and_saveexec_b64 s[46:47], vcc
	s_cbranch_execz .LBB33_334
; %bb.325:                              ;   in Loop: Header=BB33_6 Depth=1
	v_mov_b32_e32 v2, v21
	v_mov_b32_e32 v4, v0
                                        ; implicit-def: $sgpr48_sgpr49
	s_branch .LBB33_327
.LBB33_326:                             ;   in Loop: Header=BB33_327 Depth=2
	s_or_b64 exec, exec, s[16:17]
	s_waitcnt lgkmcnt(0)
	s_barrier
	ds_read_b64 v[18:19], v11 offset:3072
	v_add_u32_e32 v4, s9, v4
	v_cmp_le_u32_e32 vcc, s50, v4
	v_add_u32_e32 v2, s77, v2
	s_waitcnt lgkmcnt(0)
	v_readfirstlane_b32 s16, v18
	s_cmp_lg_u32 s16, 0
	s_cselect_b64 s[16:17], -1, 0
	s_or_b64 s[56:57], vcc, s[16:17]
	s_and_b64 s[56:57], exec, s[56:57]
	s_or_b64 s[18:19], s[56:57], s[18:19]
	s_andn2_b64 s[48:49], s[48:49], exec
	s_and_b64 s[16:17], s[16:17], exec
	s_or_b64 s[48:49], s[48:49], s[16:17]
	s_barrier
	s_andn2_b64 exec, exec, s[18:19]
	s_cbranch_execz .LBB33_333
.LBB33_327:                             ;   Parent Loop BB33_6 Depth=1
                                        ; =>  This Inner Loop Header: Depth=2
	v_cmp_gt_u32_e32 vcc, s11, v4
	s_waitcnt vmcnt(0)
	v_mov_b32_e32 v17, 0
	s_and_saveexec_b64 s[16:17], vcc
	s_cbranch_execz .LBB33_329
; %bb.328:                              ;   in Loop: Header=BB33_327 Depth=2
	ds_read_b32 v17, v2
.LBB33_329:                             ;   in Loop: Header=BB33_327 Depth=2
	s_or_b64 exec, exec, s[16:17]
	s_and_saveexec_b64 s[16:17], vcc
	s_cbranch_execz .LBB33_326
; %bb.330:                              ;   in Loop: Header=BB33_327 Depth=2
	s_waitcnt lgkmcnt(0)
	v_xor_b32_e32 v5, 0x80000000, v17
	v_and_b32_e32 v5, v5, v33
	v_cmp_eq_u32_e32 vcc, v5, v34
	s_and_b64 exec, exec, vcc
	s_cbranch_execz .LBB33_326
; %bb.331:                              ;   in Loop: Header=BB33_327 Depth=2
	ds_write_b64 v11, v[16:17] offset:3072
	s_branch .LBB33_326
.LBB33_332:                             ;   in Loop: Header=BB33_6 Depth=1
	s_mov_b64 s[46:47], -1
	s_mov_b64 s[18:19], 0
                                        ; implicit-def: $sgpr48_sgpr49
                                        ; implicit-def: $vgpr19
	s_mov_b64 s[50:51], s[46:47]
	s_cbranch_execnz .LBB33_335
	s_branch .LBB33_345
.LBB33_333:                             ;   in Loop: Header=BB33_6 Depth=1
	s_or_b64 exec, exec, s[18:19]
	s_and_b64 s[18:19], s[48:49], exec
.LBB33_334:                             ;   in Loop: Header=BB33_6 Depth=1
	s_or_b64 exec, exec, s[46:47]
	s_mov_b64 s[46:47], 0
	s_mov_b64 s[48:49], -1
	s_mov_b64 s[50:51], s[46:47]
	s_branch .LBB33_345
.LBB33_335:                             ;   in Loop: Header=BB33_6 Depth=1
	s_mov_b64 s[18:19], 0
                                        ; implicit-def: $vgpr19
	s_mov_b64 s[46:47], exec
	v_readlane_b32 s16, v53, 48
	v_readlane_b32 s17, v53, 49
	s_and_b64 s[16:17], s[46:47], s[16:17]
	s_mov_b64 exec, s[16:17]
	s_cbranch_execz .LBB33_344
; %bb.336:                              ;   in Loop: Header=BB33_6 Depth=1
	s_mov_b64 s[48:49], 0
	v_mov_b32_e32 v10, v12
	v_mov_b32_e32 v2, v0
                                        ; implicit-def: $sgpr50_sgpr51
	s_branch .LBB33_338
.LBB33_337:                             ;   in Loop: Header=BB33_338 Depth=2
	s_or_b64 exec, exec, s[16:17]
	s_waitcnt lgkmcnt(0)
	s_barrier
	ds_read_b64 v[18:19], v11 offset:3072
	v_add_u32_e32 v2, s9, v2
	v_cmp_le_u32_e32 vcc, s12, v2
	v_add_u32_e32 v10, s76, v10
	s_waitcnt lgkmcnt(0)
	v_readfirstlane_b32 s11, v18
	s_cmp_lg_u32 s11, 0
	s_cselect_b64 s[16:17], -1, 0
	s_or_b64 s[18:19], vcc, s[16:17]
	s_and_b64 s[18:19], exec, s[18:19]
	s_or_b64 s[48:49], s[18:19], s[48:49]
	s_andn2_b64 s[18:19], s[50:51], exec
	s_and_b64 s[16:17], s[16:17], exec
	s_or_b64 s[50:51], s[18:19], s[16:17]
	s_barrier
	s_andn2_b64 exec, exec, s[48:49]
	s_cbranch_execz .LBB33_343
.LBB33_338:                             ;   Parent Loop BB33_6 Depth=1
                                        ; =>  This Inner Loop Header: Depth=2
	v_cmp_gt_u32_e32 vcc, s60, v2
	s_waitcnt vmcnt(0)
	v_mov_b32_e32 v17, 0
	s_and_saveexec_b64 s[16:17], vcc
	s_cbranch_execz .LBB33_340
; %bb.339:                              ;   in Loop: Header=BB33_338 Depth=2
	v_lshlrev_b64 v[4:5], 2, v[10:11]
	v_mov_b32_e32 v17, s8
	v_add_co_u32_e64 v4, s[18:19], s33, v4
	v_addc_co_u32_e64 v5, s[18:19], v17, v5, s[18:19]
	global_load_dword v17, v[4:5], off
.LBB33_340:                             ;   in Loop: Header=BB33_338 Depth=2
	s_or_b64 exec, exec, s[16:17]
	s_and_saveexec_b64 s[16:17], vcc
	s_cbranch_execz .LBB33_337
; %bb.341:                              ;   in Loop: Header=BB33_338 Depth=2
	s_waitcnt vmcnt(0)
	v_xor_b32_e32 v4, 0x80000000, v17
	v_and_b32_e32 v4, v4, v33
	v_cmp_eq_u32_e32 vcc, v4, v34
	s_and_b64 exec, exec, vcc
	s_cbranch_execz .LBB33_337
; %bb.342:                              ;   in Loop: Header=BB33_338 Depth=2
	ds_write_b64 v11, v[16:17] offset:3072
	s_branch .LBB33_337
.LBB33_343:                             ;   in Loop: Header=BB33_6 Depth=1
	s_or_b64 exec, exec, s[48:49]
	s_and_b64 s[18:19], s[50:51], exec
.LBB33_344:                             ;   in Loop: Header=BB33_6 Depth=1
	s_or_b64 exec, exec, s[46:47]
	s_mov_b64 s[48:49], 0
	s_mov_b64 s[46:47], -1
	s_mov_b64 s[50:51], 0
.LBB33_345:                             ;   in Loop: Header=BB33_6 Depth=1
	s_orn2_b64 s[56:57], s[18:19], exec
.LBB33_346:                             ;   in Loop: Header=BB33_6 Depth=1
	s_or_b64 exec, exec, s[52:53]
	s_mov_b64 s[18:19], 0
                                        ; implicit-def: $vgpr2
	s_and_saveexec_b64 s[52:53], s[56:57]
	s_cbranch_execz .LBB33_399
; %bb.347:                              ;   in Loop: Header=BB33_6 Depth=1
	s_xor_b64 s[54:55], s[54:55], -1
	s_mov_b64 s[16:17], 0
	v_mov_b32_e32 v4, 1
	v_mov_b32_e32 v2, 1
	s_and_saveexec_b64 s[18:19], s[54:55]
	s_cbranch_execz .LBB33_357
; %bb.348:                              ;   in Loop: Header=BB33_6 Depth=1
	v_cmp_ge_u32_e32 vcc, s4, v3
                                        ; implicit-def: $sgpr11
                                        ; implicit-def: $sgpr54_sgpr55
	s_and_saveexec_b64 s[16:17], vcc
	s_xor_b64 s[56:57], exec, s[16:17]
	s_cbranch_execz .LBB33_354
; %bb.349:                              ;   in Loop: Header=BB33_6 Depth=1
	ds_read_b32 v2, v11 offset:4096
	s_waitcnt lgkmcnt(0)
	v_cmp_ne_u32_e32 vcc, 0, v2
	s_cbranch_vccnz .LBB33_353
; %bb.350:                              ;   in Loop: Header=BB33_6 Depth=1
	s_mov_b64 s[16:17], exec
	v_readlane_b32 s54, v53, 14
	v_readlane_b32 s55, v53, 15
	s_and_b64 s[54:55], s[16:17], s[54:55]
	s_mov_b64 exec, s[54:55]
	s_cbranch_execz .LBB33_352
; %bb.351:                              ;   in Loop: Header=BB33_6 Depth=1
	v_mov_b32_e32 v2, s4
	ds_write_b32 v11, v2 offset:4100
.LBB33_352:                             ;   in Loop: Header=BB33_6 Depth=1
	s_or_b64 exec, exec, s[16:17]
	s_waitcnt lgkmcnt(0)
	s_barrier
.LBB33_353:                             ;   in Loop: Header=BB33_6 Depth=1
	v_and_b32_e32 v2, s5, v34
	v_lshl_or_b32 v34, 1, s10, v2
	v_or_b32_e32 v33, s72, v33
	s_mov_b64 s[54:55], 0
	s_mov_b32 s11, 5
.LBB33_354:                             ;   in Loop: Header=BB33_6 Depth=1
	s_or_saveexec_b64 s[16:17], s[56:57]
	v_mov_b32_e32 v2, s11
	s_xor_b64 exec, exec, s[16:17]
; %bb.355:                              ;   in Loop: Header=BB33_6 Depth=1
	v_subrev_u32_e32 v3, s4, v3
	v_mov_b32_e32 v2, 0
	s_or_b64 s[54:55], s[54:55], exec
; %bb.356:                              ;   in Loop: Header=BB33_6 Depth=1
	s_or_b64 exec, exec, s[16:17]
	s_and_b64 s[16:17], s[54:55], exec
	v_mov_b32_e32 v4, v3
.LBB33_357:                             ;   in Loop: Header=BB33_6 Depth=1
	s_or_b64 exec, exec, s[18:19]
	s_mov_b64 s[56:57], -1
                                        ; implicit-def: $sgpr18_sgpr19
                                        ; implicit-def: $sgpr80_sgpr81
                                        ; implicit-def: $sgpr82_sgpr83
	s_and_saveexec_b64 s[54:55], s[16:17]
	s_cbranch_execz .LBB33_398
; %bb.358:                              ;   in Loop: Header=BB33_6 Depth=1
	s_cmp_eq_u32 s73, 1
	s_cselect_b64 s[10:11], -1, 0
	v_cmp_eq_u32_e32 vcc, 1, v4
	s_mov_b64 s[16:17], -1
	s_and_b64 s[10:11], s[10:11], vcc
                                        ; implicit-def: $sgpr18_sgpr19
                                        ; implicit-def: $sgpr80_sgpr81
                                        ; implicit-def: $sgpr82_sgpr83
	s_mov_b64 s[58:59], exec
	v_writelane_b32 v53, s10, 51
	v_writelane_b32 v53, s11, 52
	s_and_b64 s[10:11], s[58:59], s[10:11]
	s_mov_b64 exec, s[10:11]
	s_cbranch_execz .LBB33_385
; %bb.359:                              ;   in Loop: Header=BB33_6 Depth=1
	ds_read_b32 v2, v11 offset:4096
	s_waitcnt lgkmcnt(0)
	s_barrier
	v_readfirstlane_b32 s4, v2
	s_mov_b64 s[16:17], exec
	v_readlane_b32 s10, v53, 32
	v_readlane_b32 s11, v53, 33
	s_and_b64 s[10:11], s[16:17], s[10:11]
	s_mov_b64 exec, s[10:11]
	s_cbranch_execz .LBB33_361
; %bb.360:                              ;   in Loop: Header=BB33_6 Depth=1
	ds_write_b32 v23, v11
.LBB33_361:                             ;   in Loop: Header=BB33_6 Depth=1
	s_or_b64 exec, exec, s[16:17]
	v_and_b32_e32 v34, s5, v34
	v_or_b32_e32 v33, s72, v33
	s_cmp_eq_u32 s4, 0
	s_waitcnt lgkmcnt(0)
	s_barrier
	s_cbranch_scc1 .LBB33_370
; %bb.362:                              ;   in Loop: Header=BB33_6 Depth=1
	v_readlane_b32 s10, v53, 25
	s_add_i32 s10, s4, s10
	v_readlane_b32 s11, v53, 47
	s_mul_hi_u32 s11, s10, s11
	s_mul_i32 s11, s11, s9
	s_sub_i32 s11, s10, s11
	s_sub_i32 s16, s11, s9
	s_cmp_ge_u32 s11, s9
	s_cselect_b32 s11, s16, s11
	s_sub_i32 s16, s11, s9
	s_cmp_ge_u32 s11, s9
	s_cselect_b32 s11, s16, s11
	s_sub_i32 s10, s10, s11
	v_cmp_gt_u32_e32 vcc, s10, v0
	s_mov_b64 s[56:57], 0
                                        ; implicit-def: $vgpr19
	s_and_saveexec_b64 s[18:19], vcc
	s_cbranch_execz .LBB33_372
; %bb.363:                              ;   in Loop: Header=BB33_6 Depth=1
	v_mov_b32_e32 v2, v21
	v_mov_b32_e32 v3, v0
                                        ; implicit-def: $sgpr80_sgpr81
	s_branch .LBB33_365
.LBB33_364:                             ;   in Loop: Header=BB33_365 Depth=2
	s_or_b64 exec, exec, s[16:17]
	s_waitcnt lgkmcnt(0)
	s_barrier
	ds_read_b64 v[18:19], v11 offset:3072
	v_add_u32_e32 v3, s9, v3
	v_cmp_le_u32_e32 vcc, s10, v3
	v_add_u32_e32 v2, s77, v2
	s_waitcnt lgkmcnt(0)
	v_readfirstlane_b32 s11, v18
	s_cmp_lg_u32 s11, 0
	s_cselect_b64 s[16:17], -1, 0
	s_or_b64 s[82:83], vcc, s[16:17]
	s_and_b64 s[82:83], exec, s[82:83]
	s_or_b64 s[56:57], s[82:83], s[56:57]
	s_andn2_b64 s[80:81], s[80:81], exec
	s_and_b64 s[16:17], s[16:17], exec
	s_or_b64 s[80:81], s[80:81], s[16:17]
	s_barrier
	s_andn2_b64 exec, exec, s[56:57]
	s_cbranch_execz .LBB33_371
.LBB33_365:                             ;   Parent Loop BB33_6 Depth=1
                                        ; =>  This Inner Loop Header: Depth=2
	v_cmp_gt_u32_e32 vcc, s4, v3
	s_waitcnt vmcnt(0)
	v_mov_b32_e32 v17, 0
	s_and_saveexec_b64 s[16:17], vcc
	s_cbranch_execz .LBB33_367
; %bb.366:                              ;   in Loop: Header=BB33_365 Depth=2
	ds_read_b32 v17, v2
.LBB33_367:                             ;   in Loop: Header=BB33_365 Depth=2
	s_or_b64 exec, exec, s[16:17]
	s_and_saveexec_b64 s[16:17], vcc
	s_cbranch_execz .LBB33_364
; %bb.368:                              ;   in Loop: Header=BB33_365 Depth=2
	s_waitcnt lgkmcnt(0)
	v_xor_b32_e32 v5, 0x80000000, v17
	v_and_b32_e32 v5, v5, v33
	v_cmp_eq_u32_e32 vcc, v5, v34
	s_and_b64 exec, exec, vcc
	s_cbranch_execz .LBB33_364
; %bb.369:                              ;   in Loop: Header=BB33_365 Depth=2
	ds_write_b64 v11, v[16:17] offset:3072
	s_branch .LBB33_364
.LBB33_370:                             ;   in Loop: Header=BB33_6 Depth=1
	s_mov_b64 s[18:19], -1
	s_mov_b64 s[56:57], 0
                                        ; implicit-def: $sgpr80_sgpr81
                                        ; implicit-def: $vgpr19
	s_branch .LBB33_373
.LBB33_371:                             ;   in Loop: Header=BB33_6 Depth=1
	s_or_b64 exec, exec, s[56:57]
	s_and_b64 s[56:57], s[80:81], exec
.LBB33_372:                             ;   in Loop: Header=BB33_6 Depth=1
	s_or_b64 exec, exec, s[18:19]
	s_mov_b64 s[18:19], 0
	s_mov_b64 s[80:81], -1
.LBB33_373:                             ;   in Loop: Header=BB33_6 Depth=1
	s_and_b64 vcc, exec, s[18:19]
	s_mov_b64 s[82:83], s[18:19]
	s_cbranch_vccz .LBB33_384
; %bb.374:                              ;   in Loop: Header=BB33_6 Depth=1
	s_mov_b64 s[56:57], 0
                                        ; implicit-def: $vgpr19
	s_mov_b64 s[80:81], exec
	v_readlane_b32 s10, v53, 48
	v_readlane_b32 s11, v53, 49
	s_and_b64 s[10:11], s[80:81], s[10:11]
	s_mov_b64 exec, s[10:11]
	s_cbranch_execz .LBB33_383
; %bb.375:                              ;   in Loop: Header=BB33_6 Depth=1
	v_mov_b32_e32 v10, v12
	v_mov_b32_e32 v2, v0
                                        ; implicit-def: $sgpr82_sgpr83
	s_branch .LBB33_377
.LBB33_376:                             ;   in Loop: Header=BB33_377 Depth=2
	s_or_b64 exec, exec, s[16:17]
	s_waitcnt lgkmcnt(0)
	s_barrier
	ds_read_b64 v[18:19], v11 offset:3072
	v_add_u32_e32 v2, s9, v2
	v_cmp_le_u32_e32 vcc, s12, v2
	v_add_u32_e32 v10, s76, v10
	s_waitcnt lgkmcnt(0)
	v_readfirstlane_b32 s4, v18
	s_cmp_lg_u32 s4, 0
	s_cselect_b64 s[10:11], -1, 0
	s_or_b64 s[16:17], vcc, s[10:11]
	s_and_b64 s[16:17], exec, s[16:17]
	s_or_b64 s[56:57], s[16:17], s[56:57]
	s_andn2_b64 s[16:17], s[82:83], exec
	s_and_b64 s[10:11], s[10:11], exec
	s_or_b64 s[82:83], s[16:17], s[10:11]
	s_barrier
	s_andn2_b64 exec, exec, s[56:57]
	s_cbranch_execz .LBB33_382
.LBB33_377:                             ;   Parent Loop BB33_6 Depth=1
                                        ; =>  This Inner Loop Header: Depth=2
	v_cmp_gt_u32_e32 vcc, s60, v2
	s_waitcnt vmcnt(0)
	v_mov_b32_e32 v17, 0
	s_and_saveexec_b64 s[16:17], vcc
	s_cbranch_execz .LBB33_379
; %bb.378:                              ;   in Loop: Header=BB33_377 Depth=2
	v_lshlrev_b64 v[18:19], 2, v[10:11]
	v_mov_b32_e32 v3, s8
	v_add_co_u32_e64 v18, s[18:19], s33, v18
	v_addc_co_u32_e64 v19, s[18:19], v3, v19, s[18:19]
	global_load_dword v17, v[18:19], off
.LBB33_379:                             ;   in Loop: Header=BB33_377 Depth=2
	s_or_b64 exec, exec, s[16:17]
	s_and_saveexec_b64 s[16:17], vcc
	s_cbranch_execz .LBB33_376
; %bb.380:                              ;   in Loop: Header=BB33_377 Depth=2
	s_waitcnt vmcnt(0)
	v_xor_b32_e32 v3, 0x80000000, v17
	v_and_b32_e32 v3, v3, v33
	v_cmp_eq_u32_e32 vcc, v3, v34
	s_and_b64 exec, exec, vcc
	s_cbranch_execz .LBB33_376
; %bb.381:                              ;   in Loop: Header=BB33_377 Depth=2
	ds_write_b64 v11, v[16:17] offset:3072
	s_branch .LBB33_376
.LBB33_382:                             ;   in Loop: Header=BB33_6 Depth=1
	s_or_b64 exec, exec, s[56:57]
	s_and_b64 s[56:57], s[82:83], exec
.LBB33_383:                             ;   in Loop: Header=BB33_6 Depth=1
	s_or_b64 exec, exec, s[80:81]
	s_mov_b64 s[80:81], 0
	s_mov_b64 s[18:19], -1
	s_mov_b64 s[82:83], 0
.LBB33_384:                             ;   in Loop: Header=BB33_6 Depth=1
	s_orn2_b64 s[16:17], s[56:57], exec
.LBB33_385:                             ;   in Loop: Header=BB33_6 Depth=1
	s_or_b64 exec, exec, s[58:59]
	s_mov_b64 s[56:57], 0
                                        ; implicit-def: $vgpr2
                                        ; implicit-def: $vgpr3
	s_and_saveexec_b64 s[58:59], s[16:17]
	s_cbranch_execz .LBB33_397
; %bb.386:                              ;   in Loop: Header=BB33_6 Depth=1
	v_readlane_b32 s10, v53, 51
	v_readlane_b32 s11, v53, 52
	s_xor_b64 s[10:11], s[10:11], -1
	v_mov_b32_e32 v2, 1
	v_mov_b32_e32 v3, 1
	s_and_saveexec_b64 s[56:57], s[10:11]
	s_cbranch_execz .LBB33_396
; %bb.387:                              ;   in Loop: Header=BB33_6 Depth=1
	v_cmp_ge_u32_e32 vcc, s73, v4
                                        ; implicit-def: $sgpr4
	s_and_saveexec_b64 s[10:11], vcc
	s_xor_b64 s[16:17], exec, s[10:11]
	s_cbranch_execz .LBB33_393
; %bb.388:                              ;   in Loop: Header=BB33_6 Depth=1
	ds_read_b32 v2, v11 offset:4096
	s_waitcnt lgkmcnt(0)
	v_cmp_ne_u32_e32 vcc, 0, v2
	s_cbranch_vccnz .LBB33_392
; %bb.389:                              ;   in Loop: Header=BB33_6 Depth=1
	s_mov_b64 vcc, exec
	v_readlane_b32 s10, v53, 14
	v_readlane_b32 s11, v53, 15
	s_and_b64 s[10:11], vcc, s[10:11]
	s_mov_b64 exec, s[10:11]
	s_cbranch_execz .LBB33_391
; %bb.390:                              ;   in Loop: Header=BB33_6 Depth=1
	v_mov_b32_e32 v2, s73
	ds_write_b32 v11, v2 offset:4100
.LBB33_391:                             ;   in Loop: Header=BB33_6 Depth=1
	s_or_b64 exec, exec, vcc
	s_waitcnt lgkmcnt(0)
	s_barrier
.LBB33_392:                             ;   in Loop: Header=BB33_6 Depth=1
	v_and_b32_e32 v34, s5, v34
	v_or_b32_e32 v33, s72, v33
	s_mov_b32 s4, 5
.LBB33_393:                             ;   in Loop: Header=BB33_6 Depth=1
	s_or_saveexec_b64 s[16:17], s[16:17]
	v_mov_b32_e32 v2, s4
	s_xor_b64 exec, exec, s[16:17]
; %bb.394:                              ;   in Loop: Header=BB33_6 Depth=1
	v_subrev_u32_e32 v4, s73, v4
	v_mov_b32_e32 v2, 5
; %bb.395:                              ;   in Loop: Header=BB33_6 Depth=1
	s_or_b64 exec, exec, s[16:17]
	v_mov_b32_e32 v3, v4
.LBB33_396:                             ;   in Loop: Header=BB33_6 Depth=1
	s_or_b64 exec, exec, s[56:57]
	s_mov_b64 s[56:57], exec
.LBB33_397:                             ;   in Loop: Header=BB33_6 Depth=1
	s_or_b64 exec, exec, s[58:59]
	s_orn2_b64 s[56:57], s[56:57], exec
	v_mov_b32_e32 v4, v3
.LBB33_398:                             ;   in Loop: Header=BB33_6 Depth=1
	s_or_b64 exec, exec, s[54:55]
	s_andn2_b64 s[4:5], s[46:47], exec
	s_and_b64 s[10:11], s[18:19], exec
	s_or_b64 s[46:47], s[4:5], s[10:11]
	s_andn2_b64 s[4:5], s[48:49], exec
	s_and_b64 s[10:11], s[80:81], exec
	s_or_b64 s[48:49], s[4:5], s[10:11]
	;; [unrolled: 3-line block ×3, first 2 shown]
	s_and_b64 s[18:19], s[56:57], exec
	v_mov_b32_e32 v3, v4
.LBB33_399:                             ;   in Loop: Header=BB33_6 Depth=1
	s_or_b64 exec, exec, s[52:53]
	s_and_b64 s[52:53], s[46:47], exec
	s_and_b64 s[48:49], s[48:49], exec
	;; [unrolled: 1-line block ×3, first 2 shown]
	s_orn2_b64 s[18:19], s[18:19], exec
.LBB33_400:                             ;   in Loop: Header=BB33_6 Depth=1
	s_or_b64 exec, exec, s[44:45]
	s_andn2_b64 s[4:5], s[36:37], exec
	s_and_b64 s[10:11], s[52:53], exec
	s_or_b64 s[36:37], s[4:5], s[10:11]
	s_andn2_b64 s[4:5], s[38:39], exec
	s_and_b64 s[10:11], s[48:49], exec
	s_or_b64 s[38:39], s[4:5], s[10:11]
	;; [unrolled: 3-line block ×3, first 2 shown]
	s_and_b64 s[18:19], s[18:19], exec
	v_mov_b32_e32 v36, v3
.LBB33_401:                             ;   in Loop: Header=BB33_6 Depth=1
	s_or_b64 exec, exec, s[42:43]
	s_and_b64 s[42:43], s[36:37], exec
	s_and_b64 s[38:39], s[38:39], exec
	;; [unrolled: 1-line block ×3, first 2 shown]
	s_orn2_b64 s[40:41], s[18:19], exec
.LBB33_402:                             ;   in Loop: Header=BB33_6 Depth=1
	s_or_b64 exec, exec, s[28:29]
	s_mov_b64 s[18:19], s[24:25]
	s_mov_b64 s[28:29], s[20:21]
	s_and_saveexec_b64 s[16:17], s[40:41]
; %bb.403:                              ;   in Loop: Header=BB33_6 Depth=1
	v_cmp_ne_u32_e64 s[18:19], 5, v2
	v_cmp_eq_u32_e32 vcc, 5, v2
	s_andn2_b64 s[4:5], s[20:21], exec
	s_and_b64 s[10:11], s[18:19], exec
	s_or_b64 s[28:29], s[4:5], s[10:11]
	s_andn2_b64 s[4:5], s[24:25], exec
	s_and_b64 s[10:11], vcc, exec
	s_andn2_b64 s[42:43], s[42:43], exec
	s_andn2_b64 s[38:39], s[38:39], exec
	;; [unrolled: 1-line block ×3, first 2 shown]
	s_or_b64 s[18:19], s[4:5], s[10:11]
; %bb.404:                              ;   in Loop: Header=BB33_6 Depth=1
	s_or_b64 exec, exec, s[16:17]
	s_andn2_b64 s[4:5], s[30:31], exec
	s_and_b64 s[10:11], s[42:43], exec
	s_or_b64 s[30:31], s[4:5], s[10:11]
	s_andn2_b64 s[4:5], s[34:35], exec
	s_and_b64 s[10:11], s[38:39], exec
	s_or_b64 s[34:35], s[4:5], s[10:11]
	;; [unrolled: 3-line block ×5, first 2 shown]
	v_mov_b32_e32 v4, v34
	v_mov_b32_e32 v5, v33
	;; [unrolled: 1-line block ×3, first 2 shown]
.LBB33_405:                             ;   in Loop: Header=BB33_6 Depth=1
	s_or_b64 exec, exec, s[26:27]
	s_mov_b64 s[28:29], s[22:23]
	s_mov_b64 s[26:27], s[22:23]
	s_and_saveexec_b64 s[16:17], s[24:25]
.LBB33_406:                             ;   in Loop: Header=BB33_6 Depth=1
	v_mov_b32_e32 v2, 0
	s_andn2_b64 s[22:23], s[22:23], exec
	s_andn2_b64 s[30:31], s[30:31], exec
	;; [unrolled: 1-line block ×5, first 2 shown]
	s_or_b64 s[20:21], s[20:21], exec
.LBB33_407:                             ;   in Loop: Header=BB33_6 Depth=1
	s_or_b64 exec, exec, s[16:17]
	s_andn2_b64 s[4:5], s[88:89], exec
	s_and_b64 s[10:11], s[22:23], exec
	s_or_b64 s[88:89], s[4:5], s[10:11]
	s_andn2_b64 s[4:5], s[86:87], exec
	s_and_b64 s[10:11], s[30:31], exec
	s_or_b64 s[86:87], s[4:5], s[10:11]
	;; [unrolled: 3-line block ×4, first 2 shown]
	s_andn2_b64 s[4:5], s[70:71], exec
	s_and_b64 s[10:11], s[26:27], exec
	s_mov_b64 s[24:25], -1
	s_or_b64 s[70:71], s[4:5], s[10:11]
                                        ; implicit-def: $vgpr33
                                        ; implicit-def: $vgpr34
                                        ; implicit-def: $vgpr35
                                        ; implicit-def: $vgpr19
	s_and_saveexec_b64 s[4:5], s[20:21]
	s_xor_b64 s[18:19], exec, s[4:5]
	s_cbranch_execz .LBB33_5
; %bb.408:                              ;   in Loop: Header=BB33_6 Depth=1
	v_cmp_eq_u32_e32 vcc, 0, v2
	s_mov_b64 s[20:21], -1
	s_mov_b64 s[16:17], -1
	s_and_saveexec_b64 s[22:23], vcc
	s_cbranch_execz .LBB33_4
; %bb.409:                              ;   in Loop: Header=BB33_6 Depth=1
	s_xor_b32 s78, s78, 1
	s_add_i32 s10, s7, -2
	s_cmp_eq_u32 s7, 0
	s_cselect_b64 s[4:5], -1, 0
	s_xor_b64 s[16:17], exec, -1
	s_orn2_b64 s[20:21], s[4:5], exec
	s_mov_b32 s7, s10
	s_branch .LBB33_4
.LBB33_410:
	s_or_b64 exec, exec, s[90:91]
	s_xor_b64 s[16:17], s[68:69], -1
	s_xor_b64 s[20:21], s[66:67], -1
	;; [unrolled: 1-line block ×5, first 2 shown]
	s_mov_b64 s[12:13], 0
	s_and_saveexec_b64 s[6:7], s[4:5]
	s_xor_b64 s[10:11], exec, s[6:7]
	s_cbranch_execnz .LBB33_415
; %bb.411:
	s_andn2_saveexec_b64 s[0:1], s[10:11]
	s_cbranch_execnz .LBB33_434
.LBB33_412:
	s_or_b64 exec, exec, s[0:1]
	s_and_saveexec_b64 s[0:1], s[12:13]
.LBB33_413:
	; divergent unreachable
.LBB33_414:
	s_endpgm
.LBB33_415:
	s_mov_b64 s[14:15], 0
	s_and_saveexec_b64 s[4:5], s[18:19]
	s_xor_b64 s[12:13], exec, s[4:5]
	s_cbranch_execz .LBB33_432
; %bb.416:
	s_mov_b64 s[18:19], 0
	s_and_saveexec_b64 s[4:5], s[20:21]
	s_xor_b64 s[14:15], exec, s[4:5]
	s_cbranch_execz .LBB33_430
; %bb.417:
	s_and_saveexec_b64 s[4:5], s[16:17]
	s_xor_b64 s[16:17], exec, s[4:5]
	s_cbranch_execz .LBB33_428
; %bb.418:
	s_and_saveexec_b64 s[4:5], s[2:3]
	s_xor_b64 s[2:3], exec, s[4:5]
; %bb.419:
	v_xor_b32_e32 v3, 0x80000000, v4
; %bb.420:
	s_or_b64 exec, exec, s[2:3]
	s_mov_b64 s[2:3], exec
	v_readlane_b32 s4, v53, 14
	v_readlane_b32 s5, v53, 15
	;; [unrolled: 1-line block ×3, first 2 shown]
	s_and_b64 s[4:5], s[2:3], s[4:5]
	v_readlane_b32 s35, v53, 20
	v_readlane_b32 s20, v53, 50
	s_mov_b64 exec, s[4:5]
	s_cbranch_execz .LBB33_422
; %bb.421:
	v_mov_b32_e32 v1, 0
	ds_write_b32 v1, v1 offset:4108
.LBB33_422:
	s_or_b64 exec, exec, s[2:3]
	v_mov_b32_e32 v1, 0
	s_waitcnt lgkmcnt(0)
	s_barrier
	s_mov_b64 s[2:3], exec
	v_readlane_b32 s4, v53, 30
	v_readlane_b32 s5, v53, 31
	s_and_b64 s[4:5], s[2:3], s[4:5]
	s_mov_b64 exec, s[4:5]
	s_cbranch_execz .LBB33_424
; %bb.423:
	global_load_dword v1, v[8:9], off
.LBB33_424:
	s_or_b64 exec, exec, s[2:3]
	v_readlane_b32 s5, v53, 10
	v_readlane_b32 s7, v53, 11
	s_mul_i32 s2, s7, s5
	v_readlane_b32 s6, v53, 16
	s_add_i32 s42, s60, 63
	s_sub_i32 s2, s6, s2
	s_andn2_b32 s42, s42, 63
	s_add_i32 s3, s7, 1
	s_sub_i32 s4, s2, s5
	s_cmp_ge_u32 s2, s5
	s_cselect_b32 s3, s3, s7
	s_cselect_b32 s2, s4, s2
	s_add_i32 s4, s3, 1
	s_cmp_ge_u32 s2, s5
	s_cselect_b32 s2, s4, s3
	s_mul_i32 s3, s2, s5
	v_readlane_b32 s4, v53, 2
	s_sub_i32 s3, s6, s3
	v_readlane_b32 s5, v53, 3
	s_mul_i32 s3, s3, s5
	s_mul_i32 s2, s2, s4
	v_readlane_b32 s7, v53, 12
	v_readlane_b32 s18, v53, 13
	s_add_i32 s2, s2, s3
	s_mul_i32 s3, s18, s7
	s_sub_i32 s3, s6, s3
	s_add_i32 s4, s18, 1
	s_sub_i32 s5, s3, s7
	s_cmp_ge_u32 s3, s7
	s_cselect_b32 s4, s4, s18
	s_cselect_b32 s3, s5, s3
	s_add_i32 s5, s4, 1
	s_cmp_ge_u32 s3, s7
	s_cselect_b32 s3, s5, s4
	s_mul_i32 s4, s3, s7
	s_sub_i32 s4, s6, s4
	v_readlane_b32 s6, v53, 4
	v_readlane_b32 s7, v53, 5
	s_mul_i32 s4, s4, s7
	s_mul_i32 s3, s3, s6
	s_add_i32 s4, s3, s4
	s_mov_b32 s3, 0
	s_lshl_b64 s[6:7], s[2:3], 2
	v_readlane_b32 s18, v53, 8
	v_readlane_b32 s19, v53, 9
	s_add_u32 s43, s18, s6
	s_mov_b32 s5, s3
	s_addc_u32 s44, s19, s7
	s_lshl_b64 s[2:3], s[4:5], 3
	v_readlane_b32 s4, v53, 0
	v_readlane_b32 s5, v53, 1
	s_add_u32 s45, s4, s2
	s_addc_u32 s46, s5, s3
	v_readlane_b32 s2, v53, 6
	v_readlane_b32 s3, v53, 7
	s_load_dword s47, s[2:3], 0x1c8
	s_load_dword s48, s[2:3], 0x2a8
	v_add_u32_e32 v5, s9, v0
	v_cmp_gt_u32_e32 vcc, s42, v0
	s_mov_b64 s[18:19], -1
	s_mov_b64 s[2:3], 0
	v_mul_lo_u32 v4, s20, v5
	s_mov_b64 s[4:5], 0
	s_and_saveexec_b64 s[30:31], vcc
	s_cbranch_execnz .LBB33_435
; %bb.425:
	s_or_b64 exec, exec, s[30:31]
	s_and_saveexec_b64 s[40:41], s[18:19]
	s_cbranch_execnz .LBB33_450
.LBB33_426:
	s_or_b64 exec, exec, s[40:41]
	s_and_saveexec_b64 s[0:1], s[4:5]
	s_xor_b64 s[0:1], exec, s[0:1]
	s_cbranch_execnz .LBB33_472
.LBB33_427:
	s_or_b64 exec, exec, s[0:1]
	s_and_b64 s[18:19], s[2:3], exec
.LBB33_428:
	s_andn2_saveexec_b64 s[0:1], s[16:17]
	s_cbranch_execnz .LBB33_475
.LBB33_429:
	s_or_b64 exec, exec, s[0:1]
	s_and_b64 s[18:19], s[18:19], exec
.LBB33_430:
	s_andn2_saveexec_b64 s[0:1], s[14:15]
	s_cbranch_execnz .LBB33_474
.LBB33_431:
	s_or_b64 exec, exec, s[0:1]
	s_and_b64 s[14:15], s[18:19], exec
.LBB33_432:
	s_andn2_saveexec_b64 s[0:1], s[12:13]
	s_cbranch_execnz .LBB33_473
.LBB33_433:
	s_or_b64 exec, exec, s[0:1]
	s_and_b64 s[12:13], s[14:15], exec
	s_andn2_saveexec_b64 s[0:1], s[10:11]
	s_cbranch_execz .LBB33_412
.LBB33_434:
	s_or_b64 s[12:13], s[12:13], exec
	s_trap 2
	s_or_b64 exec, exec, s[0:1]
	s_and_saveexec_b64 s[0:1], s[12:13]
	s_cbranch_execnz .LBB33_413
	s_branch .LBB33_414
.LBB33_435:
	v_xor_b32_e32 v2, 0x80000000, v3
	v_mul_lo_u32 v10, s20, v5
	s_mov_b64 s[18:19], 0
	v_mov_b32_e32 v11, 0
	v_mov_b32_e32 v12, v0
                                        ; implicit-def: $sgpr20_sgpr21
                                        ; implicit-def: $vgpr14
	s_branch .LBB33_437
.LBB33_436:                             ;   in Loop: Header=BB33_437 Depth=1
	s_or_b64 exec, exec, s[22:23]
	s_xor_b64 s[6:7], s[26:27], -1
	s_and_b64 s[4:5], exec, s[4:5]
	s_or_b64 s[18:19], s[4:5], s[18:19]
	s_andn2_b64 s[4:5], s[20:21], exec
	s_and_b64 s[6:7], s[6:7], exec
	s_or_b64 s[20:21], s[4:5], s[6:7]
	v_mov_b32_e32 v1, v15
	v_mov_b32_e32 v12, v5
	s_andn2_b64 exec, exec, s[18:19]
	s_cbranch_execz .LBB33_449
.LBB33_437:                             ; =>This Inner Loop Header: Depth=1
	v_add_u32_e32 v5, s9, v12
	v_cmp_gt_u32_e32 vcc, s60, v5
	v_mov_b32_e32 v15, 0
	s_and_saveexec_b64 s[4:5], vcc
	s_cbranch_execz .LBB33_439
; %bb.438:                              ;   in Loop: Header=BB33_437 Depth=1
	s_waitcnt vmcnt(0)
	v_lshlrev_b64 v[16:17], 2, v[10:11]
	v_mov_b32_e32 v13, s8
	v_add_co_u32_e32 v16, vcc, s33, v16
	v_addc_co_u32_e32 v17, vcc, v13, v17, vcc
	global_load_dword v15, v[16:17], off
.LBB33_439:                             ;   in Loop: Header=BB33_437 Depth=1
	s_or_b64 exec, exec, s[4:5]
	s_waitcnt vmcnt(0)
	v_xor_b32_e32 v13, 0x80000000, v1
	v_cmp_gt_u32_e64 s[4:5], v13, v2
	v_cndmask_b32_e64 v16, 0, 1, s[4:5]
	v_cmp_lt_u32_e64 s[4:5], v13, v2
	v_cndmask_b32_e64 v13, 0, 1, s[4:5]
	v_cndmask_b32_e64 v13, v13, v16, s[34:35]
	v_and_b32_e32 v13, 1, v13
	v_cmp_gt_u32_e32 vcc, s60, v12
	v_cmp_eq_u32_e64 s[4:5], 1, v13
	s_and_b64 s[24:25], vcc, s[4:5]
	v_cndmask_b32_e64 v13, 0, 1, s[24:25]
	v_cmp_ne_u32_e32 vcc, 0, v13
	s_cmp_lg_u64 vcc, 0
	s_cselect_b64 s[4:5], -1, 0
	s_and_b64 s[4:5], s[0:1], s[4:5]
	s_and_saveexec_b64 s[22:23], s[4:5]
	s_cbranch_execz .LBB33_443
; %bb.440:                              ;   in Loop: Header=BB33_437 Depth=1
	s_mov_b64 s[28:29], exec
	v_mbcnt_lo_u32_b32 v13, s28, 0
	v_mbcnt_hi_u32_b32 v13, s29, v13
	s_bcnt1_i32_b64 s6, vcc
	v_cmp_eq_u32_e64 s[4:5], 0, v13
                                        ; implicit-def: $vgpr14
	s_and_saveexec_b64 s[26:27], s[4:5]
	s_cbranch_execz .LBB33_442
; %bb.441:                              ;   in Loop: Header=BB33_437 Depth=1
	s_bcnt1_i32_b64 s4, s[28:29]
	s_mul_i32 s4, s6, s4
	s_waitcnt lgkmcnt(0)
	v_mov_b32_e32 v14, s4
	ds_add_rtn_u32 v14, v11, v14 offset:4108
.LBB33_442:                             ;   in Loop: Header=BB33_437 Depth=1
	s_or_b64 exec, exec, s[26:27]
	s_waitcnt lgkmcnt(0)
	v_readfirstlane_b32 s4, v14
	v_mov_b32_e32 v14, s4
	v_mad_u32_u24 v14, s6, v13, v14
.LBB33_443:                             ;   in Loop: Header=BB33_437 Depth=1
	s_or_b64 exec, exec, s[22:23]
	s_waitcnt lgkmcnt(0)
	ds_bpermute_b32 v14, v20, v14
	s_mov_b64 s[4:5], -1
	s_mov_b64 s[28:29], -1
                                        ; implicit-def: $sgpr26_sgpr27
	s_and_saveexec_b64 s[22:23], s[24:25]
	s_cbranch_execz .LBB33_447
; %bb.444:                              ;   in Loop: Header=BB33_437 Depth=1
	v_and_b32_e32 v16, vcc_lo, v6
	v_and_b32_e32 v13, vcc_hi, v7
	v_bcnt_u32_b32 v16, v16, 0
	v_bcnt_u32_b32 v13, v13, v16
	s_waitcnt lgkmcnt(0)
	v_add_u32_e32 v13, v14, v13
	v_cmp_gt_u32_e32 vcc, s61, v13
	s_mov_b64 s[24:25], 0
	s_and_saveexec_b64 s[26:27], vcc
	s_cbranch_execz .LBB33_446
; %bb.445:                              ;   in Loop: Header=BB33_437 Depth=1
	v_mul_lo_u32 v16, v13, s47
	v_mov_b32_e32 v17, v11
	v_lshlrev_b64 v[16:17], 2, v[16:17]
	v_mul_lo_u32 v18, v13, s48
	v_mov_b32_e32 v13, s44
	v_add_co_u32_e32 v16, vcc, s43, v16
	v_addc_co_u32_e32 v17, vcc, v13, v17, vcc
	v_mov_b32_e32 v19, v11
	global_store_dword v[16:17], v1, off
	v_lshlrev_b64 v[16:17], 3, v[18:19]
	v_mov_b32_e32 v1, s46
	v_add_co_u32_e32 v16, vcc, s45, v16
	s_mov_b64 s[24:25], exec
	v_mov_b32_e32 v13, v11
	v_addc_co_u32_e32 v17, vcc, v1, v17, vcc
	global_store_dwordx2 v[16:17], v[12:13], off
.LBB33_446:                             ;   in Loop: Header=BB33_437 Depth=1
	s_or_b64 exec, exec, s[26:27]
	s_mov_b64 s[26:27], -1
	s_orn2_b64 s[28:29], s[24:25], exec
.LBB33_447:                             ;   in Loop: Header=BB33_437 Depth=1
	s_or_b64 exec, exec, s[22:23]
	s_and_saveexec_b64 s[22:23], s[28:29]
	s_cbranch_execz .LBB33_436
; %bb.448:                              ;   in Loop: Header=BB33_437 Depth=1
	v_cmp_le_u32_e32 vcc, s42, v5
	v_add_u32_e32 v10, s76, v10
	s_andn2_b64 s[26:27], s[26:27], exec
	s_orn2_b64 s[4:5], vcc, exec
	s_branch .LBB33_436
.LBB33_449:
	s_or_b64 exec, exec, s[18:19]
	s_mov_b64 s[4:5], exec
	s_orn2_b64 s[18:19], s[20:21], exec
	s_or_b64 exec, exec, s[30:31]
	s_and_saveexec_b64 s[40:41], s[18:19]
	s_cbranch_execz .LBB33_426
.LBB33_450:
	v_mov_b32_e32 v5, 0
	s_waitcnt vmcnt(0)
	v_mov_b32_e32 v1, 0
	s_waitcnt lgkmcnt(0)
	s_barrier
	s_mov_b64 s[2:3], exec
	v_readlane_b32 s6, v53, 30
	v_readlane_b32 s7, v53, 31
	s_and_b64 s[6:7], s[2:3], s[6:7]
	s_mov_b64 exec, s[6:7]
	s_cbranch_execz .LBB33_452
; %bb.451:
	global_load_dword v1, v[8:9], off
.LBB33_452:
	s_or_b64 exec, exec, s[2:3]
	s_mov_b64 s[18:19], 0
                                        ; implicit-def: $sgpr6_sgpr7
                                        ; implicit-def: $sgpr20_sgpr21
                                        ; implicit-def: $sgpr22_sgpr23
                                        ; implicit-def: $vgpr2
	s_branch .LBB33_455
.LBB33_453:                             ;   in Loop: Header=BB33_455 Depth=1
	s_or_b64 exec, exec, s[28:29]
	s_andn2_b64 s[2:3], s[22:23], exec
	s_and_b64 s[22:23], s[34:35], exec
	s_or_b64 s[22:23], s[2:3], s[22:23]
	s_andn2_b64 s[2:3], s[20:21], exec
	s_and_b64 s[20:21], s[26:27], exec
	s_or_b64 s[20:21], s[2:3], s[20:21]
	v_mov_b32_e32 v0, v8
.LBB33_454:                             ;   in Loop: Header=BB33_455 Depth=1
	s_or_b64 exec, exec, s[24:25]
	s_xor_b64 s[2:3], s[22:23], -1
	s_and_b64 s[24:25], exec, s[20:21]
	s_or_b64 s[18:19], s[24:25], s[18:19]
	s_andn2_b64 s[6:7], s[6:7], exec
	s_and_b64 s[2:3], s[2:3], exec
	s_or_b64 s[6:7], s[6:7], s[2:3]
	s_andn2_b64 exec, exec, s[18:19]
	s_cbranch_execz .LBB33_470
.LBB33_455:                             ; =>This Inner Loop Header: Depth=1
	v_cmp_gt_u32_e32 vcc, s42, v0
	s_or_b64 s[22:23], s[22:23], exec
	s_or_b64 s[20:21], s[20:21], exec
	s_and_saveexec_b64 s[24:25], vcc
	s_cbranch_execz .LBB33_454
; %bb.456:                              ;   in Loop: Header=BB33_455 Depth=1
	v_add_u32_e32 v8, s9, v0
	v_cmp_gt_u32_e32 vcc, s60, v8
	v_mov_b32_e32 v9, 0
	s_and_saveexec_b64 s[2:3], vcc
	s_cbranch_execz .LBB33_458
; %bb.457:                              ;   in Loop: Header=BB33_455 Depth=1
	v_lshlrev_b64 v[10:11], 2, v[4:5]
	v_mov_b32_e32 v9, s8
	v_add_co_u32_e32 v10, vcc, s33, v10
	v_addc_co_u32_e32 v11, vcc, v9, v11, vcc
	global_load_dword v9, v[10:11], off
.LBB33_458:                             ;   in Loop: Header=BB33_455 Depth=1
	s_or_b64 exec, exec, s[2:3]
	v_cmp_gt_u32_e32 vcc, s60, v0
	s_waitcnt vmcnt(0)
	v_cmp_eq_u32_e64 s[2:3], v1, v3
	s_and_b64 s[28:29], vcc, s[2:3]
	v_cndmask_b32_e64 v10, 0, 1, s[28:29]
	v_cmp_ne_u32_e32 vcc, 0, v10
	s_cmp_lg_u64 vcc, 0
	s_cselect_b64 s[2:3], -1, 0
	s_and_b64 s[2:3], s[0:1], s[2:3]
	s_and_saveexec_b64 s[26:27], s[2:3]
	s_cbranch_execz .LBB33_462
; %bb.459:                              ;   in Loop: Header=BB33_455 Depth=1
	s_mov_b64 s[34:35], exec
	v_mbcnt_lo_u32_b32 v2, s34, 0
	v_mbcnt_hi_u32_b32 v2, s35, v2
	s_bcnt1_i32_b64 s36, vcc
	v_cmp_eq_u32_e64 s[2:3], 0, v2
                                        ; implicit-def: $vgpr10
	s_and_saveexec_b64 s[30:31], s[2:3]
	s_cbranch_execz .LBB33_461
; %bb.460:                              ;   in Loop: Header=BB33_455 Depth=1
	s_bcnt1_i32_b64 s2, s[34:35]
	s_mul_i32 s2, s36, s2
	v_mov_b32_e32 v10, s2
	ds_add_rtn_u32 v10, v5, v10 offset:4108
.LBB33_461:                             ;   in Loop: Header=BB33_455 Depth=1
	s_or_b64 exec, exec, s[30:31]
	s_waitcnt lgkmcnt(0)
	v_readfirstlane_b32 s2, v10
	v_mov_b32_e32 v10, s2
	v_mad_u32_u24 v2, s36, v2, v10
.LBB33_462:                             ;   in Loop: Header=BB33_455 Depth=1
	s_or_b64 exec, exec, s[26:27]
	ds_bpermute_b32 v2, v20, v2
	s_cmp_eq_u64 vcc, 0
	s_cselect_b64 s[30:31], -1, 0
	s_mov_b64 s[26:27], -1
	s_mov_b64 s[34:35], -1
	s_waitcnt lgkmcnt(0)
	v_cmp_gt_u32_e64 s[2:3], s61, v2
	s_or_b64 s[2:3], s[30:31], s[2:3]
	v_cndmask_b32_e64 v1, v1, v9, s[2:3]
	s_and_b64 s[36:37], s[28:29], s[2:3]
	s_mov_b64 s[30:31], -1
	s_and_saveexec_b64 s[28:29], s[36:37]
	s_cbranch_execz .LBB33_468
; %bb.463:                              ;   in Loop: Header=BB33_455 Depth=1
	v_and_b32_e32 v10, vcc_lo, v6
	v_and_b32_e32 v1, vcc_hi, v7
	v_bcnt_u32_b32 v10, v10, 0
	v_bcnt_u32_b32 v1, v1, v10
	v_sub_u32_e32 v10, s61, v2
	v_cmp_le_u32_e64 s[30:31], v10, v1
	v_cmp_gt_u32_e32 vcc, v10, v1
	s_mov_b64 s[36:37], -1
	s_and_saveexec_b64 s[34:35], vcc
	s_cbranch_execz .LBB33_467
; %bb.464:                              ;   in Loop: Header=BB33_455 Depth=1
	v_add_u32_e32 v1, v2, v1
	v_cmp_gt_u32_e32 vcc, s61, v1
	s_mov_b64 s[38:39], s[30:31]
	s_and_saveexec_b64 s[36:37], vcc
	s_cbranch_execz .LBB33_466
; %bb.465:                              ;   in Loop: Header=BB33_455 Depth=1
	v_mul_lo_u32 v10, v1, s47
	v_mov_b32_e32 v11, v5
	v_lshlrev_b64 v[10:11], 2, v[10:11]
	v_mul_lo_u32 v12, v1, s48
	v_mov_b32_e32 v1, s44
	v_add_co_u32_e32 v10, vcc, s43, v10
	v_addc_co_u32_e32 v11, vcc, v1, v11, vcc
	v_mov_b32_e32 v13, v5
	global_store_dword v[10:11], v3, off
	v_lshlrev_b64 v[10:11], 3, v[12:13]
	v_mov_b32_e32 v12, s46
	v_add_co_u32_e32 v10, vcc, s45, v10
	v_mov_b32_e32 v1, v5
	v_addc_co_u32_e32 v11, vcc, v12, v11, vcc
	s_or_b64 s[38:39], s[30:31], exec
	global_store_dwordx2 v[10:11], v[0:1], off
.LBB33_466:                             ;   in Loop: Header=BB33_455 Depth=1
	s_or_b64 exec, exec, s[36:37]
	s_andn2_b64 s[30:31], s[30:31], exec
	s_and_b64 s[38:39], s[38:39], exec
	s_xor_b64 s[36:37], exec, -1
	s_or_b64 s[30:31], s[30:31], s[38:39]
.LBB33_467:                             ;   in Loop: Header=BB33_455 Depth=1
	s_or_b64 exec, exec, s[34:35]
	s_orn2_b64 s[34:35], s[36:37], exec
	s_or_b64 s[2:3], s[2:3], exec
	s_orn2_b64 s[30:31], s[30:31], exec
	v_mov_b32_e32 v1, v9
.LBB33_468:                             ;   in Loop: Header=BB33_455 Depth=1
	s_or_b64 exec, exec, s[28:29]
	s_and_saveexec_b64 s[28:29], s[30:31]
	s_cbranch_execz .LBB33_453
; %bb.469:                              ;   in Loop: Header=BB33_455 Depth=1
	s_xor_b64 s[2:3], s[2:3], -1
	v_add_u32_e32 v4, s76, v4
	s_or_b64 s[34:35], s[34:35], exec
	s_orn2_b64 s[26:27], s[2:3], exec
	s_branch .LBB33_453
.LBB33_470:
	s_or_b64 exec, exec, s[18:19]
	s_mov_b64 s[0:1], 0
	s_and_saveexec_b64 s[2:3], s[6:7]
	s_xor_b64 s[2:3], exec, s[2:3]
	s_cbranch_execnz .LBB33_476
.LBB33_471:
	s_or_b64 exec, exec, s[2:3]
	s_and_b64 s[2:3], s[0:1], exec
	s_andn2_b64 s[4:5], s[4:5], exec
	s_or_b64 exec, exec, s[40:41]
	s_and_saveexec_b64 s[0:1], s[4:5]
	s_xor_b64 s[0:1], exec, s[0:1]
	s_cbranch_execz .LBB33_427
.LBB33_472:
	s_or_b64 s[2:3], s[2:3], exec
	s_trap 2
	s_branch .LBB33_427
.LBB33_473:
	s_or_b64 s[14:15], s[14:15], exec
	s_trap 2
	s_branch .LBB33_433
.LBB33_474:
	s_or_b64 s[18:19], s[18:19], exec
	s_trap 2
	s_branch .LBB33_431
.LBB33_475:
	s_trap 2
	s_or_b64 s[18:19], s[18:19], exec
	s_branch .LBB33_429
.LBB33_476:
	s_mov_b64 s[0:1], exec
	s_trap 2
	s_branch .LBB33_471
	.section	.rodata,"a",@progbits
	.p2align	6, 0x0
	.amdhsa_kernel _ZN2at6native6sbtopk10gatherTopKIijLi2ELb0EEEvNS_4cuda6detail10TensorInfoIKT_T0_EES8_S8_bS8_S8_NS5_IS6_S8_EES8_NS5_IlS8_EES8_PS6_
		.amdhsa_group_segment_fixed_size 4112
		.amdhsa_private_segment_fixed_size 0
		.amdhsa_kernarg_size 952
		.amdhsa_user_sgpr_count 6
		.amdhsa_user_sgpr_private_segment_buffer 1
		.amdhsa_user_sgpr_dispatch_ptr 0
		.amdhsa_user_sgpr_queue_ptr 0
		.amdhsa_user_sgpr_kernarg_segment_ptr 1
		.amdhsa_user_sgpr_dispatch_id 0
		.amdhsa_user_sgpr_flat_scratch_init 0
		.amdhsa_user_sgpr_kernarg_preload_length 0
		.amdhsa_user_sgpr_kernarg_preload_offset 0
		.amdhsa_user_sgpr_private_segment_size 0
		.amdhsa_uses_dynamic_stack 0
		.amdhsa_system_sgpr_private_segment_wavefront_offset 0
		.amdhsa_system_sgpr_workgroup_id_x 1
		.amdhsa_system_sgpr_workgroup_id_y 1
		.amdhsa_system_sgpr_workgroup_id_z 1
		.amdhsa_system_sgpr_workgroup_info 0
		.amdhsa_system_vgpr_workitem_id 0
		.amdhsa_next_free_vgpr 54
		.amdhsa_next_free_sgpr 96
		.amdhsa_accum_offset 56
		.amdhsa_reserve_vcc 1
		.amdhsa_reserve_flat_scratch 0
		.amdhsa_float_round_mode_32 0
		.amdhsa_float_round_mode_16_64 0
		.amdhsa_float_denorm_mode_32 3
		.amdhsa_float_denorm_mode_16_64 3
		.amdhsa_dx10_clamp 1
		.amdhsa_ieee_mode 1
		.amdhsa_fp16_overflow 0
		.amdhsa_tg_split 0
		.amdhsa_exception_fp_ieee_invalid_op 0
		.amdhsa_exception_fp_denorm_src 0
		.amdhsa_exception_fp_ieee_div_zero 0
		.amdhsa_exception_fp_ieee_overflow 0
		.amdhsa_exception_fp_ieee_underflow 0
		.amdhsa_exception_fp_ieee_inexact 0
		.amdhsa_exception_int_div_zero 0
	.end_amdhsa_kernel
	.section	.text._ZN2at6native6sbtopk10gatherTopKIijLi2ELb0EEEvNS_4cuda6detail10TensorInfoIKT_T0_EES8_S8_bS8_S8_NS5_IS6_S8_EES8_NS5_IlS8_EES8_PS6_,"axG",@progbits,_ZN2at6native6sbtopk10gatherTopKIijLi2ELb0EEEvNS_4cuda6detail10TensorInfoIKT_T0_EES8_S8_bS8_S8_NS5_IS6_S8_EES8_NS5_IlS8_EES8_PS6_,comdat
.Lfunc_end33:
	.size	_ZN2at6native6sbtopk10gatherTopKIijLi2ELb0EEEvNS_4cuda6detail10TensorInfoIKT_T0_EES8_S8_bS8_S8_NS5_IS6_S8_EES8_NS5_IlS8_EES8_PS6_, .Lfunc_end33-_ZN2at6native6sbtopk10gatherTopKIijLi2ELb0EEEvNS_4cuda6detail10TensorInfoIKT_T0_EES8_S8_bS8_S8_NS5_IS6_S8_EES8_NS5_IlS8_EES8_PS6_
                                        ; -- End function
	.section	.AMDGPU.csdata,"",@progbits
; Kernel info:
; codeLenInByte = 15988
; NumSgprs: 100
; NumVgprs: 54
; NumAgprs: 0
; TotalNumVgprs: 54
; ScratchSize: 0
; MemoryBound: 0
; FloatMode: 240
; IeeeMode: 1
; LDSByteSize: 4112 bytes/workgroup (compile time only)
; SGPRBlocks: 12
; VGPRBlocks: 6
; NumSGPRsForWavesPerEU: 100
; NumVGPRsForWavesPerEU: 54
; AccumOffset: 56
; Occupancy: 8
; WaveLimiterHint : 1
; COMPUTE_PGM_RSRC2:SCRATCH_EN: 0
; COMPUTE_PGM_RSRC2:USER_SGPR: 6
; COMPUTE_PGM_RSRC2:TRAP_HANDLER: 0
; COMPUTE_PGM_RSRC2:TGID_X_EN: 1
; COMPUTE_PGM_RSRC2:TGID_Y_EN: 1
; COMPUTE_PGM_RSRC2:TGID_Z_EN: 1
; COMPUTE_PGM_RSRC2:TIDIG_COMP_CNT: 0
; COMPUTE_PGM_RSRC3_GFX90A:ACCUM_OFFSET: 13
; COMPUTE_PGM_RSRC3_GFX90A:TG_SPLIT: 0
	.section	.text._ZN2at6native6mbtopk23computeBlockDigitCountsIijjLi3EEEvNS_4cuda6detail10TensorInfoIKT_T0_EEjPjjS8_iijT1_PSB_Ps,"axG",@progbits,_ZN2at6native6mbtopk23computeBlockDigitCountsIijjLi3EEEvNS_4cuda6detail10TensorInfoIKT_T0_EEjPjjS8_iijT1_PSB_Ps,comdat
	.protected	_ZN2at6native6mbtopk23computeBlockDigitCountsIijjLi3EEEvNS_4cuda6detail10TensorInfoIKT_T0_EEjPjjS8_iijT1_PSB_Ps ; -- Begin function _ZN2at6native6mbtopk23computeBlockDigitCountsIijjLi3EEEvNS_4cuda6detail10TensorInfoIKT_T0_EEjPjjS8_iijT1_PSB_Ps
	.globl	_ZN2at6native6mbtopk23computeBlockDigitCountsIijjLi3EEEvNS_4cuda6detail10TensorInfoIKT_T0_EEjPjjS8_iijT1_PSB_Ps
	.p2align	8
	.type	_ZN2at6native6mbtopk23computeBlockDigitCountsIijjLi3EEEvNS_4cuda6detail10TensorInfoIKT_T0_EEjPjjS8_iijT1_PSB_Ps,@function
_ZN2at6native6mbtopk23computeBlockDigitCountsIijjLi3EEEvNS_4cuda6detail10TensorInfoIKT_T0_EEjPjjS8_iijT1_PSB_Ps: ; @_ZN2at6native6mbtopk23computeBlockDigitCountsIijjLi3EEEvNS_4cuda6detail10TensorInfoIKT_T0_EEjPjjS8_iijT1_PSB_Ps
; %bb.0:
	s_load_dwordx2 s[10:11], s[4:5], 0xf8
	s_load_dwordx4 s[12:15], s[4:5], 0xe8
	s_load_dwordx2 s[0:1], s[4:5], 0x110
	s_waitcnt lgkmcnt(0)
	v_cvt_f32_u32_e32 v1, s10
	s_sub_i32 s2, 0, s10
	s_mul_i32 s1, s1, s8
	s_add_i32 s1, s1, s7
	v_rcp_iflag_f32_e32 v1, v1
	s_mul_i32 s18, s1, s0
	s_add_i32 s18, s18, s6
	s_mov_b32 s7, 0
	v_mul_f32_e32 v1, 0x4f7ffffe, v1
	v_cvt_u32_f32_e32 v1, v1
	v_readfirstlane_b32 s0, v1
	s_mul_i32 s2, s2, s0
	s_mul_hi_u32 s1, s0, s2
	s_add_i32 s0, s0, s1
	s_mul_hi_u32 s0, s18, s0
	s_mul_i32 s1, s0, s10
	s_sub_i32 s1, s18, s1
	s_add_i32 s2, s0, 1
	s_sub_i32 s3, s1, s10
	s_cmp_ge_u32 s1, s10
	s_cselect_b32 s0, s2, s0
	s_cselect_b32 s1, s3, s1
	s_add_i32 s2, s0, 1
	s_cmp_ge_u32 s1, s10
	s_cselect_b32 s6, s2, s0
	s_cmp_ge_u32 s6, s12
	s_cbranch_scc1 .LBB34_29
; %bb.1:
	s_load_dwordx2 s[8:9], s[4:5], 0xc
	s_load_dwordx4 s[0:3], s[4:5], 0x100
	s_lshl_b64 s[16:17], s[6:7], 2
	s_movk_i32 s7, 0x100
	v_cmp_gt_u32_e32 vcc, s7, v0
	s_waitcnt lgkmcnt(0)
	v_cvt_f32_u32_e32 v1, s9
	v_cvt_f32_u32_e32 v2, s8
	s_add_u32 s0, s0, s16
	s_addc_u32 s1, s1, s17
	v_rcp_iflag_f32_e32 v1, v1
	s_sub_i32 s12, 0, s9
	v_rcp_iflag_f32_e32 v2, v2
	v_mul_f32_e32 v1, 0x4f7ffffe, v1
	v_cvt_u32_f32_e32 v1, v1
	v_mul_f32_e32 v2, 0x4f7ffffe, v2
	v_cvt_u32_f32_e32 v2, v2
	v_readfirstlane_b32 s16, v1
	s_mul_i32 s12, s12, s16
	s_mul_hi_u32 s12, s16, s12
	s_add_i32 s16, s16, s12
	s_mul_hi_u32 s12, s6, s16
	s_mul_i32 s16, s12, s9
	s_sub_i32 s16, s6, s16
	s_add_i32 s17, s12, 1
	s_sub_i32 s19, s16, s9
	s_cmp_ge_u32 s16, s9
	s_cselect_b32 s12, s17, s12
	s_cselect_b32 s16, s19, s16
	s_add_i32 s17, s12, 1
	s_cmp_ge_u32 s16, s9
	v_readfirstlane_b32 s20, v2
	s_cselect_b32 s19, s17, s12
	v_lshlrev_b32_e32 v1, 2, v0
	s_and_saveexec_b64 s[16:17], vcc
	s_cbranch_execz .LBB34_3
; %bb.2:
	v_mov_b32_e32 v2, 0
	ds_write_b32 v1, v2
.LBB34_3:
	s_or_b64 exec, exec, s[16:17]
	s_load_dword s12, s[4:5], 0xd8
	s_mul_i32 s7, s6, s10
	s_sub_i32 s7, s18, s7
	s_add_i32 s17, s7, 1
	s_mul_i32 s7, s15, s7
	s_lshl_b32 s16, s7, 8
	s_waitcnt lgkmcnt(0)
	s_sub_i32 s7, s12, s16
	s_add_u32 s7, s7, 0xff
	s_addc_u32 s21, 0, 0
	v_mov_b32_e32 v2, s7
	v_alignbit_b32 v2, s21, v2, 8
	s_cmp_lt_u32 s17, s10
	v_readfirstlane_b32 s7, v2
	s_cselect_b32 s15, s15, s7
	s_cmp_lt_i32 s15, 1
	s_mov_b32 s7, 0
	s_barrier
	s_cbranch_scc1 .LBB34_25
; %bb.4:
	s_sub_i32 s10, 0, s8
	s_mul_i32 s10, s10, s20
	s_mul_hi_u32 s10, s20, s10
	s_add_i32 s10, s20, s10
	s_load_dwordx4 s[20:23], s[4:5], 0x6c
	s_load_dwordx2 s[24:25], s[4:5], 0x0
	s_mul_hi_u32 s4, s19, s10
	s_load_dword s10, s[0:1], 0x0
	s_mul_i32 s1, s4, s8
	s_mul_i32 s0, s19, s9
	s_sub_i32 s1, s19, s1
	s_sub_i32 s0, s6, s0
	s_add_i32 s5, s4, 1
	s_sub_i32 s6, s1, s8
	s_cmp_ge_u32 s1, s8
	s_cselect_b32 s4, s5, s4
	s_cselect_b32 s1, s6, s1
	s_add_i32 s5, s4, 1
	s_cmp_ge_u32 s1, s8
	s_cselect_b32 s1, s5, s4
	s_mul_i32 s4, s1, s8
	s_sub_i32 s4, s19, s4
	s_waitcnt lgkmcnt(0)
	s_mul_i32 s0, s0, s22
	s_mul_i32 s4, s4, s21
	s_add_i32 s0, s4, s0
	s_mul_i32 s1, s1, s20
	s_add_i32 s6, s0, s1
	s_lshl_b64 s[0:1], s[6:7], 2
	s_add_u32 s6, s24, s0
	s_addc_u32 s8, s25, s1
	s_and_b32 s9, s14, 0xff
	s_cmp_lt_u32 s15, 4
	s_cbranch_scc1 .LBB34_19
; %bb.5:
	v_add_u32_e32 v2, s16, v0
	v_add_u32_e32 v3, 0x200, v2
	;; [unrolled: 1-line block ×3, first 2 shown]
	v_mul_lo_u32 v6, s13, v3
	v_add_u32_e32 v3, 0x100, v2
	s_and_b32 s7, s15, 0x7ffffffc
	v_mul_lo_u32 v5, s13, v4
	s_lshl_b32 s14, s13, 10
	v_mul_lo_u32 v7, s13, v3
	v_mul_lo_u32 v8, s13, v2
	s_mov_b32 s17, 0
	v_mov_b32_e32 v3, 0
	v_mov_b32_e32 v9, 1
	s_mov_b32 s19, 0
	s_branch .LBB34_7
.LBB34_6:                               ;   in Loop: Header=BB34_7 Depth=1
	s_or_b64 exec, exec, s[4:5]
	s_add_i32 s19, s19, 4
	s_add_i32 s17, s17, s14
	s_cmp_eq_u32 s7, s19
	v_add_u32_e32 v4, 0x400, v4
	s_cbranch_scc1 .LBB34_19
.LBB34_7:                               ; =>This Inner Loop Header: Depth=1
	v_add_u32_e32 v2, 0xfffffd00, v4
	v_cmp_gt_u32_e64 s[0:1], s12, v2
	s_and_saveexec_b64 s[4:5], s[0:1]
	s_cbranch_execz .LBB34_10
; %bb.8:                                ;   in Loop: Header=BB34_7 Depth=1
	v_add_u32_e32 v2, s17, v8
	v_lshlrev_b64 v[10:11], 2, v[2:3]
	v_mov_b32_e32 v2, s8
	v_add_co_u32_e64 v10, s[0:1], s6, v10
	v_addc_co_u32_e64 v11, s[0:1], v2, v11, s[0:1]
	global_load_dword v2, v[10:11], off
	s_waitcnt vmcnt(0)
	v_xor_b32_e32 v2, 0x80000000, v2
	v_xor_b32_e32 v10, s10, v2
	v_and_b32_e32 v10, s11, v10
	v_cmp_eq_u32_e64 s[0:1], 0, v10
	s_and_b64 exec, exec, s[0:1]
	s_cbranch_execz .LBB34_10
; %bb.9:                                ;   in Loop: Header=BB34_7 Depth=1
	v_bfe_u32 v2, v2, s9, 8
	v_lshlrev_b32_e32 v2, 2, v2
	ds_add_u32 v2, v9
.LBB34_10:                              ;   in Loop: Header=BB34_7 Depth=1
	s_or_b64 exec, exec, s[4:5]
	v_add_u32_e32 v2, 0xfffffe00, v4
	v_cmp_gt_u32_e64 s[0:1], s12, v2
	s_and_saveexec_b64 s[4:5], s[0:1]
	s_cbranch_execz .LBB34_13
; %bb.11:                               ;   in Loop: Header=BB34_7 Depth=1
	v_add_u32_e32 v2, s17, v7
	v_lshlrev_b64 v[10:11], 2, v[2:3]
	v_mov_b32_e32 v2, s8
	v_add_co_u32_e64 v10, s[0:1], s6, v10
	v_addc_co_u32_e64 v11, s[0:1], v2, v11, s[0:1]
	global_load_dword v2, v[10:11], off
	s_waitcnt vmcnt(0)
	v_xor_b32_e32 v2, 0x80000000, v2
	v_xor_b32_e32 v10, s10, v2
	v_and_b32_e32 v10, s11, v10
	v_cmp_eq_u32_e64 s[0:1], 0, v10
	s_and_b64 exec, exec, s[0:1]
	s_cbranch_execz .LBB34_13
; %bb.12:                               ;   in Loop: Header=BB34_7 Depth=1
	v_bfe_u32 v2, v2, s9, 8
	v_lshlrev_b32_e32 v2, 2, v2
	ds_add_u32 v2, v9
.LBB34_13:                              ;   in Loop: Header=BB34_7 Depth=1
	s_or_b64 exec, exec, s[4:5]
	v_add_u32_e32 v2, 0xffffff00, v4
	v_cmp_gt_u32_e64 s[0:1], s12, v2
	s_and_saveexec_b64 s[4:5], s[0:1]
	s_cbranch_execz .LBB34_16
; %bb.14:                               ;   in Loop: Header=BB34_7 Depth=1
	v_add_u32_e32 v2, s17, v6
	v_lshlrev_b64 v[10:11], 2, v[2:3]
	v_mov_b32_e32 v2, s8
	v_add_co_u32_e64 v10, s[0:1], s6, v10
	v_addc_co_u32_e64 v11, s[0:1], v2, v11, s[0:1]
	global_load_dword v2, v[10:11], off
	s_waitcnt vmcnt(0)
	v_xor_b32_e32 v2, 0x80000000, v2
	v_xor_b32_e32 v10, s10, v2
	v_and_b32_e32 v10, s11, v10
	v_cmp_eq_u32_e64 s[0:1], 0, v10
	s_and_b64 exec, exec, s[0:1]
	s_cbranch_execz .LBB34_16
; %bb.15:                               ;   in Loop: Header=BB34_7 Depth=1
	v_bfe_u32 v2, v2, s9, 8
	v_lshlrev_b32_e32 v2, 2, v2
	ds_add_u32 v2, v9
.LBB34_16:                              ;   in Loop: Header=BB34_7 Depth=1
	s_or_b64 exec, exec, s[4:5]
	v_cmp_gt_u32_e64 s[0:1], s12, v4
	s_and_saveexec_b64 s[4:5], s[0:1]
	s_cbranch_execz .LBB34_6
; %bb.17:                               ;   in Loop: Header=BB34_7 Depth=1
	v_add_u32_e32 v2, s17, v5
	v_lshlrev_b64 v[10:11], 2, v[2:3]
	v_mov_b32_e32 v2, s8
	v_add_co_u32_e64 v10, s[0:1], s6, v10
	v_addc_co_u32_e64 v11, s[0:1], v2, v11, s[0:1]
	global_load_dword v2, v[10:11], off
	s_waitcnt vmcnt(0)
	v_xor_b32_e32 v2, 0x80000000, v2
	v_xor_b32_e32 v10, s10, v2
	v_and_b32_e32 v10, s11, v10
	v_cmp_eq_u32_e64 s[0:1], 0, v10
	s_and_b64 exec, exec, s[0:1]
	s_cbranch_execz .LBB34_6
; %bb.18:                               ;   in Loop: Header=BB34_7 Depth=1
	v_bfe_u32 v2, v2, s9, 8
	v_lshlrev_b32_e32 v2, 2, v2
	ds_add_u32 v2, v9
	s_branch .LBB34_6
.LBB34_19:
	s_and_b32 s14, s15, 3
	s_cmp_eq_u32 s14, 0
	s_cbranch_scc1 .LBB34_25
; %bb.20:
	s_lshl_b32 s0, s7, 8
	s_add_i32 s0, s0, s16
	v_add_u32_e32 v4, s0, v0
	v_mul_lo_u32 v2, s13, v4
	s_lshl_b32 s7, s13, 8
	v_mov_b32_e32 v3, 0
	v_mov_b32_e32 v5, 1
	s_branch .LBB34_22
.LBB34_21:                              ;   in Loop: Header=BB34_22 Depth=1
	s_or_b64 exec, exec, s[4:5]
	s_add_i32 s14, s14, -1
	v_add_u32_e32 v2, s7, v2
	s_cmp_lg_u32 s14, 0
	v_add_u32_e32 v4, 0x100, v4
	s_cbranch_scc0 .LBB34_25
.LBB34_22:                              ; =>This Inner Loop Header: Depth=1
	v_cmp_gt_u32_e64 s[0:1], s12, v4
	s_and_saveexec_b64 s[4:5], s[0:1]
	s_cbranch_execz .LBB34_21
; %bb.23:                               ;   in Loop: Header=BB34_22 Depth=1
	v_lshlrev_b64 v[6:7], 2, v[2:3]
	v_mov_b32_e32 v8, s8
	v_add_co_u32_e64 v6, s[0:1], s6, v6
	v_addc_co_u32_e64 v7, s[0:1], v8, v7, s[0:1]
	global_load_dword v6, v[6:7], off
	s_waitcnt vmcnt(0)
	v_xor_b32_e32 v6, 0x80000000, v6
	v_xor_b32_e32 v7, s10, v6
	v_and_b32_e32 v7, s11, v7
	v_cmp_eq_u32_e64 s[0:1], 0, v7
	s_and_b64 exec, exec, s[0:1]
	s_cbranch_execz .LBB34_21
; %bb.24:                               ;   in Loop: Header=BB34_22 Depth=1
	v_bfe_u32 v6, v6, s9, 8
	v_lshlrev_b32_e32 v6, 2, v6
	ds_add_u32 v6, v5
	s_branch .LBB34_21
.LBB34_25:
	v_mov_b32_e32 v2, 0
	s_waitcnt lgkmcnt(0)
	s_barrier
	s_and_saveexec_b64 s[0:1], vcc
	s_cbranch_execz .LBB34_27
; %bb.26:
	ds_read_b32 v2, v1
.LBB34_27:
	s_or_b64 exec, exec, s[0:1]
	s_and_saveexec_b64 s[0:1], vcc
	s_cbranch_execz .LBB34_29
; %bb.28:
	v_lshl_or_b32 v0, s18, 8, v0
	v_mov_b32_e32 v1, 0
	v_lshlrev_b64 v[0:1], 1, v[0:1]
	v_mov_b32_e32 v3, s3
	v_add_co_u32_e32 v0, vcc, s2, v0
	v_addc_co_u32_e32 v1, vcc, v3, v1, vcc
	s_waitcnt lgkmcnt(0)
	global_store_short v[0:1], v2, off
.LBB34_29:
	s_endpgm
	.section	.rodata,"a",@progbits
	.p2align	6, 0x0
	.amdhsa_kernel _ZN2at6native6mbtopk23computeBlockDigitCountsIijjLi3EEEvNS_4cuda6detail10TensorInfoIKT_T0_EEjPjjS8_iijT1_PSB_Ps
		.amdhsa_group_segment_fixed_size 1024
		.amdhsa_private_segment_fixed_size 0
		.amdhsa_kernarg_size 528
		.amdhsa_user_sgpr_count 6
		.amdhsa_user_sgpr_private_segment_buffer 1
		.amdhsa_user_sgpr_dispatch_ptr 0
		.amdhsa_user_sgpr_queue_ptr 0
		.amdhsa_user_sgpr_kernarg_segment_ptr 1
		.amdhsa_user_sgpr_dispatch_id 0
		.amdhsa_user_sgpr_flat_scratch_init 0
		.amdhsa_user_sgpr_kernarg_preload_length 0
		.amdhsa_user_sgpr_kernarg_preload_offset 0
		.amdhsa_user_sgpr_private_segment_size 0
		.amdhsa_uses_dynamic_stack 0
		.amdhsa_system_sgpr_private_segment_wavefront_offset 0
		.amdhsa_system_sgpr_workgroup_id_x 1
		.amdhsa_system_sgpr_workgroup_id_y 1
		.amdhsa_system_sgpr_workgroup_id_z 1
		.amdhsa_system_sgpr_workgroup_info 0
		.amdhsa_system_vgpr_workitem_id 0
		.amdhsa_next_free_vgpr 12
		.amdhsa_next_free_sgpr 26
		.amdhsa_accum_offset 12
		.amdhsa_reserve_vcc 1
		.amdhsa_reserve_flat_scratch 0
		.amdhsa_float_round_mode_32 0
		.amdhsa_float_round_mode_16_64 0
		.amdhsa_float_denorm_mode_32 3
		.amdhsa_float_denorm_mode_16_64 3
		.amdhsa_dx10_clamp 1
		.amdhsa_ieee_mode 1
		.amdhsa_fp16_overflow 0
		.amdhsa_tg_split 0
		.amdhsa_exception_fp_ieee_invalid_op 0
		.amdhsa_exception_fp_denorm_src 0
		.amdhsa_exception_fp_ieee_div_zero 0
		.amdhsa_exception_fp_ieee_overflow 0
		.amdhsa_exception_fp_ieee_underflow 0
		.amdhsa_exception_fp_ieee_inexact 0
		.amdhsa_exception_int_div_zero 0
	.end_amdhsa_kernel
	.section	.text._ZN2at6native6mbtopk23computeBlockDigitCountsIijjLi3EEEvNS_4cuda6detail10TensorInfoIKT_T0_EEjPjjS8_iijT1_PSB_Ps,"axG",@progbits,_ZN2at6native6mbtopk23computeBlockDigitCountsIijjLi3EEEvNS_4cuda6detail10TensorInfoIKT_T0_EEjPjjS8_iijT1_PSB_Ps,comdat
.Lfunc_end34:
	.size	_ZN2at6native6mbtopk23computeBlockDigitCountsIijjLi3EEEvNS_4cuda6detail10TensorInfoIKT_T0_EEjPjjS8_iijT1_PSB_Ps, .Lfunc_end34-_ZN2at6native6mbtopk23computeBlockDigitCountsIijjLi3EEEvNS_4cuda6detail10TensorInfoIKT_T0_EEjPjjS8_iijT1_PSB_Ps
                                        ; -- End function
	.section	.AMDGPU.csdata,"",@progbits
; Kernel info:
; codeLenInByte = 1440
; NumSgprs: 30
; NumVgprs: 12
; NumAgprs: 0
; TotalNumVgprs: 12
; ScratchSize: 0
; MemoryBound: 0
; FloatMode: 240
; IeeeMode: 1
; LDSByteSize: 1024 bytes/workgroup (compile time only)
; SGPRBlocks: 3
; VGPRBlocks: 1
; NumSGPRsForWavesPerEU: 30
; NumVGPRsForWavesPerEU: 12
; AccumOffset: 12
; Occupancy: 8
; WaveLimiterHint : 1
; COMPUTE_PGM_RSRC2:SCRATCH_EN: 0
; COMPUTE_PGM_RSRC2:USER_SGPR: 6
; COMPUTE_PGM_RSRC2:TRAP_HANDLER: 0
; COMPUTE_PGM_RSRC2:TGID_X_EN: 1
; COMPUTE_PGM_RSRC2:TGID_Y_EN: 1
; COMPUTE_PGM_RSRC2:TGID_Z_EN: 1
; COMPUTE_PGM_RSRC2:TIDIG_COMP_CNT: 0
; COMPUTE_PGM_RSRC3_GFX90A:ACCUM_OFFSET: 2
; COMPUTE_PGM_RSRC3_GFX90A:TG_SPLIT: 0
	.section	.text._ZN2at6native6mbtopk10gatherTopKIijLi3EEEvNS_4cuda6detail10TensorInfoIKT_T0_EES8_S8_bjS8_NS5_IS6_S8_EES8_NS5_IlS8_EES8_jjPS6_PjSD_j,"axG",@progbits,_ZN2at6native6mbtopk10gatherTopKIijLi3EEEvNS_4cuda6detail10TensorInfoIKT_T0_EES8_S8_bjS8_NS5_IS6_S8_EES8_NS5_IlS8_EES8_jjPS6_PjSD_j,comdat
	.protected	_ZN2at6native6mbtopk10gatherTopKIijLi3EEEvNS_4cuda6detail10TensorInfoIKT_T0_EES8_S8_bjS8_NS5_IS6_S8_EES8_NS5_IlS8_EES8_jjPS6_PjSD_j ; -- Begin function _ZN2at6native6mbtopk10gatherTopKIijLi3EEEvNS_4cuda6detail10TensorInfoIKT_T0_EES8_S8_bjS8_NS5_IS6_S8_EES8_NS5_IlS8_EES8_jjPS6_PjSD_j
	.globl	_ZN2at6native6mbtopk10gatherTopKIijLi3EEEvNS_4cuda6detail10TensorInfoIKT_T0_EES8_S8_bjS8_NS5_IS6_S8_EES8_NS5_IlS8_EES8_jjPS6_PjSD_j
	.p2align	8
	.type	_ZN2at6native6mbtopk10gatherTopKIijLi3EEEvNS_4cuda6detail10TensorInfoIKT_T0_EES8_S8_bjS8_NS5_IS6_S8_EES8_NS5_IlS8_EES8_jjPS6_PjSD_j,@function
_ZN2at6native6mbtopk10gatherTopKIijLi3EEEvNS_4cuda6detail10TensorInfoIKT_T0_EES8_S8_bjS8_NS5_IS6_S8_EES8_NS5_IlS8_EES8_jjPS6_PjSD_j: ; @_ZN2at6native6mbtopk10gatherTopKIijLi3EEEvNS_4cuda6detail10TensorInfoIKT_T0_EES8_S8_bjS8_NS5_IS6_S8_EES8_NS5_IlS8_EES8_jjPS6_PjSD_j
; %bb.0:
	s_load_dwordx2 s[0:1], s[4:5], 0x2d8
	s_load_dword s2, s[4:5], 0x2d0
	s_waitcnt lgkmcnt(0)
	s_mul_i32 s1, s1, s8
	s_add_i32 s1, s1, s7
	s_mul_i32 s0, s1, s0
	s_add_i32 s0, s0, s6
	s_cmp_ge_u32 s0, s2
	s_cbranch_scc1 .LBB35_40
; %bb.1:
	s_load_dwordx8 s[8:15], s[4:5], 0x2a8
	s_load_dwordx4 s[16:19], s[4:5], 0x23c
	s_load_dwordx2 s[38:39], s[4:5], 0x1dc
	s_load_dwordx2 s[6:7], s[4:5], 0x1d0
	s_load_dwordx4 s[20:23], s[4:5], 0x15c
	s_load_dwordx2 s[40:41], s[4:5], 0xfc
	s_load_dwordx2 s[34:35], s[4:5], 0xf0
	;; [unrolled: 3-line block ×3, first 2 shown]
	s_mov_b32 s43, 0
	s_waitcnt lgkmcnt(0)
	v_cvt_f32_u32_e32 v1, s10
	s_sub_i32 s1, 0, s10
	v_cvt_f32_u32_e32 v2, s45
	v_rcp_iflag_f32_e32 v1, v1
	v_mul_f32_e32 v1, 0x4f7ffffe, v1
	v_cvt_u32_f32_e32 v1, v1
	v_readfirstlane_b32 s2, v1
	s_mul_i32 s1, s1, s2
	s_mul_hi_u32 s1, s2, s1
	s_add_i32 s2, s2, s1
	v_rcp_iflag_f32_e32 v1, v2
	s_mul_hi_u32 s1, s0, s2
	s_mul_i32 s2, s1, s10
	s_sub_i32 s2, s0, s2
	s_add_i32 s3, s1, 1
	s_sub_i32 s11, s2, s10
	v_mul_f32_e32 v1, 0x4f7ffffe, v1
	s_cmp_ge_u32 s2, s10
	v_cvt_u32_f32_e32 v1, v1
	s_cselect_b32 s1, s3, s1
	s_cselect_b32 s2, s11, s2
	s_add_i32 s3, s1, 1
	s_cmp_ge_u32 s2, s10
	s_cselect_b32 s42, s3, s1
	v_readfirstlane_b32 s1, v1
	v_cvt_f32_u32_e32 v1, s44
	s_mul_i32 s28, s42, s10
	s_sub_i32 s11, s0, s28
	s_sub_i32 s0, 0, s45
	s_mul_i32 s0, s0, s1
	s_mul_hi_u32 s0, s1, s0
	v_rcp_iflag_f32_e32 v1, v1
	s_add_i32 s1, s1, s0
	v_cvt_f32_u32_e32 v2, s41
	s_mul_hi_u32 s0, s42, s1
	s_mul_i32 s1, s0, s45
	s_sub_i32 s1, s42, s1
	v_mul_f32_e32 v1, 0x4f7ffffe, v1
	s_add_i32 s2, s0, 1
	s_sub_i32 s3, s1, s45
	v_cvt_u32_f32_e32 v1, v1
	v_rcp_iflag_f32_e32 v2, v2
	s_cmp_ge_u32 s1, s45
	s_cselect_b32 s0, s2, s0
	s_cselect_b32 s1, s3, s1
	s_add_i32 s2, s0, 1
	s_cmp_ge_u32 s1, s45
	v_readfirstlane_b32 s1, v1
	v_mul_f32_e32 v1, 0x4f7ffffe, v2
	s_cselect_b32 s23, s2, s0
	s_sub_i32 s0, 0, s44
	v_cvt_u32_f32_e32 v1, v1
	s_mul_i32 s0, s0, s1
	s_mul_hi_u32 s0, s1, s0
	s_add_i32 s1, s1, s0
	s_mul_hi_u32 s27, s23, s1
	v_readfirstlane_b32 s1, v1
	v_cvt_f32_u32_e32 v1, s40
	s_sub_i32 s0, 0, s41
	s_mul_i32 s0, s0, s1
	s_mul_hi_u32 s0, s1, s0
	v_rcp_iflag_f32_e32 v1, v1
	s_add_i32 s1, s1, s0
	v_cvt_f32_u32_e32 v2, s39
	s_mul_hi_u32 s0, s42, s1
	s_mul_i32 s1, s0, s41
	s_sub_i32 s1, s42, s1
	v_mul_f32_e32 v1, 0x4f7ffffe, v1
	s_add_i32 s2, s0, 1
	s_sub_i32 s3, s1, s41
	v_cvt_u32_f32_e32 v1, v1
	v_rcp_iflag_f32_e32 v2, v2
	s_cmp_ge_u32 s1, s41
	s_cselect_b32 s0, s2, s0
	s_cselect_b32 s1, s3, s1
	s_add_i32 s2, s0, 1
	s_cmp_ge_u32 s1, s41
	v_readfirstlane_b32 s1, v1
	v_mul_f32_e32 v1, 0x4f7ffffe, v2
	v_cvt_u32_f32_e32 v1, v1
	s_cselect_b32 s33, s2, s0
	s_sub_i32 s0, 0, s40
	s_mul_i32 s0, s0, s1
	s_mul_hi_u32 s0, s1, s0
	s_add_i32 s2, s1, s0
	v_readfirstlane_b32 s1, v1
	v_cvt_f32_u32_e32 v1, s38
	s_sub_i32 s0, 0, s39
	s_mul_i32 s0, s0, s1
	s_mul_hi_u32 s0, s1, s0
	s_add_i32 s1, s1, s0
	v_rcp_iflag_f32_e32 v1, v1
	s_mul_hi_u32 s0, s42, s1
	s_mul_i32 s1, s0, s39
	s_sub_i32 s1, s42, s1
	s_add_i32 s3, s0, 1
	s_sub_i32 s19, s1, s39
	v_mul_f32_e32 v1, 0x4f7ffffe, v1
	s_cmp_ge_u32 s1, s39
	v_cvt_u32_f32_e32 v1, v1
	s_cselect_b32 s0, s3, s0
	s_cselect_b32 s1, s19, s1
	s_add_i32 s3, s0, 1
	s_cmp_ge_u32 s1, s39
	s_cselect_b32 s52, s3, s0
	s_sub_i32 s0, 0, s38
	v_readfirstlane_b32 s1, v1
	s_mul_i32 s0, s0, s1
	s_mul_hi_u32 s0, s1, s0
	s_add_i32 s3, s1, s0
	s_lshl_b64 s[0:1], s[42:43], 2
	s_add_u32 s0, s12, s0
	s_addc_u32 s1, s13, s1
	s_load_dword s19, s[0:1], 0x0
	s_mul_hi_u32 s54, s33, s2
	s_mul_hi_u32 s53, s52, s3
	v_cmp_ne_u32_e64 s[0:1], 0, v0
	v_cmp_eq_u32_e64 s[2:3], 0, v0
	s_and_saveexec_b64 s[12:13], s[2:3]
	s_cbranch_execz .LBB35_17
; %bb.2:
	s_load_dwordx2 s[46:47], s[4:5], 0x2c8
	s_mov_b32 s29, s43
	s_lshl_b64 s[48:49], s[28:29], 2
	s_add_u32 s28, s14, s48
	s_addc_u32 s29, s15, s49
	s_waitcnt lgkmcnt(0)
	s_add_u32 s30, s46, s48
	s_addc_u32 s31, s47, s49
	s_cmp_lt_u32 s10, 4
	s_cbranch_scc1 .LBB35_14
; %bb.3:
	s_mov_b32 s55, s43
	s_mov_b32 s56, s43
	;; [unrolled: 1-line block ×3, first 2 shown]
.LBB35_4:                               ; =>This Inner Loop Header: Depth=1
	s_add_u32 s28, s14, s48
	s_addc_u32 s29, s15, s49
	s_load_dwordx4 s[28:31], s[28:29], 0x0
	s_add_u32 s50, s46, s48
	s_addc_u32 s51, s47, s49
	s_cmp_ge_u32 s57, s11
	s_cbranch_scc0 .LBB35_11
; %bb.5:                                ;   in Loop: Header=BB35_4 Depth=1
	s_add_i32 s58, s57, 1
	s_cmp_ge_u32 s58, s11
	s_cbranch_scc0 .LBB35_12
.LBB35_6:                               ;   in Loop: Header=BB35_4 Depth=1
	s_add_i32 s58, s58, 1
	s_cmp_ge_u32 s58, s11
	s_cbranch_scc0 .LBB35_13
.LBB35_7:                               ;   in Loop: Header=BB35_4 Depth=1
	s_add_i32 s58, s58, 1
	s_cmp_ge_u32 s58, s11
	s_cbranch_scc1 .LBB35_9
.LBB35_8:                               ;   in Loop: Header=BB35_4 Depth=1
	s_load_dword s50, s[50:51], 0xc
	s_waitcnt lgkmcnt(0)
	s_add_i32 s43, s43, s31
	s_add_i32 s55, s50, s55
.LBB35_9:                               ;   in Loop: Header=BB35_4 Depth=1
	s_waitcnt lgkmcnt(0)
	s_add_i32 s28, s28, s56
	s_add_i32 s28, s28, s29
	;; [unrolled: 1-line block ×4, first 2 shown]
	s_add_u32 s14, s14, 16
	s_addc_u32 s15, s15, 0
	s_add_u32 s46, s46, 16
	s_addc_u32 s47, s47, 0
	s_add_i32 s51, s58, 4
	s_add_u32 s30, s46, s48
	s_addc_u32 s31, s47, s49
	s_add_u32 s28, s14, s48
	s_addc_u32 s29, s15, s49
	s_add_i32 s50, s58, 1
	s_cmp_ge_u32 s51, s10
	s_cbranch_scc1 .LBB35_15
; %bb.10:                               ;   in Loop: Header=BB35_4 Depth=1
	s_mov_b32 s57, s50
	s_branch .LBB35_4
.LBB35_11:                              ;   in Loop: Header=BB35_4 Depth=1
	s_load_dword s58, s[50:51], 0x0
	s_waitcnt lgkmcnt(0)
	s_add_i32 s43, s28, s43
	s_add_i32 s55, s58, s55
	;; [unrolled: 1-line block ×3, first 2 shown]
	s_cmp_ge_u32 s58, s11
	s_cbranch_scc1 .LBB35_6
.LBB35_12:                              ;   in Loop: Header=BB35_4 Depth=1
	s_load_dword s59, s[50:51], 0x4
	s_waitcnt lgkmcnt(0)
	s_add_i32 s43, s43, s29
	s_add_i32 s55, s59, s55
	;; [unrolled: 1-line block ×3, first 2 shown]
	s_cmp_ge_u32 s58, s11
	s_cbranch_scc1 .LBB35_7
.LBB35_13:                              ;   in Loop: Header=BB35_4 Depth=1
	s_load_dword s59, s[50:51], 0x8
	s_waitcnt lgkmcnt(0)
	s_add_i32 s43, s43, s30
	s_add_i32 s55, s59, s55
	s_add_i32 s58, s58, 1
	s_cmp_ge_u32 s58, s11
	s_cbranch_scc0 .LBB35_8
	s_branch .LBB35_9
.LBB35_14:
	s_mov_b32 s55, 0
	s_mov_b32 s56, 0
	;; [unrolled: 1-line block ×3, first 2 shown]
	s_cmp_ge_u32 s14, s10
	s_cbranch_scc0 .LBB35_38
	s_branch .LBB35_16
.LBB35_15:
	s_add_i32 s14, s57, 4
	s_cmp_ge_u32 s14, s10
	s_cbranch_scc0 .LBB35_38
.LBB35_16:
	v_mov_b32_e32 v2, s55
	v_mov_b32_e32 v3, s56
	;; [unrolled: 1-line block ×4, first 2 shown]
	ds_write_b96 v1, v[2:4] offset:1056
.LBB35_17:
	s_or_b64 exec, exec, s[12:13]
	s_load_dwordx4 s[12:15], s[4:5], 0xd8
	s_mul_i32 s28, s9, s11
	s_lshl_b32 s28, s28, 8
	s_waitcnt lgkmcnt(0)
	s_add_i32 s15, s11, 1
	s_mov_b32 s11, 0
	s_sub_i32 s29, s12, s28
	s_add_u32 s29, s29, 0xff
	s_addc_u32 s30, 0, 0
	v_mov_b32_e32 v1, s29
	v_alignbit_b32 v1, s30, v1, 8
	s_cmp_lt_u32 s15, s10
	v_readfirstlane_b32 s10, v1
	s_cselect_b32 s9, s9, s10
	s_cmp_eq_u32 s9, 0
	s_barrier
	s_cbranch_scc1 .LBB35_40
; %bb.18:
	s_mul_i32 s10, s23, s45
	s_mul_i32 s15, s27, s44
	s_sub_i32 s10, s42, s10
	s_sub_i32 s15, s23, s15
	s_mul_i32 s10, s10, s26
	s_add_i32 s26, s27, 1
	s_sub_i32 s29, s15, s44
	s_cmp_ge_u32 s15, s44
	s_cselect_b32 s26, s26, s27
	s_cselect_b32 s15, s29, s15
	s_add_i32 s27, s26, 1
	s_cmp_ge_u32 s15, s44
	s_cselect_b32 s15, s27, s26
	s_mul_i32 s26, s15, s44
	s_sub_i32 s23, s23, s26
	s_mul_i32 s23, s23, s25
	s_add_i32 s10, s23, s10
	s_mul_i32 s15, s15, s24
	s_add_i32 s10, s10, s15
	s_mul_i32 s15, s33, s41
	s_sub_i32 s15, s42, s15
	s_mul_i32 s15, s15, s22
	s_mul_i32 s22, s54, s40
	s_sub_i32 s22, s33, s22
	s_add_i32 s23, s54, 1
	s_sub_i32 s24, s22, s40
	s_cmp_ge_u32 s22, s40
	s_cselect_b32 s23, s23, s54
	s_cselect_b32 s22, s24, s22
	s_add_i32 s24, s23, 1
	s_cmp_ge_u32 s22, s40
	s_cselect_b32 s22, s24, s23
	s_mul_i32 s23, s22, s40
	s_sub_i32 s23, s33, s23
	s_mul_i32 s21, s23, s21
	s_add_i32 s15, s21, s15
	s_mul_i32 s22, s22, s20
	s_add_i32 s20, s15, s22
	s_mul_i32 s15, s52, s39
	s_sub_i32 s15, s42, s15
	s_mul_i32 s15, s15, s18
	s_mul_i32 s18, s53, s38
	s_sub_i32 s18, s52, s18
	s_add_i32 s21, s53, 1
	s_sub_i32 s22, s18, s38
	s_cmp_ge_u32 s18, s38
	s_cselect_b32 s21, s21, s53
	s_cselect_b32 s18, s22, s18
	s_add_i32 s22, s21, 1
	s_cmp_ge_u32 s18, s38
	s_cselect_b32 s18, s22, s21
	s_mul_i32 s21, s18, s38
	s_sub_i32 s21, s52, s21
	s_mul_i32 s17, s21, s17
	s_add_i32 s15, s17, s15
	s_mul_i32 s18, s18, s16
	v_mov_b32_e32 v1, 0
	s_add_i32 s22, s15, s18
	s_lshl_b64 s[16:17], s[10:11], 2
	ds_read_b96 v[2:4], v1 offset:1056
	s_add_u32 s15, s36, s16
	s_mov_b32 s21, s11
	s_addc_u32 s16, s37, s17
	s_lshl_b64 s[20:21], s[20:21], 2
	s_add_u32 s17, s34, s20
	s_mov_b32 s23, s11
	s_addc_u32 s18, s35, s21
	s_lshl_b64 s[10:11], s[22:23], 3
	s_add_u32 s20, s6, s10
	s_waitcnt lgkmcnt(0)
	v_add_u32_e32 v5, v2, v3
	v_lshrrev_b32_e32 v2, 5, v0
	s_addc_u32 s21, s7, s11
	s_xor_b32 s22, s19, 0x80000000
	v_add_lshl_u32 v6, v2, v0, 2
	v_lshlrev_b32_e32 v2, 2, v0
	v_lshrrev_b32_e32 v3, 3, v0
	s_bitcmp1_b32 s14, 0
	s_load_dword s10, s[4:5], 0xe8
	s_load_dword s14, s[4:5], 0x1c8
	v_add_lshl_u32 v7, v3, v2, 2
	v_add_u32_e32 v2, -1, v0
	v_lshrrev_b32_e32 v3, 5, v2
	v_add_lshl_u32 v8, v3, v2, 2
	v_mbcnt_lo_u32_b32 v3, -1, 0
	v_add_u32_e32 v2, s28, v0
	v_mbcnt_hi_u32_b32 v9, -1, v3
	s_cselect_b64 s[6:7], -1, 0
	v_cmp_gt_u32_e64 s[4:5], 64, v0
	s_waitcnt lgkmcnt(0)
	v_mul_lo_u32 v0, s10, v2
	s_lshl_b32 s23, s10, 8
	v_and_b32_e32 v10, 15, v9
	v_bfe_i32 v11, v9, 4, 1
	v_add_u32_e32 v12, -1, v9
	v_and_b32_e32 v13, 64, v9
                                        ; implicit-def: $vgpr14
	s_branch .LBB35_21
.LBB35_19:                              ;   in Loop: Header=BB35_21 Depth=1
	s_or_b64 exec, exec, s[10:11]
	v_add_u32_e32 v5, v17, v5
.LBB35_20:                              ;   in Loop: Header=BB35_21 Depth=1
	s_add_i32 s9, s9, -1
	v_add_u32_e32 v4, v16, v4
	v_add_u32_e32 v0, s23, v0
	s_cmp_lg_u32 s9, 0
	v_add_u32_e32 v2, 0x100, v2
	s_cbranch_scc0 .LBB35_40
.LBB35_21:                              ; =>This Inner Loop Header: Depth=1
	v_cmp_gt_u32_e32 vcc, s12, v2
	v_mov_b32_e32 v3, 0
	v_mov_b32_e32 v15, 0
	s_and_saveexec_b64 s[10:11], vcc
	s_cbranch_execz .LBB35_23
; %bb.22:                               ;   in Loop: Header=BB35_21 Depth=1
	v_lshlrev_b64 v[14:15], 2, v[0:1]
	v_mov_b32_e32 v3, s16
	v_add_co_u32_e32 v14, vcc, s15, v14
	v_addc_co_u32_e32 v15, vcc, v3, v15, vcc
	global_load_dword v14, v[14:15], off
	s_waitcnt vmcnt(0)
	v_xor_b32_e32 v3, 0x80000000, v14
	v_cmp_lt_u32_e32 vcc, s22, v3
	v_cndmask_b32_e64 v15, 0, 1, vcc
	v_cmp_gt_u32_e32 vcc, s22, v3
	v_cndmask_b32_e64 v3, 0, 1, vcc
	v_cndmask_b32_e64 v3, v3, v15, s[6:7]
	v_cmp_eq_u32_e32 vcc, s19, v14
	v_and_b32_e32 v3, 1, v3
	v_cndmask_b32_e64 v15, 0, 1, vcc
.LBB35_23:                              ;   in Loop: Header=BB35_21 Depth=1
	s_or_b64 exec, exec, s[10:11]
	ds_write_b32 v6, v3
	s_waitcnt lgkmcnt(0)
	s_barrier
	s_and_saveexec_b64 s[10:11], s[4:5]
	s_cbranch_execz .LBB35_25
; %bb.24:                               ;   in Loop: Header=BB35_21 Depth=1
	ds_read2_b32 v[16:17], v7 offset1:1
	ds_read2_b32 v[18:19], v7 offset0:2 offset1:3
	v_cmp_ne_u32_e32 vcc, 0, v10
	; wave barrier
	s_waitcnt lgkmcnt(1)
	v_add_u32_e32 v17, v17, v16
	s_waitcnt lgkmcnt(0)
	v_add3_u32 v17, v17, v18, v19
	s_nop 1
	v_mov_b32_dpp v18, v17 row_shr:1 row_mask:0xf bank_mask:0xf
	v_cndmask_b32_e32 v18, 0, v18, vcc
	v_add_u32_e32 v17, v18, v17
	v_cmp_lt_u32_e32 vcc, 1, v10
	s_nop 0
	v_mov_b32_dpp v18, v17 row_shr:2 row_mask:0xf bank_mask:0xf
	v_cndmask_b32_e32 v18, 0, v18, vcc
	v_add_u32_e32 v17, v17, v18
	v_cmp_lt_u32_e32 vcc, 3, v10
	;; [unrolled: 5-line block ×4, first 2 shown]
	s_nop 0
	v_mov_b32_dpp v18, v17 row_bcast:15 row_mask:0xf bank_mask:0xf
	v_and_b32_e32 v18, v11, v18
	v_add_u32_e32 v17, v17, v18
	s_nop 1
	v_mov_b32_dpp v18, v17 row_bcast:31 row_mask:0xf bank_mask:0xf
	v_cndmask_b32_e32 v18, 0, v18, vcc
	v_cmp_lt_i32_e32 vcc, v12, v13
	v_add_u32_e32 v17, v17, v18
	v_cndmask_b32_e32 v18, v12, v9, vcc
	v_lshlrev_b32_e32 v18, 2, v18
	ds_bpermute_b32 v17, v18, v17
	s_waitcnt lgkmcnt(0)
	v_add_u32_e32 v16, v17, v16
	v_cndmask_b32_e64 v18, v16, v3, s[2:3]
	ds_write_b32 v7, v18
	; wave barrier
	ds_read2_b32 v[16:17], v7 offset0:1 offset1:2
	ds_read_b32 v19, v7 offset:12
	s_waitcnt lgkmcnt(1)
	v_add_u32_e32 v16, v16, v18
	v_add_u32_e32 v17, v17, v16
	ds_write2_b32 v7, v16, v17 offset0:1 offset1:2
	s_waitcnt lgkmcnt(1)
	v_add_u32_e32 v16, v19, v17
	ds_write_b32 v7, v16 offset:12
.LBB35_25:                              ;   in Loop: Header=BB35_21 Depth=1
	s_or_b64 exec, exec, s[10:11]
	v_mov_b32_e32 v17, 0
	s_waitcnt lgkmcnt(0)
	s_barrier
	s_and_saveexec_b64 s[10:11], s[0:1]
	s_cbranch_execz .LBB35_27
; %bb.26:                               ;   in Loop: Header=BB35_21 Depth=1
	ds_read_b32 v17, v8
.LBB35_27:                              ;   in Loop: Header=BB35_21 Depth=1
	s_or_b64 exec, exec, s[10:11]
	ds_read_b32 v16, v1 offset:1048
	v_cmp_ne_u32_e32 vcc, 0, v3
	s_waitcnt lgkmcnt(0)
	s_barrier
	s_and_saveexec_b64 s[10:11], vcc
	s_cbranch_execz .LBB35_29
; %bb.28:                               ;   in Loop: Header=BB35_21 Depth=1
	v_add_u32_e32 v17, v17, v4
	v_mul_lo_u32 v18, v17, s14
	v_mov_b32_e32 v19, v1
	v_lshlrev_b64 v[18:19], 2, v[18:19]
	v_mov_b32_e32 v3, s18
	v_add_co_u32_e32 v18, vcc, s17, v18
	v_addc_co_u32_e32 v19, vcc, v3, v19, vcc
	global_store_dword v[18:19], v14, off
	v_mul_lo_u32 v18, v17, s8
	v_mov_b32_e32 v19, v1
	v_lshlrev_b64 v[18:19], 3, v[18:19]
	v_mov_b32_e32 v17, s21
	v_add_co_u32_e32 v18, vcc, s20, v18
	v_mov_b32_e32 v3, v1
	v_addc_co_u32_e32 v19, vcc, v17, v19, vcc
	global_store_dwordx2 v[18:19], v[2:3], off
.LBB35_29:                              ;   in Loop: Header=BB35_21 Depth=1
	s_or_b64 exec, exec, s[10:11]
	v_cmp_le_u32_e32 vcc, s13, v5
	s_cbranch_vccnz .LBB35_20
; %bb.30:                               ;   in Loop: Header=BB35_21 Depth=1
	ds_write_b32 v6, v15
	s_waitcnt lgkmcnt(0)
	s_barrier
	s_and_saveexec_b64 s[10:11], s[4:5]
	s_cbranch_execz .LBB35_32
; %bb.31:                               ;   in Loop: Header=BB35_21 Depth=1
	ds_read2_b32 v[18:19], v7 offset1:1
	ds_read2_b32 v[20:21], v7 offset0:2 offset1:3
	v_cmp_ne_u32_e32 vcc, 0, v10
	; wave barrier
	s_waitcnt lgkmcnt(1)
	v_add_u32_e32 v3, v19, v18
	s_waitcnt lgkmcnt(0)
	v_add3_u32 v3, v3, v20, v21
	s_nop 1
	v_mov_b32_dpp v17, v3 row_shr:1 row_mask:0xf bank_mask:0xf
	v_cndmask_b32_e32 v17, 0, v17, vcc
	v_add_u32_e32 v3, v17, v3
	v_cmp_lt_u32_e32 vcc, 1, v10
	s_nop 0
	v_mov_b32_dpp v17, v3 row_shr:2 row_mask:0xf bank_mask:0xf
	v_cndmask_b32_e32 v17, 0, v17, vcc
	v_add_u32_e32 v3, v3, v17
	v_cmp_lt_u32_e32 vcc, 3, v10
	;; [unrolled: 5-line block ×4, first 2 shown]
	s_nop 0
	v_mov_b32_dpp v17, v3 row_bcast:15 row_mask:0xf bank_mask:0xf
	v_and_b32_e32 v17, v11, v17
	v_add_u32_e32 v3, v3, v17
	s_nop 1
	v_mov_b32_dpp v17, v3 row_bcast:31 row_mask:0xf bank_mask:0xf
	v_cndmask_b32_e32 v17, 0, v17, vcc
	v_cmp_lt_i32_e32 vcc, v12, v13
	v_add_u32_e32 v3, v3, v17
	v_cndmask_b32_e32 v17, v12, v9, vcc
	v_lshlrev_b32_e32 v17, 2, v17
	ds_bpermute_b32 v3, v17, v3
	s_waitcnt lgkmcnt(0)
	v_add_u32_e32 v3, v3, v18
	v_cndmask_b32_e64 v3, v3, v15, s[2:3]
	ds_write_b32 v7, v3
	; wave barrier
	ds_read2_b32 v[18:19], v7 offset0:1 offset1:2
	ds_read_b32 v17, v7 offset:12
	s_waitcnt lgkmcnt(1)
	v_add_u32_e32 v3, v18, v3
	v_add_u32_e32 v18, v19, v3
	ds_write2_b32 v7, v3, v18 offset0:1 offset1:2
	s_waitcnt lgkmcnt(1)
	v_add_u32_e32 v3, v17, v18
	ds_write_b32 v7, v3 offset:12
.LBB35_32:                              ;   in Loop: Header=BB35_21 Depth=1
	s_or_b64 exec, exec, s[10:11]
	v_mov_b32_e32 v3, 0
	s_waitcnt lgkmcnt(0)
	s_barrier
	s_and_saveexec_b64 s[10:11], s[0:1]
	s_cbranch_execz .LBB35_34
; %bb.33:                               ;   in Loop: Header=BB35_21 Depth=1
	ds_read_b32 v3, v8
.LBB35_34:                              ;   in Loop: Header=BB35_21 Depth=1
	s_or_b64 exec, exec, s[10:11]
	ds_read_b32 v17, v1 offset:1048
	v_cmp_ne_u32_e32 vcc, 0, v15
	s_waitcnt lgkmcnt(0)
	s_barrier
	s_and_saveexec_b64 s[10:11], vcc
	s_cbranch_execz .LBB35_19
; %bb.35:                               ;   in Loop: Header=BB35_21 Depth=1
	v_add_u32_e32 v15, v3, v5
	v_cmp_gt_u32_e32 vcc, s13, v15
	s_and_b64 exec, exec, vcc
	s_cbranch_execz .LBB35_19
; %bb.36:                               ;   in Loop: Header=BB35_21 Depth=1
	v_mul_lo_u32 v18, v15, s14
	v_mov_b32_e32 v19, v1
	v_lshlrev_b64 v[18:19], 2, v[18:19]
	v_mov_b32_e32 v3, s18
	v_add_co_u32_e32 v18, vcc, s17, v18
	v_addc_co_u32_e32 v19, vcc, v3, v19, vcc
	global_store_dword v[18:19], v14, off
	v_mul_lo_u32 v18, v15, s8
	v_mov_b32_e32 v19, v1
	v_lshlrev_b64 v[18:19], 3, v[18:19]
	v_mov_b32_e32 v15, s21
	v_add_co_u32_e32 v18, vcc, s20, v18
	v_mov_b32_e32 v3, v1
	v_addc_co_u32_e32 v19, vcc, v15, v19, vcc
	global_store_dwordx2 v[18:19], v[2:3], off
	s_branch .LBB35_19
.LBB35_37:                              ;   in Loop: Header=BB35_38 Depth=1
	s_add_u32 s28, s28, 4
	s_addc_u32 s29, s29, 0
	s_waitcnt lgkmcnt(0)
	s_add_i32 s56, s15, s56
	s_add_u32 s30, s30, 4
	s_addc_u32 s31, s31, 0
	s_add_i32 s14, s14, 1
	s_cmp_lt_u32 s14, s10
	s_cbranch_scc0 .LBB35_16
.LBB35_38:                              ; =>This Inner Loop Header: Depth=1
	s_load_dword s15, s[28:29], 0x0
	s_cmp_ge_u32 s14, s11
	s_cbranch_scc1 .LBB35_37
; %bb.39:                               ;   in Loop: Header=BB35_38 Depth=1
	s_load_dword s46, s[30:31], 0x0
	s_waitcnt lgkmcnt(0)
	s_add_i32 s43, s15, s43
	s_add_i32 s55, s46, s55
	s_branch .LBB35_37
.LBB35_40:
	s_endpgm
	.section	.rodata,"a",@progbits
	.p2align	6, 0x0
	.amdhsa_kernel _ZN2at6native6mbtopk10gatherTopKIijLi3EEEvNS_4cuda6detail10TensorInfoIKT_T0_EES8_S8_bjS8_NS5_IS6_S8_EES8_NS5_IlS8_EES8_jjPS6_PjSD_j
		.amdhsa_group_segment_fixed_size 1068
		.amdhsa_private_segment_fixed_size 0
		.amdhsa_kernarg_size 984
		.amdhsa_user_sgpr_count 6
		.amdhsa_user_sgpr_private_segment_buffer 1
		.amdhsa_user_sgpr_dispatch_ptr 0
		.amdhsa_user_sgpr_queue_ptr 0
		.amdhsa_user_sgpr_kernarg_segment_ptr 1
		.amdhsa_user_sgpr_dispatch_id 0
		.amdhsa_user_sgpr_flat_scratch_init 0
		.amdhsa_user_sgpr_kernarg_preload_length 0
		.amdhsa_user_sgpr_kernarg_preload_offset 0
		.amdhsa_user_sgpr_private_segment_size 0
		.amdhsa_uses_dynamic_stack 0
		.amdhsa_system_sgpr_private_segment_wavefront_offset 0
		.amdhsa_system_sgpr_workgroup_id_x 1
		.amdhsa_system_sgpr_workgroup_id_y 1
		.amdhsa_system_sgpr_workgroup_id_z 1
		.amdhsa_system_sgpr_workgroup_info 0
		.amdhsa_system_vgpr_workitem_id 0
		.amdhsa_next_free_vgpr 22
		.amdhsa_next_free_sgpr 60
		.amdhsa_accum_offset 24
		.amdhsa_reserve_vcc 1
		.amdhsa_reserve_flat_scratch 0
		.amdhsa_float_round_mode_32 0
		.amdhsa_float_round_mode_16_64 0
		.amdhsa_float_denorm_mode_32 3
		.amdhsa_float_denorm_mode_16_64 3
		.amdhsa_dx10_clamp 1
		.amdhsa_ieee_mode 1
		.amdhsa_fp16_overflow 0
		.amdhsa_tg_split 0
		.amdhsa_exception_fp_ieee_invalid_op 0
		.amdhsa_exception_fp_denorm_src 0
		.amdhsa_exception_fp_ieee_div_zero 0
		.amdhsa_exception_fp_ieee_overflow 0
		.amdhsa_exception_fp_ieee_underflow 0
		.amdhsa_exception_fp_ieee_inexact 0
		.amdhsa_exception_int_div_zero 0
	.end_amdhsa_kernel
	.section	.text._ZN2at6native6mbtopk10gatherTopKIijLi3EEEvNS_4cuda6detail10TensorInfoIKT_T0_EES8_S8_bjS8_NS5_IS6_S8_EES8_NS5_IlS8_EES8_jjPS6_PjSD_j,"axG",@progbits,_ZN2at6native6mbtopk10gatherTopKIijLi3EEEvNS_4cuda6detail10TensorInfoIKT_T0_EES8_S8_bjS8_NS5_IS6_S8_EES8_NS5_IlS8_EES8_jjPS6_PjSD_j,comdat
.Lfunc_end35:
	.size	_ZN2at6native6mbtopk10gatherTopKIijLi3EEEvNS_4cuda6detail10TensorInfoIKT_T0_EES8_S8_bjS8_NS5_IS6_S8_EES8_NS5_IlS8_EES8_jjPS6_PjSD_j, .Lfunc_end35-_ZN2at6native6mbtopk10gatherTopKIijLi3EEEvNS_4cuda6detail10TensorInfoIKT_T0_EES8_S8_bjS8_NS5_IS6_S8_EES8_NS5_IlS8_EES8_jjPS6_PjSD_j
                                        ; -- End function
	.section	.AMDGPU.csdata,"",@progbits
; Kernel info:
; codeLenInByte = 2704
; NumSgprs: 64
; NumVgprs: 22
; NumAgprs: 0
; TotalNumVgprs: 22
; ScratchSize: 0
; MemoryBound: 0
; FloatMode: 240
; IeeeMode: 1
; LDSByteSize: 1068 bytes/workgroup (compile time only)
; SGPRBlocks: 7
; VGPRBlocks: 2
; NumSGPRsForWavesPerEU: 64
; NumVGPRsForWavesPerEU: 22
; AccumOffset: 24
; Occupancy: 8
; WaveLimiterHint : 1
; COMPUTE_PGM_RSRC2:SCRATCH_EN: 0
; COMPUTE_PGM_RSRC2:USER_SGPR: 6
; COMPUTE_PGM_RSRC2:TRAP_HANDLER: 0
; COMPUTE_PGM_RSRC2:TGID_X_EN: 1
; COMPUTE_PGM_RSRC2:TGID_Y_EN: 1
; COMPUTE_PGM_RSRC2:TGID_Z_EN: 1
; COMPUTE_PGM_RSRC2:TIDIG_COMP_CNT: 0
; COMPUTE_PGM_RSRC3_GFX90A:ACCUM_OFFSET: 5
; COMPUTE_PGM_RSRC3_GFX90A:TG_SPLIT: 0
	.section	.text._ZN2at6native6sbtopk10gatherTopKIijLi3ELb0EEEvNS_4cuda6detail10TensorInfoIKT_T0_EES8_S8_bS8_S8_NS5_IS6_S8_EES8_NS5_IlS8_EES8_PS6_,"axG",@progbits,_ZN2at6native6sbtopk10gatherTopKIijLi3ELb0EEEvNS_4cuda6detail10TensorInfoIKT_T0_EES8_S8_bS8_S8_NS5_IS6_S8_EES8_NS5_IlS8_EES8_PS6_,comdat
	.protected	_ZN2at6native6sbtopk10gatherTopKIijLi3ELb0EEEvNS_4cuda6detail10TensorInfoIKT_T0_EES8_S8_bS8_S8_NS5_IS6_S8_EES8_NS5_IlS8_EES8_PS6_ ; -- Begin function _ZN2at6native6sbtopk10gatherTopKIijLi3ELb0EEEvNS_4cuda6detail10TensorInfoIKT_T0_EES8_S8_bS8_S8_NS5_IS6_S8_EES8_NS5_IlS8_EES8_PS6_
	.globl	_ZN2at6native6sbtopk10gatherTopKIijLi3ELb0EEEvNS_4cuda6detail10TensorInfoIKT_T0_EES8_S8_bS8_S8_NS5_IS6_S8_EES8_NS5_IlS8_EES8_PS6_
	.p2align	8
	.type	_ZN2at6native6sbtopk10gatherTopKIijLi3ELb0EEEvNS_4cuda6detail10TensorInfoIKT_T0_EES8_S8_bS8_S8_NS5_IS6_S8_EES8_NS5_IlS8_EES8_PS6_,@function
_ZN2at6native6sbtopk10gatherTopKIijLi3ELb0EEEvNS_4cuda6detail10TensorInfoIKT_T0_EES8_S8_bS8_S8_NS5_IS6_S8_EES8_NS5_IlS8_EES8_PS6_: ; @_ZN2at6native6sbtopk10gatherTopKIijLi3ELb0EEEvNS_4cuda6detail10TensorInfoIKT_T0_EES8_S8_bS8_S8_NS5_IS6_S8_EES8_NS5_IlS8_EES8_PS6_
; %bb.0:
	s_load_dwordx2 s[12:13], s[4:5], 0x2b8
	s_load_dwordx4 s[60:63], s[4:5], 0xd8
	s_add_u32 s10, s4, 0x2b8
	s_addc_u32 s11, s5, 0
	s_waitcnt lgkmcnt(0)
	s_mul_i32 s0, s13, s8
	s_add_i32 s0, s0, s7
	s_mul_i32 s0, s0, s12
	s_add_i32 s13, s0, s6
	s_cmp_ge_u32 s13, s63
	s_cbranch_scc1 .LBB36_414
; %bb.1:
	s_load_dwordx4 s[0:3], s[4:5], 0x23c
                                        ; implicit-def: $vgpr53 : SGPR spill to VGPR lane
	s_load_dwordx2 s[16:17], s[4:5], 0xc
	s_load_dwordx2 s[14:15], s[4:5], 0x0
	s_mov_b32 s24, 0
	s_load_dword s20, s[4:5], 0xe8
	s_waitcnt lgkmcnt(0)
	v_writelane_b32 v53, s0, 0
	v_writelane_b32 v53, s1, 1
	;; [unrolled: 1-line block ×4, first 2 shown]
	s_load_dwordx2 s[18:19], s[4:5], 0x1dc
	s_load_dwordx2 s[0:1], s[4:5], 0x1d0
	v_cvt_f32_u32_e32 v1, s17
	s_waitcnt lgkmcnt(0)
	v_writelane_b32 v53, s0, 4
	v_writelane_b32 v53, s1, 5
	s_load_dwordx4 s[0:3], s[4:5], 0x15c
	v_rcp_iflag_f32_e32 v1, v1
	v_mul_f32_e32 v1, 0x4f7ffffe, v1
	s_waitcnt lgkmcnt(0)
	v_writelane_b32 v53, s0, 6
	v_writelane_b32 v53, s1, 7
	;; [unrolled: 1-line block ×4, first 2 shown]
	s_load_dwordx2 s[22:23], s[4:5], 0xfc
	s_load_dwordx2 s[0:1], s[4:5], 0xf0
	v_cvt_u32_f32_e32 v1, v1
	s_waitcnt lgkmcnt(0)
	v_cvt_f32_u32_e32 v2, s23
	v_writelane_b32 v53, s0, 10
	v_writelane_b32 v53, s1, 11
	;; [unrolled: 1-line block ×4, first 2 shown]
	s_load_dwordx4 s[0:3], s[4:5], 0x6c
	v_readfirstlane_b32 s4, v1
	v_cvt_f32_u32_e32 v1, s16
	s_waitcnt lgkmcnt(0)
	s_sub_i32 s3, 0, s17
	s_mul_i32 s3, s3, s4
	s_mul_hi_u32 s3, s4, s3
	s_add_i32 s4, s4, s3
	v_rcp_iflag_f32_e32 v1, v1
	s_mul_hi_u32 s3, s13, s4
	s_mul_i32 s4, s3, s17
	s_sub_i32 s4, s13, s4
	s_add_i32 s5, s3, 1
	s_sub_i32 s7, s4, s17
	v_mul_f32_e32 v1, 0x4f7ffffe, v1
	s_cmp_ge_u32 s4, s17
	v_cvt_u32_f32_e32 v1, v1
	v_rcp_iflag_f32_e32 v2, v2
	s_cselect_b32 s3, s5, s3
	s_cselect_b32 s4, s7, s4
	s_add_i32 s5, s3, 1
	s_cmp_ge_u32 s4, s17
	s_cselect_b32 s3, s5, s3
	v_readfirstlane_b32 s5, v1
	v_mul_f32_e32 v1, 0x4f7ffffe, v2
	v_cvt_u32_f32_e32 v1, v1
	s_sub_i32 s4, 0, s16
	s_mul_i32 s4, s4, s5
	s_mul_hi_u32 s4, s5, s4
	v_readfirstlane_b32 s7, v1
	v_cvt_f32_u32_e32 v1, s22
	s_add_i32 s5, s5, s4
	s_mul_hi_u32 s4, s3, s5
	s_sub_i32 s5, 0, s23
	s_mul_i32 s5, s5, s7
	s_mul_hi_u32 s5, s7, s5
	v_rcp_iflag_f32_e32 v1, v1
	s_add_i32 s7, s7, s5
	v_cvt_f32_u32_e32 v2, s19
	s_mul_hi_u32 s5, s13, s7
	s_mul_i32 s7, s5, s23
	s_sub_i32 s7, s13, s7
	v_mul_f32_e32 v1, 0x4f7ffffe, v1
	s_add_i32 s8, s5, 1
	s_sub_i32 s9, s7, s23
	v_cvt_u32_f32_e32 v1, v1
	v_rcp_iflag_f32_e32 v2, v2
	s_cmp_ge_u32 s7, s23
	s_cselect_b32 s5, s8, s5
	s_cselect_b32 s7, s9, s7
	s_add_i32 s8, s5, 1
	s_cmp_ge_u32 s7, s23
	v_readfirstlane_b32 s7, v1
	v_mul_f32_e32 v1, 0x4f7ffffe, v2
	s_cselect_b32 s8, s8, s5
	v_writelane_b32 v53, s22, 14
	s_sub_i32 s5, 0, s22
	v_cvt_u32_f32_e32 v1, v1
	s_mul_i32 s5, s5, s7
	s_mul_hi_u32 s5, s7, s5
	v_writelane_b32 v53, s23, 15
	s_add_i32 s7, s7, s5
	v_writelane_b32 v53, s8, 16
	s_mul_hi_u32 s5, s8, s7
	v_readfirstlane_b32 s7, v1
	v_cvt_f32_u32_e32 v1, s18
	v_writelane_b32 v53, s5, 17
	s_sub_i32 s5, 0, s19
	s_mul_i32 s5, s5, s7
	s_mul_hi_u32 s5, s7, s5
	s_add_i32 s7, s7, s5
	v_rcp_iflag_f32_e32 v1, v1
	s_mul_hi_u32 s5, s13, s7
	s_mul_i32 s7, s5, s19
	s_sub_i32 s7, s13, s7
	s_add_i32 s8, s5, 1
	s_sub_i32 s9, s7, s19
	v_mul_f32_e32 v1, 0x4f7ffffe, v1
	s_cmp_ge_u32 s7, s19
	v_cvt_u32_f32_e32 v1, v1
	s_cselect_b32 s5, s8, s5
	s_cselect_b32 s7, s9, s7
	s_add_i32 s8, s5, 1
	s_cmp_ge_u32 s7, s19
	s_cselect_b32 s8, s8, s5
	v_writelane_b32 v53, s18, 18
	s_sub_i32 s5, 0, s18
	v_readfirstlane_b32 s7, v1
	s_mul_i32 s5, s5, s7
	s_mul_hi_u32 s5, s7, s5
	v_writelane_b32 v53, s19, 19
	s_add_i32 s7, s7, s5
	v_writelane_b32 v53, s8, 20
	s_mul_hi_u32 s5, s8, s7
	v_writelane_b32 v53, s5, 21
	v_cmp_eq_u32_e64 s[8:9], 0, v0
	s_mov_b64 s[18:19], exec
	v_writelane_b32 v53, s8, 22
	v_writelane_b32 v53, s9, 23
	s_and_b64 s[8:9], s[18:19], s[8:9]
	s_mov_b64 exec, s[8:9]
	s_cbranch_execz .LBB36_3
; %bb.2:
	v_mov_b32_e32 v2, 0
	v_mov_b32_e32 v3, s60
	;; [unrolled: 1-line block ×3, first 2 shown]
	ds_write_b96 v2, v[2:4] offset:4096
.LBB36_3:
	s_or_b64 exec, exec, s[18:19]
	s_mul_i32 s5, s3, s17
	s_sub_i32 s5, s13, s5
	s_mul_i32 s5, s5, s2
	s_mul_i32 s2, s4, s16
	s_sub_i32 s2, s3, s2
	s_add_i32 s7, s4, 1
	s_sub_i32 s8, s2, s16
	s_cmp_ge_u32 s2, s16
	s_cselect_b32 s4, s7, s4
	s_cselect_b32 s2, s8, s2
	s_add_i32 s7, s4, 1
	s_cmp_ge_u32 s2, s16
	s_cselect_b32 s2, s7, s4
	s_mul_i32 s4, s2, s16
	s_sub_i32 s3, s3, s4
	s_mul_i32 s1, s3, s1
	s_add_i32 s1, s1, s5
	s_mul_i32 s2, s2, s0
	s_add_i32 s0, s1, s2
	s_mov_b32 s1, s24
	s_lshl_b64 s[0:1], s[0:1], 2
	s_add_u32 s33, s14, s0
	s_waitcnt lgkmcnt(0)
	s_barrier
	s_load_dword s0, s[10:11], 0xc
	v_writelane_b32 v53, s13, 24
	s_mov_b32 s2, 0
	s_addc_u32 s8, s15, s1
	v_mbcnt_lo_u32_b32 v1, -1, 0
	v_writelane_b32 v53, s2, 25
	s_bitcmp1_b32 s62, 0
	v_mbcnt_hi_u32_b32 v1, -1, v1
	v_writelane_b32 v53, s3, 26
	s_cselect_b64 s[2:3], -1, 0
	s_waitcnt lgkmcnt(0)
	s_and_b32 s9, s0, 0xffff
	s_bfe_u32 s5, s0, 0xa0006
	v_cmp_gt_u32_e32 vcc, 64, v0
	v_cmp_gt_i32_e64 s[0:1], 4, v1
	v_writelane_b32 v53, s2, 27
	s_xor_b64 s[62:63], s[2:3], -1
	s_lshl_b32 s85, s9, 2
	s_and_b64 s[82:83], vcc, s[0:1]
	s_cmpk_gt_u32 s60, 0x300
	v_writelane_b32 v53, s3, 28
	s_cselect_b64 s[0:1], -1, 0
	v_writelane_b32 v53, s0, 29
	s_cmp_gt_u32 s9, 63
	v_writelane_b32 v53, s1, 30
	s_cselect_b64 s[0:1], -1, 0
	v_writelane_b32 v53, s0, 31
	v_writelane_b32 v53, s1, 32
	s_add_i32 s0, s9, -1
	s_add_i32 s2, s0, s60
	s_cmp_lt_u32 s6, s12
	v_writelane_b32 v53, s0, 33
	s_cselect_b32 s0, 12, 18
	s_add_u32 s0, s10, s0
	s_addc_u32 s1, s11, 0
	v_writelane_b32 v53, s0, 34
	s_add_i32 s3, s5, -2
	v_writelane_b32 v53, s1, 35
	s_lshr_b32 s0, s3, 1
	s_add_i32 s4, s0, 1
	s_cmpk_gt_u32 s9, 0x7f
	v_mov_b32_e32 v11, 0
	s_cselect_b64 s[0:1], -1, 0
	v_writelane_b32 v53, s0, 36
	v_mul_lo_u32 v12, v0, s20
	v_mov_b32_e32 v13, v11
	v_writelane_b32 v53, s1, 37
	v_cmp_gt_u32_e64 s[6:7], s60, v0
	v_lshlrev_b64 v[2:3], 2, v[12:13]
	v_writelane_b32 v53, s6, 38
	v_mov_b32_e32 v13, s8
	v_add_co_u32_e32 v8, vcc, s33, v2
	v_lshrrev_b32_e32 v2, 4, v0
	v_writelane_b32 v53, s7, 39
	v_addc_co_u32_e32 v9, vcc, v13, v3, vcc
	v_and_b32_e32 v22, 60, v2
	v_cmp_gt_u32_e64 s[6:7], 2, v0
	v_lshlrev_b64 v[2:3], v1, -1
	v_writelane_b32 v53, s6, 40
	v_not_b32_e32 v6, v2
	v_cvt_f32_u32_e32 v2, s85
	v_writelane_b32 v53, s7, 41
	s_and_b32 s6, s5, 0x3fe
	s_and_b32 s7, s4, 7
	s_cmp_gt_u32 s3, 13
	s_cselect_b64 s[10:11], -1, 0
	v_writelane_b32 v53, s10, 42
	v_rcp_iflag_f32_e32 v2, v2
	v_writelane_b32 v53, s11, 43
	s_and_b32 s3, s4, -8
	v_writelane_b32 v53, s3, 44
	s_cmp_lg_u32 s7, 0
	v_writelane_b32 v53, s7, 45
	s_cselect_b64 s[10:11], -1, 0
	v_writelane_b32 v53, s10, 46
	v_mul_f32_e32 v2, 0x4f7ffffe, v2
	v_writelane_b32 v53, s11, 47
	v_cvt_u32_f32_e32 v2, v2
	v_writelane_b32 v53, s5, 48
	s_cmp_lg_u32 s6, s5
	v_writelane_b32 v53, s6, 49
	s_cselect_b64 s[4:5], -1, 0
	v_writelane_b32 v53, s4, 50
	v_writelane_b32 v53, s5, 51
	s_sub_i32 s3, 0, s85
	v_readfirstlane_b32 s4, v2
	s_mul_i32 s3, s3, s4
	s_mul_hi_u32 s3, s4, s3
	s_add_i32 s3, s4, s3
	v_cvt_f32_u32_e32 v2, s9
	v_writelane_b32 v53, s3, 52
	s_mul_hi_u32 s3, s60, s3
	s_mul_i32 s3, s3, s85
	s_sub_i32 s3, s60, s3
	s_sub_i32 s4, s3, s85
	v_rcp_iflag_f32_e32 v5, v2
	s_cmp_ge_u32 s3, s85
	s_cselect_b32 s3, s4, s3
	s_sub_i32 s4, s3, s85
	s_cmp_ge_u32 s3, s85
	v_mul_f32_e32 v5, 0x4f7ffffe, v5
	s_cselect_b32 s3, s4, s3
	v_cvt_u32_f32_e32 v5, v5
	v_lshlrev_b32_e32 v21, 2, v0
	s_sub_i32 s87, s60, s3
	v_cmp_gt_u32_e64 s[4:5], s87, v21
	v_writelane_b32 v53, s4, 53
	v_writelane_b32 v53, s5, 54
	s_sub_i32 s4, 0, s9
	v_readfirstlane_b32 s5, v5
	s_mul_i32 s4, s4, s5
	s_mul_hi_u32 s4, s5, s4
	s_add_i32 s4, s5, s4
	v_writelane_b32 v53, s4, 55
	s_mul_hi_u32 s4, s2, s4
	s_mul_i32 s4, s4, s9
	s_sub_i32 s4, s2, s4
	s_sub_i32 s5, s4, s9
	v_add_u32_e32 v24, s87, v0
	s_cmp_ge_u32 s4, s9
	v_mul_lo_u32 v10, v24, s20
	s_cselect_b32 s4, s5, s4
	v_not_b32_e32 v7, v3
	v_lshlrev_b64 v[2:3], 2, v[10:11]
	s_sub_i32 s5, s4, s9
	v_add_co_u32_e32 v14, vcc, s33, v2
	s_cmp_ge_u32 s4, s9
	v_mul_lo_u32 v2, s20, v21
	s_cselect_b32 s4, s5, s4
	v_add_u32_e32 v25, s20, v2
	v_or_b32_e32 v2, 2, v21
	s_sub_i32 s12, s2, s4
	v_mul_lo_u32 v26, s20, v2
	v_or_b32_e32 v2, 3, v21
	s_add_i32 s2, s9, s60
	v_cmp_gt_u32_e64 s[4:5], s12, v0
	v_mul_lo_u32 v27, s20, v2
	v_add_u32_e32 v2, s2, v0
	v_lshlrev_b32_e32 v4, 2, v1
	v_mov_b32_e32 v10, s8
	v_writelane_b32 v53, s4, 56
	s_mul_i32 s84, s20, s9
	v_subrev_u32_e32 v2, s3, v2
	v_cmp_eq_u32_e64 s[0:1], 0, v1
	v_add_u32_e32 v23, 0xc00, v21
	v_and_b32_e32 v20, 0x100, v4
	v_cmp_gt_u32_e64 s[14:15], s60, v24
	v_addc_co_u32_e32 v15, vcc, v10, v3, vcc
	v_writelane_b32 v53, s5, 57
	s_lshl_b32 s13, s84, 2
	v_lshlrev_b32_e32 v28, 2, v12
	v_mul_lo_u32 v29, s20, v2
	v_lshlrev_b32_e32 v30, 4, v0
	s_lshl_b32 s6, s9, 4
	v_or_b32_e32 v31, 0xc00, v4
	s_mov_b32 s7, 30
	s_mov_b64 s[74:75], 0
	v_mov_b32_e32 v35, s61
	v_mov_b32_e32 v16, 1
	;; [unrolled: 1-line block ×6, first 2 shown]
	s_mov_b32 s86, 0
	v_writelane_b32 v53, s20, 58
                                        ; implicit-def: $sgpr64_sgpr65
                                        ; implicit-def: $sgpr66_sgpr67
                                        ; implicit-def: $sgpr68_sgpr69
                                        ; implicit-def: $sgpr70_sgpr71
                                        ; implicit-def: $sgpr2_sgpr3
                                        ; implicit-def: $sgpr76_sgpr77
                                        ; implicit-def: $sgpr78_sgpr79
                                        ; implicit-def: $sgpr92_sgpr93
                                        ; implicit-def: $sgpr94_sgpr95
                                        ; implicit-def: $sgpr72_sgpr73
	s_branch .LBB36_6
.LBB36_4:                               ;   in Loop: Header=BB36_6 Depth=1
	s_or_b64 exec, exec, s[22:23]
	s_andn2_b64 s[4:5], s[72:73], exec
	s_and_b64 s[10:11], s[16:17], exec
	s_or_b64 s[72:73], s[4:5], s[10:11]
	s_andn2_b64 s[94:95], s[94:95], exec
	s_andn2_b64 s[92:93], s[92:93], exec
	;; [unrolled: 1-line block ×4, first 2 shown]
	s_orn2_b64 s[24:25], s[20:21], exec
	v_mov_b32_e32 v33, v5
	v_mov_b32_e32 v34, v4
	v_mov_b32_e32 v35, v36
	v_mov_b32_e32 v19, v3
.LBB36_5:                               ;   in Loop: Header=BB36_6 Depth=1
	s_or_b64 exec, exec, s[18:19]
	s_and_b64 s[4:5], exec, s[24:25]
	s_or_b64 s[74:75], s[4:5], s[74:75]
	s_andn2_b64 s[2:3], s[2:3], exec
	s_and_b64 s[4:5], s[72:73], exec
	s_or_b64 s[2:3], s[2:3], s[4:5]
	s_andn2_b64 s[4:5], s[70:71], exec
	s_and_b64 s[10:11], s[94:95], exec
	;; [unrolled: 3-line block ×5, first 2 shown]
	s_or_b64 s[64:65], s[4:5], s[10:11]
	s_andn2_b64 exec, exec, s[74:75]
	s_cbranch_execz .LBB36_410
.LBB36_6:                               ; =>This Loop Header: Depth=1
                                        ;     Child Loop BB36_14 Depth 2
                                        ;     Child Loop BB36_32 Depth 2
	;; [unrolled: 1-line block ×25, first 2 shown]
	ds_read_b64 v[2:3], v11 offset:4096
	s_waitcnt lgkmcnt(0)
	v_readfirstlane_b32 s4, v2
	s_cmp_lg_u32 s4, 0
	s_cbranch_scc1 .LBB36_39
; %bb.7:                                ;   in Loop: Header=BB36_6 Depth=1
	v_readlane_b32 s4, v53, 29
	v_readlane_b32 s5, v53, 30
	s_and_b64 vcc, exec, s[4:5]
	s_cbranch_vccz .LBB36_22
; %bb.8:                                ;   in Loop: Header=BB36_6 Depth=1
	s_movk_i32 s4, 0x301
	v_cmp_gt_u32_e32 vcc, s4, v3
	s_mov_b64 s[22:23], 0
	s_mov_b64 s[16:17], 0
	s_cbranch_vccz .LBB36_23
; %bb.9:                                ;   in Loop: Header=BB36_6 Depth=1
	v_mov_b32_e32 v2, 0
	s_mov_b64 s[16:17], exec
	v_readlane_b32 s4, v53, 38
	v_readlane_b32 s5, v53, 39
	s_and_b64 s[4:5], s[16:17], s[4:5]
	s_mov_b64 exec, s[4:5]
	s_cbranch_execz .LBB36_11
; %bb.10:                               ;   in Loop: Header=BB36_6 Depth=1
	global_load_dword v2, v[8:9], off
.LBB36_11:                              ;   in Loop: Header=BB36_6 Depth=1
	s_or_b64 exec, exec, s[16:17]
	s_mov_b64 s[24:25], exec
	v_readlane_b32 s4, v53, 38
	v_readlane_b32 s5, v53, 39
	s_and_b64 s[4:5], s[24:25], s[4:5]
	s_mov_b64 exec, s[4:5]
	s_cbranch_execz .LBB36_24
; %bb.12:                               ;   in Loop: Header=BB36_6 Depth=1
	v_readlane_b32 s4, v53, 34
	v_readlane_b32 s5, v53, 35
	s_mov_b64 s[26:27], 0
	s_nop 3
	global_load_ushort v3, v11, s[4:5]
	v_readlane_b32 s4, v53, 58
	s_waitcnt vmcnt(0)
	v_add_u32_e32 v5, v0, v3
	v_mul_lo_u32 v4, s4, v3
	v_mul_lo_u32 v10, s4, v5
	v_mov_b32_e32 v5, v0
	s_branch .LBB36_14
.LBB36_13:                              ;   in Loop: Header=BB36_14 Depth=2
	s_or_b64 exec, exec, s[16:17]
	v_add_u32_e32 v10, v10, v4
	s_waitcnt vmcnt(0)
	v_mov_b32_e32 v2, v17
	s_andn2_b64 exec, exec, s[26:27]
	s_cbranch_execz .LBB36_24
.LBB36_14:                              ;   Parent Loop BB36_6 Depth=1
                                        ; =>  This Inner Loop Header: Depth=2
	v_add_u32_e32 v5, v5, v3
	v_cmp_gt_u32_e64 s[18:19], s60, v5
	v_cmp_le_u32_e32 vcc, s60, v5
	s_waitcnt lgkmcnt(0)
	v_mov_b32_e32 v18, 0
	v_mov_b32_e32 v17, 0
	s_and_saveexec_b64 s[16:17], s[18:19]
	s_cbranch_execz .LBB36_16
; %bb.15:                               ;   in Loop: Header=BB36_14 Depth=2
	v_lshlrev_b64 v[36:37], 2, v[10:11]
	v_add_co_u32_e64 v36, s[18:19], s33, v36
	v_addc_co_u32_e64 v37, s[18:19], v13, v37, s[18:19]
	global_load_dword v17, v[36:37], off
.LBB36_16:                              ;   in Loop: Header=BB36_14 Depth=2
	s_or_b64 exec, exec, s[16:17]
	v_xor_b32_e32 v36, 0x80000000, v2
	v_and_b32_e32 v36, v36, v33
	v_cmp_eq_u32_e64 s[18:19], v36, v34
	s_cmp_lg_u64 s[18:19], 0
	s_cselect_b64 s[4:5], -1, 0
	s_and_b64 s[4:5], s[0:1], s[4:5]
	s_and_saveexec_b64 s[16:17], s[4:5]
	s_cbranch_execz .LBB36_20
; %bb.17:                               ;   in Loop: Header=BB36_14 Depth=2
	s_mov_b64 s[30:31], exec
	v_mbcnt_lo_u32_b32 v18, s30, 0
	v_mbcnt_hi_u32_b32 v18, s31, v18
	s_bcnt1_i32_b64 s4, s[18:19]
	v_cmp_eq_u32_e64 s[20:21], 0, v18
                                        ; implicit-def: $vgpr36
	s_and_saveexec_b64 s[28:29], s[20:21]
	s_cbranch_execz .LBB36_19
; %bb.18:                               ;   in Loop: Header=BB36_14 Depth=2
	s_bcnt1_i32_b64 s5, s[30:31]
	s_mul_i32 s5, s4, s5
	v_mov_b32_e32 v36, s5
	ds_add_rtn_u32 v36, v11, v36 offset:4104
.LBB36_19:                              ;   in Loop: Header=BB36_14 Depth=2
	s_or_b64 exec, exec, s[28:29]
	s_waitcnt lgkmcnt(0)
	v_readfirstlane_b32 s5, v36
	v_mov_b32_e32 v36, s5
	v_mad_u32_u24 v18, s4, v18, v36
.LBB36_20:                              ;   in Loop: Header=BB36_14 Depth=2
	s_or_b64 exec, exec, s[16:17]
	ds_bpermute_b32 v18, v20, v18
	s_and_b64 s[4:5], exec, vcc
	s_or_b64 s[26:27], s[4:5], s[26:27]
	s_and_saveexec_b64 s[16:17], s[18:19]
	s_cbranch_execz .LBB36_13
; %bb.21:                               ;   in Loop: Header=BB36_14 Depth=2
	v_and_b32_e32 v37, s18, v6
	v_and_b32_e32 v36, s19, v7
	v_bcnt_u32_b32 v37, v37, 0
	v_bcnt_u32_b32 v36, v36, v37
	v_lshlrev_b32_e32 v36, 2, v36
	s_waitcnt lgkmcnt(0)
	v_lshl_add_u32 v18, v18, 2, v36
	ds_write_b32 v18, v2
	s_branch .LBB36_13
.LBB36_22:                              ;   in Loop: Header=BB36_6 Depth=1
	s_mov_b64 s[16:17], 0
                                        ; implicit-def: $sgpr4
	s_cbranch_execnz .LBB36_27
	s_branch .LBB36_37
.LBB36_23:                              ;   in Loop: Header=BB36_6 Depth=1
	s_mov_b32 s4, 0
	s_and_b64 vcc, exec, s[22:23]
	s_cbranch_vccnz .LBB36_27
	s_branch .LBB36_37
.LBB36_24:                              ;   in Loop: Header=BB36_6 Depth=1
	s_or_b64 exec, exec, s[24:25]
	s_waitcnt lgkmcnt(0)
	s_barrier
	s_mov_b64 s[16:17], exec
	v_readlane_b32 s4, v53, 22
	v_readlane_b32 s5, v53, 23
	s_and_b64 s[4:5], s[16:17], s[4:5]
	s_mov_b64 exec, s[4:5]
	s_cbranch_execz .LBB36_26
; %bb.25:                               ;   in Loop: Header=BB36_6 Depth=1
	s_waitcnt vmcnt(0)
	ds_read_b32 v2, v11 offset:4104
	s_waitcnt lgkmcnt(0)
	ds_write_b32 v11, v2 offset:4096
.LBB36_26:                              ;   in Loop: Header=BB36_6 Depth=1
	s_or_b64 exec, exec, s[16:17]
	s_waitcnt lgkmcnt(0)
	s_barrier
	s_mov_b64 s[16:17], -1
	s_mov_b32 s4, 0
	s_and_b64 vcc, exec, s[22:23]
	s_cbranch_vccz .LBB36_37
.LBB36_27:                              ;   in Loop: Header=BB36_6 Depth=1
	s_waitcnt vmcnt(0)
	v_mov_b32_e32 v2, 0
	s_mov_b64 s[16:17], exec
	v_readlane_b32 s4, v53, 38
	v_readlane_b32 s5, v53, 39
	s_and_b64 s[4:5], s[16:17], s[4:5]
	s_mov_b64 exec, s[4:5]
	s_cbranch_execz .LBB36_29
; %bb.28:                               ;   in Loop: Header=BB36_6 Depth=1
	global_load_dword v2, v[8:9], off
.LBB36_29:                              ;   in Loop: Header=BB36_6 Depth=1
	s_or_b64 exec, exec, s[16:17]
	s_mov_b64 s[20:21], exec
	v_readlane_b32 s4, v53, 38
	v_readlane_b32 s5, v53, 39
	s_and_b64 s[4:5], s[20:21], s[4:5]
	s_mov_b64 exec, s[4:5]
	s_cbranch_execz .LBB36_34
; %bb.30:                               ;   in Loop: Header=BB36_6 Depth=1
	v_readlane_b32 s4, v53, 34
	v_readlane_b32 s5, v53, 35
	s_mov_b64 s[22:23], 0
	v_mov_b32_e32 v4, v21
	v_mov_b32_e32 v18, v0
	s_nop 1
	global_load_ushort v3, v11, s[4:5]
	v_readlane_b32 s4, v53, 58
	s_waitcnt vmcnt(0)
	v_add_u32_e32 v10, v0, v3
	v_lshlrev_b32_e32 v5, 2, v3
	v_mul_lo_u32 v17, s4, v3
	v_mul_lo_u32 v10, s4, v10
	s_branch .LBB36_32
.LBB36_31:                              ;   in Loop: Header=BB36_32 Depth=2
	s_or_b64 exec, exec, s[16:17]
	s_and_b64 s[4:5], exec, vcc
	s_or_b64 s[22:23], s[4:5], s[22:23]
	ds_write_b32 v4, v2
	v_add_u32_e32 v4, v4, v5
	v_add_u32_e32 v10, v10, v17
	s_waitcnt vmcnt(0)
	v_mov_b32_e32 v2, v36
	s_andn2_b64 exec, exec, s[22:23]
	s_cbranch_execz .LBB36_34
.LBB36_32:                              ;   Parent Loop BB36_6 Depth=1
                                        ; =>  This Inner Loop Header: Depth=2
	v_add_u32_e32 v18, v18, v3
	v_cmp_gt_u32_e64 s[18:19], s60, v18
	v_cmp_le_u32_e32 vcc, s60, v18
	v_mov_b32_e32 v36, 0
	s_and_saveexec_b64 s[16:17], s[18:19]
	s_cbranch_execz .LBB36_31
; %bb.33:                               ;   in Loop: Header=BB36_32 Depth=2
	v_lshlrev_b64 v[36:37], 2, v[10:11]
	v_mov_b32_e32 v38, s8
	v_add_co_u32_e64 v36, s[18:19], s33, v36
	v_addc_co_u32_e64 v37, s[18:19], v38, v37, s[18:19]
	global_load_dword v36, v[36:37], off
	s_branch .LBB36_31
.LBB36_34:                              ;   in Loop: Header=BB36_6 Depth=1
	s_or_b64 exec, exec, s[20:21]
	s_waitcnt lgkmcnt(0)
	s_barrier
	s_mov_b64 s[16:17], exec
	v_readlane_b32 s4, v53, 22
	v_readlane_b32 s5, v53, 23
	s_and_b64 s[4:5], s[16:17], s[4:5]
	s_mov_b64 exec, s[4:5]
	s_cbranch_execz .LBB36_36
; %bb.35:                               ;   in Loop: Header=BB36_6 Depth=1
	s_waitcnt vmcnt(0)
	v_mov_b32_e32 v2, s60
	ds_write_b32 v11, v2 offset:4096
.LBB36_36:                              ;   in Loop: Header=BB36_6 Depth=1
	s_or_b64 exec, exec, s[16:17]
	s_mov_b64 s[16:17], -1
	s_waitcnt lgkmcnt(0)
	s_barrier
                                        ; implicit-def: $sgpr4
.LBB36_37:                              ;   in Loop: Header=BB36_6 Depth=1
	s_and_b64 vcc, exec, s[16:17]
	s_cbranch_vccz .LBB36_39
; %bb.38:                               ;   in Loop: Header=BB36_6 Depth=1
	s_waitcnt vmcnt(0)
	ds_read_b32 v2, v11 offset:4096
	s_waitcnt lgkmcnt(0)
	v_readfirstlane_b32 s4, v2
.LBB36_39:                              ;   in Loop: Header=BB36_6 Depth=1
	s_cmp_lt_i32 s4, 1
	s_cbranch_scc0 .LBB36_43
; %bb.40:                               ;   in Loop: Header=BB36_6 Depth=1
	s_waitcnt vmcnt(0)
	v_mov_b32_e32 v2, 0
	s_mov_b32 s5, 0
	v_mov_b32_e32 v3, 0
	v_mov_b32_e32 v4, v2
	;; [unrolled: 1-line block ×3, first 2 shown]
	s_mov_b64 s[48:49], exec
	v_readlane_b32 s10, v53, 53
	v_readlane_b32 s11, v53, 54
	s_and_b64 s[10:11], s[48:49], s[10:11]
	s_mov_b64 exec, s[10:11]
	s_cbranch_execnz .LBB36_44
; %bb.41:                               ;   in Loop: Header=BB36_6 Depth=1
	s_or_b64 exec, exec, s[48:49]
	v_mov_b32_e32 v18, 0
	s_and_saveexec_b64 s[16:17], s[14:15]
	s_cbranch_execnz .LBB36_47
.LBB36_42:                              ;   in Loop: Header=BB36_6 Depth=1
	s_or_b64 exec, exec, s[16:17]
	s_and_saveexec_b64 s[20:21], s[14:15]
	s_cbranch_execnz .LBB36_48
	s_branch .LBB36_53
.LBB36_43:                              ;   in Loop: Header=BB36_6 Depth=1
                                        ; implicit-def: $vgpr5
	s_cbranch_execnz .LBB36_54
	s_branch .LBB36_63
.LBB36_44:                              ;   in Loop: Header=BB36_6 Depth=1
	s_and_b32 s10, s7, 0xfe
	s_mov_b64 s[50:51], 0
	s_mov_b32 s11, 0
	s_mov_b32 s16, 0
	;; [unrolled: 1-line block ×4, first 2 shown]
	v_mov_b32_e32 v17, v21
.LBB36_45:                              ;   Parent Loop BB36_6 Depth=1
                                        ; =>  This Inner Loop Header: Depth=2
	v_add_u32_e32 v10, s5, v28
	v_lshlrev_b64 v[2:3], 2, v[10:11]
	v_mov_b32_e32 v18, s8
	v_add_u32_e32 v10, s5, v25
	v_add_co_u32_e64 v2, s[18:19], s33, v2
	v_lshlrev_b64 v[4:5], 2, v[10:11]
	v_addc_co_u32_e64 v3, s[18:19], v18, v3, s[18:19]
	v_add_u32_e32 v10, s5, v26
	v_add_co_u32_e64 v4, s[18:19], s33, v4
	v_lshlrev_b64 v[36:37], 2, v[10:11]
	v_add_u32_e32 v10, s5, v27
	v_addc_co_u32_e64 v5, s[18:19], v18, v5, s[18:19]
	global_load_dword v38, v[2:3], off
	v_lshlrev_b64 v[2:3], 2, v[10:11]
	global_load_dword v10, v[4:5], off
	v_add_co_u32_e64 v4, s[18:19], s33, v36
	v_addc_co_u32_e64 v5, s[18:19], v18, v37, s[18:19]
	v_add_co_u32_e64 v2, s[18:19], s33, v2
	global_load_dword v4, v[4:5], off
	v_addc_co_u32_e64 v3, s[18:19], v18, v3, s[18:19]
	global_load_dword v2, v[2:3], off
	v_add_u32_e32 v17, s85, v17
	v_cmp_le_u32_e32 vcc, s87, v17
	s_add_i32 s5, s5, s13
	s_waitcnt vmcnt(3)
	v_xor_b32_e32 v3, 0x80000000, v38
	s_waitcnt vmcnt(2)
	v_xor_b32_e32 v5, 0x80000000, v10
	v_and_b32_e32 v10, v3, v33
	v_bfe_u32 v3, v3, s10, 2
	v_cmp_eq_u32_e64 s[18:19], v10, v34
	v_cmp_eq_u32_e64 s[20:21], 0, v3
	v_and_b32_e32 v10, v5, v33
	v_bfe_u32 v5, v5, s10, 2
	v_cmp_eq_u32_e64 s[22:23], 1, v3
	s_and_b64 s[20:21], s[18:19], s[20:21]
	s_waitcnt vmcnt(1)
	v_xor_b32_e32 v4, 0x80000000, v4
	v_cmp_eq_u32_e64 s[24:25], 2, v3
	v_cmp_eq_u32_e64 s[26:27], 3, v3
	;; [unrolled: 1-line block ×6, first 2 shown]
	v_cndmask_b32_e64 v5, 0, 1, s[20:21]
	s_and_b64 s[20:21], s[18:19], s[22:23]
	s_waitcnt vmcnt(0)
	v_xor_b32_e32 v2, 0x80000000, v2
	v_cmp_eq_u32_e64 s[28:29], v10, v34
	v_and_b32_e32 v3, v4, v33
	v_bfe_u32 v4, v4, s10, 2
	v_cndmask_b32_e64 v10, 0, 1, s[20:21]
	s_and_b64 s[20:21], s[18:19], s[24:25]
	s_and_b64 s[18:19], s[18:19], s[26:27]
	v_cndmask_b32_e64 v18, 0, 1, s[20:21]
	v_cndmask_b32_e64 v36, 0, 1, s[18:19]
	v_cmp_eq_u32_e64 s[18:19], v3, v34
	v_and_b32_e32 v3, v2, v33
	v_bfe_u32 v2, v2, s10, 2
	v_cmp_eq_u32_e64 s[20:21], 0, v4
	s_and_b64 s[30:31], s[28:29], s[30:31]
	s_and_b64 s[34:35], s[28:29], s[34:35]
	;; [unrolled: 1-line block ×4, first 2 shown]
	v_cmp_eq_u32_e64 s[22:23], 1, v4
	v_cmp_eq_u32_e64 s[24:25], 2, v4
	;; [unrolled: 1-line block ×3, first 2 shown]
	v_cmp_ne_u32_e64 s[40:41], 0, v5
	v_cndmask_b32_e64 v5, 0, 1, s[34:35]
	v_cmp_ne_u32_e64 s[34:35], 0, v18
	v_cndmask_b32_e64 v18, 0, 1, s[28:29]
	v_cmp_eq_u32_e64 s[28:29], v3, v34
	v_cmp_eq_u32_e64 s[38:39], 0, v2
	s_and_b64 s[20:21], s[18:19], s[20:21]
	v_cmp_eq_u32_e64 s[42:43], 1, v2
	v_cmp_eq_u32_e64 s[44:45], 2, v2
	;; [unrolled: 1-line block ×3, first 2 shown]
	v_cndmask_b32_e64 v2, 0, 1, s[20:21]
	s_and_b64 s[22:23], s[18:19], s[22:23]
	s_and_b64 s[24:25], s[18:19], s[24:25]
	;; [unrolled: 1-line block ×4, first 2 shown]
	v_cndmask_b32_e64 v4, 0, 1, s[30:31]
	v_cmp_ne_u32_e64 s[30:31], 0, v10
	v_cndmask_b32_e64 v10, 0, 1, s[36:37]
	v_cmp_ne_u32_e64 s[36:37], 0, v36
	v_cmp_ne_u32_e64 s[20:21], 0, v5
	v_cndmask_b32_e64 v3, 0, 1, s[22:23]
	v_cndmask_b32_e64 v5, 0, 1, s[18:19]
	v_cmp_ne_u32_e64 s[18:19], 0, v2
	v_cndmask_b32_e64 v2, 0, 1, s[26:27]
	s_and_b64 s[26:27], s[28:29], s[42:43]
	s_bcnt1_i32_b64 s53, s[40:41]
	v_cmp_ne_u32_e64 s[40:41], 0, v4
	s_bcnt1_i32_b64 s30, s[30:31]
	s_bcnt1_i32_b64 s31, s[34:35]
	v_cmp_ne_u32_e64 s[22:23], 0, v10
	v_cndmask_b32_e64 v4, 0, 1, s[24:25]
	s_bcnt1_i32_b64 s34, s[36:37]
	s_bcnt1_i32_b64 s37, s[20:21]
	v_cmp_ne_u32_e64 s[20:21], 0, v3
	v_cndmask_b32_e64 v3, 0, 1, s[26:27]
	s_and_b64 s[26:27], s[28:29], s[44:45]
	v_cmp_ne_u32_e64 s[24:25], 0, v18
	s_add_i32 s30, s17, s30
	s_bcnt1_i32_b64 s38, s[22:23]
	v_cmp_ne_u32_e64 s[22:23], 0, v4
	v_cndmask_b32_e64 v4, 0, 1, s[26:27]
	s_add_i32 s26, s16, s31
	s_and_b64 s[16:17], s[28:29], s[46:47]
	s_bcnt1_i32_b64 s35, s[40:41]
	s_add_i32 s36, s52, s53
	s_bcnt1_i32_b64 s27, s[24:25]
	v_cmp_ne_u32_e64 s[24:25], 0, v5
	v_cndmask_b32_e64 v5, 0, 1, s[16:17]
	s_add_i32 s11, s11, s34
	s_bcnt1_i32_b64 s16, s[18:19]
	v_cmp_ne_u32_e64 s[18:19], 0, v2
	s_add_i32 s17, s36, s35
	s_bcnt1_i32_b64 s28, s[20:21]
	v_cmp_ne_u32_e64 s[20:21], 0, v3
	;; [unrolled: 3-line block ×4, first 2 shown]
	s_add_i32 s11, s11, s27
	s_bcnt1_i32_b64 s18, s[18:19]
	s_add_i32 s16, s17, s16
	s_bcnt1_i32_b64 s17, s[20:21]
	;; [unrolled: 2-line block ×4, first 2 shown]
	s_add_i32 s11, s11, s31
	s_add_i32 s52, s16, s18
	;; [unrolled: 1-line block ×5, first 2 shown]
	s_or_b64 s[50:51], vcc, s[50:51]
	v_mov_b32_e32 v2, s52
	v_mov_b32_e32 v3, s17
	;; [unrolled: 1-line block ×4, first 2 shown]
	s_andn2_b64 exec, exec, s[50:51]
	s_cbranch_execnz .LBB36_45
; %bb.46:                               ;   in Loop: Header=BB36_6 Depth=1
	s_or_b64 exec, exec, s[50:51]
	s_or_b64 exec, exec, s[48:49]
	v_mov_b32_e32 v18, 0
	s_and_saveexec_b64 s[16:17], s[14:15]
	s_cbranch_execz .LBB36_42
.LBB36_47:                              ;   in Loop: Header=BB36_6 Depth=1
	global_load_dword v18, v[14:15], off
	s_or_b64 exec, exec, s[16:17]
	s_and_saveexec_b64 s[20:21], s[14:15]
	s_cbranch_execz .LBB36_53
.LBB36_48:                              ;   in Loop: Header=BB36_6 Depth=1
	s_and_b32 s5, s7, 0xfe
	s_mov_b64 s[22:23], 0
	v_mov_b32_e32 v10, v29
	v_mov_b32_e32 v17, v24
	s_branch .LBB36_50
.LBB36_49:                              ;   in Loop: Header=BB36_50 Depth=2
	s_or_b64 exec, exec, s[16:17]
	s_waitcnt vmcnt(0)
	v_xor_b32_e32 v18, 0x80000000, v18
	s_and_b64 s[10:11], exec, vcc
	v_and_b32_e32 v37, v18, v33
	v_bfe_u32 v18, v18, s5, 2
	s_or_b64 s[22:23], s[10:11], s[22:23]
	v_cmp_eq_u32_e32 vcc, v37, v34
	v_cmp_eq_u32_e64 s[18:19], 0, v18
	s_and_b64 s[10:11], vcc, s[18:19]
	v_cndmask_b32_e64 v37, 0, 1, s[10:11]
	v_cmp_ne_u32_e64 s[18:19], 0, v37
	s_bcnt1_i32_b64 s10, s[18:19]
	v_cmp_eq_u32_e64 s[18:19], 1, v18
	v_add_u32_e32 v2, s10, v2
	s_and_b64 s[10:11], vcc, s[18:19]
	v_cndmask_b32_e64 v37, 0, 1, s[10:11]
	v_cmp_ne_u32_e64 s[18:19], 0, v37
	s_bcnt1_i32_b64 s10, s[18:19]
	v_cmp_eq_u32_e64 s[18:19], 2, v18
	v_add_u32_e32 v3, s10, v3
	;; [unrolled: 6-line block ×3, first 2 shown]
	s_and_b64 s[10:11], vcc, s[18:19]
	v_cndmask_b32_e64 v18, 0, 1, s[10:11]
	v_cmp_ne_u32_e32 vcc, 0, v18
	s_bcnt1_i32_b64 s10, vcc
	v_add_u32_e32 v5, s10, v5
	v_add_u32_e32 v10, s84, v10
	v_mov_b32_e32 v18, v36
	s_andn2_b64 exec, exec, s[22:23]
	s_cbranch_execz .LBB36_52
.LBB36_50:                              ;   Parent Loop BB36_6 Depth=1
                                        ; =>  This Inner Loop Header: Depth=2
	v_add_u32_e32 v17, s9, v17
	v_cmp_gt_u32_e64 s[18:19], s60, v17
	v_cmp_le_u32_e32 vcc, s60, v17
	v_mov_b32_e32 v36, 0
	s_and_saveexec_b64 s[16:17], s[18:19]
	s_cbranch_execz .LBB36_49
; %bb.51:                               ;   in Loop: Header=BB36_50 Depth=2
	v_lshlrev_b64 v[36:37], 2, v[10:11]
	v_mov_b32_e32 v38, s8
	v_add_co_u32_e64 v36, s[18:19], s33, v36
	v_addc_co_u32_e64 v37, s[18:19], v38, v37, s[18:19]
	global_load_dword v36, v[36:37], off
	s_branch .LBB36_49
.LBB36_52:                              ;   in Loop: Header=BB36_6 Depth=1
	s_or_b64 exec, exec, s[22:23]
.LBB36_53:                              ;   in Loop: Header=BB36_6 Depth=1
	s_or_b64 exec, exec, s[20:21]
	s_branch .LBB36_63
.LBB36_54:                              ;   in Loop: Header=BB36_6 Depth=1
	v_readlane_b32 s5, v53, 52
	s_mul_hi_u32 s5, s4, s5
	s_mul_i32 s5, s5, s85
	s_sub_i32 s5, s4, s5
	s_sub_i32 s10, s5, s85
	s_cmp_ge_u32 s5, s85
	s_cselect_b32 s5, s10, s5
	s_sub_i32 s10, s5, s85
	s_cmp_ge_u32 s5, s85
	s_cselect_b32 s5, s10, s5
	s_sub_i32 s5, s4, s5
	v_cmp_gt_u32_e32 vcc, s5, v21
	s_mov_b32 s11, 0
	s_waitcnt vmcnt(0)
	v_mov_b32_e32 v2, 0
	v_mov_b32_e32 v3, 0
	;; [unrolled: 1-line block ×4, first 2 shown]
	s_and_saveexec_b64 s[88:89], vcc
	s_cbranch_execz .LBB36_58
; %bb.55:                               ;   in Loop: Header=BB36_6 Depth=1
	s_and_b32 s10, s7, 0xfe
	s_mov_b64 s[90:91], 0
	v_mov_b32_e32 v10, v30
	s_mov_b32 s16, 0
	s_mov_b32 s17, 0
	;; [unrolled: 1-line block ×3, first 2 shown]
	v_mov_b32_e32 v17, v21
.LBB36_56:                              ;   Parent Loop BB36_6 Depth=1
                                        ; =>  This Inner Loop Header: Depth=2
	ds_read_b128 v[2:5], v10
	v_add_u32_e32 v17, s85, v17
	v_cmp_le_u32_e32 vcc, s5, v17
	v_add_u32_e32 v10, s6, v10
	s_waitcnt lgkmcnt(0)
	v_xor_b32_e32 v2, 0x80000000, v2
	v_xor_b32_e32 v3, 0x80000000, v3
	v_and_b32_e32 v18, v2, v33
	v_bfe_u32 v2, v2, s10, 2
	v_xor_b32_e32 v4, 0x80000000, v4
	v_and_b32_e32 v36, v3, v33
	v_bfe_u32 v3, v3, s10, 2
	v_cmp_eq_u32_e64 s[18:19], v18, v34
	v_cmp_eq_u32_e64 s[26:27], 0, v2
	v_xor_b32_e32 v5, 0x80000000, v5
	v_and_b32_e32 v37, v4, v33
	v_bfe_u32 v4, v4, s10, 2
	v_cmp_eq_u32_e64 s[20:21], v36, v34
	v_cmp_eq_u32_e64 s[28:29], 0, v3
	s_and_b64 s[26:27], s[18:19], s[26:27]
	v_and_b32_e32 v38, v5, v33
	v_bfe_u32 v5, v5, s10, 2
	v_cmp_eq_u32_e64 s[22:23], v37, v34
	v_cmp_eq_u32_e64 s[30:31], 0, v4
	;; [unrolled: 1-line block ×5, first 2 shown]
	v_cndmask_b32_e64 v2, 0, 1, s[26:27]
	s_and_b64 s[26:27], s[20:21], s[28:29]
	v_cmp_eq_u32_e64 s[24:25], v38, v34
	v_cmp_eq_u32_e64 s[34:35], 0, v5
	;; [unrolled: 1-line block ×5, first 2 shown]
	v_cndmask_b32_e64 v3, 0, 1, s[26:27]
	s_and_b64 s[26:27], s[22:23], s[30:31]
	v_cmp_eq_u32_e64 s[40:41], 1, v4
	v_cmp_eq_u32_e64 s[48:49], 2, v4
	;; [unrolled: 1-line block ×3, first 2 shown]
	v_cndmask_b32_e64 v4, 0, 1, s[26:27]
	s_and_b64 s[26:27], s[24:25], s[34:35]
	v_cmp_eq_u32_e64 s[42:43], 1, v5
	v_cmp_eq_u32_e64 s[50:51], 2, v5
	;; [unrolled: 1-line block ×3, first 2 shown]
	v_cndmask_b32_e64 v5, 0, 1, s[26:27]
	s_and_b64 s[26:27], s[18:19], s[36:37]
	v_cndmask_b32_e64 v18, 0, 1, s[26:27]
	s_and_b64 s[26:27], s[20:21], s[38:39]
	;; [unrolled: 2-line block ×5, first 2 shown]
	s_and_b64 s[18:19], s[18:19], s[52:53]
	v_cndmask_b32_e64 v39, 0, 1, s[26:27]
	s_and_b64 s[26:27], s[20:21], s[46:47]
	v_cndmask_b32_e64 v43, 0, 1, s[18:19]
	;; [unrolled: 2-line block ×7, first 2 shown]
	v_cndmask_b32_e64 v46, 0, 1, s[18:19]
	v_cmp_ne_u32_e64 s[18:19], 0, v2
	v_cmp_ne_u32_e64 s[20:21], 0, v3
	;; [unrolled: 1-line block ×11, first 2 shown]
	s_bcnt1_i32_b64 s18, s[18:19]
	s_bcnt1_i32_b64 s19, s[20:21]
	;; [unrolled: 1-line block ×8, first 2 shown]
	v_cmp_ne_u32_e64 s[34:35], 0, v38
	v_cmp_ne_u32_e64 s[40:41], 0, v41
	;; [unrolled: 1-line block ×3, first 2 shown]
	s_bcnt1_i32_b64 s23, s[28:29]
	s_bcnt1_i32_b64 s27, s[38:39]
	;; [unrolled: 1-line block ×3, first 2 shown]
	s_add_i32 s18, s80, s18
	s_add_i32 s17, s17, s22
	;; [unrolled: 1-line block ×4, first 2 shown]
	v_cmp_ne_u32_e64 s[42:43], 0, v42
	v_cmp_ne_u32_e64 s[50:51], 0, v46
	s_bcnt1_i32_b64 s25, s[34:35]
	s_bcnt1_i32_b64 s28, s[40:41]
	;; [unrolled: 1-line block ×3, first 2 shown]
	s_add_i32 s18, s18, s19
	s_add_i32 s17, s17, s23
	;; [unrolled: 1-line block ×4, first 2 shown]
	s_bcnt1_i32_b64 s29, s[42:43]
	s_bcnt1_i32_b64 s35, s[50:51]
	s_add_i32 s18, s18, s20
	s_add_i32 s17, s17, s24
	s_add_i32 s16, s16, s28
	s_add_i32 s11, s11, s34
	s_add_i32 s80, s18, s21
	s_add_i32 s17, s17, s25
	s_add_i32 s16, s16, s29
	s_add_i32 s11, s11, s35
	s_or_b64 s[90:91], vcc, s[90:91]
	v_mov_b32_e32 v2, s80
	v_mov_b32_e32 v3, s17
	;; [unrolled: 1-line block ×4, first 2 shown]
	s_andn2_b64 exec, exec, s[90:91]
	s_cbranch_execnz .LBB36_56
; %bb.57:                               ;   in Loop: Header=BB36_6 Depth=1
	s_or_b64 exec, exec, s[90:91]
.LBB36_58:                              ;   in Loop: Header=BB36_6 Depth=1
	s_or_b64 exec, exec, s[88:89]
	v_add_u32_e32 v10, s5, v0
	v_cmp_gt_u32_e32 vcc, s4, v10
	s_and_saveexec_b64 s[28:29], vcc
	s_cbranch_execz .LBB36_62
; %bb.59:                               ;   in Loop: Header=BB36_6 Depth=1
	s_and_b32 s5, s7, 0xfe
	v_lshlrev_b32_e32 v17, 2, v10
	s_mov_b64 s[30:31], 0
.LBB36_60:                              ;   Parent Loop BB36_6 Depth=1
                                        ; =>  This Inner Loop Header: Depth=2
	ds_read_b32 v18, v17
	v_add_u32_e32 v10, s9, v10
	v_cmp_le_u32_e32 vcc, s4, v10
	v_add_u32_e32 v17, s85, v17
	s_waitcnt lgkmcnt(0)
	v_xor_b32_e32 v18, 0x80000000, v18
	v_and_b32_e32 v36, v18, v33
	v_bfe_u32 v18, v18, s5, 2
	v_cmp_eq_u32_e64 s[18:19], v36, v34
	v_cmp_eq_u32_e64 s[20:21], 0, v18
	;; [unrolled: 1-line block ×3, first 2 shown]
	s_and_b64 s[10:11], s[18:19], s[20:21]
	v_cmp_eq_u32_e64 s[24:25], 2, v18
	v_cmp_eq_u32_e64 s[26:27], 3, v18
	v_cndmask_b32_e64 v18, 0, 1, s[10:11]
	s_and_b64 s[10:11], s[18:19], s[22:23]
	v_cndmask_b32_e64 v36, 0, 1, s[10:11]
	s_and_b64 s[10:11], s[18:19], s[24:25]
	;; [unrolled: 2-line block ×3, first 2 shown]
	v_cndmask_b32_e64 v38, 0, 1, s[10:11]
	v_cmp_ne_u32_e64 s[18:19], 0, v18
	v_cmp_ne_u32_e64 s[20:21], 0, v36
	;; [unrolled: 1-line block ×4, first 2 shown]
	s_bcnt1_i32_b64 s10, s[18:19]
	s_bcnt1_i32_b64 s11, s[20:21]
	;; [unrolled: 1-line block ×4, first 2 shown]
	v_add_u32_e32 v2, s10, v2
	v_add_u32_e32 v3, s11, v3
	;; [unrolled: 1-line block ×3, first 2 shown]
	s_or_b64 s[30:31], vcc, s[30:31]
	v_add_u32_e32 v5, s17, v5
	s_andn2_b64 exec, exec, s[30:31]
	s_cbranch_execnz .LBB36_60
; %bb.61:                               ;   in Loop: Header=BB36_6 Depth=1
	s_or_b64 exec, exec, s[30:31]
.LBB36_62:                              ;   in Loop: Header=BB36_6 Depth=1
	s_or_b64 exec, exec, s[28:29]
.LBB36_63:                              ;   in Loop: Header=BB36_6 Depth=1
	s_lshl_b32 s4, s86, 6
	s_and_saveexec_b64 s[16:17], s[0:1]
	s_cbranch_execz .LBB36_65
; %bb.64:                               ;   in Loop: Header=BB36_6 Depth=1
	v_or_b32_e32 v10, s4, v22
	v_lshlrev_b32_e32 v10, 2, v10
	s_waitcnt vmcnt(0)
	ds_write_b128 v10, v[2:5] offset:3072
.LBB36_65:                              ;   in Loop: Header=BB36_6 Depth=1
	s_or_b64 exec, exec, s[16:17]
	s_waitcnt lgkmcnt(0)
	s_barrier
	s_and_saveexec_b64 s[18:19], s[82:83]
	s_cbranch_execz .LBB36_79
; %bb.66:                               ;   in Loop: Header=BB36_6 Depth=1
	v_readlane_b32 s10, v53, 31
	v_readlane_b32 s11, v53, 32
	v_add_u32_e32 v4, s4, v1
	s_andn2_b64 vcc, exec, s[10:11]
	s_waitcnt vmcnt(0)
	v_mov_b32_e32 v2, 0
	s_cbranch_vccnz .LBB36_78
; %bb.67:                               ;   in Loop: Header=BB36_6 Depth=1
	v_readlane_b32 s10, v53, 36
	v_readlane_b32 s11, v53, 37
	s_mov_b32 s5, 0
	s_and_b64 vcc, exec, s[10:11]
	v_mov_b32_e32 v2, 0
	s_cbranch_vccz .LBB36_71
; %bb.68:                               ;   in Loop: Header=BB36_6 Depth=1
	v_readlane_b32 s10, v53, 42
	v_readlane_b32 s20, v53, 25
	;; [unrolled: 1-line block ×3, first 2 shown]
	v_lshl_add_u32 v5, v4, 2, v32
	v_readlane_b32 s21, v53, 26
	s_andn2_b64 vcc, exec, s[10:11]
	s_cbranch_vccnz .LBB36_72
; %bb.69:                               ;   in Loop: Header=BB36_6 Depth=1
	v_writelane_b32 v53, s20, 25
	v_writelane_b32 v53, s21, 26
	s_mov_b32 s21, 1
	s_mov_b32 s20, 0
	v_mov_b32_e32 v2, 0
	v_readlane_b32 s5, v53, 44
	v_mov_b32_e32 v3, 0
.LBB36_70:                              ;   Parent Loop BB36_6 Depth=1
                                        ; =>  This Inner Loop Header: Depth=2
	v_lshl_add_u32 v10, s20, 4, v5
	v_lshl_add_u32 v17, s21, 4, v5
	ds_read2_b32 v[36:37], v10 offset1:8
	ds_read2_b32 v[38:39], v17 offset1:8
	ds_read2_b32 v[40:41], v10 offset0:16 offset1:24
	ds_read2_b32 v[42:43], v17 offset0:16 offset1:24
	;; [unrolled: 1-line block ×6, first 2 shown]
	s_waitcnt lgkmcnt(7)
	v_add3_u32 v2, v36, v2, v37
	s_waitcnt lgkmcnt(6)
	v_add3_u32 v3, v38, v3, v39
	;; [unrolled: 2-line block ×3, first 2 shown]
	v_add3_u32 v2, v40, v2, v41
	s_add_i32 s21, s21, 16
	s_add_i32 s20, s20, 16
	s_add_i32 s5, s5, -8
	s_waitcnt lgkmcnt(3)
	v_add3_u32 v2, v44, v2, v45
	s_waitcnt lgkmcnt(2)
	v_add3_u32 v3, v46, v3, v47
	s_cmp_lg_u32 s5, 0
	s_waitcnt lgkmcnt(0)
	v_add3_u32 v3, v50, v3, v51
	v_add3_u32 v2, v48, v2, v49
	s_cbranch_scc1 .LBB36_70
	s_branch .LBB36_73
.LBB36_71:                              ;   in Loop: Header=BB36_6 Depth=1
	s_cbranch_execnz .LBB36_76
	s_branch .LBB36_78
.LBB36_72:                              ;   in Loop: Header=BB36_6 Depth=1
	s_mov_b32 s10, s20
	s_mov_b32 s21, s20
	v_writelane_b32 v53, s10, 25
	v_pk_mov_b32 v[2:3], s[20:21], s[20:21] op_sel:[0,1]
	s_mov_b32 s21, 1
	v_writelane_b32 v53, s11, 26
.LBB36_73:                              ;   in Loop: Header=BB36_6 Depth=1
	v_readlane_b32 s10, v53, 46
	v_readlane_b32 s11, v53, 47
	s_andn2_b64 vcc, exec, s[10:11]
	v_readlane_b32 s5, v53, 45
	s_cbranch_vccnz .LBB36_75
.LBB36_74:                              ;   Parent Loop BB36_6 Depth=1
                                        ; =>  This Inner Loop Header: Depth=2
	v_lshl_add_u32 v10, s20, 4, v5
	v_lshl_add_u32 v17, s21, 4, v5
	ds_read_b32 v17, v17
	ds_read_b32 v10, v10
	s_add_i32 s21, s21, 2
	s_add_i32 s20, s20, 2
	s_add_i32 s5, s5, -1
	s_cmp_lg_u32 s5, 0
	s_waitcnt lgkmcnt(1)
	v_add_u32_e32 v3, v17, v3
	s_waitcnt lgkmcnt(0)
	v_add_u32_e32 v2, v10, v2
	s_cbranch_scc1 .LBB36_74
.LBB36_75:                              ;   in Loop: Header=BB36_6 Depth=1
	v_readlane_b32 s16, v53, 50
	v_add_u32_e32 v2, v2, v3
	v_readlane_b32 s5, v53, 49
	v_readlane_b32 s17, v53, 51
	s_and_b64 vcc, exec, s[16:17]
	s_cbranch_vccz .LBB36_78
.LBB36_76:                              ;   in Loop: Header=BB36_6 Depth=1
	s_lshl_b32 s10, s86, 8
	s_lshl_b32 s11, s5, 4
	s_add_i32 s10, s10, s11
	v_add_u32_e32 v3, s10, v31
	v_readlane_b32 s10, v53, 48
	s_sub_i32 s5, s10, s5
.LBB36_77:                              ;   Parent Loop BB36_6 Depth=1
                                        ; =>  This Inner Loop Header: Depth=2
	ds_read_b32 v5, v3
	s_add_i32 s5, s5, -1
	v_add_u32_e32 v3, 16, v3
	s_cmp_eq_u32 s5, 0
	s_waitcnt lgkmcnt(0)
	v_add_u32_e32 v2, v5, v2
	s_cbranch_scc0 .LBB36_77
.LBB36_78:                              ;   in Loop: Header=BB36_6 Depth=1
	v_lshlrev_b32_e32 v3, 2, v4
	ds_write_b32 v3, v2 offset:3072
.LBB36_79:                              ;   in Loop: Header=BB36_6 Depth=1
	s_or_b64 exec, exec, s[18:19]
	s_lshl_b32 s4, s4, 2
	s_waitcnt vmcnt(0)
	v_mov_b32_e32 v2, s4
	s_waitcnt lgkmcnt(0)
	s_barrier
	ds_read_b128 v[2:5], v2 offset:3072
	s_and_b32 s10, s7, 0xfe
	s_lshl_b32 s80, 3, s10
	s_not_b32 s5, s80
	s_andn2_b64 vcc, exec, s[62:63]
	s_waitcnt lgkmcnt(0)
	v_readfirstlane_b32 s81, v2
	v_readfirstlane_b32 s4, v3
	;; [unrolled: 1-line block ×4, first 2 shown]
	v_cmp_eq_u32_e64 s[18:19], 1, v35
	s_cbranch_vccnz .LBB36_92
; %bb.80:                               ;   in Loop: Header=BB36_6 Depth=1
	s_cmp_eq_u32 s81, 1
	s_cselect_b64 s[16:17], -1, 0
	s_and_b64 s[36:37], s[16:17], s[18:19]
	s_mov_b64 s[38:39], -1
	v_mov_b32_e32 v4, v34
	v_mov_b32_e32 v5, v33
	;; [unrolled: 1-line block ×3, first 2 shown]
                                        ; implicit-def: $sgpr22_sgpr23
                                        ; implicit-def: $sgpr28_sgpr29
                                        ; implicit-def: $sgpr26_sgpr27
	s_and_saveexec_b64 s[24:25], s[36:37]
	s_cbranch_execz .LBB36_108
; %bb.81:                               ;   in Loop: Header=BB36_6 Depth=1
	ds_read_b32 v2, v11 offset:4096
	s_waitcnt lgkmcnt(0)
	s_barrier
	v_readfirstlane_b32 s28, v2
	s_mov_b64 s[16:17], exec
	v_readlane_b32 s20, v53, 40
	v_readlane_b32 s21, v53, 41
	s_and_b64 s[20:21], s[16:17], s[20:21]
	s_mov_b64 exec, s[20:21]
	s_cbranch_execz .LBB36_83
; %bb.82:                               ;   in Loop: Header=BB36_6 Depth=1
	ds_write_b32 v23, v11
.LBB36_83:                              ;   in Loop: Header=BB36_6 Depth=1
	s_or_b64 exec, exec, s[16:17]
	v_and_b32_e32 v4, s5, v34
	v_or_b32_e32 v5, s80, v33
	s_cmp_eq_u32 s28, 0
	s_waitcnt lgkmcnt(0)
	s_barrier
	s_cbranch_scc1 .LBB36_94
; %bb.84:                               ;   in Loop: Header=BB36_6 Depth=1
	v_readlane_b32 s16, v53, 33
	s_add_i32 s16, s28, s16
	v_readlane_b32 s17, v53, 55
	s_mul_hi_u32 s17, s16, s17
	s_mul_i32 s17, s17, s9
	s_sub_i32 s17, s16, s17
	s_sub_i32 s20, s17, s9
	s_cmp_ge_u32 s17, s9
	s_cselect_b32 s17, s20, s17
	s_sub_i32 s20, s17, s9
	s_cmp_ge_u32 s17, s9
	s_cselect_b32 s17, s20, s17
	s_sub_i32 s29, s16, s17
	v_cmp_gt_u32_e32 vcc, s29, v0
	s_mov_b64 s[20:21], 0
                                        ; implicit-def: $vgpr3
	s_and_saveexec_b64 s[22:23], vcc
	s_cbranch_execz .LBB36_96
; %bb.85:                               ;   in Loop: Header=BB36_6 Depth=1
	v_mov_b32_e32 v10, v21
	v_mov_b32_e32 v18, v0
                                        ; implicit-def: $sgpr26_sgpr27
	s_branch .LBB36_87
.LBB36_86:                              ;   in Loop: Header=BB36_87 Depth=2
	s_or_b64 exec, exec, s[16:17]
	s_waitcnt lgkmcnt(0)
	s_barrier
	ds_read_b64 v[2:3], v11 offset:3072
	v_add_u32_e32 v18, s9, v18
	v_cmp_le_u32_e32 vcc, s29, v18
	v_add_u32_e32 v10, s85, v10
	s_waitcnt lgkmcnt(0)
	v_readfirstlane_b32 s16, v2
	s_cmp_lg_u32 s16, 0
	s_cselect_b64 s[16:17], -1, 0
	s_or_b64 s[30:31], vcc, s[16:17]
	s_and_b64 s[30:31], exec, s[30:31]
	s_or_b64 s[20:21], s[30:31], s[20:21]
	s_andn2_b64 s[26:27], s[26:27], exec
	s_and_b64 s[16:17], s[16:17], exec
	s_or_b64 s[26:27], s[26:27], s[16:17]
	s_barrier
	s_andn2_b64 exec, exec, s[20:21]
	s_cbranch_execz .LBB36_95
.LBB36_87:                              ;   Parent Loop BB36_6 Depth=1
                                        ; =>  This Inner Loop Header: Depth=2
	v_cmp_gt_u32_e32 vcc, s28, v18
	v_mov_b32_e32 v17, 0
	s_and_saveexec_b64 s[16:17], vcc
	s_cbranch_execz .LBB36_89
; %bb.88:                               ;   in Loop: Header=BB36_87 Depth=2
	ds_read_b32 v17, v10
.LBB36_89:                              ;   in Loop: Header=BB36_87 Depth=2
	s_or_b64 exec, exec, s[16:17]
	s_and_saveexec_b64 s[16:17], vcc
	s_cbranch_execz .LBB36_86
; %bb.90:                               ;   in Loop: Header=BB36_87 Depth=2
	s_waitcnt lgkmcnt(0)
	v_xor_b32_e32 v2, 0x80000000, v17
	v_and_b32_e32 v2, v2, v5
	v_cmp_eq_u32_e32 vcc, v2, v4
	s_and_b64 exec, exec, vcc
	s_cbranch_execz .LBB36_86
; %bb.91:                               ;   in Loop: Header=BB36_87 Depth=2
	ds_write_b64 v11, v[16:17] offset:3072
	s_branch .LBB36_86
.LBB36_92:                              ;   in Loop: Header=BB36_6 Depth=1
	s_mov_b64 s[24:25], 0
	s_mov_b64 s[20:21], 0
                                        ; implicit-def: $sgpr26_sgpr27
                                        ; implicit-def: $sgpr28_sgpr29
                                        ; implicit-def: $sgpr22_sgpr23
                                        ; implicit-def: $vgpr2
                                        ; implicit-def: $vgpr36
                                        ; implicit-def: $vgpr4
                                        ; implicit-def: $vgpr5
                                        ; implicit-def: $vgpr3
	s_cbranch_execnz .LBB36_244
.LBB36_93:                              ;   in Loop: Header=BB36_6 Depth=1
	s_mov_b64 s[30:31], s[22:23]
	s_mov_b64 s[34:35], s[22:23]
	s_and_saveexec_b64 s[16:17], s[24:25]
	s_cbranch_execnz .LBB36_406
	s_branch .LBB36_407
.LBB36_94:                              ;   in Loop: Header=BB36_6 Depth=1
	s_mov_b64 s[22:23], -1
	s_mov_b64 s[20:21], 0
                                        ; implicit-def: $sgpr26_sgpr27
                                        ; implicit-def: $vgpr3
	s_mov_b64 s[28:29], s[22:23]
	s_cbranch_execnz .LBB36_97
	s_branch .LBB36_107
.LBB36_95:                              ;   in Loop: Header=BB36_6 Depth=1
	s_or_b64 exec, exec, s[20:21]
	s_and_b64 s[20:21], s[26:27], exec
.LBB36_96:                              ;   in Loop: Header=BB36_6 Depth=1
	s_or_b64 exec, exec, s[22:23]
	s_mov_b64 s[26:27], -1
	s_mov_b64 s[22:23], 0
	s_mov_b64 s[28:29], s[22:23]
	s_branch .LBB36_107
.LBB36_97:                              ;   in Loop: Header=BB36_6 Depth=1
	s_mov_b64 s[20:21], 0
                                        ; implicit-def: $vgpr3
	s_mov_b64 s[22:23], exec
	v_readlane_b32 s16, v53, 56
	v_readlane_b32 s17, v53, 57
	s_and_b64 s[16:17], s[22:23], s[16:17]
	s_mov_b64 exec, s[16:17]
	s_cbranch_execz .LBB36_106
; %bb.98:                               ;   in Loop: Header=BB36_6 Depth=1
	s_mov_b64 s[26:27], 0
	v_mov_b32_e32 v10, v12
	v_mov_b32_e32 v18, v0
                                        ; implicit-def: $sgpr28_sgpr29
	s_branch .LBB36_100
.LBB36_99:                              ;   in Loop: Header=BB36_100 Depth=2
	s_or_b64 exec, exec, s[16:17]
	s_waitcnt lgkmcnt(0)
	s_barrier
	ds_read_b64 v[2:3], v11 offset:3072
	v_add_u32_e32 v18, s9, v18
	v_cmp_le_u32_e32 vcc, s12, v18
	v_add_u32_e32 v10, s84, v10
	s_waitcnt lgkmcnt(0)
	v_readfirstlane_b32 s16, v2
	s_cmp_lg_u32 s16, 0
	s_cselect_b64 s[16:17], -1, 0
	s_or_b64 s[20:21], vcc, s[16:17]
	s_and_b64 s[20:21], exec, s[20:21]
	s_or_b64 s[26:27], s[20:21], s[26:27]
	s_andn2_b64 s[20:21], s[28:29], exec
	s_and_b64 s[16:17], s[16:17], exec
	s_or_b64 s[28:29], s[20:21], s[16:17]
	s_barrier
	s_andn2_b64 exec, exec, s[26:27]
	s_cbranch_execz .LBB36_105
.LBB36_100:                             ;   Parent Loop BB36_6 Depth=1
                                        ; =>  This Inner Loop Header: Depth=2
	v_cmp_gt_u32_e32 vcc, s60, v18
	s_waitcnt vmcnt(0)
	v_mov_b32_e32 v17, 0
	s_and_saveexec_b64 s[16:17], vcc
	s_cbranch_execz .LBB36_102
; %bb.101:                              ;   in Loop: Header=BB36_100 Depth=2
	v_lshlrev_b64 v[2:3], 2, v[10:11]
	v_mov_b32_e32 v17, s8
	v_add_co_u32_e64 v2, s[20:21], s33, v2
	v_addc_co_u32_e64 v3, s[20:21], v17, v3, s[20:21]
	global_load_dword v17, v[2:3], off
.LBB36_102:                             ;   in Loop: Header=BB36_100 Depth=2
	s_or_b64 exec, exec, s[16:17]
	s_and_saveexec_b64 s[16:17], vcc
	s_cbranch_execz .LBB36_99
; %bb.103:                              ;   in Loop: Header=BB36_100 Depth=2
	s_waitcnt vmcnt(0)
	v_xor_b32_e32 v2, 0x80000000, v17
	v_and_b32_e32 v2, v2, v5
	v_cmp_eq_u32_e32 vcc, v2, v4
	s_and_b64 exec, exec, vcc
	s_cbranch_execz .LBB36_99
; %bb.104:                              ;   in Loop: Header=BB36_100 Depth=2
	ds_write_b64 v11, v[16:17] offset:3072
	s_branch .LBB36_99
.LBB36_105:                             ;   in Loop: Header=BB36_6 Depth=1
	s_or_b64 exec, exec, s[26:27]
	s_and_b64 s[20:21], s[28:29], exec
.LBB36_106:                             ;   in Loop: Header=BB36_6 Depth=1
	s_or_b64 exec, exec, s[22:23]
	s_mov_b64 s[28:29], -1
	s_mov_b64 s[22:23], 0
	s_mov_b64 s[26:27], 0
.LBB36_107:                             ;   in Loop: Header=BB36_6 Depth=1
	s_orn2_b64 s[38:39], s[20:21], exec
.LBB36_108:                             ;   in Loop: Header=BB36_6 Depth=1
	s_or_b64 exec, exec, s[24:25]
	s_mov_b64 s[30:31], 0
	s_mov_b64 s[24:25], 0
	;; [unrolled: 1-line block ×3, first 2 shown]
                                        ; implicit-def: $vgpr2
                                        ; implicit-def: $vgpr36
	s_and_saveexec_b64 s[34:35], s[38:39]
	s_cbranch_execz .LBB36_243
; %bb.109:                              ;   in Loop: Header=BB36_6 Depth=1
	s_xor_b64 s[24:25], s[36:37], -1
	s_mov_b64 s[16:17], 0
	v_mov_b32_e32 v36, 1
	v_mov_b32_e32 v2, 1
	s_and_saveexec_b64 s[20:21], s[24:25]
	s_cbranch_execz .LBB36_119
; %bb.110:                              ;   in Loop: Header=BB36_6 Depth=1
	v_cmp_ge_u32_e32 vcc, s81, v35
                                        ; implicit-def: $sgpr38
                                        ; implicit-def: $sgpr24_sgpr25
	s_and_saveexec_b64 s[16:17], vcc
	s_xor_b64 s[36:37], exec, s[16:17]
	s_cbranch_execz .LBB36_116
; %bb.111:                              ;   in Loop: Header=BB36_6 Depth=1
	ds_read_b32 v2, v11 offset:4096
	s_waitcnt lgkmcnt(0)
	v_cmp_ne_u32_e32 vcc, 0, v2
	s_cbranch_vccnz .LBB36_115
; %bb.112:                              ;   in Loop: Header=BB36_6 Depth=1
	s_mov_b64 s[16:17], exec
	v_readlane_b32 s24, v53, 22
	v_readlane_b32 s25, v53, 23
	s_and_b64 s[24:25], s[16:17], s[24:25]
	s_mov_b64 exec, s[24:25]
	s_cbranch_execz .LBB36_114
; %bb.113:                              ;   in Loop: Header=BB36_6 Depth=1
	v_mov_b32_e32 v2, s81
	ds_write_b32 v11, v2 offset:4100
.LBB36_114:                             ;   in Loop: Header=BB36_6 Depth=1
	s_or_b64 exec, exec, s[16:17]
	s_waitcnt lgkmcnt(0)
	s_barrier
.LBB36_115:                             ;   in Loop: Header=BB36_6 Depth=1
	v_and_b32_e32 v4, s5, v4
	v_or_b32_e32 v5, s80, v5
	s_mov_b64 s[24:25], 0
	s_mov_b32 s38, 8
.LBB36_116:                             ;   in Loop: Header=BB36_6 Depth=1
	s_or_saveexec_b64 s[16:17], s[36:37]
	v_mov_b32_e32 v2, s38
	v_mov_b32_e32 v36, v35
	s_xor_b64 exec, exec, s[16:17]
; %bb.117:                              ;   in Loop: Header=BB36_6 Depth=1
	v_subrev_u32_e32 v36, s81, v35
	v_mov_b32_e32 v2, 0
	s_or_b64 s[24:25], s[24:25], exec
; %bb.118:                              ;   in Loop: Header=BB36_6 Depth=1
	s_or_b64 exec, exec, s[16:17]
	s_and_b64 s[16:17], s[24:25], exec
.LBB36_119:                             ;   in Loop: Header=BB36_6 Depth=1
	s_or_b64 exec, exec, s[20:21]
	s_mov_b64 s[38:39], -1
                                        ; implicit-def: $sgpr36_sgpr37
                                        ; implicit-def: $sgpr40_sgpr41
                                        ; implicit-def: $sgpr42_sgpr43
	s_and_saveexec_b64 s[20:21], s[16:17]
	s_xor_b64 s[24:25], exec, s[20:21]
	s_cbranch_execz .LBB36_240
; %bb.120:                              ;   in Loop: Header=BB36_6 Depth=1
	s_cmp_eq_u32 s4, 1
	s_cselect_b64 s[16:17], -1, 0
	v_cmp_eq_u32_e32 vcc, 1, v36
	s_and_b64 s[44:45], s[16:17], vcc
	s_mov_b64 s[46:47], -1
                                        ; implicit-def: $sgpr36_sgpr37
                                        ; implicit-def: $sgpr40_sgpr41
                                        ; implicit-def: $sgpr38_sgpr39
	s_and_saveexec_b64 s[42:43], s[44:45]
	s_cbranch_execz .LBB36_146
; %bb.121:                              ;   in Loop: Header=BB36_6 Depth=1
	ds_read_b32 v2, v11 offset:4096
	s_waitcnt lgkmcnt(0)
	s_barrier
	v_readfirstlane_b32 s40, v2
	s_mov_b64 s[16:17], exec
	v_readlane_b32 s20, v53, 40
	v_readlane_b32 s21, v53, 41
	s_and_b64 s[20:21], s[16:17], s[20:21]
	s_mov_b64 exec, s[20:21]
	s_cbranch_execz .LBB36_123
; %bb.122:                              ;   in Loop: Header=BB36_6 Depth=1
	ds_write_b32 v23, v11
.LBB36_123:                             ;   in Loop: Header=BB36_6 Depth=1
	s_or_b64 exec, exec, s[16:17]
	v_and_b32_e32 v2, s5, v4
	v_lshl_or_b32 v4, 1, s10, v2
	v_or_b32_e32 v5, s80, v5
	s_cmp_eq_u32 s40, 0
	s_waitcnt lgkmcnt(0)
	s_barrier
	s_cbranch_scc1 .LBB36_132
; %bb.124:                              ;   in Loop: Header=BB36_6 Depth=1
	v_readlane_b32 s16, v53, 33
	s_add_i32 s16, s40, s16
	v_readlane_b32 s17, v53, 55
	s_mul_hi_u32 s17, s16, s17
	s_mul_i32 s17, s17, s9
	s_sub_i32 s17, s16, s17
	s_sub_i32 s20, s17, s9
	s_cmp_ge_u32 s17, s9
	s_cselect_b32 s17, s20, s17
	s_sub_i32 s20, s17, s9
	s_cmp_ge_u32 s17, s9
	s_cselect_b32 s17, s20, s17
	s_sub_i32 s41, s16, s17
	v_cmp_gt_u32_e32 vcc, s41, v0
	s_mov_b64 s[20:21], 0
                                        ; implicit-def: $vgpr3
	s_and_saveexec_b64 s[36:37], vcc
	s_cbranch_execz .LBB36_134
; %bb.125:                              ;   in Loop: Header=BB36_6 Depth=1
	v_mov_b32_e32 v10, v21
	v_mov_b32_e32 v18, v0
                                        ; implicit-def: $sgpr38_sgpr39
	s_branch .LBB36_127
.LBB36_126:                             ;   in Loop: Header=BB36_127 Depth=2
	s_or_b64 exec, exec, s[16:17]
	s_waitcnt lgkmcnt(0)
	s_barrier
	ds_read_b64 v[2:3], v11 offset:3072
	v_add_u32_e32 v18, s9, v18
	v_cmp_le_u32_e32 vcc, s41, v18
	v_add_u32_e32 v10, s85, v10
	s_waitcnt lgkmcnt(0)
	v_readfirstlane_b32 s16, v2
	s_cmp_lg_u32 s16, 0
	s_cselect_b64 s[16:17], -1, 0
	s_or_b64 s[46:47], vcc, s[16:17]
	s_and_b64 s[46:47], exec, s[46:47]
	s_or_b64 s[20:21], s[46:47], s[20:21]
	s_andn2_b64 s[38:39], s[38:39], exec
	s_and_b64 s[16:17], s[16:17], exec
	s_or_b64 s[38:39], s[38:39], s[16:17]
	s_barrier
	s_andn2_b64 exec, exec, s[20:21]
	s_cbranch_execz .LBB36_133
.LBB36_127:                             ;   Parent Loop BB36_6 Depth=1
                                        ; =>  This Inner Loop Header: Depth=2
	v_cmp_gt_u32_e32 vcc, s40, v18
	s_waitcnt vmcnt(0)
	v_mov_b32_e32 v17, 0
	s_and_saveexec_b64 s[16:17], vcc
	s_cbranch_execz .LBB36_129
; %bb.128:                              ;   in Loop: Header=BB36_127 Depth=2
	ds_read_b32 v17, v10
.LBB36_129:                             ;   in Loop: Header=BB36_127 Depth=2
	s_or_b64 exec, exec, s[16:17]
	s_and_saveexec_b64 s[16:17], vcc
	s_cbranch_execz .LBB36_126
; %bb.130:                              ;   in Loop: Header=BB36_127 Depth=2
	s_waitcnt lgkmcnt(0)
	v_xor_b32_e32 v2, 0x80000000, v17
	v_and_b32_e32 v2, v2, v5
	v_cmp_eq_u32_e32 vcc, v2, v4
	s_and_b64 exec, exec, vcc
	s_cbranch_execz .LBB36_126
; %bb.131:                              ;   in Loop: Header=BB36_127 Depth=2
	ds_write_b64 v11, v[16:17] offset:3072
	s_branch .LBB36_126
.LBB36_132:                             ;   in Loop: Header=BB36_6 Depth=1
	s_mov_b64 s[36:37], -1
	s_mov_b64 s[20:21], 0
                                        ; implicit-def: $sgpr38_sgpr39
                                        ; implicit-def: $vgpr3
	s_mov_b64 s[40:41], s[36:37]
	s_cbranch_execnz .LBB36_135
	s_branch .LBB36_145
.LBB36_133:                             ;   in Loop: Header=BB36_6 Depth=1
	s_or_b64 exec, exec, s[20:21]
	s_and_b64 s[20:21], s[38:39], exec
.LBB36_134:                             ;   in Loop: Header=BB36_6 Depth=1
	s_or_b64 exec, exec, s[36:37]
	s_mov_b64 s[38:39], -1
	s_mov_b64 s[36:37], 0
	s_mov_b64 s[40:41], s[36:37]
	s_branch .LBB36_145
.LBB36_135:                             ;   in Loop: Header=BB36_6 Depth=1
	s_mov_b64 s[20:21], 0
                                        ; implicit-def: $vgpr3
	s_mov_b64 s[36:37], exec
	v_readlane_b32 s16, v53, 56
	v_readlane_b32 s17, v53, 57
	s_and_b64 s[16:17], s[36:37], s[16:17]
	s_mov_b64 exec, s[16:17]
	s_cbranch_execz .LBB36_144
; %bb.136:                              ;   in Loop: Header=BB36_6 Depth=1
	s_mov_b64 s[38:39], 0
	v_mov_b32_e32 v10, v12
	v_mov_b32_e32 v18, v0
                                        ; implicit-def: $sgpr40_sgpr41
	s_branch .LBB36_138
.LBB36_137:                             ;   in Loop: Header=BB36_138 Depth=2
	s_or_b64 exec, exec, s[16:17]
	s_waitcnt lgkmcnt(0)
	s_barrier
	ds_read_b64 v[2:3], v11 offset:3072
	v_add_u32_e32 v18, s9, v18
	v_cmp_le_u32_e32 vcc, s12, v18
	v_add_u32_e32 v10, s84, v10
	s_waitcnt lgkmcnt(0)
	v_readfirstlane_b32 s16, v2
	s_cmp_lg_u32 s16, 0
	s_cselect_b64 s[16:17], -1, 0
	s_or_b64 s[20:21], vcc, s[16:17]
	s_and_b64 s[20:21], exec, s[20:21]
	s_or_b64 s[38:39], s[20:21], s[38:39]
	s_andn2_b64 s[20:21], s[40:41], exec
	s_and_b64 s[16:17], s[16:17], exec
	s_or_b64 s[40:41], s[20:21], s[16:17]
	s_barrier
	s_andn2_b64 exec, exec, s[38:39]
	s_cbranch_execz .LBB36_143
.LBB36_138:                             ;   Parent Loop BB36_6 Depth=1
                                        ; =>  This Inner Loop Header: Depth=2
	v_cmp_gt_u32_e32 vcc, s60, v18
	s_waitcnt vmcnt(0)
	v_mov_b32_e32 v17, 0
	s_and_saveexec_b64 s[16:17], vcc
	s_cbranch_execz .LBB36_140
; %bb.139:                              ;   in Loop: Header=BB36_138 Depth=2
	v_lshlrev_b64 v[2:3], 2, v[10:11]
	v_mov_b32_e32 v17, s8
	v_add_co_u32_e64 v2, s[20:21], s33, v2
	v_addc_co_u32_e64 v3, s[20:21], v17, v3, s[20:21]
	global_load_dword v17, v[2:3], off
.LBB36_140:                             ;   in Loop: Header=BB36_138 Depth=2
	s_or_b64 exec, exec, s[16:17]
	s_and_saveexec_b64 s[16:17], vcc
	s_cbranch_execz .LBB36_137
; %bb.141:                              ;   in Loop: Header=BB36_138 Depth=2
	s_waitcnt vmcnt(0)
	v_xor_b32_e32 v2, 0x80000000, v17
	v_and_b32_e32 v2, v2, v5
	v_cmp_eq_u32_e32 vcc, v2, v4
	s_and_b64 exec, exec, vcc
	s_cbranch_execz .LBB36_137
; %bb.142:                              ;   in Loop: Header=BB36_138 Depth=2
	ds_write_b64 v11, v[16:17] offset:3072
	s_branch .LBB36_137
.LBB36_143:                             ;   in Loop: Header=BB36_6 Depth=1
	s_or_b64 exec, exec, s[38:39]
	s_and_b64 s[20:21], s[40:41], exec
.LBB36_144:                             ;   in Loop: Header=BB36_6 Depth=1
	s_or_b64 exec, exec, s[36:37]
	s_mov_b64 s[40:41], -1
	s_mov_b64 s[36:37], 0
	s_mov_b64 s[38:39], 0
.LBB36_145:                             ;   in Loop: Header=BB36_6 Depth=1
	s_orn2_b64 s[46:47], s[20:21], exec
.LBB36_146:                             ;   in Loop: Header=BB36_6 Depth=1
	s_or_b64 exec, exec, s[42:43]
	s_mov_b64 s[20:21], 0
                                        ; implicit-def: $vgpr2
	s_and_saveexec_b64 s[42:43], s[46:47]
	s_cbranch_execz .LBB36_239
; %bb.147:                              ;   in Loop: Header=BB36_6 Depth=1
	s_xor_b64 s[44:45], s[44:45], -1
	s_mov_b64 s[16:17], 0
	v_mov_b32_e32 v18, 1
	v_mov_b32_e32 v2, 1
	s_and_saveexec_b64 s[20:21], s[44:45]
	s_cbranch_execz .LBB36_157
; %bb.148:                              ;   in Loop: Header=BB36_6 Depth=1
	v_cmp_ge_u32_e32 vcc, s4, v36
                                        ; implicit-def: $sgpr48
                                        ; implicit-def: $sgpr44_sgpr45
	s_and_saveexec_b64 s[16:17], vcc
	s_xor_b64 s[46:47], exec, s[16:17]
	s_cbranch_execz .LBB36_154
; %bb.149:                              ;   in Loop: Header=BB36_6 Depth=1
	ds_read_b32 v2, v11 offset:4096
	s_waitcnt lgkmcnt(0)
	v_cmp_ne_u32_e32 vcc, 0, v2
	s_cbranch_vccnz .LBB36_153
; %bb.150:                              ;   in Loop: Header=BB36_6 Depth=1
	s_mov_b64 s[16:17], exec
	v_readlane_b32 s44, v53, 22
	v_readlane_b32 s45, v53, 23
	s_and_b64 s[44:45], s[16:17], s[44:45]
	s_mov_b64 exec, s[44:45]
	s_cbranch_execz .LBB36_152
; %bb.151:                              ;   in Loop: Header=BB36_6 Depth=1
	v_mov_b32_e32 v2, s4
	ds_write_b32 v11, v2 offset:4100
.LBB36_152:                             ;   in Loop: Header=BB36_6 Depth=1
	s_or_b64 exec, exec, s[16:17]
	s_waitcnt lgkmcnt(0)
	s_barrier
.LBB36_153:                             ;   in Loop: Header=BB36_6 Depth=1
	v_and_b32_e32 v2, s5, v4
	v_lshl_or_b32 v4, 1, s10, v2
	v_or_b32_e32 v5, s80, v5
	s_mov_b64 s[44:45], 0
	s_mov_b32 s48, 8
.LBB36_154:                             ;   in Loop: Header=BB36_6 Depth=1
	s_or_saveexec_b64 s[16:17], s[46:47]
	v_mov_b32_e32 v2, s48
	s_xor_b64 exec, exec, s[16:17]
; %bb.155:                              ;   in Loop: Header=BB36_6 Depth=1
	v_subrev_u32_e32 v36, s4, v36
	v_mov_b32_e32 v2, 0
	s_or_b64 s[44:45], s[44:45], exec
; %bb.156:                              ;   in Loop: Header=BB36_6 Depth=1
	s_or_b64 exec, exec, s[16:17]
	s_and_b64 s[16:17], s[44:45], exec
	v_mov_b32_e32 v18, v36
.LBB36_157:                             ;   in Loop: Header=BB36_6 Depth=1
	s_or_b64 exec, exec, s[20:21]
	s_mov_b64 s[20:21], -1
                                        ; implicit-def: $sgpr46_sgpr47
                                        ; implicit-def: $sgpr50_sgpr51
                                        ; implicit-def: $sgpr52_sgpr53
	s_and_saveexec_b64 s[44:45], s[16:17]
	s_cbranch_execz .LBB36_238
; %bb.158:                              ;   in Loop: Header=BB36_6 Depth=1
	s_cmp_eq_u32 s11, 1
	s_cselect_b64 s[16:17], -1, 0
	v_cmp_eq_u32_e32 vcc, 1, v18
	s_and_b64 s[54:55], s[16:17], vcc
	s_mov_b64 s[56:57], -1
                                        ; implicit-def: $sgpr46_sgpr47
                                        ; implicit-def: $sgpr50_sgpr51
                                        ; implicit-def: $sgpr48_sgpr49
	s_and_saveexec_b64 s[52:53], s[54:55]
	s_cbranch_execz .LBB36_184
; %bb.159:                              ;   in Loop: Header=BB36_6 Depth=1
	ds_read_b32 v2, v11 offset:4096
	s_waitcnt lgkmcnt(0)
	s_barrier
	v_readfirstlane_b32 s50, v2
	s_mov_b64 s[16:17], exec
	v_readlane_b32 s20, v53, 40
	v_readlane_b32 s21, v53, 41
	s_and_b64 s[20:21], s[16:17], s[20:21]
	s_mov_b64 exec, s[20:21]
	s_cbranch_execz .LBB36_161
; %bb.160:                              ;   in Loop: Header=BB36_6 Depth=1
	ds_write_b32 v23, v11
.LBB36_161:                             ;   in Loop: Header=BB36_6 Depth=1
	s_or_b64 exec, exec, s[16:17]
	v_and_b32_e32 v2, s5, v4
	v_lshl_or_b32 v4, 2, s10, v2
	v_or_b32_e32 v5, s80, v5
	s_cmp_eq_u32 s50, 0
	s_waitcnt lgkmcnt(0)
	s_barrier
	s_cbranch_scc1 .LBB36_170
; %bb.162:                              ;   in Loop: Header=BB36_6 Depth=1
	v_readlane_b32 s16, v53, 33
	s_add_i32 s16, s50, s16
	v_readlane_b32 s17, v53, 55
	s_mul_hi_u32 s17, s16, s17
	s_mul_i32 s17, s17, s9
	s_sub_i32 s17, s16, s17
	s_sub_i32 s20, s17, s9
	s_cmp_ge_u32 s17, s9
	s_cselect_b32 s17, s20, s17
	s_sub_i32 s20, s17, s9
	s_cmp_ge_u32 s17, s9
	s_cselect_b32 s17, s20, s17
	s_sub_i32 s51, s16, s17
	v_cmp_gt_u32_e32 vcc, s51, v0
	s_mov_b64 s[20:21], 0
                                        ; implicit-def: $vgpr3
	s_and_saveexec_b64 s[46:47], vcc
	s_cbranch_execz .LBB36_172
; %bb.163:                              ;   in Loop: Header=BB36_6 Depth=1
	v_mov_b32_e32 v10, v21
	v_mov_b32_e32 v36, v0
                                        ; implicit-def: $sgpr48_sgpr49
	s_branch .LBB36_165
.LBB36_164:                             ;   in Loop: Header=BB36_165 Depth=2
	s_or_b64 exec, exec, s[16:17]
	s_waitcnt lgkmcnt(0)
	s_barrier
	ds_read_b64 v[2:3], v11 offset:3072
	v_add_u32_e32 v36, s9, v36
	v_cmp_le_u32_e32 vcc, s51, v36
	v_add_u32_e32 v10, s85, v10
	s_waitcnt lgkmcnt(0)
	v_readfirstlane_b32 s16, v2
	s_cmp_lg_u32 s16, 0
	s_cselect_b64 s[16:17], -1, 0
	s_or_b64 s[56:57], vcc, s[16:17]
	s_and_b64 s[56:57], exec, s[56:57]
	s_or_b64 s[20:21], s[56:57], s[20:21]
	s_andn2_b64 s[48:49], s[48:49], exec
	s_and_b64 s[16:17], s[16:17], exec
	s_or_b64 s[48:49], s[48:49], s[16:17]
	s_barrier
	s_andn2_b64 exec, exec, s[20:21]
	s_cbranch_execz .LBB36_171
.LBB36_165:                             ;   Parent Loop BB36_6 Depth=1
                                        ; =>  This Inner Loop Header: Depth=2
	v_cmp_gt_u32_e32 vcc, s50, v36
	s_waitcnt vmcnt(0)
	v_mov_b32_e32 v17, 0
	s_and_saveexec_b64 s[16:17], vcc
	s_cbranch_execz .LBB36_167
; %bb.166:                              ;   in Loop: Header=BB36_165 Depth=2
	ds_read_b32 v17, v10
.LBB36_167:                             ;   in Loop: Header=BB36_165 Depth=2
	s_or_b64 exec, exec, s[16:17]
	s_and_saveexec_b64 s[16:17], vcc
	s_cbranch_execz .LBB36_164
; %bb.168:                              ;   in Loop: Header=BB36_165 Depth=2
	s_waitcnt lgkmcnt(0)
	v_xor_b32_e32 v2, 0x80000000, v17
	v_and_b32_e32 v2, v2, v5
	v_cmp_eq_u32_e32 vcc, v2, v4
	s_and_b64 exec, exec, vcc
	s_cbranch_execz .LBB36_164
; %bb.169:                              ;   in Loop: Header=BB36_165 Depth=2
	ds_write_b64 v11, v[16:17] offset:3072
	s_branch .LBB36_164
.LBB36_170:                             ;   in Loop: Header=BB36_6 Depth=1
	s_mov_b64 s[46:47], -1
	s_mov_b64 s[20:21], 0
                                        ; implicit-def: $sgpr48_sgpr49
                                        ; implicit-def: $vgpr3
	s_mov_b64 s[50:51], s[46:47]
	s_cbranch_execnz .LBB36_173
	s_branch .LBB36_183
.LBB36_171:                             ;   in Loop: Header=BB36_6 Depth=1
	s_or_b64 exec, exec, s[20:21]
	s_and_b64 s[20:21], s[48:49], exec
.LBB36_172:                             ;   in Loop: Header=BB36_6 Depth=1
	s_or_b64 exec, exec, s[46:47]
	s_mov_b64 s[48:49], -1
	s_mov_b64 s[46:47], 0
	s_mov_b64 s[50:51], s[46:47]
	s_branch .LBB36_183
.LBB36_173:                             ;   in Loop: Header=BB36_6 Depth=1
	s_mov_b64 s[20:21], 0
                                        ; implicit-def: $vgpr3
	s_mov_b64 s[46:47], exec
	v_readlane_b32 s16, v53, 56
	v_readlane_b32 s17, v53, 57
	s_and_b64 s[16:17], s[46:47], s[16:17]
	s_mov_b64 exec, s[16:17]
	s_cbranch_execz .LBB36_182
; %bb.174:                              ;   in Loop: Header=BB36_6 Depth=1
	s_mov_b64 s[48:49], 0
	v_mov_b32_e32 v10, v12
	v_mov_b32_e32 v36, v0
                                        ; implicit-def: $sgpr50_sgpr51
	s_branch .LBB36_176
.LBB36_175:                             ;   in Loop: Header=BB36_176 Depth=2
	s_or_b64 exec, exec, s[16:17]
	s_waitcnt lgkmcnt(0)
	s_barrier
	ds_read_b64 v[2:3], v11 offset:3072
	v_add_u32_e32 v36, s9, v36
	v_cmp_le_u32_e32 vcc, s12, v36
	v_add_u32_e32 v10, s84, v10
	s_waitcnt lgkmcnt(0)
	v_readfirstlane_b32 s16, v2
	s_cmp_lg_u32 s16, 0
	s_cselect_b64 s[16:17], -1, 0
	s_or_b64 s[20:21], vcc, s[16:17]
	s_and_b64 s[20:21], exec, s[20:21]
	s_or_b64 s[48:49], s[20:21], s[48:49]
	s_andn2_b64 s[20:21], s[50:51], exec
	s_and_b64 s[16:17], s[16:17], exec
	s_or_b64 s[50:51], s[20:21], s[16:17]
	s_barrier
	s_andn2_b64 exec, exec, s[48:49]
	s_cbranch_execz .LBB36_181
.LBB36_176:                             ;   Parent Loop BB36_6 Depth=1
                                        ; =>  This Inner Loop Header: Depth=2
	v_cmp_gt_u32_e32 vcc, s60, v36
	s_waitcnt vmcnt(0)
	v_mov_b32_e32 v17, 0
	s_and_saveexec_b64 s[16:17], vcc
	s_cbranch_execz .LBB36_178
; %bb.177:                              ;   in Loop: Header=BB36_176 Depth=2
	v_lshlrev_b64 v[2:3], 2, v[10:11]
	v_mov_b32_e32 v17, s8
	v_add_co_u32_e64 v2, s[20:21], s33, v2
	v_addc_co_u32_e64 v3, s[20:21], v17, v3, s[20:21]
	global_load_dword v17, v[2:3], off
.LBB36_178:                             ;   in Loop: Header=BB36_176 Depth=2
	s_or_b64 exec, exec, s[16:17]
	s_and_saveexec_b64 s[16:17], vcc
	s_cbranch_execz .LBB36_175
; %bb.179:                              ;   in Loop: Header=BB36_176 Depth=2
	s_waitcnt vmcnt(0)
	v_xor_b32_e32 v2, 0x80000000, v17
	v_and_b32_e32 v2, v2, v5
	v_cmp_eq_u32_e32 vcc, v2, v4
	s_and_b64 exec, exec, vcc
	s_cbranch_execz .LBB36_175
; %bb.180:                              ;   in Loop: Header=BB36_176 Depth=2
	ds_write_b64 v11, v[16:17] offset:3072
	s_branch .LBB36_175
.LBB36_181:                             ;   in Loop: Header=BB36_6 Depth=1
	s_or_b64 exec, exec, s[48:49]
	s_and_b64 s[20:21], s[50:51], exec
.LBB36_182:                             ;   in Loop: Header=BB36_6 Depth=1
	s_or_b64 exec, exec, s[46:47]
	s_mov_b64 s[50:51], -1
	s_mov_b64 s[46:47], 0
	s_mov_b64 s[48:49], 0
.LBB36_183:                             ;   in Loop: Header=BB36_6 Depth=1
	s_orn2_b64 s[56:57], s[20:21], exec
.LBB36_184:                             ;   in Loop: Header=BB36_6 Depth=1
	s_or_b64 exec, exec, s[52:53]
	s_mov_b64 s[20:21], 0
                                        ; implicit-def: $vgpr2
	s_and_saveexec_b64 s[52:53], s[56:57]
	s_cbranch_execz .LBB36_237
; %bb.185:                              ;   in Loop: Header=BB36_6 Depth=1
	s_xor_b64 s[54:55], s[54:55], -1
	s_mov_b64 s[16:17], 0
	v_mov_b32_e32 v36, 1
	v_mov_b32_e32 v2, 1
	s_and_saveexec_b64 s[20:21], s[54:55]
	s_cbranch_execz .LBB36_195
; %bb.186:                              ;   in Loop: Header=BB36_6 Depth=1
	v_cmp_ge_u32_e32 vcc, s11, v18
                                        ; implicit-def: $sgpr59
                                        ; implicit-def: $sgpr54_sgpr55
	s_and_saveexec_b64 s[16:17], vcc
	s_xor_b64 s[56:57], exec, s[16:17]
	s_cbranch_execz .LBB36_192
; %bb.187:                              ;   in Loop: Header=BB36_6 Depth=1
	ds_read_b32 v2, v11 offset:4096
	s_waitcnt lgkmcnt(0)
	v_cmp_ne_u32_e32 vcc, 0, v2
	s_cbranch_vccnz .LBB36_191
; %bb.188:                              ;   in Loop: Header=BB36_6 Depth=1
	s_mov_b64 s[16:17], exec
	v_readlane_b32 s54, v53, 22
	v_readlane_b32 s55, v53, 23
	s_and_b64 s[54:55], s[16:17], s[54:55]
	s_mov_b64 exec, s[54:55]
	s_cbranch_execz .LBB36_190
; %bb.189:                              ;   in Loop: Header=BB36_6 Depth=1
	v_mov_b32_e32 v2, s11
	ds_write_b32 v11, v2 offset:4100
.LBB36_190:                             ;   in Loop: Header=BB36_6 Depth=1
	s_or_b64 exec, exec, s[16:17]
	s_waitcnt lgkmcnt(0)
	s_barrier
.LBB36_191:                             ;   in Loop: Header=BB36_6 Depth=1
	v_and_b32_e32 v2, s5, v4
	v_lshl_or_b32 v4, 2, s10, v2
	v_or_b32_e32 v5, s80, v5
	s_mov_b64 s[54:55], 0
	s_mov_b32 s59, 8
.LBB36_192:                             ;   in Loop: Header=BB36_6 Depth=1
	s_or_saveexec_b64 s[16:17], s[56:57]
	v_mov_b32_e32 v2, s59
	s_xor_b64 exec, exec, s[16:17]
; %bb.193:                              ;   in Loop: Header=BB36_6 Depth=1
	v_subrev_u32_e32 v18, s11, v18
	v_mov_b32_e32 v2, 0
	s_or_b64 s[54:55], s[54:55], exec
; %bb.194:                              ;   in Loop: Header=BB36_6 Depth=1
	s_or_b64 exec, exec, s[16:17]
	s_and_b64 s[16:17], s[54:55], exec
	v_mov_b32_e32 v36, v18
.LBB36_195:                             ;   in Loop: Header=BB36_6 Depth=1
	s_or_b64 exec, exec, s[20:21]
	s_mov_b64 s[56:57], -1
                                        ; implicit-def: $sgpr20_sgpr21
                                        ; implicit-def: $sgpr90_sgpr91
                                        ; implicit-def: $vcc
	s_and_saveexec_b64 s[54:55], s[16:17]
	s_cbranch_execz .LBB36_236
; %bb.196:                              ;   in Loop: Header=BB36_6 Depth=1
	s_cmp_eq_u32 s58, 1
	s_cselect_b64 s[16:17], -1, 0
	v_cmp_eq_u32_e32 vcc, 1, v36
	s_and_b64 s[56:57], s[16:17], vcc
	s_mov_b64 s[16:17], -1
                                        ; implicit-def: $sgpr20_sgpr21
                                        ; implicit-def: $sgpr90_sgpr91
                                        ; implicit-def: $vcc
	s_mov_b64 s[88:89], exec
	v_writelane_b32 v53, s56, 61
	v_writelane_b32 v53, s57, 62
                                        ; implicit-def: $vgpr52 : SGPR spill to VGPR lane
	v_writelane_b32 v53, s88, 63
	s_and_b64 s[56:57], s[88:89], s[56:57]
	v_writelane_b32 v52, s89, 0
	s_mov_b64 exec, s[56:57]
	s_cbranch_execz .LBB36_223
; %bb.197:                              ;   in Loop: Header=BB36_6 Depth=1
	ds_read_b32 v2, v11 offset:4096
	s_waitcnt lgkmcnt(0)
	s_barrier
	v_readfirstlane_b32 s59, v2
	s_mov_b64 s[16:17], exec
	v_readlane_b32 s20, v53, 40
	v_readlane_b32 s21, v53, 41
	s_and_b64 s[20:21], s[16:17], s[20:21]
	s_mov_b64 exec, s[20:21]
	s_cbranch_execz .LBB36_199
; %bb.198:                              ;   in Loop: Header=BB36_6 Depth=1
	ds_write_b32 v23, v11
.LBB36_199:                             ;   in Loop: Header=BB36_6 Depth=1
	s_or_b64 exec, exec, s[16:17]
	v_or_b32_e32 v4, s80, v4
	v_or_b32_e32 v5, s80, v5
	s_cmp_eq_u32 s59, 0
	s_waitcnt lgkmcnt(0)
	s_barrier
	s_cbranch_scc1 .LBB36_208
; %bb.200:                              ;   in Loop: Header=BB36_6 Depth=1
	v_readlane_b32 s16, v53, 33
	s_add_i32 s16, s59, s16
	v_readlane_b32 s17, v53, 55
	s_mul_hi_u32 s17, s16, s17
	s_mul_i32 s17, s17, s9
	s_sub_i32 s17, s16, s17
	s_sub_i32 s20, s17, s9
	s_cmp_ge_u32 s17, s9
	s_cselect_b32 s17, s20, s17
	s_sub_i32 s20, s17, s9
	s_cmp_ge_u32 s17, s9
	s_cselect_b32 s17, s20, s17
	s_sub_i32 s90, s16, s17
	s_mov_b64 s[56:57], 0
	v_cmp_gt_u32_e32 vcc, s90, v0
                                        ; implicit-def: $vgpr3
	s_mov_b64 s[16:17], exec
	v_writelane_b32 v52, s16, 1
	v_writelane_b32 v52, s17, 2
	s_and_b64 s[16:17], s[16:17], vcc
	s_mov_b64 exec, s[16:17]
	s_cbranch_execz .LBB36_210
; %bb.201:                              ;   in Loop: Header=BB36_6 Depth=1
	v_mov_b32_e32 v10, v21
	v_mov_b32_e32 v18, v0
                                        ; implicit-def: $sgpr88_sgpr89
	s_branch .LBB36_203
.LBB36_202:                             ;   in Loop: Header=BB36_203 Depth=2
	s_or_b64 exec, exec, s[16:17]
	s_waitcnt lgkmcnt(0)
	s_barrier
	ds_read_b64 v[2:3], v11 offset:3072
	v_add_u32_e32 v18, s9, v18
	v_cmp_le_u32_e32 vcc, s90, v18
	v_add_u32_e32 v10, s85, v10
	s_waitcnt lgkmcnt(0)
	v_readfirstlane_b32 s16, v2
	s_cmp_lg_u32 s16, 0
	s_cselect_b64 s[16:17], -1, 0
	s_or_b64 s[20:21], vcc, s[16:17]
	s_and_b64 s[20:21], exec, s[20:21]
	s_or_b64 s[56:57], s[20:21], s[56:57]
	s_andn2_b64 s[20:21], s[88:89], exec
	s_and_b64 s[16:17], s[16:17], exec
	s_or_b64 s[88:89], s[20:21], s[16:17]
	s_barrier
	s_andn2_b64 exec, exec, s[56:57]
	s_cbranch_execz .LBB36_209
.LBB36_203:                             ;   Parent Loop BB36_6 Depth=1
                                        ; =>  This Inner Loop Header: Depth=2
	v_cmp_gt_u32_e32 vcc, s59, v18
	s_waitcnt vmcnt(0)
	v_mov_b32_e32 v17, 0
	s_and_saveexec_b64 s[16:17], vcc
	s_cbranch_execz .LBB36_205
; %bb.204:                              ;   in Loop: Header=BB36_203 Depth=2
	ds_read_b32 v17, v10
.LBB36_205:                             ;   in Loop: Header=BB36_203 Depth=2
	s_or_b64 exec, exec, s[16:17]
	s_and_saveexec_b64 s[16:17], vcc
	s_cbranch_execz .LBB36_202
; %bb.206:                              ;   in Loop: Header=BB36_203 Depth=2
	s_waitcnt lgkmcnt(0)
	v_xor_b32_e32 v2, 0x80000000, v17
	v_and_b32_e32 v2, v2, v5
	v_cmp_eq_u32_e32 vcc, v2, v4
	s_and_b64 exec, exec, vcc
	s_cbranch_execz .LBB36_202
; %bb.207:                              ;   in Loop: Header=BB36_203 Depth=2
	ds_write_b64 v11, v[16:17] offset:3072
	s_branch .LBB36_202
.LBB36_208:                             ;   in Loop: Header=BB36_6 Depth=1
	s_mov_b64 s[20:21], -1
	s_mov_b64 s[56:57], 0
                                        ; implicit-def: $sgpr88_sgpr89
                                        ; implicit-def: $vgpr3
	s_branch .LBB36_211
.LBB36_209:                             ;   in Loop: Header=BB36_6 Depth=1
	s_or_b64 exec, exec, s[56:57]
	s_and_b64 s[56:57], s[88:89], exec
.LBB36_210:                             ;   in Loop: Header=BB36_6 Depth=1
	v_readlane_b32 s16, v52, 1
	v_readlane_b32 s17, v52, 2
	s_or_b64 exec, exec, s[16:17]
	s_mov_b64 s[88:89], -1
	s_mov_b64 s[20:21], 0
.LBB36_211:                             ;   in Loop: Header=BB36_6 Depth=1
	s_and_b64 vcc, exec, s[20:21]
	s_mov_b64 s[90:91], s[20:21]
	s_cbranch_vccz .LBB36_222
; %bb.212:                              ;   in Loop: Header=BB36_6 Depth=1
	s_mov_b64 s[56:57], 0
                                        ; implicit-def: $vgpr3
	s_mov_b64 s[88:89], exec
	v_readlane_b32 s16, v53, 56
	v_readlane_b32 s17, v53, 57
	s_and_b64 s[16:17], s[88:89], s[16:17]
	s_mov_b64 exec, s[16:17]
	s_cbranch_execz .LBB36_221
; %bb.213:                              ;   in Loop: Header=BB36_6 Depth=1
	v_mov_b32_e32 v10, v12
	v_mov_b32_e32 v18, v0
                                        ; implicit-def: $sgpr90_sgpr91
	s_branch .LBB36_215
.LBB36_214:                             ;   in Loop: Header=BB36_215 Depth=2
	s_or_b64 exec, exec, s[16:17]
	s_waitcnt lgkmcnt(0)
	s_barrier
	ds_read_b64 v[2:3], v11 offset:3072
	v_add_u32_e32 v18, s9, v18
	v_cmp_le_u32_e32 vcc, s12, v18
	v_add_u32_e32 v10, s84, v10
	s_waitcnt lgkmcnt(0)
	v_readfirstlane_b32 s16, v2
	s_cmp_lg_u32 s16, 0
	s_cselect_b64 s[16:17], -1, 0
	s_or_b64 s[20:21], vcc, s[16:17]
	s_and_b64 s[20:21], exec, s[20:21]
	s_or_b64 s[56:57], s[20:21], s[56:57]
	s_andn2_b64 s[20:21], s[90:91], exec
	s_and_b64 s[16:17], s[16:17], exec
	s_or_b64 s[90:91], s[20:21], s[16:17]
	s_barrier
	s_andn2_b64 exec, exec, s[56:57]
	s_cbranch_execz .LBB36_220
.LBB36_215:                             ;   Parent Loop BB36_6 Depth=1
                                        ; =>  This Inner Loop Header: Depth=2
	v_cmp_gt_u32_e32 vcc, s60, v18
	s_waitcnt vmcnt(0)
	v_mov_b32_e32 v17, 0
	s_and_saveexec_b64 s[16:17], vcc
	s_cbranch_execz .LBB36_217
; %bb.216:                              ;   in Loop: Header=BB36_215 Depth=2
	v_lshlrev_b64 v[2:3], 2, v[10:11]
	v_mov_b32_e32 v17, s8
	v_add_co_u32_e64 v2, s[20:21], s33, v2
	v_addc_co_u32_e64 v3, s[20:21], v17, v3, s[20:21]
	global_load_dword v17, v[2:3], off
.LBB36_217:                             ;   in Loop: Header=BB36_215 Depth=2
	s_or_b64 exec, exec, s[16:17]
	s_and_saveexec_b64 s[16:17], vcc
	s_cbranch_execz .LBB36_214
; %bb.218:                              ;   in Loop: Header=BB36_215 Depth=2
	s_waitcnt vmcnt(0)
	v_xor_b32_e32 v2, 0x80000000, v17
	v_and_b32_e32 v2, v2, v5
	v_cmp_eq_u32_e32 vcc, v2, v4
	s_and_b64 exec, exec, vcc
	s_cbranch_execz .LBB36_214
; %bb.219:                              ;   in Loop: Header=BB36_215 Depth=2
	ds_write_b64 v11, v[16:17] offset:3072
	s_branch .LBB36_214
.LBB36_220:                             ;   in Loop: Header=BB36_6 Depth=1
	s_or_b64 exec, exec, s[56:57]
	s_and_b64 s[56:57], s[90:91], exec
.LBB36_221:                             ;   in Loop: Header=BB36_6 Depth=1
	s_or_b64 exec, exec, s[88:89]
	s_mov_b64 s[90:91], -1
	s_mov_b64 s[20:21], 0
	s_mov_b64 s[88:89], 0
.LBB36_222:                             ;   in Loop: Header=BB36_6 Depth=1
	s_orn2_b64 s[16:17], s[56:57], exec
	s_mov_b64 vcc, s[88:89]
.LBB36_223:                             ;   in Loop: Header=BB36_6 Depth=1
	v_readlane_b32 s56, v53, 63
	v_readlane_b32 s57, v52, 0
	s_or_b64 exec, exec, s[56:57]
	s_mov_b64 s[56:57], 0
                                        ; implicit-def: $vgpr2
                                        ; implicit-def: $vgpr10
	s_and_saveexec_b64 s[88:89], s[16:17]
	s_cbranch_execz .LBB36_235
; %bb.224:                              ;   in Loop: Header=BB36_6 Depth=1
	v_readlane_b32 s16, v53, 61
	v_readlane_b32 s17, v53, 62
	s_xor_b64 s[16:17], s[16:17], -1
	v_mov_b32_e32 v2, 1
	v_mov_b32_e32 v10, 1
	s_and_saveexec_b64 s[56:57], s[16:17]
	s_cbranch_execz .LBB36_234
; %bb.225:                              ;   in Loop: Header=BB36_6 Depth=1
	v_writelane_b32 v52, vcc_lo, 3
	v_writelane_b32 v52, vcc_hi, 4
	v_cmp_ge_u32_e32 vcc, s58, v36
                                        ; implicit-def: $sgpr59
	s_and_saveexec_b64 s[16:17], vcc
	s_xor_b64 s[16:17], exec, s[16:17]
	s_cbranch_execz .LBB36_231
; %bb.226:                              ;   in Loop: Header=BB36_6 Depth=1
	ds_read_b32 v2, v11 offset:4096
	s_waitcnt lgkmcnt(0)
	v_cmp_ne_u32_e32 vcc, 0, v2
	s_cbranch_vccnz .LBB36_230
; %bb.227:                              ;   in Loop: Header=BB36_6 Depth=1
	v_writelane_b32 v52, s16, 5
	v_writelane_b32 v52, s17, 6
	s_mov_b64 s[16:17], exec
	v_writelane_b32 v52, s16, 7
	v_writelane_b32 v52, s17, 8
	v_readlane_b32 vcc_lo, v53, 22
	v_readlane_b32 s16, v52, 7
	v_readlane_b32 vcc_hi, v53, 23
	v_readlane_b32 s17, v52, 8
	s_and_b64 vcc, s[16:17], vcc
	s_mov_b64 exec, vcc
	s_cbranch_execz .LBB36_229
; %bb.228:                              ;   in Loop: Header=BB36_6 Depth=1
	v_mov_b32_e32 v2, s58
	ds_write_b32 v11, v2 offset:4100
.LBB36_229:                             ;   in Loop: Header=BB36_6 Depth=1
	v_readlane_b32 vcc_lo, v52, 7
	v_readlane_b32 vcc_hi, v52, 8
	s_or_b64 exec, exec, vcc
	v_readlane_b32 s16, v52, 5
	v_readlane_b32 s17, v52, 6
	s_waitcnt lgkmcnt(0)
	s_barrier
.LBB36_230:                             ;   in Loop: Header=BB36_6 Depth=1
	v_or_b32_e32 v4, s80, v4
	v_or_b32_e32 v5, s80, v5
	s_mov_b32 s59, 8
.LBB36_231:                             ;   in Loop: Header=BB36_6 Depth=1
	s_or_saveexec_b64 s[16:17], s[16:17]
	v_mov_b32_e32 v2, s59
	s_xor_b64 exec, exec, s[16:17]
; %bb.232:                              ;   in Loop: Header=BB36_6 Depth=1
	v_subrev_u32_e32 v36, s58, v36
	v_mov_b32_e32 v2, 8
; %bb.233:                              ;   in Loop: Header=BB36_6 Depth=1
	s_or_b64 exec, exec, s[16:17]
	v_readlane_b32 vcc_lo, v52, 3
	v_mov_b32_e32 v10, v36
	v_readlane_b32 vcc_hi, v52, 4
.LBB36_234:                             ;   in Loop: Header=BB36_6 Depth=1
	s_or_b64 exec, exec, s[56:57]
	s_mov_b64 s[56:57], exec
.LBB36_235:                             ;   in Loop: Header=BB36_6 Depth=1
	s_or_b64 exec, exec, s[88:89]
	s_orn2_b64 s[56:57], s[56:57], exec
	v_mov_b32_e32 v36, v10
.LBB36_236:                             ;   in Loop: Header=BB36_6 Depth=1
	s_or_b64 exec, exec, s[54:55]
	s_andn2_b64 s[16:17], s[46:47], exec
	s_and_b64 s[20:21], s[20:21], exec
	s_or_b64 s[46:47], s[16:17], s[20:21]
	s_andn2_b64 s[16:17], s[50:51], exec
	s_and_b64 s[20:21], s[90:91], exec
	s_or_b64 s[50:51], s[16:17], s[20:21]
	s_andn2_b64 s[16:17], s[48:49], exec
	s_and_b64 s[20:21], vcc, exec
	s_or_b64 s[48:49], s[16:17], s[20:21]
	s_and_b64 s[20:21], s[56:57], exec
	v_mov_b32_e32 v18, v36
.LBB36_237:                             ;   in Loop: Header=BB36_6 Depth=1
	s_or_b64 exec, exec, s[52:53]
	s_and_b64 s[52:53], s[46:47], exec
	s_and_b64 s[50:51], s[50:51], exec
	;; [unrolled: 1-line block ×3, first 2 shown]
	s_orn2_b64 s[20:21], s[20:21], exec
.LBB36_238:                             ;   in Loop: Header=BB36_6 Depth=1
	s_or_b64 exec, exec, s[44:45]
	s_andn2_b64 s[16:17], s[36:37], exec
	s_and_b64 s[36:37], s[52:53], exec
	s_or_b64 s[36:37], s[16:17], s[36:37]
	s_andn2_b64 s[16:17], s[40:41], exec
	s_and_b64 s[40:41], s[50:51], exec
	s_or_b64 s[40:41], s[16:17], s[40:41]
	;; [unrolled: 3-line block ×3, first 2 shown]
	s_and_b64 s[20:21], s[20:21], exec
	v_mov_b32_e32 v36, v18
.LBB36_239:                             ;   in Loop: Header=BB36_6 Depth=1
	s_or_b64 exec, exec, s[42:43]
	s_and_b64 s[42:43], s[36:37], exec
	s_and_b64 s[40:41], s[40:41], exec
	;; [unrolled: 1-line block ×3, first 2 shown]
	s_orn2_b64 s[38:39], s[20:21], exec
.LBB36_240:                             ;   in Loop: Header=BB36_6 Depth=1
	s_or_b64 exec, exec, s[24:25]
	s_mov_b64 s[24:25], 0
	s_mov_b64 s[20:21], 0
	s_and_saveexec_b64 s[16:17], s[38:39]
	s_xor_b64 s[16:17], exec, s[16:17]
; %bb.241:                              ;   in Loop: Header=BB36_6 Depth=1
	v_cmp_eq_u32_e32 vcc, 8, v2
	v_cmp_ne_u32_e64 s[20:21], 8, v2
	s_andn2_b64 s[42:43], s[42:43], exec
	s_andn2_b64 s[40:41], s[40:41], exec
	;; [unrolled: 1-line block ×3, first 2 shown]
	s_and_b64 s[20:21], s[20:21], exec
	s_and_b64 s[24:25], vcc, exec
; %bb.242:                              ;   in Loop: Header=BB36_6 Depth=1
	s_or_b64 exec, exec, s[16:17]
	s_andn2_b64 s[16:17], s[22:23], exec
	s_and_b64 s[22:23], s[42:43], exec
	s_or_b64 s[22:23], s[16:17], s[22:23]
	s_andn2_b64 s[16:17], s[28:29], exec
	s_and_b64 s[28:29], s[40:41], exec
	s_or_b64 s[28:29], s[16:17], s[28:29]
	;; [unrolled: 3-line block ×3, first 2 shown]
	s_and_b64 s[20:21], s[20:21], exec
	s_and_b64 s[24:25], s[24:25], exec
.LBB36_243:                             ;   in Loop: Header=BB36_6 Depth=1
	s_or_b64 exec, exec, s[34:35]
	s_and_b64 vcc, exec, s[30:31]
	s_cbranch_vccz .LBB36_93
.LBB36_244:                             ;   in Loop: Header=BB36_6 Depth=1
	s_cmp_eq_u32 s58, 1
	s_cselect_b64 s[16:17], -1, 0
	s_and_b64 s[28:29], s[16:17], s[18:19]
	s_mov_b64 s[18:19], -1
                                        ; implicit-def: $sgpr30_sgpr31
                                        ; implicit-def: $sgpr34_sgpr35
                                        ; implicit-def: $sgpr22_sgpr23
	s_and_saveexec_b64 s[26:27], s[28:29]
	s_cbranch_execz .LBB36_270
; %bb.245:                              ;   in Loop: Header=BB36_6 Depth=1
	ds_read_b32 v2, v11 offset:4096
	s_waitcnt lgkmcnt(0)
	s_barrier
	v_readfirstlane_b32 s34, v2
	s_mov_b64 s[16:17], exec
	v_readlane_b32 s18, v53, 40
	v_readlane_b32 s19, v53, 41
	s_and_b64 s[18:19], s[16:17], s[18:19]
	s_mov_b64 exec, s[18:19]
	s_cbranch_execz .LBB36_247
; %bb.246:                              ;   in Loop: Header=BB36_6 Depth=1
	ds_write_b32 v23, v11
.LBB36_247:                             ;   in Loop: Header=BB36_6 Depth=1
	s_or_b64 exec, exec, s[16:17]
	v_or_b32_e32 v34, s80, v34
	v_or_b32_e32 v33, s80, v33
	s_cmp_eq_u32 s34, 0
	s_waitcnt lgkmcnt(0)
	s_barrier
	s_cbranch_scc1 .LBB36_256
; %bb.248:                              ;   in Loop: Header=BB36_6 Depth=1
	v_readlane_b32 s16, v53, 33
	s_add_i32 s16, s34, s16
	v_readlane_b32 s17, v53, 55
	s_mul_hi_u32 s17, s16, s17
	s_mul_i32 s17, s17, s9
	s_sub_i32 s17, s16, s17
	s_sub_i32 s18, s17, s9
	s_cmp_ge_u32 s17, s9
	s_cselect_b32 s17, s18, s17
	s_sub_i32 s18, s17, s9
	s_cmp_ge_u32 s17, s9
	s_cselect_b32 s17, s18, s17
	s_sub_i32 s35, s16, s17
	v_cmp_gt_u32_e32 vcc, s35, v0
	s_mov_b64 s[18:19], 0
                                        ; implicit-def: $vgpr19
	s_and_saveexec_b64 s[22:23], vcc
	s_cbranch_execz .LBB36_258
; %bb.249:                              ;   in Loop: Header=BB36_6 Depth=1
	v_mov_b32_e32 v2, v21
	v_mov_b32_e32 v3, v0
                                        ; implicit-def: $sgpr30_sgpr31
	s_branch .LBB36_251
.LBB36_250:                             ;   in Loop: Header=BB36_251 Depth=2
	s_or_b64 exec, exec, s[16:17]
	s_waitcnt lgkmcnt(0)
	s_barrier
	ds_read_b64 v[18:19], v11 offset:3072
	v_add_u32_e32 v3, s9, v3
	v_cmp_le_u32_e32 vcc, s35, v3
	v_add_u32_e32 v2, s85, v2
	s_waitcnt lgkmcnt(0)
	v_readfirstlane_b32 s16, v18
	s_cmp_lg_u32 s16, 0
	s_cselect_b64 s[16:17], -1, 0
	s_or_b64 s[36:37], vcc, s[16:17]
	s_and_b64 s[36:37], exec, s[36:37]
	s_or_b64 s[18:19], s[36:37], s[18:19]
	s_andn2_b64 s[30:31], s[30:31], exec
	s_and_b64 s[16:17], s[16:17], exec
	s_or_b64 s[30:31], s[30:31], s[16:17]
	s_barrier
	s_andn2_b64 exec, exec, s[18:19]
	s_cbranch_execz .LBB36_257
.LBB36_251:                             ;   Parent Loop BB36_6 Depth=1
                                        ; =>  This Inner Loop Header: Depth=2
	v_cmp_gt_u32_e32 vcc, s34, v3
	s_waitcnt vmcnt(0)
	v_mov_b32_e32 v17, 0
	s_and_saveexec_b64 s[16:17], vcc
	s_cbranch_execz .LBB36_253
; %bb.252:                              ;   in Loop: Header=BB36_251 Depth=2
	ds_read_b32 v17, v2
.LBB36_253:                             ;   in Loop: Header=BB36_251 Depth=2
	s_or_b64 exec, exec, s[16:17]
	s_and_saveexec_b64 s[16:17], vcc
	s_cbranch_execz .LBB36_250
; %bb.254:                              ;   in Loop: Header=BB36_251 Depth=2
	s_waitcnt lgkmcnt(0)
	v_xor_b32_e32 v4, 0x80000000, v17
	v_and_b32_e32 v4, v4, v33
	v_cmp_eq_u32_e32 vcc, v4, v34
	s_and_b64 exec, exec, vcc
	s_cbranch_execz .LBB36_250
; %bb.255:                              ;   in Loop: Header=BB36_251 Depth=2
	ds_write_b64 v11, v[16:17] offset:3072
	s_branch .LBB36_250
.LBB36_256:                             ;   in Loop: Header=BB36_6 Depth=1
	s_mov_b64 s[30:31], -1
	s_mov_b64 s[18:19], 0
                                        ; implicit-def: $sgpr34_sgpr35
                                        ; implicit-def: $vgpr19
	s_mov_b64 s[22:23], s[30:31]
	s_cbranch_execnz .LBB36_259
	s_branch .LBB36_269
.LBB36_257:                             ;   in Loop: Header=BB36_6 Depth=1
	s_or_b64 exec, exec, s[18:19]
	s_and_b64 s[18:19], s[30:31], exec
.LBB36_258:                             ;   in Loop: Header=BB36_6 Depth=1
	s_or_b64 exec, exec, s[22:23]
	s_mov_b64 s[30:31], 0
	s_mov_b64 s[34:35], -1
	s_mov_b64 s[22:23], s[30:31]
	s_branch .LBB36_269
.LBB36_259:                             ;   in Loop: Header=BB36_6 Depth=1
	s_mov_b64 s[18:19], 0
                                        ; implicit-def: $vgpr19
	s_mov_b64 s[22:23], exec
	v_readlane_b32 s16, v53, 56
	v_readlane_b32 s17, v53, 57
	s_and_b64 s[16:17], s[22:23], s[16:17]
	s_mov_b64 exec, s[16:17]
	s_cbranch_execz .LBB36_268
; %bb.260:                              ;   in Loop: Header=BB36_6 Depth=1
	s_mov_b64 s[30:31], 0
	v_mov_b32_e32 v10, v12
	v_mov_b32_e32 v2, v0
                                        ; implicit-def: $sgpr34_sgpr35
	s_branch .LBB36_262
.LBB36_261:                             ;   in Loop: Header=BB36_262 Depth=2
	s_or_b64 exec, exec, s[16:17]
	s_waitcnt lgkmcnt(0)
	s_barrier
	ds_read_b64 v[18:19], v11 offset:3072
	v_add_u32_e32 v2, s9, v2
	v_cmp_le_u32_e32 vcc, s12, v2
	v_add_u32_e32 v10, s84, v10
	s_waitcnt lgkmcnt(0)
	v_readfirstlane_b32 s16, v18
	s_cmp_lg_u32 s16, 0
	s_cselect_b64 s[16:17], -1, 0
	s_or_b64 s[18:19], vcc, s[16:17]
	s_and_b64 s[18:19], exec, s[18:19]
	s_or_b64 s[30:31], s[18:19], s[30:31]
	s_andn2_b64 s[18:19], s[34:35], exec
	s_and_b64 s[16:17], s[16:17], exec
	s_or_b64 s[34:35], s[18:19], s[16:17]
	s_barrier
	s_andn2_b64 exec, exec, s[30:31]
	s_cbranch_execz .LBB36_267
.LBB36_262:                             ;   Parent Loop BB36_6 Depth=1
                                        ; =>  This Inner Loop Header: Depth=2
	v_cmp_gt_u32_e32 vcc, s60, v2
	s_waitcnt vmcnt(0)
	v_mov_b32_e32 v17, 0
	s_and_saveexec_b64 s[16:17], vcc
	s_cbranch_execz .LBB36_264
; %bb.263:                              ;   in Loop: Header=BB36_262 Depth=2
	v_lshlrev_b64 v[4:5], 2, v[10:11]
	v_mov_b32_e32 v3, s8
	v_add_co_u32_e64 v4, s[18:19], s33, v4
	v_addc_co_u32_e64 v5, s[18:19], v3, v5, s[18:19]
	global_load_dword v17, v[4:5], off
.LBB36_264:                             ;   in Loop: Header=BB36_262 Depth=2
	s_or_b64 exec, exec, s[16:17]
	s_and_saveexec_b64 s[16:17], vcc
	s_cbranch_execz .LBB36_261
; %bb.265:                              ;   in Loop: Header=BB36_262 Depth=2
	s_waitcnt vmcnt(0)
	v_xor_b32_e32 v3, 0x80000000, v17
	v_and_b32_e32 v3, v3, v33
	v_cmp_eq_u32_e32 vcc, v3, v34
	s_and_b64 exec, exec, vcc
	s_cbranch_execz .LBB36_261
; %bb.266:                              ;   in Loop: Header=BB36_262 Depth=2
	ds_write_b64 v11, v[16:17] offset:3072
	s_branch .LBB36_261
.LBB36_267:                             ;   in Loop: Header=BB36_6 Depth=1
	s_or_b64 exec, exec, s[30:31]
	s_and_b64 s[18:19], s[34:35], exec
.LBB36_268:                             ;   in Loop: Header=BB36_6 Depth=1
	s_or_b64 exec, exec, s[22:23]
	s_mov_b64 s[34:35], 0
	s_mov_b64 s[30:31], -1
	s_mov_b64 s[22:23], 0
.LBB36_269:                             ;   in Loop: Header=BB36_6 Depth=1
	s_orn2_b64 s[18:19], s[18:19], exec
.LBB36_270:                             ;   in Loop: Header=BB36_6 Depth=1
	s_or_b64 exec, exec, s[26:27]
                                        ; implicit-def: $vgpr2
                                        ; implicit-def: $vgpr36
                                        ; implicit-def: $vgpr4
                                        ; implicit-def: $vgpr5
                                        ; implicit-def: $vgpr3
	s_and_saveexec_b64 s[26:27], s[18:19]
	s_cbranch_execz .LBB36_405
; %bb.271:                              ;   in Loop: Header=BB36_6 Depth=1
	s_xor_b64 s[28:29], s[28:29], -1
	s_mov_b64 s[16:17], 0
	v_mov_b32_e32 v36, 1
	v_mov_b32_e32 v2, 1
	s_and_saveexec_b64 s[18:19], s[28:29]
	s_cbranch_execz .LBB36_281
; %bb.272:                              ;   in Loop: Header=BB36_6 Depth=1
	v_cmp_ge_u32_e32 vcc, s58, v35
                                        ; implicit-def: $sgpr38
                                        ; implicit-def: $sgpr28_sgpr29
	s_and_saveexec_b64 s[16:17], vcc
	s_xor_b64 s[36:37], exec, s[16:17]
	s_cbranch_execz .LBB36_278
; %bb.273:                              ;   in Loop: Header=BB36_6 Depth=1
	ds_read_b32 v2, v11 offset:4096
	s_waitcnt lgkmcnt(0)
	v_cmp_ne_u32_e32 vcc, 0, v2
	s_cbranch_vccnz .LBB36_277
; %bb.274:                              ;   in Loop: Header=BB36_6 Depth=1
	s_mov_b64 s[16:17], exec
	v_readlane_b32 s28, v53, 22
	v_readlane_b32 s29, v53, 23
	s_and_b64 s[28:29], s[16:17], s[28:29]
	s_mov_b64 exec, s[28:29]
	s_cbranch_execz .LBB36_276
; %bb.275:                              ;   in Loop: Header=BB36_6 Depth=1
	v_mov_b32_e32 v2, s58
	ds_write_b32 v11, v2 offset:4100
.LBB36_276:                             ;   in Loop: Header=BB36_6 Depth=1
	s_or_b64 exec, exec, s[16:17]
	s_waitcnt lgkmcnt(0)
	s_barrier
.LBB36_277:                             ;   in Loop: Header=BB36_6 Depth=1
	v_or_b32_e32 v34, s80, v34
	v_or_b32_e32 v33, s80, v33
	s_mov_b64 s[28:29], 0
	s_mov_b32 s38, 5
.LBB36_278:                             ;   in Loop: Header=BB36_6 Depth=1
	s_or_saveexec_b64 s[16:17], s[36:37]
	v_mov_b32_e32 v2, s38
	s_xor_b64 exec, exec, s[16:17]
; %bb.279:                              ;   in Loop: Header=BB36_6 Depth=1
	v_subrev_u32_e32 v35, s58, v35
	v_mov_b32_e32 v2, 0
	s_or_b64 s[28:29], s[28:29], exec
; %bb.280:                              ;   in Loop: Header=BB36_6 Depth=1
	s_or_b64 exec, exec, s[16:17]
	s_and_b64 s[16:17], s[28:29], exec
	v_mov_b32_e32 v36, v35
.LBB36_281:                             ;   in Loop: Header=BB36_6 Depth=1
	s_or_b64 exec, exec, s[18:19]
	s_mov_b64 s[40:41], -1
                                        ; implicit-def: $sgpr36_sgpr37
                                        ; implicit-def: $sgpr38_sgpr39
                                        ; implicit-def: $sgpr42_sgpr43
	s_and_saveexec_b64 s[18:19], s[16:17]
	s_xor_b64 s[28:29], exec, s[18:19]
	s_cbranch_execz .LBB36_402
; %bb.282:                              ;   in Loop: Header=BB36_6 Depth=1
	s_cmp_eq_u32 s11, 1
	s_cselect_b64 s[16:17], -1, 0
	v_cmp_eq_u32_e32 vcc, 1, v36
	s_and_b64 s[44:45], s[16:17], vcc
	s_mov_b64 s[46:47], -1
                                        ; implicit-def: $sgpr36_sgpr37
                                        ; implicit-def: $sgpr38_sgpr39
                                        ; implicit-def: $sgpr40_sgpr41
	s_and_saveexec_b64 s[42:43], s[44:45]
	s_cbranch_execz .LBB36_308
; %bb.283:                              ;   in Loop: Header=BB36_6 Depth=1
	ds_read_b32 v2, v11 offset:4096
	s_waitcnt lgkmcnt(0)
	s_barrier
	v_readfirstlane_b32 s40, v2
	s_mov_b64 s[16:17], exec
	v_readlane_b32 s18, v53, 40
	v_readlane_b32 s19, v53, 41
	s_and_b64 s[18:19], s[16:17], s[18:19]
	s_mov_b64 exec, s[18:19]
	s_cbranch_execz .LBB36_285
; %bb.284:                              ;   in Loop: Header=BB36_6 Depth=1
	ds_write_b32 v23, v11
.LBB36_285:                             ;   in Loop: Header=BB36_6 Depth=1
	s_or_b64 exec, exec, s[16:17]
	v_and_b32_e32 v2, s5, v34
	v_lshl_or_b32 v34, 2, s10, v2
	v_or_b32_e32 v33, s80, v33
	s_cmp_eq_u32 s40, 0
	s_waitcnt lgkmcnt(0)
	s_barrier
	s_cbranch_scc1 .LBB36_294
; %bb.286:                              ;   in Loop: Header=BB36_6 Depth=1
	v_readlane_b32 s16, v53, 33
	s_add_i32 s16, s40, s16
	v_readlane_b32 s17, v53, 55
	s_mul_hi_u32 s17, s16, s17
	s_mul_i32 s17, s17, s9
	s_sub_i32 s17, s16, s17
	s_sub_i32 s18, s17, s9
	s_cmp_ge_u32 s17, s9
	s_cselect_b32 s17, s18, s17
	s_sub_i32 s18, s17, s9
	s_cmp_ge_u32 s17, s9
	s_cselect_b32 s17, s18, s17
	s_sub_i32 s41, s16, s17
	v_cmp_gt_u32_e32 vcc, s41, v0
	s_mov_b64 s[18:19], 0
                                        ; implicit-def: $vgpr19
	s_and_saveexec_b64 s[36:37], vcc
	s_cbranch_execz .LBB36_296
; %bb.287:                              ;   in Loop: Header=BB36_6 Depth=1
	v_mov_b32_e32 v2, v21
	v_mov_b32_e32 v3, v0
                                        ; implicit-def: $sgpr38_sgpr39
	s_branch .LBB36_289
.LBB36_288:                             ;   in Loop: Header=BB36_289 Depth=2
	s_or_b64 exec, exec, s[16:17]
	s_waitcnt lgkmcnt(0)
	s_barrier
	ds_read_b64 v[18:19], v11 offset:3072
	v_add_u32_e32 v3, s9, v3
	v_cmp_le_u32_e32 vcc, s41, v3
	v_add_u32_e32 v2, s85, v2
	s_waitcnt lgkmcnt(0)
	v_readfirstlane_b32 s16, v18
	s_cmp_lg_u32 s16, 0
	s_cselect_b64 s[16:17], -1, 0
	s_or_b64 s[46:47], vcc, s[16:17]
	s_and_b64 s[46:47], exec, s[46:47]
	s_or_b64 s[18:19], s[46:47], s[18:19]
	s_andn2_b64 s[38:39], s[38:39], exec
	s_and_b64 s[16:17], s[16:17], exec
	s_or_b64 s[38:39], s[38:39], s[16:17]
	s_barrier
	s_andn2_b64 exec, exec, s[18:19]
	s_cbranch_execz .LBB36_295
.LBB36_289:                             ;   Parent Loop BB36_6 Depth=1
                                        ; =>  This Inner Loop Header: Depth=2
	v_cmp_gt_u32_e32 vcc, s40, v3
	s_waitcnt vmcnt(0)
	v_mov_b32_e32 v17, 0
	s_and_saveexec_b64 s[16:17], vcc
	s_cbranch_execz .LBB36_291
; %bb.290:                              ;   in Loop: Header=BB36_289 Depth=2
	ds_read_b32 v17, v2
.LBB36_291:                             ;   in Loop: Header=BB36_289 Depth=2
	s_or_b64 exec, exec, s[16:17]
	s_and_saveexec_b64 s[16:17], vcc
	s_cbranch_execz .LBB36_288
; %bb.292:                              ;   in Loop: Header=BB36_289 Depth=2
	s_waitcnt lgkmcnt(0)
	v_xor_b32_e32 v4, 0x80000000, v17
	v_and_b32_e32 v4, v4, v33
	v_cmp_eq_u32_e32 vcc, v4, v34
	s_and_b64 exec, exec, vcc
	s_cbranch_execz .LBB36_288
; %bb.293:                              ;   in Loop: Header=BB36_289 Depth=2
	ds_write_b64 v11, v[16:17] offset:3072
	s_branch .LBB36_288
.LBB36_294:                             ;   in Loop: Header=BB36_6 Depth=1
	s_mov_b64 s[36:37], -1
	s_mov_b64 s[18:19], 0
                                        ; implicit-def: $sgpr38_sgpr39
                                        ; implicit-def: $vgpr19
	s_mov_b64 s[40:41], s[36:37]
	s_cbranch_execnz .LBB36_297
	s_branch .LBB36_307
.LBB36_295:                             ;   in Loop: Header=BB36_6 Depth=1
	s_or_b64 exec, exec, s[18:19]
	s_and_b64 s[18:19], s[38:39], exec
.LBB36_296:                             ;   in Loop: Header=BB36_6 Depth=1
	s_or_b64 exec, exec, s[36:37]
	s_mov_b64 s[36:37], 0
	s_mov_b64 s[38:39], -1
	s_mov_b64 s[40:41], s[36:37]
	s_branch .LBB36_307
.LBB36_297:                             ;   in Loop: Header=BB36_6 Depth=1
	s_mov_b64 s[18:19], 0
                                        ; implicit-def: $vgpr19
	s_mov_b64 s[36:37], exec
	v_readlane_b32 s16, v53, 56
	v_readlane_b32 s17, v53, 57
	s_and_b64 s[16:17], s[36:37], s[16:17]
	s_mov_b64 exec, s[16:17]
	s_cbranch_execz .LBB36_306
; %bb.298:                              ;   in Loop: Header=BB36_6 Depth=1
	s_mov_b64 s[38:39], 0
	v_mov_b32_e32 v10, v12
	v_mov_b32_e32 v2, v0
                                        ; implicit-def: $sgpr40_sgpr41
	s_branch .LBB36_300
.LBB36_299:                             ;   in Loop: Header=BB36_300 Depth=2
	s_or_b64 exec, exec, s[16:17]
	s_waitcnt lgkmcnt(0)
	s_barrier
	ds_read_b64 v[18:19], v11 offset:3072
	v_add_u32_e32 v2, s9, v2
	v_cmp_le_u32_e32 vcc, s12, v2
	v_add_u32_e32 v10, s84, v10
	s_waitcnt lgkmcnt(0)
	v_readfirstlane_b32 s16, v18
	s_cmp_lg_u32 s16, 0
	s_cselect_b64 s[16:17], -1, 0
	s_or_b64 s[18:19], vcc, s[16:17]
	s_and_b64 s[18:19], exec, s[18:19]
	s_or_b64 s[38:39], s[18:19], s[38:39]
	s_andn2_b64 s[18:19], s[40:41], exec
	s_and_b64 s[16:17], s[16:17], exec
	s_or_b64 s[40:41], s[18:19], s[16:17]
	s_barrier
	s_andn2_b64 exec, exec, s[38:39]
	s_cbranch_execz .LBB36_305
.LBB36_300:                             ;   Parent Loop BB36_6 Depth=1
                                        ; =>  This Inner Loop Header: Depth=2
	v_cmp_gt_u32_e32 vcc, s60, v2
	s_waitcnt vmcnt(0)
	v_mov_b32_e32 v17, 0
	s_and_saveexec_b64 s[16:17], vcc
	s_cbranch_execz .LBB36_302
; %bb.301:                              ;   in Loop: Header=BB36_300 Depth=2
	v_lshlrev_b64 v[4:5], 2, v[10:11]
	v_mov_b32_e32 v3, s8
	v_add_co_u32_e64 v4, s[18:19], s33, v4
	v_addc_co_u32_e64 v5, s[18:19], v3, v5, s[18:19]
	global_load_dword v17, v[4:5], off
.LBB36_302:                             ;   in Loop: Header=BB36_300 Depth=2
	s_or_b64 exec, exec, s[16:17]
	s_and_saveexec_b64 s[16:17], vcc
	s_cbranch_execz .LBB36_299
; %bb.303:                              ;   in Loop: Header=BB36_300 Depth=2
	s_waitcnt vmcnt(0)
	v_xor_b32_e32 v3, 0x80000000, v17
	v_and_b32_e32 v3, v3, v33
	v_cmp_eq_u32_e32 vcc, v3, v34
	s_and_b64 exec, exec, vcc
	s_cbranch_execz .LBB36_299
; %bb.304:                              ;   in Loop: Header=BB36_300 Depth=2
	ds_write_b64 v11, v[16:17] offset:3072
	s_branch .LBB36_299
.LBB36_305:                             ;   in Loop: Header=BB36_6 Depth=1
	s_or_b64 exec, exec, s[38:39]
	s_and_b64 s[18:19], s[40:41], exec
.LBB36_306:                             ;   in Loop: Header=BB36_6 Depth=1
	s_or_b64 exec, exec, s[36:37]
	s_mov_b64 s[38:39], 0
	s_mov_b64 s[36:37], -1
	s_mov_b64 s[40:41], 0
.LBB36_307:                             ;   in Loop: Header=BB36_6 Depth=1
	s_orn2_b64 s[46:47], s[18:19], exec
.LBB36_308:                             ;   in Loop: Header=BB36_6 Depth=1
	s_or_b64 exec, exec, s[42:43]
	s_mov_b64 s[18:19], 0
                                        ; implicit-def: $vgpr2
	s_and_saveexec_b64 s[42:43], s[46:47]
	s_cbranch_execz .LBB36_401
; %bb.309:                              ;   in Loop: Header=BB36_6 Depth=1
	s_xor_b64 s[44:45], s[44:45], -1
	s_mov_b64 s[16:17], 0
	v_mov_b32_e32 v3, 1
	v_mov_b32_e32 v2, 1
	s_and_saveexec_b64 s[18:19], s[44:45]
	s_cbranch_execz .LBB36_319
; %bb.310:                              ;   in Loop: Header=BB36_6 Depth=1
	v_cmp_ge_u32_e32 vcc, s11, v36
                                        ; implicit-def: $sgpr48
                                        ; implicit-def: $sgpr44_sgpr45
	s_and_saveexec_b64 s[16:17], vcc
	s_xor_b64 s[46:47], exec, s[16:17]
	s_cbranch_execz .LBB36_316
; %bb.311:                              ;   in Loop: Header=BB36_6 Depth=1
	ds_read_b32 v2, v11 offset:4096
	s_waitcnt lgkmcnt(0)
	v_cmp_ne_u32_e32 vcc, 0, v2
	s_cbranch_vccnz .LBB36_315
; %bb.312:                              ;   in Loop: Header=BB36_6 Depth=1
	s_mov_b64 s[16:17], exec
	v_readlane_b32 s44, v53, 22
	v_readlane_b32 s45, v53, 23
	s_and_b64 s[44:45], s[16:17], s[44:45]
	s_mov_b64 exec, s[44:45]
	s_cbranch_execz .LBB36_314
; %bb.313:                              ;   in Loop: Header=BB36_6 Depth=1
	v_mov_b32_e32 v2, s11
	ds_write_b32 v11, v2 offset:4100
.LBB36_314:                             ;   in Loop: Header=BB36_6 Depth=1
	s_or_b64 exec, exec, s[16:17]
	s_waitcnt lgkmcnt(0)
	s_barrier
.LBB36_315:                             ;   in Loop: Header=BB36_6 Depth=1
	v_and_b32_e32 v2, s5, v34
	v_lshl_or_b32 v34, 2, s10, v2
	v_or_b32_e32 v33, s80, v33
	s_mov_b64 s[44:45], 0
	s_mov_b32 s48, 5
.LBB36_316:                             ;   in Loop: Header=BB36_6 Depth=1
	s_or_saveexec_b64 s[16:17], s[46:47]
	v_mov_b32_e32 v2, s48
	s_xor_b64 exec, exec, s[16:17]
; %bb.317:                              ;   in Loop: Header=BB36_6 Depth=1
	v_subrev_u32_e32 v36, s11, v36
	v_mov_b32_e32 v2, 0
	s_or_b64 s[44:45], s[44:45], exec
; %bb.318:                              ;   in Loop: Header=BB36_6 Depth=1
	s_or_b64 exec, exec, s[16:17]
	s_and_b64 s[16:17], s[44:45], exec
	v_mov_b32_e32 v3, v36
.LBB36_319:                             ;   in Loop: Header=BB36_6 Depth=1
	s_or_b64 exec, exec, s[18:19]
	s_mov_b64 s[18:19], -1
                                        ; implicit-def: $sgpr46_sgpr47
                                        ; implicit-def: $sgpr48_sgpr49
                                        ; implicit-def: $sgpr52_sgpr53
	s_and_saveexec_b64 s[44:45], s[16:17]
	s_cbranch_execz .LBB36_400
; %bb.320:                              ;   in Loop: Header=BB36_6 Depth=1
	s_cmp_eq_u32 s4, 1
	s_cselect_b64 s[16:17], -1, 0
	v_cmp_eq_u32_e32 vcc, 1, v3
	s_and_b64 s[54:55], s[16:17], vcc
	s_mov_b64 s[56:57], -1
                                        ; implicit-def: $sgpr46_sgpr47
                                        ; implicit-def: $sgpr48_sgpr49
                                        ; implicit-def: $sgpr50_sgpr51
	s_and_saveexec_b64 s[52:53], s[54:55]
	s_cbranch_execz .LBB36_346
; %bb.321:                              ;   in Loop: Header=BB36_6 Depth=1
	ds_read_b32 v2, v11 offset:4096
	s_waitcnt lgkmcnt(0)
	s_barrier
	v_readfirstlane_b32 s11, v2
	s_mov_b64 s[16:17], exec
	v_readlane_b32 s18, v53, 40
	v_readlane_b32 s19, v53, 41
	s_and_b64 s[18:19], s[16:17], s[18:19]
	s_mov_b64 exec, s[18:19]
	s_cbranch_execz .LBB36_323
; %bb.322:                              ;   in Loop: Header=BB36_6 Depth=1
	ds_write_b32 v23, v11
.LBB36_323:                             ;   in Loop: Header=BB36_6 Depth=1
	s_or_b64 exec, exec, s[16:17]
	v_and_b32_e32 v2, s5, v34
	v_lshl_or_b32 v34, 1, s10, v2
	v_or_b32_e32 v33, s80, v33
	s_cmp_eq_u32 s11, 0
	s_waitcnt lgkmcnt(0)
	s_barrier
	s_cbranch_scc1 .LBB36_332
; %bb.324:                              ;   in Loop: Header=BB36_6 Depth=1
	v_readlane_b32 s16, v53, 33
	s_add_i32 s16, s11, s16
	v_readlane_b32 s17, v53, 55
	s_mul_hi_u32 s17, s16, s17
	s_mul_i32 s17, s17, s9
	s_sub_i32 s17, s16, s17
	s_sub_i32 s18, s17, s9
	s_cmp_ge_u32 s17, s9
	s_cselect_b32 s17, s18, s17
	s_sub_i32 s18, s17, s9
	s_cmp_ge_u32 s17, s9
	s_cselect_b32 s17, s18, s17
	s_sub_i32 s50, s16, s17
	v_cmp_gt_u32_e32 vcc, s50, v0
	s_mov_b64 s[18:19], 0
                                        ; implicit-def: $vgpr19
	s_and_saveexec_b64 s[46:47], vcc
	s_cbranch_execz .LBB36_334
; %bb.325:                              ;   in Loop: Header=BB36_6 Depth=1
	v_mov_b32_e32 v2, v21
	v_mov_b32_e32 v4, v0
                                        ; implicit-def: $sgpr48_sgpr49
	s_branch .LBB36_327
.LBB36_326:                             ;   in Loop: Header=BB36_327 Depth=2
	s_or_b64 exec, exec, s[16:17]
	s_waitcnt lgkmcnt(0)
	s_barrier
	ds_read_b64 v[18:19], v11 offset:3072
	v_add_u32_e32 v4, s9, v4
	v_cmp_le_u32_e32 vcc, s50, v4
	v_add_u32_e32 v2, s85, v2
	s_waitcnt lgkmcnt(0)
	v_readfirstlane_b32 s16, v18
	s_cmp_lg_u32 s16, 0
	s_cselect_b64 s[16:17], -1, 0
	s_or_b64 s[56:57], vcc, s[16:17]
	s_and_b64 s[56:57], exec, s[56:57]
	s_or_b64 s[18:19], s[56:57], s[18:19]
	s_andn2_b64 s[48:49], s[48:49], exec
	s_and_b64 s[16:17], s[16:17], exec
	s_or_b64 s[48:49], s[48:49], s[16:17]
	s_barrier
	s_andn2_b64 exec, exec, s[18:19]
	s_cbranch_execz .LBB36_333
.LBB36_327:                             ;   Parent Loop BB36_6 Depth=1
                                        ; =>  This Inner Loop Header: Depth=2
	v_cmp_gt_u32_e32 vcc, s11, v4
	s_waitcnt vmcnt(0)
	v_mov_b32_e32 v17, 0
	s_and_saveexec_b64 s[16:17], vcc
	s_cbranch_execz .LBB36_329
; %bb.328:                              ;   in Loop: Header=BB36_327 Depth=2
	ds_read_b32 v17, v2
.LBB36_329:                             ;   in Loop: Header=BB36_327 Depth=2
	s_or_b64 exec, exec, s[16:17]
	s_and_saveexec_b64 s[16:17], vcc
	s_cbranch_execz .LBB36_326
; %bb.330:                              ;   in Loop: Header=BB36_327 Depth=2
	s_waitcnt lgkmcnt(0)
	v_xor_b32_e32 v5, 0x80000000, v17
	v_and_b32_e32 v5, v5, v33
	v_cmp_eq_u32_e32 vcc, v5, v34
	s_and_b64 exec, exec, vcc
	s_cbranch_execz .LBB36_326
; %bb.331:                              ;   in Loop: Header=BB36_327 Depth=2
	ds_write_b64 v11, v[16:17] offset:3072
	s_branch .LBB36_326
.LBB36_332:                             ;   in Loop: Header=BB36_6 Depth=1
	s_mov_b64 s[46:47], -1
	s_mov_b64 s[18:19], 0
                                        ; implicit-def: $sgpr48_sgpr49
                                        ; implicit-def: $vgpr19
	s_mov_b64 s[50:51], s[46:47]
	s_cbranch_execnz .LBB36_335
	s_branch .LBB36_345
.LBB36_333:                             ;   in Loop: Header=BB36_6 Depth=1
	s_or_b64 exec, exec, s[18:19]
	s_and_b64 s[18:19], s[48:49], exec
.LBB36_334:                             ;   in Loop: Header=BB36_6 Depth=1
	s_or_b64 exec, exec, s[46:47]
	s_mov_b64 s[46:47], 0
	s_mov_b64 s[48:49], -1
	s_mov_b64 s[50:51], s[46:47]
	s_branch .LBB36_345
.LBB36_335:                             ;   in Loop: Header=BB36_6 Depth=1
	s_mov_b64 s[18:19], 0
                                        ; implicit-def: $vgpr19
	s_mov_b64 s[46:47], exec
	v_readlane_b32 s16, v53, 56
	v_readlane_b32 s17, v53, 57
	s_and_b64 s[16:17], s[46:47], s[16:17]
	s_mov_b64 exec, s[16:17]
	s_cbranch_execz .LBB36_344
; %bb.336:                              ;   in Loop: Header=BB36_6 Depth=1
	s_mov_b64 s[48:49], 0
	v_mov_b32_e32 v10, v12
	v_mov_b32_e32 v2, v0
                                        ; implicit-def: $sgpr50_sgpr51
	s_branch .LBB36_338
.LBB36_337:                             ;   in Loop: Header=BB36_338 Depth=2
	s_or_b64 exec, exec, s[16:17]
	s_waitcnt lgkmcnt(0)
	s_barrier
	ds_read_b64 v[18:19], v11 offset:3072
	v_add_u32_e32 v2, s9, v2
	v_cmp_le_u32_e32 vcc, s12, v2
	v_add_u32_e32 v10, s84, v10
	s_waitcnt lgkmcnt(0)
	v_readfirstlane_b32 s11, v18
	s_cmp_lg_u32 s11, 0
	s_cselect_b64 s[16:17], -1, 0
	s_or_b64 s[18:19], vcc, s[16:17]
	s_and_b64 s[18:19], exec, s[18:19]
	s_or_b64 s[48:49], s[18:19], s[48:49]
	s_andn2_b64 s[18:19], s[50:51], exec
	s_and_b64 s[16:17], s[16:17], exec
	s_or_b64 s[50:51], s[18:19], s[16:17]
	s_barrier
	s_andn2_b64 exec, exec, s[48:49]
	s_cbranch_execz .LBB36_343
.LBB36_338:                             ;   Parent Loop BB36_6 Depth=1
                                        ; =>  This Inner Loop Header: Depth=2
	v_cmp_gt_u32_e32 vcc, s60, v2
	s_waitcnt vmcnt(0)
	v_mov_b32_e32 v17, 0
	s_and_saveexec_b64 s[16:17], vcc
	s_cbranch_execz .LBB36_340
; %bb.339:                              ;   in Loop: Header=BB36_338 Depth=2
	v_lshlrev_b64 v[4:5], 2, v[10:11]
	v_mov_b32_e32 v17, s8
	v_add_co_u32_e64 v4, s[18:19], s33, v4
	v_addc_co_u32_e64 v5, s[18:19], v17, v5, s[18:19]
	global_load_dword v17, v[4:5], off
.LBB36_340:                             ;   in Loop: Header=BB36_338 Depth=2
	s_or_b64 exec, exec, s[16:17]
	s_and_saveexec_b64 s[16:17], vcc
	s_cbranch_execz .LBB36_337
; %bb.341:                              ;   in Loop: Header=BB36_338 Depth=2
	s_waitcnt vmcnt(0)
	v_xor_b32_e32 v4, 0x80000000, v17
	v_and_b32_e32 v4, v4, v33
	v_cmp_eq_u32_e32 vcc, v4, v34
	s_and_b64 exec, exec, vcc
	s_cbranch_execz .LBB36_337
; %bb.342:                              ;   in Loop: Header=BB36_338 Depth=2
	ds_write_b64 v11, v[16:17] offset:3072
	s_branch .LBB36_337
.LBB36_343:                             ;   in Loop: Header=BB36_6 Depth=1
	s_or_b64 exec, exec, s[48:49]
	s_and_b64 s[18:19], s[50:51], exec
.LBB36_344:                             ;   in Loop: Header=BB36_6 Depth=1
	s_or_b64 exec, exec, s[46:47]
	s_mov_b64 s[48:49], 0
	s_mov_b64 s[46:47], -1
	s_mov_b64 s[50:51], 0
.LBB36_345:                             ;   in Loop: Header=BB36_6 Depth=1
	s_orn2_b64 s[56:57], s[18:19], exec
.LBB36_346:                             ;   in Loop: Header=BB36_6 Depth=1
	s_or_b64 exec, exec, s[52:53]
	s_mov_b64 s[18:19], 0
                                        ; implicit-def: $vgpr2
	s_and_saveexec_b64 s[52:53], s[56:57]
	s_cbranch_execz .LBB36_399
; %bb.347:                              ;   in Loop: Header=BB36_6 Depth=1
	s_xor_b64 s[54:55], s[54:55], -1
	s_mov_b64 s[16:17], 0
	v_mov_b32_e32 v4, 1
	v_mov_b32_e32 v2, 1
	s_and_saveexec_b64 s[18:19], s[54:55]
	s_cbranch_execz .LBB36_357
; %bb.348:                              ;   in Loop: Header=BB36_6 Depth=1
	v_cmp_ge_u32_e32 vcc, s4, v3
                                        ; implicit-def: $sgpr11
                                        ; implicit-def: $sgpr54_sgpr55
	s_and_saveexec_b64 s[16:17], vcc
	s_xor_b64 s[56:57], exec, s[16:17]
	s_cbranch_execz .LBB36_354
; %bb.349:                              ;   in Loop: Header=BB36_6 Depth=1
	ds_read_b32 v2, v11 offset:4096
	s_waitcnt lgkmcnt(0)
	v_cmp_ne_u32_e32 vcc, 0, v2
	s_cbranch_vccnz .LBB36_353
; %bb.350:                              ;   in Loop: Header=BB36_6 Depth=1
	s_mov_b64 s[16:17], exec
	v_readlane_b32 s54, v53, 22
	v_readlane_b32 s55, v53, 23
	s_and_b64 s[54:55], s[16:17], s[54:55]
	s_mov_b64 exec, s[54:55]
	s_cbranch_execz .LBB36_352
; %bb.351:                              ;   in Loop: Header=BB36_6 Depth=1
	v_mov_b32_e32 v2, s4
	ds_write_b32 v11, v2 offset:4100
.LBB36_352:                             ;   in Loop: Header=BB36_6 Depth=1
	s_or_b64 exec, exec, s[16:17]
	s_waitcnt lgkmcnt(0)
	s_barrier
.LBB36_353:                             ;   in Loop: Header=BB36_6 Depth=1
	v_and_b32_e32 v2, s5, v34
	v_lshl_or_b32 v34, 1, s10, v2
	v_or_b32_e32 v33, s80, v33
	s_mov_b64 s[54:55], 0
	s_mov_b32 s11, 5
.LBB36_354:                             ;   in Loop: Header=BB36_6 Depth=1
	s_or_saveexec_b64 s[16:17], s[56:57]
	v_mov_b32_e32 v2, s11
	s_xor_b64 exec, exec, s[16:17]
; %bb.355:                              ;   in Loop: Header=BB36_6 Depth=1
	v_subrev_u32_e32 v3, s4, v3
	v_mov_b32_e32 v2, 0
	s_or_b64 s[54:55], s[54:55], exec
; %bb.356:                              ;   in Loop: Header=BB36_6 Depth=1
	s_or_b64 exec, exec, s[16:17]
	s_and_b64 s[16:17], s[54:55], exec
	v_mov_b32_e32 v4, v3
.LBB36_357:                             ;   in Loop: Header=BB36_6 Depth=1
	s_or_b64 exec, exec, s[18:19]
	s_mov_b64 s[56:57], -1
                                        ; implicit-def: $sgpr18_sgpr19
                                        ; implicit-def: $sgpr88_sgpr89
                                        ; implicit-def: $sgpr90_sgpr91
	s_and_saveexec_b64 s[54:55], s[16:17]
	s_cbranch_execz .LBB36_398
; %bb.358:                              ;   in Loop: Header=BB36_6 Depth=1
	s_cmp_eq_u32 s81, 1
	s_cselect_b64 s[10:11], -1, 0
	v_cmp_eq_u32_e32 vcc, 1, v4
	s_mov_b64 s[16:17], -1
	s_and_b64 s[10:11], s[10:11], vcc
                                        ; implicit-def: $sgpr18_sgpr19
                                        ; implicit-def: $sgpr88_sgpr89
                                        ; implicit-def: $sgpr90_sgpr91
	s_mov_b64 s[58:59], exec
	v_writelane_b32 v53, s10, 59
	v_writelane_b32 v53, s11, 60
	s_and_b64 s[10:11], s[58:59], s[10:11]
	s_mov_b64 exec, s[10:11]
	s_cbranch_execz .LBB36_385
; %bb.359:                              ;   in Loop: Header=BB36_6 Depth=1
	ds_read_b32 v2, v11 offset:4096
	s_waitcnt lgkmcnt(0)
	s_barrier
	v_readfirstlane_b32 s4, v2
	s_mov_b64 s[16:17], exec
	v_readlane_b32 s10, v53, 40
	v_readlane_b32 s11, v53, 41
	s_and_b64 s[10:11], s[16:17], s[10:11]
	s_mov_b64 exec, s[10:11]
	s_cbranch_execz .LBB36_361
; %bb.360:                              ;   in Loop: Header=BB36_6 Depth=1
	ds_write_b32 v23, v11
.LBB36_361:                             ;   in Loop: Header=BB36_6 Depth=1
	s_or_b64 exec, exec, s[16:17]
	v_and_b32_e32 v34, s5, v34
	v_or_b32_e32 v33, s80, v33
	s_cmp_eq_u32 s4, 0
	s_waitcnt lgkmcnt(0)
	s_barrier
	s_cbranch_scc1 .LBB36_370
; %bb.362:                              ;   in Loop: Header=BB36_6 Depth=1
	v_readlane_b32 s10, v53, 33
	s_add_i32 s10, s4, s10
	v_readlane_b32 s11, v53, 55
	s_mul_hi_u32 s11, s10, s11
	s_mul_i32 s11, s11, s9
	s_sub_i32 s11, s10, s11
	s_sub_i32 s16, s11, s9
	s_cmp_ge_u32 s11, s9
	s_cselect_b32 s11, s16, s11
	s_sub_i32 s16, s11, s9
	s_cmp_ge_u32 s11, s9
	s_cselect_b32 s11, s16, s11
	s_sub_i32 s10, s10, s11
	v_cmp_gt_u32_e32 vcc, s10, v0
	s_mov_b64 s[56:57], 0
                                        ; implicit-def: $vgpr19
	s_and_saveexec_b64 s[18:19], vcc
	s_cbranch_execz .LBB36_372
; %bb.363:                              ;   in Loop: Header=BB36_6 Depth=1
	v_mov_b32_e32 v2, v21
	v_mov_b32_e32 v3, v0
                                        ; implicit-def: $sgpr88_sgpr89
	s_branch .LBB36_365
.LBB36_364:                             ;   in Loop: Header=BB36_365 Depth=2
	s_or_b64 exec, exec, s[16:17]
	s_waitcnt lgkmcnt(0)
	s_barrier
	ds_read_b64 v[18:19], v11 offset:3072
	v_add_u32_e32 v3, s9, v3
	v_cmp_le_u32_e32 vcc, s10, v3
	v_add_u32_e32 v2, s85, v2
	s_waitcnt lgkmcnt(0)
	v_readfirstlane_b32 s11, v18
	s_cmp_lg_u32 s11, 0
	s_cselect_b64 s[16:17], -1, 0
	s_or_b64 s[90:91], vcc, s[16:17]
	s_and_b64 s[90:91], exec, s[90:91]
	s_or_b64 s[56:57], s[90:91], s[56:57]
	s_andn2_b64 s[88:89], s[88:89], exec
	s_and_b64 s[16:17], s[16:17], exec
	s_or_b64 s[88:89], s[88:89], s[16:17]
	s_barrier
	s_andn2_b64 exec, exec, s[56:57]
	s_cbranch_execz .LBB36_371
.LBB36_365:                             ;   Parent Loop BB36_6 Depth=1
                                        ; =>  This Inner Loop Header: Depth=2
	v_cmp_gt_u32_e32 vcc, s4, v3
	s_waitcnt vmcnt(0)
	v_mov_b32_e32 v17, 0
	s_and_saveexec_b64 s[16:17], vcc
	s_cbranch_execz .LBB36_367
; %bb.366:                              ;   in Loop: Header=BB36_365 Depth=2
	ds_read_b32 v17, v2
.LBB36_367:                             ;   in Loop: Header=BB36_365 Depth=2
	s_or_b64 exec, exec, s[16:17]
	s_and_saveexec_b64 s[16:17], vcc
	s_cbranch_execz .LBB36_364
; %bb.368:                              ;   in Loop: Header=BB36_365 Depth=2
	s_waitcnt lgkmcnt(0)
	v_xor_b32_e32 v5, 0x80000000, v17
	v_and_b32_e32 v5, v5, v33
	v_cmp_eq_u32_e32 vcc, v5, v34
	s_and_b64 exec, exec, vcc
	s_cbranch_execz .LBB36_364
; %bb.369:                              ;   in Loop: Header=BB36_365 Depth=2
	ds_write_b64 v11, v[16:17] offset:3072
	s_branch .LBB36_364
.LBB36_370:                             ;   in Loop: Header=BB36_6 Depth=1
	s_mov_b64 s[18:19], -1
	s_mov_b64 s[56:57], 0
                                        ; implicit-def: $sgpr88_sgpr89
                                        ; implicit-def: $vgpr19
	s_branch .LBB36_373
.LBB36_371:                             ;   in Loop: Header=BB36_6 Depth=1
	s_or_b64 exec, exec, s[56:57]
	s_and_b64 s[56:57], s[88:89], exec
.LBB36_372:                             ;   in Loop: Header=BB36_6 Depth=1
	s_or_b64 exec, exec, s[18:19]
	s_mov_b64 s[18:19], 0
	s_mov_b64 s[88:89], -1
.LBB36_373:                             ;   in Loop: Header=BB36_6 Depth=1
	s_and_b64 vcc, exec, s[18:19]
	s_mov_b64 s[90:91], s[18:19]
	s_cbranch_vccz .LBB36_384
; %bb.374:                              ;   in Loop: Header=BB36_6 Depth=1
	s_mov_b64 s[56:57], 0
                                        ; implicit-def: $vgpr19
	s_mov_b64 s[88:89], exec
	v_readlane_b32 s10, v53, 56
	v_readlane_b32 s11, v53, 57
	s_and_b64 s[10:11], s[88:89], s[10:11]
	s_mov_b64 exec, s[10:11]
	s_cbranch_execz .LBB36_383
; %bb.375:                              ;   in Loop: Header=BB36_6 Depth=1
	v_mov_b32_e32 v10, v12
	v_mov_b32_e32 v2, v0
                                        ; implicit-def: $sgpr90_sgpr91
	s_branch .LBB36_377
.LBB36_376:                             ;   in Loop: Header=BB36_377 Depth=2
	s_or_b64 exec, exec, s[16:17]
	s_waitcnt lgkmcnt(0)
	s_barrier
	ds_read_b64 v[18:19], v11 offset:3072
	v_add_u32_e32 v2, s9, v2
	v_cmp_le_u32_e32 vcc, s12, v2
	v_add_u32_e32 v10, s84, v10
	s_waitcnt lgkmcnt(0)
	v_readfirstlane_b32 s4, v18
	s_cmp_lg_u32 s4, 0
	s_cselect_b64 s[10:11], -1, 0
	s_or_b64 s[16:17], vcc, s[10:11]
	s_and_b64 s[16:17], exec, s[16:17]
	s_or_b64 s[56:57], s[16:17], s[56:57]
	s_andn2_b64 s[16:17], s[90:91], exec
	s_and_b64 s[10:11], s[10:11], exec
	s_or_b64 s[90:91], s[16:17], s[10:11]
	s_barrier
	s_andn2_b64 exec, exec, s[56:57]
	s_cbranch_execz .LBB36_382
.LBB36_377:                             ;   Parent Loop BB36_6 Depth=1
                                        ; =>  This Inner Loop Header: Depth=2
	v_cmp_gt_u32_e32 vcc, s60, v2
	s_waitcnt vmcnt(0)
	v_mov_b32_e32 v17, 0
	s_and_saveexec_b64 s[16:17], vcc
	s_cbranch_execz .LBB36_379
; %bb.378:                              ;   in Loop: Header=BB36_377 Depth=2
	v_lshlrev_b64 v[18:19], 2, v[10:11]
	v_mov_b32_e32 v3, s8
	v_add_co_u32_e64 v18, s[18:19], s33, v18
	v_addc_co_u32_e64 v19, s[18:19], v3, v19, s[18:19]
	global_load_dword v17, v[18:19], off
.LBB36_379:                             ;   in Loop: Header=BB36_377 Depth=2
	s_or_b64 exec, exec, s[16:17]
	s_and_saveexec_b64 s[16:17], vcc
	s_cbranch_execz .LBB36_376
; %bb.380:                              ;   in Loop: Header=BB36_377 Depth=2
	s_waitcnt vmcnt(0)
	v_xor_b32_e32 v3, 0x80000000, v17
	v_and_b32_e32 v3, v3, v33
	v_cmp_eq_u32_e32 vcc, v3, v34
	s_and_b64 exec, exec, vcc
	s_cbranch_execz .LBB36_376
; %bb.381:                              ;   in Loop: Header=BB36_377 Depth=2
	ds_write_b64 v11, v[16:17] offset:3072
	s_branch .LBB36_376
.LBB36_382:                             ;   in Loop: Header=BB36_6 Depth=1
	s_or_b64 exec, exec, s[56:57]
	s_and_b64 s[56:57], s[90:91], exec
.LBB36_383:                             ;   in Loop: Header=BB36_6 Depth=1
	s_or_b64 exec, exec, s[88:89]
	s_mov_b64 s[88:89], 0
	s_mov_b64 s[18:19], -1
	s_mov_b64 s[90:91], 0
.LBB36_384:                             ;   in Loop: Header=BB36_6 Depth=1
	s_orn2_b64 s[16:17], s[56:57], exec
.LBB36_385:                             ;   in Loop: Header=BB36_6 Depth=1
	s_or_b64 exec, exec, s[58:59]
	s_mov_b64 s[56:57], 0
                                        ; implicit-def: $vgpr2
                                        ; implicit-def: $vgpr3
	s_and_saveexec_b64 s[58:59], s[16:17]
	s_cbranch_execz .LBB36_397
; %bb.386:                              ;   in Loop: Header=BB36_6 Depth=1
	v_readlane_b32 s10, v53, 59
	v_readlane_b32 s11, v53, 60
	s_xor_b64 s[10:11], s[10:11], -1
	v_mov_b32_e32 v2, 1
	v_mov_b32_e32 v3, 1
	s_and_saveexec_b64 s[56:57], s[10:11]
	s_cbranch_execz .LBB36_396
; %bb.387:                              ;   in Loop: Header=BB36_6 Depth=1
	v_cmp_ge_u32_e32 vcc, s81, v4
                                        ; implicit-def: $sgpr4
	s_and_saveexec_b64 s[10:11], vcc
	s_xor_b64 s[16:17], exec, s[10:11]
	s_cbranch_execz .LBB36_393
; %bb.388:                              ;   in Loop: Header=BB36_6 Depth=1
	ds_read_b32 v2, v11 offset:4096
	s_waitcnt lgkmcnt(0)
	v_cmp_ne_u32_e32 vcc, 0, v2
	s_cbranch_vccnz .LBB36_392
; %bb.389:                              ;   in Loop: Header=BB36_6 Depth=1
	s_mov_b64 vcc, exec
	v_readlane_b32 s10, v53, 22
	v_readlane_b32 s11, v53, 23
	s_and_b64 s[10:11], vcc, s[10:11]
	s_mov_b64 exec, s[10:11]
	s_cbranch_execz .LBB36_391
; %bb.390:                              ;   in Loop: Header=BB36_6 Depth=1
	v_mov_b32_e32 v2, s81
	ds_write_b32 v11, v2 offset:4100
.LBB36_391:                             ;   in Loop: Header=BB36_6 Depth=1
	s_or_b64 exec, exec, vcc
	s_waitcnt lgkmcnt(0)
	s_barrier
.LBB36_392:                             ;   in Loop: Header=BB36_6 Depth=1
	v_and_b32_e32 v34, s5, v34
	v_or_b32_e32 v33, s80, v33
	s_mov_b32 s4, 5
.LBB36_393:                             ;   in Loop: Header=BB36_6 Depth=1
	s_or_saveexec_b64 s[16:17], s[16:17]
	v_mov_b32_e32 v2, s4
	s_xor_b64 exec, exec, s[16:17]
; %bb.394:                              ;   in Loop: Header=BB36_6 Depth=1
	v_subrev_u32_e32 v4, s81, v4
	v_mov_b32_e32 v2, 5
; %bb.395:                              ;   in Loop: Header=BB36_6 Depth=1
	s_or_b64 exec, exec, s[16:17]
	v_mov_b32_e32 v3, v4
.LBB36_396:                             ;   in Loop: Header=BB36_6 Depth=1
	s_or_b64 exec, exec, s[56:57]
	s_mov_b64 s[56:57], exec
.LBB36_397:                             ;   in Loop: Header=BB36_6 Depth=1
	s_or_b64 exec, exec, s[58:59]
	s_orn2_b64 s[56:57], s[56:57], exec
	v_mov_b32_e32 v4, v3
.LBB36_398:                             ;   in Loop: Header=BB36_6 Depth=1
	s_or_b64 exec, exec, s[54:55]
	s_andn2_b64 s[4:5], s[46:47], exec
	s_and_b64 s[10:11], s[18:19], exec
	s_or_b64 s[46:47], s[4:5], s[10:11]
	s_andn2_b64 s[4:5], s[48:49], exec
	s_and_b64 s[10:11], s[88:89], exec
	s_or_b64 s[48:49], s[4:5], s[10:11]
	;; [unrolled: 3-line block ×3, first 2 shown]
	s_and_b64 s[18:19], s[56:57], exec
	v_mov_b32_e32 v3, v4
.LBB36_399:                             ;   in Loop: Header=BB36_6 Depth=1
	s_or_b64 exec, exec, s[52:53]
	s_and_b64 s[52:53], s[46:47], exec
	s_and_b64 s[48:49], s[48:49], exec
	s_and_b64 s[46:47], s[50:51], exec
	s_orn2_b64 s[18:19], s[18:19], exec
.LBB36_400:                             ;   in Loop: Header=BB36_6 Depth=1
	s_or_b64 exec, exec, s[44:45]
	s_andn2_b64 s[4:5], s[36:37], exec
	s_and_b64 s[10:11], s[52:53], exec
	s_or_b64 s[36:37], s[4:5], s[10:11]
	s_andn2_b64 s[4:5], s[38:39], exec
	s_and_b64 s[10:11], s[48:49], exec
	s_or_b64 s[38:39], s[4:5], s[10:11]
	;; [unrolled: 3-line block ×3, first 2 shown]
	s_and_b64 s[18:19], s[18:19], exec
	v_mov_b32_e32 v36, v3
.LBB36_401:                             ;   in Loop: Header=BB36_6 Depth=1
	s_or_b64 exec, exec, s[42:43]
	s_and_b64 s[42:43], s[36:37], exec
	s_and_b64 s[38:39], s[38:39], exec
	;; [unrolled: 1-line block ×3, first 2 shown]
	s_orn2_b64 s[40:41], s[18:19], exec
.LBB36_402:                             ;   in Loop: Header=BB36_6 Depth=1
	s_or_b64 exec, exec, s[28:29]
	s_mov_b64 s[18:19], s[24:25]
	s_mov_b64 s[28:29], s[20:21]
	s_and_saveexec_b64 s[16:17], s[40:41]
; %bb.403:                              ;   in Loop: Header=BB36_6 Depth=1
	v_cmp_ne_u32_e64 s[18:19], 5, v2
	v_cmp_eq_u32_e32 vcc, 5, v2
	s_andn2_b64 s[4:5], s[20:21], exec
	s_and_b64 s[10:11], s[18:19], exec
	s_or_b64 s[28:29], s[4:5], s[10:11]
	s_andn2_b64 s[4:5], s[24:25], exec
	s_and_b64 s[10:11], vcc, exec
	s_andn2_b64 s[42:43], s[42:43], exec
	s_andn2_b64 s[38:39], s[38:39], exec
	;; [unrolled: 1-line block ×3, first 2 shown]
	s_or_b64 s[18:19], s[4:5], s[10:11]
; %bb.404:                              ;   in Loop: Header=BB36_6 Depth=1
	s_or_b64 exec, exec, s[16:17]
	s_andn2_b64 s[4:5], s[30:31], exec
	s_and_b64 s[10:11], s[42:43], exec
	s_or_b64 s[30:31], s[4:5], s[10:11]
	s_andn2_b64 s[4:5], s[34:35], exec
	s_and_b64 s[10:11], s[38:39], exec
	s_or_b64 s[34:35], s[4:5], s[10:11]
	;; [unrolled: 3-line block ×5, first 2 shown]
	v_mov_b32_e32 v4, v34
	v_mov_b32_e32 v5, v33
	;; [unrolled: 1-line block ×3, first 2 shown]
.LBB36_405:                             ;   in Loop: Header=BB36_6 Depth=1
	s_or_b64 exec, exec, s[26:27]
	s_mov_b64 s[28:29], s[22:23]
	s_mov_b64 s[26:27], s[22:23]
	s_and_saveexec_b64 s[16:17], s[24:25]
.LBB36_406:                             ;   in Loop: Header=BB36_6 Depth=1
	v_mov_b32_e32 v2, 0
	s_andn2_b64 s[22:23], s[22:23], exec
	s_andn2_b64 s[30:31], s[30:31], exec
	;; [unrolled: 1-line block ×5, first 2 shown]
	s_or_b64 s[20:21], s[20:21], exec
.LBB36_407:                             ;   in Loop: Header=BB36_6 Depth=1
	s_or_b64 exec, exec, s[16:17]
	s_andn2_b64 s[4:5], s[72:73], exec
	s_and_b64 s[10:11], s[22:23], exec
	s_or_b64 s[72:73], s[4:5], s[10:11]
	s_andn2_b64 s[4:5], s[94:95], exec
	s_and_b64 s[10:11], s[30:31], exec
	s_or_b64 s[94:95], s[4:5], s[10:11]
	;; [unrolled: 3-line block ×4, first 2 shown]
	s_andn2_b64 s[4:5], s[76:77], exec
	s_and_b64 s[10:11], s[26:27], exec
	s_mov_b64 s[24:25], -1
	s_or_b64 s[76:77], s[4:5], s[10:11]
                                        ; implicit-def: $vgpr33
                                        ; implicit-def: $vgpr34
                                        ; implicit-def: $vgpr35
                                        ; implicit-def: $vgpr19
	s_and_saveexec_b64 s[4:5], s[20:21]
	s_xor_b64 s[18:19], exec, s[4:5]
	s_cbranch_execz .LBB36_5
; %bb.408:                              ;   in Loop: Header=BB36_6 Depth=1
	v_cmp_eq_u32_e32 vcc, 0, v2
	s_mov_b64 s[20:21], -1
	s_mov_b64 s[16:17], -1
	s_and_saveexec_b64 s[22:23], vcc
	s_cbranch_execz .LBB36_4
; %bb.409:                              ;   in Loop: Header=BB36_6 Depth=1
	s_xor_b32 s86, s86, 1
	s_add_i32 s10, s7, -2
	s_cmp_eq_u32 s7, 0
	s_cselect_b64 s[4:5], -1, 0
	s_xor_b64 s[16:17], exec, -1
	s_orn2_b64 s[20:21], s[4:5], exec
	s_mov_b32 s7, s10
	s_branch .LBB36_4
.LBB36_410:
	s_or_b64 exec, exec, s[74:75]
	s_xor_b64 s[16:17], s[70:71], -1
	s_xor_b64 s[20:21], s[68:69], -1
	;; [unrolled: 1-line block ×5, first 2 shown]
	s_mov_b64 s[12:13], 0
	s_and_saveexec_b64 s[6:7], s[4:5]
	s_xor_b64 s[10:11], exec, s[6:7]
	s_cbranch_execnz .LBB36_415
; %bb.411:
	s_andn2_saveexec_b64 s[0:1], s[10:11]
	s_cbranch_execnz .LBB36_434
.LBB36_412:
	s_or_b64 exec, exec, s[0:1]
	s_and_saveexec_b64 s[0:1], s[12:13]
.LBB36_413:
	; divergent unreachable
.LBB36_414:
	s_endpgm
.LBB36_415:
	s_mov_b64 s[14:15], 0
	s_and_saveexec_b64 s[4:5], s[18:19]
	s_xor_b64 s[12:13], exec, s[4:5]
	s_cbranch_execz .LBB36_432
; %bb.416:
	s_mov_b64 s[18:19], 0
	s_and_saveexec_b64 s[4:5], s[20:21]
	s_xor_b64 s[14:15], exec, s[4:5]
	s_cbranch_execz .LBB36_430
; %bb.417:
	s_and_saveexec_b64 s[4:5], s[16:17]
	s_xor_b64 s[16:17], exec, s[4:5]
	s_cbranch_execz .LBB36_428
; %bb.418:
	s_and_saveexec_b64 s[4:5], s[2:3]
	s_xor_b64 s[2:3], exec, s[4:5]
; %bb.419:
	v_xor_b32_e32 v3, 0x80000000, v4
; %bb.420:
	s_or_b64 exec, exec, s[2:3]
	s_mov_b64 s[2:3], exec
	v_readlane_b32 s4, v53, 22
	v_readlane_b32 s5, v53, 23
	;; [unrolled: 1-line block ×3, first 2 shown]
	s_and_b64 s[4:5], s[2:3], s[4:5]
	v_readlane_b32 s35, v53, 28
	v_readlane_b32 s20, v53, 58
	s_mov_b64 exec, s[4:5]
	s_cbranch_execz .LBB36_422
; %bb.421:
	v_mov_b32_e32 v1, 0
	ds_write_b32 v1, v1 offset:4108
.LBB36_422:
	s_or_b64 exec, exec, s[2:3]
	v_mov_b32_e32 v1, 0
	s_waitcnt lgkmcnt(0)
	s_barrier
	s_mov_b64 s[2:3], exec
	v_readlane_b32 s4, v53, 38
	v_readlane_b32 s5, v53, 39
	s_and_b64 s[4:5], s[2:3], s[4:5]
	s_mov_b64 exec, s[4:5]
	s_cbranch_execz .LBB36_424
; %bb.423:
	global_load_dword v1, v[8:9], off
.LBB36_424:
	s_or_b64 exec, exec, s[2:3]
	v_readlane_b32 s18, v53, 14
	v_readlane_b32 s19, v53, 15
	;; [unrolled: 1-line block ×3, first 2 shown]
	s_mul_i32 s2, s7, s19
	v_readlane_b32 s19, v53, 17
	s_mul_i32 s3, s19, s18
	s_add_i32 s42, s60, 63
	v_readlane_b32 s6, v53, 24
	s_sub_i32 s3, s7, s3
	s_andn2_b32 s42, s42, 63
	s_sub_i32 s2, s6, s2
	s_add_i32 s4, s19, 1
	s_sub_i32 s5, s3, s18
	s_cmp_ge_u32 s3, s18
	s_cselect_b32 s4, s4, s19
	s_cselect_b32 s3, s5, s3
	s_add_i32 s5, s4, 1
	s_cmp_ge_u32 s3, s18
	s_cselect_b32 s3, s5, s4
	v_readlane_b32 s24, v53, 6
	s_mul_i32 s4, s3, s18
	v_readlane_b32 s25, v53, 7
	v_readlane_b32 s26, v53, 8
	s_sub_i32 s4, s7, s4
	s_mul_i32 s2, s2, s26
	s_mul_i32 s4, s4, s25
	v_readlane_b32 s18, v53, 18
	s_add_i32 s2, s4, s2
	s_mul_i32 s3, s3, s24
	v_readlane_b32 s19, v53, 19
	v_readlane_b32 s21, v53, 20
	s_add_i32 s2, s2, s3
	s_mul_i32 s3, s21, s19
	s_sub_i32 s3, s6, s3
	v_readlane_b32 s4, v53, 0
	v_readlane_b32 s6, v53, 2
	;; [unrolled: 1-line block ×4, first 2 shown]
	s_mov_b32 s26, s6
	v_readlane_b32 s7, v53, 21
	s_mov_b64 s[24:25], s[4:5]
	s_mul_i32 s4, s7, s18
	s_sub_i32 s4, s21, s4
	s_add_i32 s5, s7, 1
	s_sub_i32 s6, s4, s18
	s_cmp_ge_u32 s4, s18
	s_cselect_b32 s5, s5, s7
	s_cselect_b32 s4, s6, s4
	s_add_i32 s6, s5, 1
	s_cmp_ge_u32 s4, s18
	s_cselect_b32 s4, s6, s5
	s_mul_i32 s5, s4, s18
	s_sub_i32 s5, s21, s5
	s_mul_i32 s3, s3, s26
	s_mul_i32 s5, s5, s25
	s_add_i32 s3, s5, s3
	s_mul_i32 s4, s4, s24
	s_add_i32 s4, s3, s4
	s_mov_b32 s3, 0
	s_lshl_b64 s[6:7], s[2:3], 2
	v_readlane_b32 s18, v53, 10
	v_readlane_b32 s19, v53, 11
	s_add_u32 s43, s18, s6
	s_mov_b32 s5, s3
	s_addc_u32 s44, s19, s7
	s_lshl_b64 s[2:3], s[4:5], 3
	v_readlane_b32 s4, v53, 4
	v_readlane_b32 s5, v53, 5
	s_add_u32 s45, s4, s2
	s_addc_u32 s46, s5, s3
	v_readlane_b32 s2, v53, 12
	v_readlane_b32 s3, v53, 13
	s_load_dword s47, s[2:3], 0x1c8
	s_load_dword s48, s[2:3], 0x2a8
	v_add_u32_e32 v5, s9, v0
	v_cmp_gt_u32_e32 vcc, s42, v0
	s_mov_b64 s[18:19], -1
	s_mov_b64 s[2:3], 0
	v_mul_lo_u32 v4, s20, v5
	s_mov_b64 s[4:5], 0
	v_readlane_b32 s27, v53, 9
	s_and_saveexec_b64 s[30:31], vcc
	s_cbranch_execnz .LBB36_435
; %bb.425:
	s_or_b64 exec, exec, s[30:31]
	s_and_saveexec_b64 s[40:41], s[18:19]
	s_cbranch_execnz .LBB36_450
.LBB36_426:
	s_or_b64 exec, exec, s[40:41]
	s_and_saveexec_b64 s[0:1], s[4:5]
	s_xor_b64 s[0:1], exec, s[0:1]
	s_cbranch_execnz .LBB36_472
.LBB36_427:
	s_or_b64 exec, exec, s[0:1]
	s_and_b64 s[18:19], s[2:3], exec
.LBB36_428:
	s_andn2_saveexec_b64 s[0:1], s[16:17]
	s_cbranch_execnz .LBB36_475
.LBB36_429:
	s_or_b64 exec, exec, s[0:1]
	s_and_b64 s[18:19], s[18:19], exec
.LBB36_430:
	s_andn2_saveexec_b64 s[0:1], s[14:15]
	s_cbranch_execnz .LBB36_474
.LBB36_431:
	s_or_b64 exec, exec, s[0:1]
	s_and_b64 s[14:15], s[18:19], exec
.LBB36_432:
	s_andn2_saveexec_b64 s[0:1], s[12:13]
	s_cbranch_execnz .LBB36_473
.LBB36_433:
	s_or_b64 exec, exec, s[0:1]
	s_and_b64 s[12:13], s[14:15], exec
	s_andn2_saveexec_b64 s[0:1], s[10:11]
	s_cbranch_execz .LBB36_412
.LBB36_434:
	s_or_b64 s[12:13], s[12:13], exec
	s_trap 2
	s_or_b64 exec, exec, s[0:1]
	s_and_saveexec_b64 s[0:1], s[12:13]
	s_cbranch_execnz .LBB36_413
	s_branch .LBB36_414
.LBB36_435:
	v_xor_b32_e32 v2, 0x80000000, v3
	v_mul_lo_u32 v10, s20, v5
	s_mov_b64 s[18:19], 0
	v_mov_b32_e32 v11, 0
	v_mov_b32_e32 v12, v0
                                        ; implicit-def: $sgpr20_sgpr21
                                        ; implicit-def: $vgpr14
	s_branch .LBB36_437
.LBB36_436:                             ;   in Loop: Header=BB36_437 Depth=1
	s_or_b64 exec, exec, s[22:23]
	s_xor_b64 s[6:7], s[26:27], -1
	s_and_b64 s[4:5], exec, s[4:5]
	s_or_b64 s[18:19], s[4:5], s[18:19]
	s_andn2_b64 s[4:5], s[20:21], exec
	s_and_b64 s[6:7], s[6:7], exec
	s_or_b64 s[20:21], s[4:5], s[6:7]
	v_mov_b32_e32 v1, v15
	v_mov_b32_e32 v12, v5
	s_andn2_b64 exec, exec, s[18:19]
	s_cbranch_execz .LBB36_449
.LBB36_437:                             ; =>This Inner Loop Header: Depth=1
	v_add_u32_e32 v5, s9, v12
	v_cmp_gt_u32_e32 vcc, s60, v5
	v_mov_b32_e32 v15, 0
	s_and_saveexec_b64 s[4:5], vcc
	s_cbranch_execz .LBB36_439
; %bb.438:                              ;   in Loop: Header=BB36_437 Depth=1
	s_waitcnt vmcnt(0)
	v_lshlrev_b64 v[16:17], 2, v[10:11]
	v_mov_b32_e32 v13, s8
	v_add_co_u32_e32 v16, vcc, s33, v16
	v_addc_co_u32_e32 v17, vcc, v13, v17, vcc
	global_load_dword v15, v[16:17], off
.LBB36_439:                             ;   in Loop: Header=BB36_437 Depth=1
	s_or_b64 exec, exec, s[4:5]
	s_waitcnt vmcnt(0)
	v_xor_b32_e32 v13, 0x80000000, v1
	v_cmp_gt_u32_e64 s[4:5], v13, v2
	v_cndmask_b32_e64 v16, 0, 1, s[4:5]
	v_cmp_lt_u32_e64 s[4:5], v13, v2
	v_cndmask_b32_e64 v13, 0, 1, s[4:5]
	v_cndmask_b32_e64 v13, v13, v16, s[34:35]
	v_and_b32_e32 v13, 1, v13
	v_cmp_gt_u32_e32 vcc, s60, v12
	v_cmp_eq_u32_e64 s[4:5], 1, v13
	s_and_b64 s[24:25], vcc, s[4:5]
	v_cndmask_b32_e64 v13, 0, 1, s[24:25]
	v_cmp_ne_u32_e32 vcc, 0, v13
	s_cmp_lg_u64 vcc, 0
	s_cselect_b64 s[4:5], -1, 0
	s_and_b64 s[4:5], s[0:1], s[4:5]
	s_and_saveexec_b64 s[22:23], s[4:5]
	s_cbranch_execz .LBB36_443
; %bb.440:                              ;   in Loop: Header=BB36_437 Depth=1
	s_mov_b64 s[28:29], exec
	v_mbcnt_lo_u32_b32 v13, s28, 0
	v_mbcnt_hi_u32_b32 v13, s29, v13
	s_bcnt1_i32_b64 s6, vcc
	v_cmp_eq_u32_e64 s[4:5], 0, v13
                                        ; implicit-def: $vgpr14
	s_and_saveexec_b64 s[26:27], s[4:5]
	s_cbranch_execz .LBB36_442
; %bb.441:                              ;   in Loop: Header=BB36_437 Depth=1
	s_bcnt1_i32_b64 s4, s[28:29]
	s_mul_i32 s4, s6, s4
	s_waitcnt lgkmcnt(0)
	v_mov_b32_e32 v14, s4
	ds_add_rtn_u32 v14, v11, v14 offset:4108
.LBB36_442:                             ;   in Loop: Header=BB36_437 Depth=1
	s_or_b64 exec, exec, s[26:27]
	s_waitcnt lgkmcnt(0)
	v_readfirstlane_b32 s4, v14
	v_mov_b32_e32 v14, s4
	v_mad_u32_u24 v14, s6, v13, v14
.LBB36_443:                             ;   in Loop: Header=BB36_437 Depth=1
	s_or_b64 exec, exec, s[22:23]
	s_waitcnt lgkmcnt(0)
	ds_bpermute_b32 v14, v20, v14
	s_mov_b64 s[4:5], -1
	s_mov_b64 s[28:29], -1
                                        ; implicit-def: $sgpr26_sgpr27
	s_and_saveexec_b64 s[22:23], s[24:25]
	s_cbranch_execz .LBB36_447
; %bb.444:                              ;   in Loop: Header=BB36_437 Depth=1
	v_and_b32_e32 v16, vcc_lo, v6
	v_and_b32_e32 v13, vcc_hi, v7
	v_bcnt_u32_b32 v16, v16, 0
	v_bcnt_u32_b32 v13, v13, v16
	s_waitcnt lgkmcnt(0)
	v_add_u32_e32 v13, v14, v13
	v_cmp_gt_u32_e32 vcc, s61, v13
	s_mov_b64 s[24:25], 0
	s_and_saveexec_b64 s[26:27], vcc
	s_cbranch_execz .LBB36_446
; %bb.445:                              ;   in Loop: Header=BB36_437 Depth=1
	v_mul_lo_u32 v16, v13, s47
	v_mov_b32_e32 v17, v11
	v_lshlrev_b64 v[16:17], 2, v[16:17]
	v_mul_lo_u32 v18, v13, s48
	v_mov_b32_e32 v13, s44
	v_add_co_u32_e32 v16, vcc, s43, v16
	v_addc_co_u32_e32 v17, vcc, v13, v17, vcc
	v_mov_b32_e32 v19, v11
	global_store_dword v[16:17], v1, off
	v_lshlrev_b64 v[16:17], 3, v[18:19]
	v_mov_b32_e32 v1, s46
	v_add_co_u32_e32 v16, vcc, s45, v16
	s_mov_b64 s[24:25], exec
	v_mov_b32_e32 v13, v11
	v_addc_co_u32_e32 v17, vcc, v1, v17, vcc
	global_store_dwordx2 v[16:17], v[12:13], off
.LBB36_446:                             ;   in Loop: Header=BB36_437 Depth=1
	s_or_b64 exec, exec, s[26:27]
	s_mov_b64 s[26:27], -1
	s_orn2_b64 s[28:29], s[24:25], exec
.LBB36_447:                             ;   in Loop: Header=BB36_437 Depth=1
	s_or_b64 exec, exec, s[22:23]
	s_and_saveexec_b64 s[22:23], s[28:29]
	s_cbranch_execz .LBB36_436
; %bb.448:                              ;   in Loop: Header=BB36_437 Depth=1
	v_cmp_le_u32_e32 vcc, s42, v5
	v_add_u32_e32 v10, s84, v10
	s_andn2_b64 s[26:27], s[26:27], exec
	s_orn2_b64 s[4:5], vcc, exec
	s_branch .LBB36_436
.LBB36_449:
	s_or_b64 exec, exec, s[18:19]
	s_mov_b64 s[4:5], exec
	s_orn2_b64 s[18:19], s[20:21], exec
	s_or_b64 exec, exec, s[30:31]
	s_and_saveexec_b64 s[40:41], s[18:19]
	s_cbranch_execz .LBB36_426
.LBB36_450:
	v_mov_b32_e32 v5, 0
	s_waitcnt vmcnt(0)
	v_mov_b32_e32 v1, 0
	s_waitcnt lgkmcnt(0)
	s_barrier
	s_mov_b64 s[2:3], exec
	v_readlane_b32 s6, v53, 38
	v_readlane_b32 s7, v53, 39
	s_and_b64 s[6:7], s[2:3], s[6:7]
	s_mov_b64 exec, s[6:7]
	s_cbranch_execz .LBB36_452
; %bb.451:
	global_load_dword v1, v[8:9], off
.LBB36_452:
	s_or_b64 exec, exec, s[2:3]
	s_mov_b64 s[18:19], 0
                                        ; implicit-def: $sgpr6_sgpr7
                                        ; implicit-def: $sgpr20_sgpr21
                                        ; implicit-def: $sgpr22_sgpr23
                                        ; implicit-def: $vgpr2
	s_branch .LBB36_455
.LBB36_453:                             ;   in Loop: Header=BB36_455 Depth=1
	s_or_b64 exec, exec, s[28:29]
	s_andn2_b64 s[2:3], s[22:23], exec
	s_and_b64 s[22:23], s[34:35], exec
	s_or_b64 s[22:23], s[2:3], s[22:23]
	s_andn2_b64 s[2:3], s[20:21], exec
	s_and_b64 s[20:21], s[26:27], exec
	s_or_b64 s[20:21], s[2:3], s[20:21]
	v_mov_b32_e32 v0, v8
.LBB36_454:                             ;   in Loop: Header=BB36_455 Depth=1
	s_or_b64 exec, exec, s[24:25]
	s_xor_b64 s[2:3], s[22:23], -1
	s_and_b64 s[24:25], exec, s[20:21]
	s_or_b64 s[18:19], s[24:25], s[18:19]
	s_andn2_b64 s[6:7], s[6:7], exec
	s_and_b64 s[2:3], s[2:3], exec
	s_or_b64 s[6:7], s[6:7], s[2:3]
	s_andn2_b64 exec, exec, s[18:19]
	s_cbranch_execz .LBB36_470
.LBB36_455:                             ; =>This Inner Loop Header: Depth=1
	v_cmp_gt_u32_e32 vcc, s42, v0
	s_or_b64 s[22:23], s[22:23], exec
	s_or_b64 s[20:21], s[20:21], exec
	s_and_saveexec_b64 s[24:25], vcc
	s_cbranch_execz .LBB36_454
; %bb.456:                              ;   in Loop: Header=BB36_455 Depth=1
	v_add_u32_e32 v8, s9, v0
	v_cmp_gt_u32_e32 vcc, s60, v8
	v_mov_b32_e32 v9, 0
	s_and_saveexec_b64 s[2:3], vcc
	s_cbranch_execz .LBB36_458
; %bb.457:                              ;   in Loop: Header=BB36_455 Depth=1
	v_lshlrev_b64 v[10:11], 2, v[4:5]
	v_mov_b32_e32 v9, s8
	v_add_co_u32_e32 v10, vcc, s33, v10
	v_addc_co_u32_e32 v11, vcc, v9, v11, vcc
	global_load_dword v9, v[10:11], off
.LBB36_458:                             ;   in Loop: Header=BB36_455 Depth=1
	s_or_b64 exec, exec, s[2:3]
	v_cmp_gt_u32_e32 vcc, s60, v0
	s_waitcnt vmcnt(0)
	v_cmp_eq_u32_e64 s[2:3], v1, v3
	s_and_b64 s[28:29], vcc, s[2:3]
	v_cndmask_b32_e64 v10, 0, 1, s[28:29]
	v_cmp_ne_u32_e32 vcc, 0, v10
	s_cmp_lg_u64 vcc, 0
	s_cselect_b64 s[2:3], -1, 0
	s_and_b64 s[2:3], s[0:1], s[2:3]
	s_and_saveexec_b64 s[26:27], s[2:3]
	s_cbranch_execz .LBB36_462
; %bb.459:                              ;   in Loop: Header=BB36_455 Depth=1
	s_mov_b64 s[34:35], exec
	v_mbcnt_lo_u32_b32 v2, s34, 0
	v_mbcnt_hi_u32_b32 v2, s35, v2
	s_bcnt1_i32_b64 s36, vcc
	v_cmp_eq_u32_e64 s[2:3], 0, v2
                                        ; implicit-def: $vgpr10
	s_and_saveexec_b64 s[30:31], s[2:3]
	s_cbranch_execz .LBB36_461
; %bb.460:                              ;   in Loop: Header=BB36_455 Depth=1
	s_bcnt1_i32_b64 s2, s[34:35]
	s_mul_i32 s2, s36, s2
	v_mov_b32_e32 v10, s2
	ds_add_rtn_u32 v10, v5, v10 offset:4108
.LBB36_461:                             ;   in Loop: Header=BB36_455 Depth=1
	s_or_b64 exec, exec, s[30:31]
	s_waitcnt lgkmcnt(0)
	v_readfirstlane_b32 s2, v10
	v_mov_b32_e32 v10, s2
	v_mad_u32_u24 v2, s36, v2, v10
.LBB36_462:                             ;   in Loop: Header=BB36_455 Depth=1
	s_or_b64 exec, exec, s[26:27]
	ds_bpermute_b32 v2, v20, v2
	s_cmp_eq_u64 vcc, 0
	s_cselect_b64 s[30:31], -1, 0
	s_mov_b64 s[26:27], -1
	s_mov_b64 s[34:35], -1
	s_waitcnt lgkmcnt(0)
	v_cmp_gt_u32_e64 s[2:3], s61, v2
	s_or_b64 s[2:3], s[30:31], s[2:3]
	v_cndmask_b32_e64 v1, v1, v9, s[2:3]
	s_and_b64 s[36:37], s[28:29], s[2:3]
	s_mov_b64 s[30:31], -1
	s_and_saveexec_b64 s[28:29], s[36:37]
	s_cbranch_execz .LBB36_468
; %bb.463:                              ;   in Loop: Header=BB36_455 Depth=1
	v_and_b32_e32 v10, vcc_lo, v6
	v_and_b32_e32 v1, vcc_hi, v7
	v_bcnt_u32_b32 v10, v10, 0
	v_bcnt_u32_b32 v1, v1, v10
	v_sub_u32_e32 v10, s61, v2
	v_cmp_le_u32_e64 s[30:31], v10, v1
	v_cmp_gt_u32_e32 vcc, v10, v1
	s_mov_b64 s[36:37], -1
	s_and_saveexec_b64 s[34:35], vcc
	s_cbranch_execz .LBB36_467
; %bb.464:                              ;   in Loop: Header=BB36_455 Depth=1
	v_add_u32_e32 v1, v2, v1
	v_cmp_gt_u32_e32 vcc, s61, v1
	s_mov_b64 s[38:39], s[30:31]
	s_and_saveexec_b64 s[36:37], vcc
	s_cbranch_execz .LBB36_466
; %bb.465:                              ;   in Loop: Header=BB36_455 Depth=1
	v_mul_lo_u32 v10, v1, s47
	v_mov_b32_e32 v11, v5
	v_lshlrev_b64 v[10:11], 2, v[10:11]
	v_mul_lo_u32 v12, v1, s48
	v_mov_b32_e32 v1, s44
	v_add_co_u32_e32 v10, vcc, s43, v10
	v_addc_co_u32_e32 v11, vcc, v1, v11, vcc
	v_mov_b32_e32 v13, v5
	global_store_dword v[10:11], v3, off
	v_lshlrev_b64 v[10:11], 3, v[12:13]
	v_mov_b32_e32 v12, s46
	v_add_co_u32_e32 v10, vcc, s45, v10
	v_mov_b32_e32 v1, v5
	v_addc_co_u32_e32 v11, vcc, v12, v11, vcc
	s_or_b64 s[38:39], s[30:31], exec
	global_store_dwordx2 v[10:11], v[0:1], off
.LBB36_466:                             ;   in Loop: Header=BB36_455 Depth=1
	s_or_b64 exec, exec, s[36:37]
	s_andn2_b64 s[30:31], s[30:31], exec
	s_and_b64 s[38:39], s[38:39], exec
	s_xor_b64 s[36:37], exec, -1
	s_or_b64 s[30:31], s[30:31], s[38:39]
.LBB36_467:                             ;   in Loop: Header=BB36_455 Depth=1
	s_or_b64 exec, exec, s[34:35]
	s_orn2_b64 s[34:35], s[36:37], exec
	s_or_b64 s[2:3], s[2:3], exec
	s_orn2_b64 s[30:31], s[30:31], exec
	v_mov_b32_e32 v1, v9
.LBB36_468:                             ;   in Loop: Header=BB36_455 Depth=1
	s_or_b64 exec, exec, s[28:29]
	s_and_saveexec_b64 s[28:29], s[30:31]
	s_cbranch_execz .LBB36_453
; %bb.469:                              ;   in Loop: Header=BB36_455 Depth=1
	s_xor_b64 s[2:3], s[2:3], -1
	v_add_u32_e32 v4, s84, v4
	s_or_b64 s[34:35], s[34:35], exec
	s_orn2_b64 s[26:27], s[2:3], exec
	s_branch .LBB36_453
.LBB36_470:
	s_or_b64 exec, exec, s[18:19]
	s_mov_b64 s[0:1], 0
	s_and_saveexec_b64 s[2:3], s[6:7]
	s_xor_b64 s[2:3], exec, s[2:3]
	s_cbranch_execnz .LBB36_476
.LBB36_471:
	s_or_b64 exec, exec, s[2:3]
	s_and_b64 s[2:3], s[0:1], exec
	s_andn2_b64 s[4:5], s[4:5], exec
	s_or_b64 exec, exec, s[40:41]
	s_and_saveexec_b64 s[0:1], s[4:5]
	s_xor_b64 s[0:1], exec, s[0:1]
	s_cbranch_execz .LBB36_427
.LBB36_472:
	s_or_b64 s[2:3], s[2:3], exec
	s_trap 2
	s_branch .LBB36_427
.LBB36_473:
	s_or_b64 s[14:15], s[14:15], exec
	s_trap 2
	s_branch .LBB36_433
.LBB36_474:
	s_or_b64 s[18:19], s[18:19], exec
	s_trap 2
	s_branch .LBB36_431
.LBB36_475:
	s_trap 2
	s_or_b64 s[18:19], s[18:19], exec
	s_branch .LBB36_429
.LBB36_476:
	s_mov_b64 s[0:1], exec
	s_trap 2
	s_branch .LBB36_471
	.section	.rodata,"a",@progbits
	.p2align	6, 0x0
	.amdhsa_kernel _ZN2at6native6sbtopk10gatherTopKIijLi3ELb0EEEvNS_4cuda6detail10TensorInfoIKT_T0_EES8_S8_bS8_S8_NS5_IS6_S8_EES8_NS5_IlS8_EES8_PS6_
		.amdhsa_group_segment_fixed_size 4112
		.amdhsa_private_segment_fixed_size 0
		.amdhsa_kernarg_size 952
		.amdhsa_user_sgpr_count 6
		.amdhsa_user_sgpr_private_segment_buffer 1
		.amdhsa_user_sgpr_dispatch_ptr 0
		.amdhsa_user_sgpr_queue_ptr 0
		.amdhsa_user_sgpr_kernarg_segment_ptr 1
		.amdhsa_user_sgpr_dispatch_id 0
		.amdhsa_user_sgpr_flat_scratch_init 0
		.amdhsa_user_sgpr_kernarg_preload_length 0
		.amdhsa_user_sgpr_kernarg_preload_offset 0
		.amdhsa_user_sgpr_private_segment_size 0
		.amdhsa_uses_dynamic_stack 0
		.amdhsa_system_sgpr_private_segment_wavefront_offset 0
		.amdhsa_system_sgpr_workgroup_id_x 1
		.amdhsa_system_sgpr_workgroup_id_y 1
		.amdhsa_system_sgpr_workgroup_id_z 1
		.amdhsa_system_sgpr_workgroup_info 0
		.amdhsa_system_vgpr_workitem_id 0
		.amdhsa_next_free_vgpr 54
		.amdhsa_next_free_sgpr 96
		.amdhsa_accum_offset 56
		.amdhsa_reserve_vcc 1
		.amdhsa_reserve_flat_scratch 0
		.amdhsa_float_round_mode_32 0
		.amdhsa_float_round_mode_16_64 0
		.amdhsa_float_denorm_mode_32 3
		.amdhsa_float_denorm_mode_16_64 3
		.amdhsa_dx10_clamp 1
		.amdhsa_ieee_mode 1
		.amdhsa_fp16_overflow 0
		.amdhsa_tg_split 0
		.amdhsa_exception_fp_ieee_invalid_op 0
		.amdhsa_exception_fp_denorm_src 0
		.amdhsa_exception_fp_ieee_div_zero 0
		.amdhsa_exception_fp_ieee_overflow 0
		.amdhsa_exception_fp_ieee_underflow 0
		.amdhsa_exception_fp_ieee_inexact 0
		.amdhsa_exception_int_div_zero 0
	.end_amdhsa_kernel
	.section	.text._ZN2at6native6sbtopk10gatherTopKIijLi3ELb0EEEvNS_4cuda6detail10TensorInfoIKT_T0_EES8_S8_bS8_S8_NS5_IS6_S8_EES8_NS5_IlS8_EES8_PS6_,"axG",@progbits,_ZN2at6native6sbtopk10gatherTopKIijLi3ELb0EEEvNS_4cuda6detail10TensorInfoIKT_T0_EES8_S8_bS8_S8_NS5_IS6_S8_EES8_NS5_IlS8_EES8_PS6_,comdat
.Lfunc_end36:
	.size	_ZN2at6native6sbtopk10gatherTopKIijLi3ELb0EEEvNS_4cuda6detail10TensorInfoIKT_T0_EES8_S8_bS8_S8_NS5_IS6_S8_EES8_NS5_IlS8_EES8_PS6_, .Lfunc_end36-_ZN2at6native6sbtopk10gatherTopKIijLi3ELb0EEEvNS_4cuda6detail10TensorInfoIKT_T0_EES8_S8_bS8_S8_NS5_IS6_S8_EES8_NS5_IlS8_EES8_PS6_
                                        ; -- End function
	.section	.AMDGPU.csdata,"",@progbits
; Kernel info:
; codeLenInByte = 16428
; NumSgprs: 100
; NumVgprs: 54
; NumAgprs: 0
; TotalNumVgprs: 54
; ScratchSize: 0
; MemoryBound: 0
; FloatMode: 240
; IeeeMode: 1
; LDSByteSize: 4112 bytes/workgroup (compile time only)
; SGPRBlocks: 12
; VGPRBlocks: 6
; NumSGPRsForWavesPerEU: 100
; NumVGPRsForWavesPerEU: 54
; AccumOffset: 56
; Occupancy: 8
; WaveLimiterHint : 1
; COMPUTE_PGM_RSRC2:SCRATCH_EN: 0
; COMPUTE_PGM_RSRC2:USER_SGPR: 6
; COMPUTE_PGM_RSRC2:TRAP_HANDLER: 0
; COMPUTE_PGM_RSRC2:TGID_X_EN: 1
; COMPUTE_PGM_RSRC2:TGID_Y_EN: 1
; COMPUTE_PGM_RSRC2:TGID_Z_EN: 1
; COMPUTE_PGM_RSRC2:TIDIG_COMP_CNT: 0
; COMPUTE_PGM_RSRC3_GFX90A:ACCUM_OFFSET: 13
; COMPUTE_PGM_RSRC3_GFX90A:TG_SPLIT: 0
	.section	.text._ZN2at6native6mbtopk23computeBlockDigitCountsIijjLin1EEEvNS_4cuda6detail10TensorInfoIKT_T0_EEjPjjS8_iijT1_PSB_Ps,"axG",@progbits,_ZN2at6native6mbtopk23computeBlockDigitCountsIijjLin1EEEvNS_4cuda6detail10TensorInfoIKT_T0_EEjPjjS8_iijT1_PSB_Ps,comdat
	.protected	_ZN2at6native6mbtopk23computeBlockDigitCountsIijjLin1EEEvNS_4cuda6detail10TensorInfoIKT_T0_EEjPjjS8_iijT1_PSB_Ps ; -- Begin function _ZN2at6native6mbtopk23computeBlockDigitCountsIijjLin1EEEvNS_4cuda6detail10TensorInfoIKT_T0_EEjPjjS8_iijT1_PSB_Ps
	.globl	_ZN2at6native6mbtopk23computeBlockDigitCountsIijjLin1EEEvNS_4cuda6detail10TensorInfoIKT_T0_EEjPjjS8_iijT1_PSB_Ps
	.p2align	8
	.type	_ZN2at6native6mbtopk23computeBlockDigitCountsIijjLin1EEEvNS_4cuda6detail10TensorInfoIKT_T0_EEjPjjS8_iijT1_PSB_Ps,@function
_ZN2at6native6mbtopk23computeBlockDigitCountsIijjLin1EEEvNS_4cuda6detail10TensorInfoIKT_T0_EEjPjjS8_iijT1_PSB_Ps: ; @_ZN2at6native6mbtopk23computeBlockDigitCountsIijjLin1EEEvNS_4cuda6detail10TensorInfoIKT_T0_EEjPjjS8_iijT1_PSB_Ps
; %bb.0:
	s_load_dwordx2 s[10:11], s[4:5], 0xf8
	s_load_dwordx4 s[12:15], s[4:5], 0xe8
	s_load_dwordx2 s[0:1], s[4:5], 0x110
	s_mov_b32 s9, 0
	s_waitcnt lgkmcnt(0)
	v_cvt_f32_u32_e32 v1, s10
	s_sub_i32 s2, 0, s10
	s_mul_i32 s1, s1, s8
	s_add_i32 s1, s1, s7
	v_rcp_iflag_f32_e32 v1, v1
	s_mul_i32 s16, s1, s0
	s_add_i32 s16, s16, s6
	v_mul_f32_e32 v1, 0x4f7ffffe, v1
	v_cvt_u32_f32_e32 v1, v1
	v_readfirstlane_b32 s0, v1
	s_mul_i32 s2, s2, s0
	s_mul_hi_u32 s1, s0, s2
	s_add_i32 s0, s0, s1
	s_mul_hi_u32 s0, s16, s0
	s_mul_i32 s1, s0, s10
	s_sub_i32 s1, s16, s1
	s_add_i32 s2, s0, 1
	s_sub_i32 s3, s1, s10
	s_cmp_ge_u32 s1, s10
	s_cselect_b32 s0, s2, s0
	s_cselect_b32 s1, s3, s1
	s_add_i32 s2, s0, 1
	s_cmp_ge_u32 s1, s10
	s_cselect_b32 s8, s2, s0
	s_cmp_ge_u32 s8, s12
	s_cbranch_scc1 .LBB37_32
; %bb.1:
	s_load_dwordx4 s[0:3], s[4:5], 0x100
	s_load_dword s6, s[4:5], 0xd0
	s_lshl_b64 s[18:19], s[8:9], 2
	s_waitcnt lgkmcnt(0)
	s_add_u32 s0, s0, s18
	s_addc_u32 s1, s1, s19
	s_cmp_lt_i32 s6, 2
	s_mov_b32 s19, s8
	s_cbranch_scc1 .LBB37_4
; %bb.2:
	s_add_i32 s20, s6, -1
	s_mov_b32 s21, 0
	s_add_i32 s12, s6, 1
	s_lshl_b64 s[6:7], s[20:21], 2
	s_add_u32 s6, s6, s4
	s_addc_u32 s7, s7, s5
	s_add_u32 s6, s6, 8
	s_addc_u32 s7, s7, 0
	s_mov_b32 s19, s8
	s_mov_b32 s9, s21
.LBB37_3:                               ; =>This Inner Loop Header: Depth=1
	s_load_dword s17, s[6:7], 0x0
	s_load_dword s20, s[6:7], 0x64
	s_mov_b32 s18, s19
	s_waitcnt lgkmcnt(0)
	v_cvt_f32_u32_e32 v1, s17
	s_sub_i32 s19, 0, s17
	v_rcp_iflag_f32_e32 v1, v1
	v_mul_f32_e32 v1, 0x4f7ffffe, v1
	v_cvt_u32_f32_e32 v1, v1
	v_readfirstlane_b32 s21, v1
	s_mul_i32 s19, s19, s21
	s_mul_hi_u32 s19, s21, s19
	s_add_i32 s21, s21, s19
	s_mul_hi_u32 s19, s18, s21
	s_mul_i32 s21, s19, s17
	s_sub_i32 s21, s18, s21
	s_add_i32 s22, s19, 1
	s_sub_i32 s23, s21, s17
	s_cmp_ge_u32 s21, s17
	s_cselect_b32 s19, s22, s19
	s_cselect_b32 s21, s23, s21
	s_add_i32 s22, s19, 1
	s_cmp_ge_u32 s21, s17
	s_cselect_b32 s19, s22, s19
	s_mul_i32 s17, s19, s17
	s_sub_i32 s17, s18, s17
	s_mul_i32 s17, s20, s17
	s_add_i32 s12, s12, -1
	s_add_i32 s9, s17, s9
	s_add_u32 s6, s6, -4
	s_addc_u32 s7, s7, -1
	s_cmp_gt_u32 s12, 2
	s_cbranch_scc1 .LBB37_3
.LBB37_4:
	s_load_dword s12, s[0:1], 0x0
	s_movk_i32 s0, 0x100
	v_cmp_gt_u32_e32 vcc, s0, v0
	v_lshlrev_b32_e32 v1, 2, v0
	s_and_saveexec_b64 s[0:1], vcc
	s_cbranch_execz .LBB37_6
; %bb.5:
	v_mov_b32_e32 v2, 0
	ds_write_b32 v1, v2
.LBB37_6:
	s_or_b64 exec, exec, s[0:1]
	s_load_dword s17, s[4:5], 0xd8
	s_mul_i32 s0, s8, s10
	s_sub_i32 s0, s16, s0
	s_add_i32 s1, s0, 1
	s_mul_i32 s0, s15, s0
	s_lshl_b32 s18, s0, 8
	s_waitcnt lgkmcnt(0)
	s_sub_i32 s0, s17, s18
	s_add_u32 s0, s0, 0xff
	s_addc_u32 s6, 0, 0
	v_mov_b32_e32 v2, s0
	v_alignbit_b32 v2, s6, v2, 8
	s_cmp_lt_u32 s1, s10
	v_readfirstlane_b32 s0, v2
	s_cselect_b32 s10, s15, s0
	s_cmp_lt_i32 s10, 1
	s_mov_b32 s7, 0
	s_barrier
	s_cbranch_scc1 .LBB37_28
; %bb.7:
	s_load_dword s6, s[4:5], 0x6c
	s_load_dwordx2 s[0:1], s[4:5], 0x0
	s_waitcnt lgkmcnt(0)
	s_mul_i32 s4, s6, s19
	s_add_i32 s6, s4, s9
	s_lshl_b64 s[4:5], s[6:7], 2
	s_add_u32 s6, s0, s4
	s_addc_u32 s8, s1, s5
	s_and_b32 s9, s14, 0xff
	s_cmp_lt_u32 s10, 4
	s_cbranch_scc1 .LBB37_22
; %bb.8:
	v_add_u32_e32 v2, s18, v0
	v_add_u32_e32 v3, 0x200, v2
	;; [unrolled: 1-line block ×3, first 2 shown]
	v_mul_lo_u32 v6, s13, v3
	v_add_u32_e32 v3, 0x100, v2
	s_and_b32 s7, s10, 0x7ffffffc
	v_mul_lo_u32 v5, s13, v4
	s_lshl_b32 s14, s13, 10
	v_mul_lo_u32 v7, s13, v3
	v_mul_lo_u32 v8, s13, v2
	s_mov_b32 s15, 0
	v_mov_b32_e32 v3, 0
	v_mov_b32_e32 v9, 1
	s_mov_b32 s19, 0
	s_branch .LBB37_10
.LBB37_9:                               ;   in Loop: Header=BB37_10 Depth=1
	s_or_b64 exec, exec, s[4:5]
	s_add_i32 s19, s19, 4
	s_add_i32 s15, s15, s14
	s_cmp_eq_u32 s7, s19
	v_add_u32_e32 v4, 0x400, v4
	s_cbranch_scc1 .LBB37_22
.LBB37_10:                              ; =>This Inner Loop Header: Depth=1
	v_add_u32_e32 v2, 0xfffffd00, v4
	v_cmp_gt_u32_e64 s[0:1], s17, v2
	s_and_saveexec_b64 s[4:5], s[0:1]
	s_cbranch_execz .LBB37_13
; %bb.11:                               ;   in Loop: Header=BB37_10 Depth=1
	v_add_u32_e32 v2, s15, v8
	v_lshlrev_b64 v[10:11], 2, v[2:3]
	v_mov_b32_e32 v2, s8
	v_add_co_u32_e64 v10, s[0:1], s6, v10
	v_addc_co_u32_e64 v11, s[0:1], v2, v11, s[0:1]
	global_load_dword v2, v[10:11], off
	s_waitcnt vmcnt(0)
	v_xor_b32_e32 v2, 0x80000000, v2
	v_xor_b32_e32 v10, s12, v2
	v_and_b32_e32 v10, s11, v10
	v_cmp_eq_u32_e64 s[0:1], 0, v10
	s_and_b64 exec, exec, s[0:1]
	s_cbranch_execz .LBB37_13
; %bb.12:                               ;   in Loop: Header=BB37_10 Depth=1
	v_bfe_u32 v2, v2, s9, 8
	v_lshlrev_b32_e32 v2, 2, v2
	ds_add_u32 v2, v9
.LBB37_13:                              ;   in Loop: Header=BB37_10 Depth=1
	s_or_b64 exec, exec, s[4:5]
	v_add_u32_e32 v2, 0xfffffe00, v4
	v_cmp_gt_u32_e64 s[0:1], s17, v2
	s_and_saveexec_b64 s[4:5], s[0:1]
	s_cbranch_execz .LBB37_16
; %bb.14:                               ;   in Loop: Header=BB37_10 Depth=1
	v_add_u32_e32 v2, s15, v7
	v_lshlrev_b64 v[10:11], 2, v[2:3]
	v_mov_b32_e32 v2, s8
	v_add_co_u32_e64 v10, s[0:1], s6, v10
	v_addc_co_u32_e64 v11, s[0:1], v2, v11, s[0:1]
	global_load_dword v2, v[10:11], off
	s_waitcnt vmcnt(0)
	v_xor_b32_e32 v2, 0x80000000, v2
	v_xor_b32_e32 v10, s12, v2
	v_and_b32_e32 v10, s11, v10
	v_cmp_eq_u32_e64 s[0:1], 0, v10
	s_and_b64 exec, exec, s[0:1]
	s_cbranch_execz .LBB37_16
; %bb.15:                               ;   in Loop: Header=BB37_10 Depth=1
	v_bfe_u32 v2, v2, s9, 8
	v_lshlrev_b32_e32 v2, 2, v2
	ds_add_u32 v2, v9
.LBB37_16:                              ;   in Loop: Header=BB37_10 Depth=1
	s_or_b64 exec, exec, s[4:5]
	;; [unrolled: 24-line block ×3, first 2 shown]
	v_cmp_gt_u32_e64 s[0:1], s17, v4
	s_and_saveexec_b64 s[4:5], s[0:1]
	s_cbranch_execz .LBB37_9
; %bb.20:                               ;   in Loop: Header=BB37_10 Depth=1
	v_add_u32_e32 v2, s15, v5
	v_lshlrev_b64 v[10:11], 2, v[2:3]
	v_mov_b32_e32 v2, s8
	v_add_co_u32_e64 v10, s[0:1], s6, v10
	v_addc_co_u32_e64 v11, s[0:1], v2, v11, s[0:1]
	global_load_dword v2, v[10:11], off
	s_waitcnt vmcnt(0)
	v_xor_b32_e32 v2, 0x80000000, v2
	v_xor_b32_e32 v10, s12, v2
	v_and_b32_e32 v10, s11, v10
	v_cmp_eq_u32_e64 s[0:1], 0, v10
	s_and_b64 exec, exec, s[0:1]
	s_cbranch_execz .LBB37_9
; %bb.21:                               ;   in Loop: Header=BB37_10 Depth=1
	v_bfe_u32 v2, v2, s9, 8
	v_lshlrev_b32_e32 v2, 2, v2
	ds_add_u32 v2, v9
	s_branch .LBB37_9
.LBB37_22:
	s_and_b32 s10, s10, 3
	s_cmp_eq_u32 s10, 0
	s_cbranch_scc1 .LBB37_28
; %bb.23:
	s_lshl_b32 s0, s7, 8
	s_add_i32 s0, s0, s18
	v_add_u32_e32 v4, s0, v0
	v_mul_lo_u32 v2, s13, v4
	s_lshl_b32 s7, s13, 8
	v_mov_b32_e32 v3, 0
	v_mov_b32_e32 v5, 1
	s_branch .LBB37_25
.LBB37_24:                              ;   in Loop: Header=BB37_25 Depth=1
	s_or_b64 exec, exec, s[4:5]
	s_add_i32 s10, s10, -1
	v_add_u32_e32 v2, s7, v2
	s_cmp_lg_u32 s10, 0
	v_add_u32_e32 v4, 0x100, v4
	s_cbranch_scc0 .LBB37_28
.LBB37_25:                              ; =>This Inner Loop Header: Depth=1
	v_cmp_gt_u32_e64 s[0:1], s17, v4
	s_and_saveexec_b64 s[4:5], s[0:1]
	s_cbranch_execz .LBB37_24
; %bb.26:                               ;   in Loop: Header=BB37_25 Depth=1
	v_lshlrev_b64 v[6:7], 2, v[2:3]
	v_mov_b32_e32 v8, s8
	v_add_co_u32_e64 v6, s[0:1], s6, v6
	v_addc_co_u32_e64 v7, s[0:1], v8, v7, s[0:1]
	global_load_dword v6, v[6:7], off
	s_waitcnt vmcnt(0)
	v_xor_b32_e32 v6, 0x80000000, v6
	v_xor_b32_e32 v7, s12, v6
	v_and_b32_e32 v7, s11, v7
	v_cmp_eq_u32_e64 s[0:1], 0, v7
	s_and_b64 exec, exec, s[0:1]
	s_cbranch_execz .LBB37_24
; %bb.27:                               ;   in Loop: Header=BB37_25 Depth=1
	v_bfe_u32 v6, v6, s9, 8
	v_lshlrev_b32_e32 v6, 2, v6
	ds_add_u32 v6, v5
	s_branch .LBB37_24
.LBB37_28:
	v_mov_b32_e32 v2, 0
	s_waitcnt lgkmcnt(0)
	s_barrier
	s_and_saveexec_b64 s[0:1], vcc
	s_cbranch_execz .LBB37_30
; %bb.29:
	ds_read_b32 v2, v1
.LBB37_30:
	s_or_b64 exec, exec, s[0:1]
	s_and_saveexec_b64 s[0:1], vcc
	s_cbranch_execz .LBB37_32
; %bb.31:
	v_lshl_or_b32 v0, s16, 8, v0
	v_mov_b32_e32 v1, 0
	v_lshlrev_b64 v[0:1], 1, v[0:1]
	v_mov_b32_e32 v3, s3
	v_add_co_u32_e32 v0, vcc, s2, v0
	v_addc_co_u32_e32 v1, vcc, v3, v1, vcc
	s_waitcnt lgkmcnt(0)
	global_store_short v[0:1], v2, off
.LBB37_32:
	s_endpgm
	.section	.rodata,"a",@progbits
	.p2align	6, 0x0
	.amdhsa_kernel _ZN2at6native6mbtopk23computeBlockDigitCountsIijjLin1EEEvNS_4cuda6detail10TensorInfoIKT_T0_EEjPjjS8_iijT1_PSB_Ps
		.amdhsa_group_segment_fixed_size 1024
		.amdhsa_private_segment_fixed_size 0
		.amdhsa_kernarg_size 528
		.amdhsa_user_sgpr_count 6
		.amdhsa_user_sgpr_private_segment_buffer 1
		.amdhsa_user_sgpr_dispatch_ptr 0
		.amdhsa_user_sgpr_queue_ptr 0
		.amdhsa_user_sgpr_kernarg_segment_ptr 1
		.amdhsa_user_sgpr_dispatch_id 0
		.amdhsa_user_sgpr_flat_scratch_init 0
		.amdhsa_user_sgpr_kernarg_preload_length 0
		.amdhsa_user_sgpr_kernarg_preload_offset 0
		.amdhsa_user_sgpr_private_segment_size 0
		.amdhsa_uses_dynamic_stack 0
		.amdhsa_system_sgpr_private_segment_wavefront_offset 0
		.amdhsa_system_sgpr_workgroup_id_x 1
		.amdhsa_system_sgpr_workgroup_id_y 1
		.amdhsa_system_sgpr_workgroup_id_z 1
		.amdhsa_system_sgpr_workgroup_info 0
		.amdhsa_system_vgpr_workitem_id 0
		.amdhsa_next_free_vgpr 12
		.amdhsa_next_free_sgpr 24
		.amdhsa_accum_offset 12
		.amdhsa_reserve_vcc 1
		.amdhsa_reserve_flat_scratch 0
		.amdhsa_float_round_mode_32 0
		.amdhsa_float_round_mode_16_64 0
		.amdhsa_float_denorm_mode_32 3
		.amdhsa_float_denorm_mode_16_64 3
		.amdhsa_dx10_clamp 1
		.amdhsa_ieee_mode 1
		.amdhsa_fp16_overflow 0
		.amdhsa_tg_split 0
		.amdhsa_exception_fp_ieee_invalid_op 0
		.amdhsa_exception_fp_denorm_src 0
		.amdhsa_exception_fp_ieee_div_zero 0
		.amdhsa_exception_fp_ieee_overflow 0
		.amdhsa_exception_fp_ieee_underflow 0
		.amdhsa_exception_fp_ieee_inexact 0
		.amdhsa_exception_int_div_zero 0
	.end_amdhsa_kernel
	.section	.text._ZN2at6native6mbtopk23computeBlockDigitCountsIijjLin1EEEvNS_4cuda6detail10TensorInfoIKT_T0_EEjPjjS8_iijT1_PSB_Ps,"axG",@progbits,_ZN2at6native6mbtopk23computeBlockDigitCountsIijjLin1EEEvNS_4cuda6detail10TensorInfoIKT_T0_EEjPjjS8_iijT1_PSB_Ps,comdat
.Lfunc_end37:
	.size	_ZN2at6native6mbtopk23computeBlockDigitCountsIijjLin1EEEvNS_4cuda6detail10TensorInfoIKT_T0_EEjPjjS8_iijT1_PSB_Ps, .Lfunc_end37-_ZN2at6native6mbtopk23computeBlockDigitCountsIijjLin1EEEvNS_4cuda6detail10TensorInfoIKT_T0_EEjPjjS8_iijT1_PSB_Ps
                                        ; -- End function
	.section	.AMDGPU.csdata,"",@progbits
; Kernel info:
; codeLenInByte = 1440
; NumSgprs: 28
; NumVgprs: 12
; NumAgprs: 0
; TotalNumVgprs: 12
; ScratchSize: 0
; MemoryBound: 0
; FloatMode: 240
; IeeeMode: 1
; LDSByteSize: 1024 bytes/workgroup (compile time only)
; SGPRBlocks: 3
; VGPRBlocks: 1
; NumSGPRsForWavesPerEU: 28
; NumVGPRsForWavesPerEU: 12
; AccumOffset: 12
; Occupancy: 8
; WaveLimiterHint : 1
; COMPUTE_PGM_RSRC2:SCRATCH_EN: 0
; COMPUTE_PGM_RSRC2:USER_SGPR: 6
; COMPUTE_PGM_RSRC2:TRAP_HANDLER: 0
; COMPUTE_PGM_RSRC2:TGID_X_EN: 1
; COMPUTE_PGM_RSRC2:TGID_Y_EN: 1
; COMPUTE_PGM_RSRC2:TGID_Z_EN: 1
; COMPUTE_PGM_RSRC2:TIDIG_COMP_CNT: 0
; COMPUTE_PGM_RSRC3_GFX90A:ACCUM_OFFSET: 2
; COMPUTE_PGM_RSRC3_GFX90A:TG_SPLIT: 0
	.section	.text._ZN2at6native6mbtopk10gatherTopKIijLin1EEEvNS_4cuda6detail10TensorInfoIKT_T0_EES8_S8_bjS8_NS5_IS6_S8_EES8_NS5_IlS8_EES8_jjPS6_PjSD_j,"axG",@progbits,_ZN2at6native6mbtopk10gatherTopKIijLin1EEEvNS_4cuda6detail10TensorInfoIKT_T0_EES8_S8_bjS8_NS5_IS6_S8_EES8_NS5_IlS8_EES8_jjPS6_PjSD_j,comdat
	.protected	_ZN2at6native6mbtopk10gatherTopKIijLin1EEEvNS_4cuda6detail10TensorInfoIKT_T0_EES8_S8_bjS8_NS5_IS6_S8_EES8_NS5_IlS8_EES8_jjPS6_PjSD_j ; -- Begin function _ZN2at6native6mbtopk10gatherTopKIijLin1EEEvNS_4cuda6detail10TensorInfoIKT_T0_EES8_S8_bjS8_NS5_IS6_S8_EES8_NS5_IlS8_EES8_jjPS6_PjSD_j
	.globl	_ZN2at6native6mbtopk10gatherTopKIijLin1EEEvNS_4cuda6detail10TensorInfoIKT_T0_EES8_S8_bjS8_NS5_IS6_S8_EES8_NS5_IlS8_EES8_jjPS6_PjSD_j
	.p2align	8
	.type	_ZN2at6native6mbtopk10gatherTopKIijLin1EEEvNS_4cuda6detail10TensorInfoIKT_T0_EES8_S8_bjS8_NS5_IS6_S8_EES8_NS5_IlS8_EES8_jjPS6_PjSD_j,@function
_ZN2at6native6mbtopk10gatherTopKIijLin1EEEvNS_4cuda6detail10TensorInfoIKT_T0_EES8_S8_bjS8_NS5_IS6_S8_EES8_NS5_IlS8_EES8_jjPS6_PjSD_j: ; @_ZN2at6native6mbtopk10gatherTopKIijLin1EEEvNS_4cuda6detail10TensorInfoIKT_T0_EES8_S8_bjS8_NS5_IS6_S8_EES8_NS5_IlS8_EES8_jjPS6_PjSD_j
; %bb.0:
	s_load_dwordx2 s[0:1], s[4:5], 0x2d8
	s_load_dword s2, s[4:5], 0x2d0
	s_waitcnt lgkmcnt(0)
	s_mul_i32 s1, s1, s8
	s_add_i32 s1, s1, s7
	s_mul_i32 s12, s1, s0
	s_add_i32 s12, s12, s6
	s_cmp_ge_u32 s12, s2
	s_cbranch_scc1 .LBB38_49
; %bb.1:
	s_load_dwordx4 s[8:11], s[4:5], 0x2a8
	s_load_dword s0, s[4:5], 0xd0
	s_mov_b32 s7, 0
	s_waitcnt lgkmcnt(0)
	v_cvt_f32_u32_e32 v1, s10
	s_sub_i32 s1, 0, s10
	v_rcp_iflag_f32_e32 v1, v1
	v_mul_f32_e32 v1, 0x4f7ffffe, v1
	v_cvt_u32_f32_e32 v1, v1
	v_readfirstlane_b32 s2, v1
	s_mul_i32 s1, s1, s2
	s_mul_hi_u32 s1, s2, s1
	s_add_i32 s2, s2, s1
	s_mul_hi_u32 s1, s12, s2
	s_mul_i32 s2, s1, s10
	s_sub_i32 s2, s12, s2
	s_add_i32 s3, s1, 1
	s_sub_i32 s6, s2, s10
	s_cmp_ge_u32 s2, s10
	s_cselect_b32 s1, s3, s1
	s_cselect_b32 s2, s6, s2
	s_add_i32 s3, s1, 1
	s_cmp_ge_u32 s2, s10
	s_cselect_b32 s20, s3, s1
	s_cmp_lt_i32 s0, 2
	s_mov_b32 s6, s20
	s_cbranch_scc1 .LBB38_4
; %bb.2:
	s_add_i32 s6, s0, -1
	s_add_i32 s2, s0, 1
	s_lshl_b64 s[0:1], s[6:7], 2
	s_add_u32 s0, s0, s4
	s_addc_u32 s1, s1, s5
	s_add_u32 s0, s0, 8
	s_addc_u32 s1, s1, 0
	s_mov_b32 s6, s20
.LBB38_3:                               ; =>This Inner Loop Header: Depth=1
	s_load_dword s3, s[0:1], 0x0
	s_load_dword s13, s[0:1], 0x64
	s_mov_b32 s11, s6
	s_waitcnt lgkmcnt(0)
	v_cvt_f32_u32_e32 v1, s3
	s_sub_i32 s6, 0, s3
	v_rcp_iflag_f32_e32 v1, v1
	v_mul_f32_e32 v1, 0x4f7ffffe, v1
	v_cvt_u32_f32_e32 v1, v1
	v_readfirstlane_b32 s14, v1
	s_mul_i32 s6, s6, s14
	s_mul_hi_u32 s6, s14, s6
	s_add_i32 s14, s14, s6
	s_mul_hi_u32 s6, s11, s14
	s_mul_i32 s14, s6, s3
	s_sub_i32 s14, s11, s14
	s_add_i32 s15, s6, 1
	s_sub_i32 s16, s14, s3
	s_cmp_ge_u32 s14, s3
	s_cselect_b32 s6, s15, s6
	s_cselect_b32 s14, s16, s14
	s_add_i32 s15, s6, 1
	s_cmp_ge_u32 s14, s3
	s_cselect_b32 s6, s15, s6
	s_mul_i32 s3, s6, s3
	s_sub_i32 s3, s11, s3
	s_mul_i32 s3, s13, s3
	s_add_i32 s2, s2, -1
	s_add_i32 s7, s3, s7
	s_add_u32 s0, s0, -4
	s_addc_u32 s1, s1, -1
	s_cmp_gt_u32 s2, 2
	s_cbranch_scc1 .LBB38_3
.LBB38_4:
	s_load_dword s2, s[4:5], 0x1c0
	s_add_u32 s0, s4, 0xf0
	s_addc_u32 s1, s5, 0
	s_mov_b32 s23, 0
	s_mov_b32 s22, s20
	s_waitcnt lgkmcnt(0)
	s_cmp_lt_i32 s2, 2
	s_cbranch_scc1 .LBB38_7
; %bb.5:
	s_add_i32 s22, s2, -1
	s_add_i32 s11, s2, 1
	s_lshl_b64 s[2:3], s[22:23], 2
	s_add_u32 s2, s2, s0
	s_addc_u32 s3, s3, s1
	s_add_u32 s2, s2, 8
	s_addc_u32 s3, s3, 0
	s_mov_b32 s22, s20
.LBB38_6:                               ; =>This Inner Loop Header: Depth=1
	s_load_dword s13, s[2:3], 0x0
	s_load_dword s15, s[2:3], 0x64
	s_mov_b32 s14, s22
	s_waitcnt lgkmcnt(0)
	v_cvt_f32_u32_e32 v1, s13
	s_sub_i32 s16, 0, s13
	v_rcp_iflag_f32_e32 v1, v1
	v_mul_f32_e32 v1, 0x4f7ffffe, v1
	v_cvt_u32_f32_e32 v1, v1
	v_readfirstlane_b32 s17, v1
	s_mul_i32 s16, s16, s17
	s_mul_hi_u32 s16, s17, s16
	s_add_i32 s17, s17, s16
	s_mul_hi_u32 s16, s22, s17
	s_mul_i32 s17, s16, s13
	s_sub_i32 s17, s22, s17
	s_add_i32 s18, s16, 1
	s_sub_i32 s19, s17, s13
	s_cmp_ge_u32 s17, s13
	s_cselect_b32 s16, s18, s16
	s_cselect_b32 s17, s19, s17
	s_add_i32 s18, s16, 1
	s_cmp_ge_u32 s17, s13
	s_cselect_b32 s22, s18, s16
	s_mul_i32 s13, s22, s13
	s_sub_i32 s13, s14, s13
	s_mul_i32 s13, s15, s13
	s_add_i32 s11, s11, -1
	s_add_i32 s23, s13, s23
	s_add_u32 s2, s2, -4
	s_addc_u32 s3, s3, -1
	s_cmp_gt_u32 s11, 2
	s_cbranch_scc1 .LBB38_6
.LBB38_7:
	s_load_dword s33, s[4:5], 0x6c
	s_load_dword s13, s[4:5], 0x2a0
	s_add_u32 s2, s4, 0x1d0
	s_addc_u32 s3, s5, 0
	s_mov_b32 s25, 0
	s_mov_b32 s24, s20
	s_waitcnt lgkmcnt(0)
	s_cmp_lt_i32 s13, 2
	s_cbranch_scc1 .LBB38_10
; %bb.8:
	s_add_i32 s24, s13, -1
	s_add_i32 s11, s13, 1
	s_lshl_b64 s[14:15], s[24:25], 2
	s_add_u32 s2, s14, s2
	s_addc_u32 s3, s15, s3
	s_add_u32 s2, s2, 8
	s_addc_u32 s3, s3, 0
	s_mov_b32 s24, s20
.LBB38_9:                               ; =>This Inner Loop Header: Depth=1
	s_load_dword s13, s[2:3], 0x0
	s_load_dword s15, s[2:3], 0x64
	s_mov_b32 s14, s24
	s_waitcnt lgkmcnt(0)
	v_cvt_f32_u32_e32 v1, s13
	s_sub_i32 s16, 0, s13
	v_rcp_iflag_f32_e32 v1, v1
	v_mul_f32_e32 v1, 0x4f7ffffe, v1
	v_cvt_u32_f32_e32 v1, v1
	v_readfirstlane_b32 s17, v1
	s_mul_i32 s16, s16, s17
	s_mul_hi_u32 s16, s17, s16
	s_add_i32 s17, s17, s16
	s_mul_hi_u32 s16, s24, s17
	s_mul_i32 s17, s16, s13
	s_sub_i32 s17, s24, s17
	s_add_i32 s18, s16, 1
	s_sub_i32 s19, s17, s13
	s_cmp_ge_u32 s17, s13
	s_cselect_b32 s16, s18, s16
	s_cselect_b32 s17, s19, s17
	s_add_i32 s18, s16, 1
	s_cmp_ge_u32 s17, s13
	s_cselect_b32 s24, s18, s16
	s_mul_i32 s13, s24, s13
	s_sub_i32 s13, s14, s13
	s_mul_i32 s13, s15, s13
	s_add_i32 s11, s11, -1
	s_add_i32 s25, s13, s25
	s_add_u32 s2, s2, -4
	s_addc_u32 s3, s3, -1
	s_cmp_gt_u32 s11, 2
	s_cbranch_scc1 .LBB38_9
.LBB38_10:
	s_mul_i32 s16, s20, s10
	s_sub_i32 s11, s12, s16
	s_load_dwordx4 s[12:15], s[4:5], 0x2b8
	s_load_dwordx2 s[30:31], s[4:5], 0x0
	s_load_dwordx2 s[28:29], s[4:5], 0xf0
	;; [unrolled: 1-line block ×3, first 2 shown]
	s_mov_b32 s21, 0
	s_load_dword s40, s[0:1], 0x6c
	s_lshl_b64 s[0:1], s[20:21], 2
	s_waitcnt lgkmcnt(0)
	s_add_u32 s0, s12, s0
	s_addc_u32 s1, s13, s1
	s_load_dword s20, s[0:1], 0x0
	v_cmp_ne_u32_e64 s[0:1], 0, v0
	v_cmp_eq_u32_e64 s[2:3], 0, v0
	s_and_saveexec_b64 s[12:13], s[2:3]
	s_cbranch_execz .LBB38_26
; %bb.11:
	s_load_dwordx2 s[34:35], s[4:5], 0x2c8
	s_mov_b32 s17, s21
	s_lshl_b64 s[36:37], s[16:17], 2
	s_add_u32 s16, s14, s36
	s_addc_u32 s17, s15, s37
	s_waitcnt lgkmcnt(0)
	s_add_u32 s18, s34, s36
	s_addc_u32 s19, s35, s37
	s_mov_b32 s41, 0
	s_mov_b32 s42, 0
	s_cmp_lt_u32 s10, 4
	s_cbranch_scc1 .LBB38_23
; %bb.12:
	s_mov_b32 s43, 0
.LBB38_13:                              ; =>This Inner Loop Header: Depth=1
	s_add_u32 s16, s14, s36
	s_addc_u32 s17, s15, s37
	s_load_dwordx4 s[16:19], s[16:17], 0x0
	s_add_u32 s38, s34, s36
	s_addc_u32 s39, s35, s37
	s_cmp_ge_u32 s43, s11
	s_cbranch_scc0 .LBB38_20
; %bb.14:                               ;   in Loop: Header=BB38_13 Depth=1
	s_add_i32 s44, s43, 1
	s_cmp_ge_u32 s44, s11
	s_cbranch_scc0 .LBB38_21
.LBB38_15:                              ;   in Loop: Header=BB38_13 Depth=1
	s_add_i32 s44, s44, 1
	s_cmp_ge_u32 s44, s11
	s_cbranch_scc0 .LBB38_22
.LBB38_16:                              ;   in Loop: Header=BB38_13 Depth=1
	s_add_i32 s44, s44, 1
	s_cmp_ge_u32 s44, s11
	s_cbranch_scc1 .LBB38_18
.LBB38_17:                              ;   in Loop: Header=BB38_13 Depth=1
	s_load_dword s38, s[38:39], 0xc
	s_waitcnt lgkmcnt(0)
	s_add_i32 s21, s21, s19
	s_add_i32 s41, s38, s41
.LBB38_18:                              ;   in Loop: Header=BB38_13 Depth=1
	s_waitcnt lgkmcnt(0)
	s_add_i32 s16, s16, s42
	s_add_i32 s16, s16, s17
	;; [unrolled: 1-line block ×4, first 2 shown]
	s_add_u32 s14, s14, 16
	s_addc_u32 s15, s15, 0
	s_add_u32 s34, s34, 16
	s_addc_u32 s35, s35, 0
	s_add_i32 s39, s44, 4
	s_add_u32 s18, s34, s36
	s_addc_u32 s19, s35, s37
	s_add_u32 s16, s14, s36
	s_addc_u32 s17, s15, s37
	s_add_i32 s38, s44, 1
	s_cmp_ge_u32 s39, s10
	s_cbranch_scc1 .LBB38_24
; %bb.19:                               ;   in Loop: Header=BB38_13 Depth=1
	s_mov_b32 s43, s38
	s_branch .LBB38_13
.LBB38_20:                              ;   in Loop: Header=BB38_13 Depth=1
	s_load_dword s44, s[38:39], 0x0
	s_waitcnt lgkmcnt(0)
	s_add_i32 s21, s16, s21
	s_add_i32 s41, s44, s41
	;; [unrolled: 1-line block ×3, first 2 shown]
	s_cmp_ge_u32 s44, s11
	s_cbranch_scc1 .LBB38_15
.LBB38_21:                              ;   in Loop: Header=BB38_13 Depth=1
	s_load_dword s45, s[38:39], 0x4
	s_waitcnt lgkmcnt(0)
	s_add_i32 s21, s21, s17
	s_add_i32 s41, s45, s41
	;; [unrolled: 1-line block ×3, first 2 shown]
	s_cmp_ge_u32 s44, s11
	s_cbranch_scc1 .LBB38_16
.LBB38_22:                              ;   in Loop: Header=BB38_13 Depth=1
	s_load_dword s45, s[38:39], 0x8
	s_waitcnt lgkmcnt(0)
	s_add_i32 s21, s21, s18
	s_add_i32 s41, s45, s41
	;; [unrolled: 1-line block ×3, first 2 shown]
	s_cmp_ge_u32 s44, s11
	s_cbranch_scc0 .LBB38_17
	s_branch .LBB38_18
.LBB38_23:
	s_mov_b32 s14, 0
	s_cmp_ge_u32 s14, s10
	s_cbranch_scc0 .LBB38_47
	s_branch .LBB38_25
.LBB38_24:
	s_add_i32 s14, s43, 4
	s_cmp_ge_u32 s14, s10
	s_cbranch_scc0 .LBB38_47
.LBB38_25:
	v_mov_b32_e32 v2, s41
	v_mov_b32_e32 v3, s42
	;; [unrolled: 1-line block ×4, first 2 shown]
	ds_write_b96 v1, v[2:4] offset:1056
.LBB38_26:
	s_or_b64 exec, exec, s[12:13]
	s_load_dword s16, s[4:5], 0x23c
	s_load_dwordx4 s[12:15], s[4:5], 0xd8
	s_mul_i32 s17, s9, s11
	s_lshl_b32 s34, s17, 8
	s_waitcnt lgkmcnt(0)
	s_add_i32 s15, s11, 1
	s_mov_b32 s11, 0
	s_sub_i32 s17, s12, s34
	s_add_u32 s17, s17, 0xff
	s_addc_u32 s18, 0, 0
	v_mov_b32_e32 v1, s17
	v_alignbit_b32 v1, s18, v1, 8
	s_cmp_lt_u32 s15, s10
	v_readfirstlane_b32 s10, v1
	s_cselect_b32 s9, s9, s10
	s_cmp_eq_u32 s9, 0
	s_barrier
	s_cbranch_scc1 .LBB38_49
; %bb.27:
	s_mul_i32 s10, s40, s22
	s_mul_i32 s6, s33, s6
	s_add_i32 s18, s10, s23
	s_add_i32 s10, s6, s7
	s_mul_i32 s6, s16, s24
	v_mov_b32_e32 v1, 0
	s_add_i32 s6, s6, s25
	s_lshl_b64 s[16:17], s[10:11], 2
	ds_read_b96 v[2:4], v1 offset:1056
	s_add_u32 s15, s30, s16
	s_mov_b32 s19, s11
	s_addc_u32 s16, s31, s17
	s_lshl_b64 s[18:19], s[18:19], 2
	s_add_u32 s17, s28, s18
	s_mov_b32 s7, s11
	s_addc_u32 s18, s29, s19
	s_lshl_b64 s[6:7], s[6:7], 3
	s_add_u32 s19, s26, s6
	s_waitcnt lgkmcnt(0)
	v_add_u32_e32 v5, v2, v3
	v_lshrrev_b32_e32 v2, 5, v0
	s_addc_u32 s21, s27, s7
	s_xor_b32 s22, s20, 0x80000000
	v_add_lshl_u32 v6, v2, v0, 2
	v_lshlrev_b32_e32 v2, 2, v0
	v_lshrrev_b32_e32 v3, 3, v0
	s_bitcmp1_b32 s14, 0
	s_load_dword s10, s[4:5], 0xe8
	s_load_dword s14, s[4:5], 0x1c8
	v_add_lshl_u32 v7, v3, v2, 2
	v_add_u32_e32 v2, -1, v0
	v_lshrrev_b32_e32 v3, 5, v2
	v_add_lshl_u32 v8, v3, v2, 2
	v_mbcnt_lo_u32_b32 v3, -1, 0
	v_add_u32_e32 v2, s34, v0
	v_mbcnt_hi_u32_b32 v9, -1, v3
	s_cselect_b64 s[6:7], -1, 0
	v_cmp_gt_u32_e64 s[4:5], 64, v0
	s_waitcnt lgkmcnt(0)
	v_mul_lo_u32 v0, s10, v2
	s_lshl_b32 s23, s10, 8
	v_and_b32_e32 v10, 15, v9
	v_bfe_i32 v11, v9, 4, 1
	v_add_u32_e32 v12, -1, v9
	v_and_b32_e32 v13, 64, v9
                                        ; implicit-def: $vgpr14
	s_branch .LBB38_30
.LBB38_28:                              ;   in Loop: Header=BB38_30 Depth=1
	s_or_b64 exec, exec, s[10:11]
	v_add_u32_e32 v5, v17, v5
.LBB38_29:                              ;   in Loop: Header=BB38_30 Depth=1
	s_add_i32 s9, s9, -1
	v_add_u32_e32 v4, v16, v4
	v_add_u32_e32 v0, s23, v0
	s_cmp_lg_u32 s9, 0
	v_add_u32_e32 v2, 0x100, v2
	s_cbranch_scc0 .LBB38_49
.LBB38_30:                              ; =>This Inner Loop Header: Depth=1
	v_cmp_gt_u32_e32 vcc, s12, v2
	v_mov_b32_e32 v3, 0
	v_mov_b32_e32 v15, 0
	s_and_saveexec_b64 s[10:11], vcc
	s_cbranch_execz .LBB38_32
; %bb.31:                               ;   in Loop: Header=BB38_30 Depth=1
	v_lshlrev_b64 v[14:15], 2, v[0:1]
	v_mov_b32_e32 v3, s16
	v_add_co_u32_e32 v14, vcc, s15, v14
	v_addc_co_u32_e32 v15, vcc, v3, v15, vcc
	global_load_dword v14, v[14:15], off
	s_waitcnt vmcnt(0)
	v_xor_b32_e32 v3, 0x80000000, v14
	v_cmp_lt_u32_e32 vcc, s22, v3
	v_cndmask_b32_e64 v15, 0, 1, vcc
	v_cmp_gt_u32_e32 vcc, s22, v3
	v_cndmask_b32_e64 v3, 0, 1, vcc
	v_cndmask_b32_e64 v3, v3, v15, s[6:7]
	v_cmp_eq_u32_e32 vcc, s20, v14
	v_and_b32_e32 v3, 1, v3
	v_cndmask_b32_e64 v15, 0, 1, vcc
.LBB38_32:                              ;   in Loop: Header=BB38_30 Depth=1
	s_or_b64 exec, exec, s[10:11]
	ds_write_b32 v6, v3
	s_waitcnt lgkmcnt(0)
	s_barrier
	s_and_saveexec_b64 s[10:11], s[4:5]
	s_cbranch_execz .LBB38_34
; %bb.33:                               ;   in Loop: Header=BB38_30 Depth=1
	ds_read2_b32 v[16:17], v7 offset1:1
	ds_read2_b32 v[18:19], v7 offset0:2 offset1:3
	v_cmp_ne_u32_e32 vcc, 0, v10
	; wave barrier
	s_waitcnt lgkmcnt(1)
	v_add_u32_e32 v17, v17, v16
	s_waitcnt lgkmcnt(0)
	v_add3_u32 v17, v17, v18, v19
	s_nop 1
	v_mov_b32_dpp v18, v17 row_shr:1 row_mask:0xf bank_mask:0xf
	v_cndmask_b32_e32 v18, 0, v18, vcc
	v_add_u32_e32 v17, v18, v17
	v_cmp_lt_u32_e32 vcc, 1, v10
	s_nop 0
	v_mov_b32_dpp v18, v17 row_shr:2 row_mask:0xf bank_mask:0xf
	v_cndmask_b32_e32 v18, 0, v18, vcc
	v_add_u32_e32 v17, v17, v18
	v_cmp_lt_u32_e32 vcc, 3, v10
	;; [unrolled: 5-line block ×4, first 2 shown]
	s_nop 0
	v_mov_b32_dpp v18, v17 row_bcast:15 row_mask:0xf bank_mask:0xf
	v_and_b32_e32 v18, v11, v18
	v_add_u32_e32 v17, v17, v18
	s_nop 1
	v_mov_b32_dpp v18, v17 row_bcast:31 row_mask:0xf bank_mask:0xf
	v_cndmask_b32_e32 v18, 0, v18, vcc
	v_cmp_lt_i32_e32 vcc, v12, v13
	v_add_u32_e32 v17, v17, v18
	v_cndmask_b32_e32 v18, v12, v9, vcc
	v_lshlrev_b32_e32 v18, 2, v18
	ds_bpermute_b32 v17, v18, v17
	s_waitcnt lgkmcnt(0)
	v_add_u32_e32 v16, v17, v16
	v_cndmask_b32_e64 v18, v16, v3, s[2:3]
	ds_write_b32 v7, v18
	; wave barrier
	ds_read2_b32 v[16:17], v7 offset0:1 offset1:2
	ds_read_b32 v19, v7 offset:12
	s_waitcnt lgkmcnt(1)
	v_add_u32_e32 v16, v16, v18
	v_add_u32_e32 v17, v17, v16
	ds_write2_b32 v7, v16, v17 offset0:1 offset1:2
	s_waitcnt lgkmcnt(1)
	v_add_u32_e32 v16, v19, v17
	ds_write_b32 v7, v16 offset:12
.LBB38_34:                              ;   in Loop: Header=BB38_30 Depth=1
	s_or_b64 exec, exec, s[10:11]
	v_mov_b32_e32 v17, 0
	s_waitcnt lgkmcnt(0)
	s_barrier
	s_and_saveexec_b64 s[10:11], s[0:1]
	s_cbranch_execz .LBB38_36
; %bb.35:                               ;   in Loop: Header=BB38_30 Depth=1
	ds_read_b32 v17, v8
.LBB38_36:                              ;   in Loop: Header=BB38_30 Depth=1
	s_or_b64 exec, exec, s[10:11]
	ds_read_b32 v16, v1 offset:1048
	v_cmp_ne_u32_e32 vcc, 0, v3
	s_waitcnt lgkmcnt(0)
	s_barrier
	s_and_saveexec_b64 s[10:11], vcc
	s_cbranch_execz .LBB38_38
; %bb.37:                               ;   in Loop: Header=BB38_30 Depth=1
	v_add_u32_e32 v17, v17, v4
	v_mul_lo_u32 v18, v17, s14
	v_mov_b32_e32 v19, v1
	v_lshlrev_b64 v[18:19], 2, v[18:19]
	v_mov_b32_e32 v3, s18
	v_add_co_u32_e32 v18, vcc, s17, v18
	v_addc_co_u32_e32 v19, vcc, v3, v19, vcc
	global_store_dword v[18:19], v14, off
	v_mul_lo_u32 v18, v17, s8
	v_mov_b32_e32 v19, v1
	v_lshlrev_b64 v[18:19], 3, v[18:19]
	v_mov_b32_e32 v17, s21
	v_add_co_u32_e32 v18, vcc, s19, v18
	v_mov_b32_e32 v3, v1
	v_addc_co_u32_e32 v19, vcc, v17, v19, vcc
	global_store_dwordx2 v[18:19], v[2:3], off
.LBB38_38:                              ;   in Loop: Header=BB38_30 Depth=1
	s_or_b64 exec, exec, s[10:11]
	v_cmp_le_u32_e32 vcc, s13, v5
	s_cbranch_vccnz .LBB38_29
; %bb.39:                               ;   in Loop: Header=BB38_30 Depth=1
	ds_write_b32 v6, v15
	s_waitcnt lgkmcnt(0)
	s_barrier
	s_and_saveexec_b64 s[10:11], s[4:5]
	s_cbranch_execz .LBB38_41
; %bb.40:                               ;   in Loop: Header=BB38_30 Depth=1
	ds_read2_b32 v[18:19], v7 offset1:1
	ds_read2_b32 v[20:21], v7 offset0:2 offset1:3
	v_cmp_ne_u32_e32 vcc, 0, v10
	; wave barrier
	s_waitcnt lgkmcnt(1)
	v_add_u32_e32 v3, v19, v18
	s_waitcnt lgkmcnt(0)
	v_add3_u32 v3, v3, v20, v21
	s_nop 1
	v_mov_b32_dpp v17, v3 row_shr:1 row_mask:0xf bank_mask:0xf
	v_cndmask_b32_e32 v17, 0, v17, vcc
	v_add_u32_e32 v3, v17, v3
	v_cmp_lt_u32_e32 vcc, 1, v10
	s_nop 0
	v_mov_b32_dpp v17, v3 row_shr:2 row_mask:0xf bank_mask:0xf
	v_cndmask_b32_e32 v17, 0, v17, vcc
	v_add_u32_e32 v3, v3, v17
	v_cmp_lt_u32_e32 vcc, 3, v10
	;; [unrolled: 5-line block ×4, first 2 shown]
	s_nop 0
	v_mov_b32_dpp v17, v3 row_bcast:15 row_mask:0xf bank_mask:0xf
	v_and_b32_e32 v17, v11, v17
	v_add_u32_e32 v3, v3, v17
	s_nop 1
	v_mov_b32_dpp v17, v3 row_bcast:31 row_mask:0xf bank_mask:0xf
	v_cndmask_b32_e32 v17, 0, v17, vcc
	v_cmp_lt_i32_e32 vcc, v12, v13
	v_add_u32_e32 v3, v3, v17
	v_cndmask_b32_e32 v17, v12, v9, vcc
	v_lshlrev_b32_e32 v17, 2, v17
	ds_bpermute_b32 v3, v17, v3
	s_waitcnt lgkmcnt(0)
	v_add_u32_e32 v3, v3, v18
	v_cndmask_b32_e64 v3, v3, v15, s[2:3]
	ds_write_b32 v7, v3
	; wave barrier
	ds_read2_b32 v[18:19], v7 offset0:1 offset1:2
	ds_read_b32 v17, v7 offset:12
	s_waitcnt lgkmcnt(1)
	v_add_u32_e32 v3, v18, v3
	v_add_u32_e32 v18, v19, v3
	ds_write2_b32 v7, v3, v18 offset0:1 offset1:2
	s_waitcnt lgkmcnt(1)
	v_add_u32_e32 v3, v17, v18
	ds_write_b32 v7, v3 offset:12
.LBB38_41:                              ;   in Loop: Header=BB38_30 Depth=1
	s_or_b64 exec, exec, s[10:11]
	v_mov_b32_e32 v3, 0
	s_waitcnt lgkmcnt(0)
	s_barrier
	s_and_saveexec_b64 s[10:11], s[0:1]
	s_cbranch_execz .LBB38_43
; %bb.42:                               ;   in Loop: Header=BB38_30 Depth=1
	ds_read_b32 v3, v8
.LBB38_43:                              ;   in Loop: Header=BB38_30 Depth=1
	s_or_b64 exec, exec, s[10:11]
	ds_read_b32 v17, v1 offset:1048
	v_cmp_ne_u32_e32 vcc, 0, v15
	s_waitcnt lgkmcnt(0)
	s_barrier
	s_and_saveexec_b64 s[10:11], vcc
	s_cbranch_execz .LBB38_28
; %bb.44:                               ;   in Loop: Header=BB38_30 Depth=1
	v_add_u32_e32 v15, v3, v5
	v_cmp_gt_u32_e32 vcc, s13, v15
	s_and_b64 exec, exec, vcc
	s_cbranch_execz .LBB38_28
; %bb.45:                               ;   in Loop: Header=BB38_30 Depth=1
	v_mul_lo_u32 v18, v15, s14
	v_mov_b32_e32 v19, v1
	v_lshlrev_b64 v[18:19], 2, v[18:19]
	v_mov_b32_e32 v3, s18
	v_add_co_u32_e32 v18, vcc, s17, v18
	v_addc_co_u32_e32 v19, vcc, v3, v19, vcc
	global_store_dword v[18:19], v14, off
	v_mul_lo_u32 v18, v15, s8
	v_mov_b32_e32 v19, v1
	v_lshlrev_b64 v[18:19], 3, v[18:19]
	v_mov_b32_e32 v15, s21
	v_add_co_u32_e32 v18, vcc, s19, v18
	v_mov_b32_e32 v3, v1
	v_addc_co_u32_e32 v19, vcc, v15, v19, vcc
	global_store_dwordx2 v[18:19], v[2:3], off
	s_branch .LBB38_28
.LBB38_46:                              ;   in Loop: Header=BB38_47 Depth=1
	s_add_u32 s16, s16, 4
	s_addc_u32 s17, s17, 0
	s_waitcnt lgkmcnt(0)
	s_add_i32 s42, s15, s42
	s_add_u32 s18, s18, 4
	s_addc_u32 s19, s19, 0
	s_add_i32 s14, s14, 1
	s_cmp_lt_u32 s14, s10
	s_cbranch_scc0 .LBB38_25
.LBB38_47:                              ; =>This Inner Loop Header: Depth=1
	s_load_dword s15, s[16:17], 0x0
	s_cmp_ge_u32 s14, s11
	s_cbranch_scc1 .LBB38_46
; %bb.48:                               ;   in Loop: Header=BB38_47 Depth=1
	s_load_dword s34, s[18:19], 0x0
	s_waitcnt lgkmcnt(0)
	s_add_i32 s21, s15, s21
	s_add_i32 s41, s34, s41
	s_branch .LBB38_46
.LBB38_49:
	s_endpgm
	.section	.rodata,"a",@progbits
	.p2align	6, 0x0
	.amdhsa_kernel _ZN2at6native6mbtopk10gatherTopKIijLin1EEEvNS_4cuda6detail10TensorInfoIKT_T0_EES8_S8_bjS8_NS5_IS6_S8_EES8_NS5_IlS8_EES8_jjPS6_PjSD_j
		.amdhsa_group_segment_fixed_size 1068
		.amdhsa_private_segment_fixed_size 0
		.amdhsa_kernarg_size 984
		.amdhsa_user_sgpr_count 6
		.amdhsa_user_sgpr_private_segment_buffer 1
		.amdhsa_user_sgpr_dispatch_ptr 0
		.amdhsa_user_sgpr_queue_ptr 0
		.amdhsa_user_sgpr_kernarg_segment_ptr 1
		.amdhsa_user_sgpr_dispatch_id 0
		.amdhsa_user_sgpr_flat_scratch_init 0
		.amdhsa_user_sgpr_kernarg_preload_length 0
		.amdhsa_user_sgpr_kernarg_preload_offset 0
		.amdhsa_user_sgpr_private_segment_size 0
		.amdhsa_uses_dynamic_stack 0
		.amdhsa_system_sgpr_private_segment_wavefront_offset 0
		.amdhsa_system_sgpr_workgroup_id_x 1
		.amdhsa_system_sgpr_workgroup_id_y 1
		.amdhsa_system_sgpr_workgroup_id_z 1
		.amdhsa_system_sgpr_workgroup_info 0
		.amdhsa_system_vgpr_workitem_id 0
		.amdhsa_next_free_vgpr 22
		.amdhsa_next_free_sgpr 46
		.amdhsa_accum_offset 24
		.amdhsa_reserve_vcc 1
		.amdhsa_reserve_flat_scratch 0
		.amdhsa_float_round_mode_32 0
		.amdhsa_float_round_mode_16_64 0
		.amdhsa_float_denorm_mode_32 3
		.amdhsa_float_denorm_mode_16_64 3
		.amdhsa_dx10_clamp 1
		.amdhsa_ieee_mode 1
		.amdhsa_fp16_overflow 0
		.amdhsa_tg_split 0
		.amdhsa_exception_fp_ieee_invalid_op 0
		.amdhsa_exception_fp_denorm_src 0
		.amdhsa_exception_fp_ieee_div_zero 0
		.amdhsa_exception_fp_ieee_overflow 0
		.amdhsa_exception_fp_ieee_underflow 0
		.amdhsa_exception_fp_ieee_inexact 0
		.amdhsa_exception_int_div_zero 0
	.end_amdhsa_kernel
	.section	.text._ZN2at6native6mbtopk10gatherTopKIijLin1EEEvNS_4cuda6detail10TensorInfoIKT_T0_EES8_S8_bjS8_NS5_IS6_S8_EES8_NS5_IlS8_EES8_jjPS6_PjSD_j,"axG",@progbits,_ZN2at6native6mbtopk10gatherTopKIijLin1EEEvNS_4cuda6detail10TensorInfoIKT_T0_EES8_S8_bjS8_NS5_IS6_S8_EES8_NS5_IlS8_EES8_jjPS6_PjSD_j,comdat
.Lfunc_end38:
	.size	_ZN2at6native6mbtopk10gatherTopKIijLin1EEEvNS_4cuda6detail10TensorInfoIKT_T0_EES8_S8_bjS8_NS5_IS6_S8_EES8_NS5_IlS8_EES8_jjPS6_PjSD_j, .Lfunc_end38-_ZN2at6native6mbtopk10gatherTopKIijLin1EEEvNS_4cuda6detail10TensorInfoIKT_T0_EES8_S8_bjS8_NS5_IS6_S8_EES8_NS5_IlS8_EES8_jjPS6_PjSD_j
                                        ; -- End function
	.section	.AMDGPU.csdata,"",@progbits
; Kernel info:
; codeLenInByte = 2728
; NumSgprs: 50
; NumVgprs: 22
; NumAgprs: 0
; TotalNumVgprs: 22
; ScratchSize: 0
; MemoryBound: 0
; FloatMode: 240
; IeeeMode: 1
; LDSByteSize: 1068 bytes/workgroup (compile time only)
; SGPRBlocks: 6
; VGPRBlocks: 2
; NumSGPRsForWavesPerEU: 50
; NumVGPRsForWavesPerEU: 22
; AccumOffset: 24
; Occupancy: 8
; WaveLimiterHint : 1
; COMPUTE_PGM_RSRC2:SCRATCH_EN: 0
; COMPUTE_PGM_RSRC2:USER_SGPR: 6
; COMPUTE_PGM_RSRC2:TRAP_HANDLER: 0
; COMPUTE_PGM_RSRC2:TGID_X_EN: 1
; COMPUTE_PGM_RSRC2:TGID_Y_EN: 1
; COMPUTE_PGM_RSRC2:TGID_Z_EN: 1
; COMPUTE_PGM_RSRC2:TIDIG_COMP_CNT: 0
; COMPUTE_PGM_RSRC3_GFX90A:ACCUM_OFFSET: 5
; COMPUTE_PGM_RSRC3_GFX90A:TG_SPLIT: 0
	.section	.text._ZN2at6native6sbtopk10gatherTopKIijLin1ELb0EEEvNS_4cuda6detail10TensorInfoIKT_T0_EES8_S8_bS8_S8_NS5_IS6_S8_EES8_NS5_IlS8_EES8_PS6_,"axG",@progbits,_ZN2at6native6sbtopk10gatherTopKIijLin1ELb0EEEvNS_4cuda6detail10TensorInfoIKT_T0_EES8_S8_bS8_S8_NS5_IS6_S8_EES8_NS5_IlS8_EES8_PS6_,comdat
	.protected	_ZN2at6native6sbtopk10gatherTopKIijLin1ELb0EEEvNS_4cuda6detail10TensorInfoIKT_T0_EES8_S8_bS8_S8_NS5_IS6_S8_EES8_NS5_IlS8_EES8_PS6_ ; -- Begin function _ZN2at6native6sbtopk10gatherTopKIijLin1ELb0EEEvNS_4cuda6detail10TensorInfoIKT_T0_EES8_S8_bS8_S8_NS5_IS6_S8_EES8_NS5_IlS8_EES8_PS6_
	.globl	_ZN2at6native6sbtopk10gatherTopKIijLin1ELb0EEEvNS_4cuda6detail10TensorInfoIKT_T0_EES8_S8_bS8_S8_NS5_IS6_S8_EES8_NS5_IlS8_EES8_PS6_
	.p2align	8
	.type	_ZN2at6native6sbtopk10gatherTopKIijLin1ELb0EEEvNS_4cuda6detail10TensorInfoIKT_T0_EES8_S8_bS8_S8_NS5_IS6_S8_EES8_NS5_IlS8_EES8_PS6_,@function
_ZN2at6native6sbtopk10gatherTopKIijLin1ELb0EEEvNS_4cuda6detail10TensorInfoIKT_T0_EES8_S8_bS8_S8_NS5_IS6_S8_EES8_NS5_IlS8_EES8_PS6_: ; @_ZN2at6native6sbtopk10gatherTopKIijLin1ELb0EEEvNS_4cuda6detail10TensorInfoIKT_T0_EES8_S8_bS8_S8_NS5_IS6_S8_EES8_NS5_IlS8_EES8_PS6_
; %bb.0:
	s_load_dwordx2 s[10:11], s[4:5], 0x2b8
	s_load_dwordx4 s[60:63], s[4:5], 0xd8
	s_mov_b64 s[20:21], s[4:5]
	s_add_u32 s2, s20, 0x2b8
	s_addc_u32 s3, s21, 0
	s_waitcnt lgkmcnt(0)
	s_mul_i32 s0, s11, s8
	s_add_i32 s0, s0, s7
	s_mul_i32 s0, s0, s10
	s_add_i32 s77, s0, s6
	s_cmp_ge_u32 s77, s63
	s_cbranch_scc1 .LBB39_423
; %bb.1:
	s_load_dword s5, s[20:21], 0xd0
	s_load_dword s75, s[20:21], 0xe8
	s_mov_b32 s1, 0
	s_mov_b32 s0, s77
	s_waitcnt lgkmcnt(0)
	s_cmp_lt_i32 s5, 2
	s_cbranch_scc1 .LBB39_4
; %bb.2:
	s_add_i32 s0, s5, -1
	s_add_i32 s4, s5, 1
	s_lshl_b64 s[8:9], s[0:1], 2
	s_add_u32 s0, s8, s20
	s_addc_u32 s5, s9, s21
	s_add_u32 s8, s0, 8
	s_addc_u32 s9, s5, 0
	s_mov_b32 s0, s77
.LBB39_3:                               ; =>This Inner Loop Header: Depth=1
	s_load_dword s5, s[8:9], 0x0
	s_load_dword s11, s[8:9], 0x64
	s_mov_b32 s7, s0
	s_waitcnt lgkmcnt(0)
	v_cvt_f32_u32_e32 v1, s5
	s_sub_i32 s0, 0, s5
	v_rcp_iflag_f32_e32 v1, v1
	v_mul_f32_e32 v1, 0x4f7ffffe, v1
	v_cvt_u32_f32_e32 v1, v1
	v_readfirstlane_b32 s12, v1
	s_mul_i32 s0, s0, s12
	s_mul_hi_u32 s0, s12, s0
	s_add_i32 s12, s12, s0
	s_mul_hi_u32 s0, s7, s12
	s_mul_i32 s12, s0, s5
	s_sub_i32 s12, s7, s12
	s_add_i32 s13, s0, 1
	s_sub_i32 s14, s12, s5
	s_cmp_ge_u32 s12, s5
	s_cselect_b32 s0, s13, s0
	s_cselect_b32 s12, s14, s12
	s_add_i32 s13, s0, 1
	s_cmp_ge_u32 s12, s5
	s_cselect_b32 s0, s13, s0
	s_mul_i32 s5, s0, s5
	s_sub_i32 s5, s7, s5
	s_mul_i32 s5, s11, s5
	s_add_i32 s4, s4, -1
	s_add_i32 s1, s5, s1
	s_add_u32 s8, s8, -4
	s_addc_u32 s9, s9, -1
	s_cmp_gt_u32 s4, 2
	s_cbranch_scc1 .LBB39_3
.LBB39_4:
	s_load_dword s5, s[20:21], 0x1c0
	s_add_u32 s8, s20, 0xf0
	s_addc_u32 s9, s21, 0
	s_mov_b32 s65, 0
	s_mov_b32 s78, s77
	s_waitcnt lgkmcnt(0)
	s_cmp_lt_i32 s5, 2
	s_cbranch_scc1 .LBB39_7
; %bb.5:
	s_add_i32 s64, s5, -1
	s_add_i32 s4, s5, 1
	s_lshl_b64 s[12:13], s[64:65], 2
	s_add_u32 s5, s12, s8
	s_addc_u32 s7, s13, s9
	s_add_u32 s12, s5, 8
	s_addc_u32 s13, s7, 0
	s_mov_b32 s78, s77
.LBB39_6:                               ; =>This Inner Loop Header: Depth=1
	s_load_dword s5, s[12:13], 0x0
	s_load_dword s11, s[12:13], 0x64
	s_mov_b32 s7, s78
	s_waitcnt lgkmcnt(0)
	v_cvt_f32_u32_e32 v1, s5
	s_sub_i32 s14, 0, s5
	v_rcp_iflag_f32_e32 v1, v1
	v_mul_f32_e32 v1, 0x4f7ffffe, v1
	v_cvt_u32_f32_e32 v1, v1
	v_readfirstlane_b32 s15, v1
	s_mul_i32 s14, s14, s15
	s_mul_hi_u32 s14, s15, s14
	s_add_i32 s15, s15, s14
	s_mul_hi_u32 s14, s78, s15
	s_mul_i32 s15, s14, s5
	s_sub_i32 s15, s78, s15
	s_add_i32 s16, s14, 1
	s_sub_i32 s17, s15, s5
	s_cmp_ge_u32 s15, s5
	s_cselect_b32 s14, s16, s14
	s_cselect_b32 s15, s17, s15
	s_add_i32 s16, s14, 1
	s_cmp_ge_u32 s15, s5
	s_cselect_b32 s78, s16, s14
	s_mul_i32 s5, s78, s5
	s_sub_i32 s5, s7, s5
	s_mul_i32 s5, s11, s5
	s_add_i32 s4, s4, -1
	s_add_i32 s65, s5, s65
	s_add_u32 s12, s12, -4
	s_addc_u32 s13, s13, -1
	s_cmp_gt_u32 s4, 2
	s_cbranch_scc1 .LBB39_6
.LBB39_7:
	s_load_dword s4, s[20:21], 0x6c
	s_load_dword s12, s[20:21], 0x2a0
	s_add_u32 s7, s20, 0x1d0
	s_addc_u32 s11, s21, 0
	s_mov_b32 s67, 0
	s_waitcnt lgkmcnt(0)
	s_cmp_lt_i32 s12, 2
	s_cbranch_scc1 .LBB39_10
; %bb.8:
	s_add_i32 s66, s12, -1
	s_add_i32 s5, s12, 1
	s_lshl_b64 s[12:13], s[66:67], 2
	s_add_u32 s7, s12, s7
	s_addc_u32 s11, s13, s11
	s_add_u32 s12, s7, 8
	s_addc_u32 s13, s11, 0
.LBB39_9:                               ; =>This Inner Loop Header: Depth=1
	s_load_dword s7, s[12:13], 0x0
	s_load_dword s14, s[12:13], 0x64
	s_mov_b32 s11, s77
	s_waitcnt lgkmcnt(0)
	v_cvt_f32_u32_e32 v1, s7
	s_sub_i32 s15, 0, s7
	v_rcp_iflag_f32_e32 v1, v1
	v_mul_f32_e32 v1, 0x4f7ffffe, v1
	v_cvt_u32_f32_e32 v1, v1
	v_readfirstlane_b32 s16, v1
	s_mul_i32 s15, s15, s16
	s_mul_hi_u32 s15, s16, s15
	s_add_i32 s16, s16, s15
	s_mul_hi_u32 s15, s77, s16
	s_mul_i32 s16, s15, s7
	s_sub_i32 s16, s77, s16
	s_add_i32 s17, s15, 1
	s_sub_i32 s18, s16, s7
	s_cmp_ge_u32 s16, s7
	s_cselect_b32 s15, s17, s15
	s_cselect_b32 s16, s18, s16
	s_add_i32 s17, s15, 1
	s_cmp_ge_u32 s16, s7
	s_cselect_b32 s77, s17, s15
	s_mul_i32 s7, s77, s7
	s_sub_i32 s7, s11, s7
	s_mul_i32 s7, s14, s7
	s_add_i32 s5, s5, -1
	s_add_i32 s67, s7, s67
	s_add_u32 s12, s12, -4
	s_addc_u32 s13, s13, -1
	s_cmp_gt_u32 s5, 2
	s_cbranch_scc1 .LBB39_9
.LBB39_10:
	s_load_dword s5, s[8:9], 0x6c
	s_nop 0
	s_load_dwordx2 s[8:9], s[20:21], 0x0
	s_load_dwordx2 s[12:13], s[20:21], 0xf0
                                        ; implicit-def: $vgpr52 : SGPR spill to VGPR lane
	s_mov_b32 s16, 0
	v_cmp_eq_u32_e64 s[14:15], 0, v0
	s_waitcnt lgkmcnt(0)
	v_writelane_b32 v52, s5, 0
	v_writelane_b32 v52, s12, 1
	;; [unrolled: 1-line block ×3, first 2 shown]
	s_load_dwordx2 s[12:13], s[20:21], 0x1d0
	s_waitcnt lgkmcnt(0)
	v_writelane_b32 v52, s12, 3
	v_writelane_b32 v52, s13, 4
	s_mov_b64 s[12:13], exec
	v_writelane_b32 v52, s14, 5
	v_writelane_b32 v52, s15, 6
	s_and_b64 s[14:15], s[12:13], s[14:15]
	s_mov_b64 exec, s[14:15]
	s_cbranch_execz .LBB39_12
; %bb.11:
	v_mov_b32_e32 v2, 0
	v_mov_b32_e32 v3, s60
	;; [unrolled: 1-line block ×3, first 2 shown]
	ds_write_b96 v2, v[2:4] offset:4096
.LBB39_12:
	s_or_b64 exec, exec, s[12:13]
	v_writelane_b32 v52, s20, 7
	s_load_dword s5, s[20:21], 0x23c
	s_mul_i32 s0, s4, s0
	s_add_i32 s0, s0, s1
	s_mov_b32 s1, s16
	s_lshl_b64 s[0:1], s[0:1], 2
	v_writelane_b32 v52, s21, 8
	s_add_u32 s33, s8, s0
	s_waitcnt lgkmcnt(0)
	v_writelane_b32 v52, s5, 9
	s_mov_b32 s4, 0
	s_addc_u32 s64, s9, s1
	v_writelane_b32 v52, s4, 10
	s_barrier
	s_load_dword s0, s[2:3], 0xc
	s_bitcmp1_b32 s62, 0
	v_writelane_b32 v52, s5, 11
	s_cselect_b64 s[4:5], -1, 0
	v_writelane_b32 v52, s4, 12
	v_writelane_b32 v52, s5, 13
	s_xor_b64 s[4:5], s[4:5], -1
	v_mbcnt_lo_u32_b32 v1, -1, 0
	v_writelane_b32 v52, s4, 14
	v_mbcnt_hi_u32_b32 v1, -1, v1
	v_writelane_b32 v52, s5, 15
	s_waitcnt lgkmcnt(0)
	s_and_b32 s66, s0, 0xffff
	s_bfe_u32 s5, s0, 0xa0006
	v_cmp_gt_u32_e32 vcc, 64, v0
	v_cmp_gt_i32_e64 s[0:1], 4, v1
	s_lshl_b32 s79, s66, 2
	s_and_b64 s[0:1], vcc, s[0:1]
	v_writelane_b32 v52, s0, 16
	s_cmpk_gt_u32 s60, 0x300
	v_writelane_b32 v52, s1, 17
	s_cselect_b64 s[0:1], -1, 0
	v_writelane_b32 v52, s0, 18
	s_cmp_gt_u32 s66, 63
	v_writelane_b32 v52, s1, 19
	s_cselect_b64 s[0:1], -1, 0
	v_writelane_b32 v52, s0, 20
	v_writelane_b32 v52, s1, 21
	s_add_i32 s0, s66, -1
	s_add_i32 s4, s0, s60
	s_cmp_lt_u32 s6, s10
	v_writelane_b32 v52, s0, 22
	s_cselect_b32 s0, 12, 18
	s_add_u32 s0, s2, s0
	s_addc_u32 s1, s3, 0
	v_writelane_b32 v52, s0, 23
	s_add_i32 s2, s5, -2
	v_writelane_b32 v52, s1, 24
	s_lshr_b32 s0, s2, 1
	s_add_i32 s3, s0, 1
	s_cmpk_gt_u32 s66, 0x7f
	v_mov_b32_e32 v11, 0
	s_cselect_b64 s[0:1], -1, 0
	v_writelane_b32 v52, s0, 25
	v_mul_lo_u32 v12, v0, s75
	v_mov_b32_e32 v13, v11
	v_writelane_b32 v52, s1, 26
	v_cmp_gt_u32_e64 s[6:7], s60, v0
	v_lshlrev_b64 v[2:3], 2, v[12:13]
	v_writelane_b32 v52, s6, 27
	v_mov_b32_e32 v13, s64
	v_add_co_u32_e32 v8, vcc, s33, v2
	v_lshrrev_b32_e32 v2, 4, v0
	v_writelane_b32 v52, s7, 28
	v_addc_co_u32_e32 v9, vcc, v13, v3, vcc
	v_and_b32_e32 v22, 60, v2
	v_cmp_gt_u32_e64 s[6:7], 2, v0
	v_lshlrev_b64 v[2:3], v1, -1
	v_writelane_b32 v52, s6, 29
	v_not_b32_e32 v6, v2
	v_cvt_f32_u32_e32 v2, s79
	v_writelane_b32 v52, s7, 30
	s_and_b32 s6, s5, 0x3fe
	s_and_b32 s7, s3, 7
	s_cmp_gt_u32 s2, 13
	s_cselect_b64 s[8:9], -1, 0
	v_writelane_b32 v52, s8, 31
	v_rcp_iflag_f32_e32 v2, v2
	v_writelane_b32 v52, s9, 32
	s_and_b32 s2, s3, -8
	v_writelane_b32 v52, s2, 33
	s_cmp_lg_u32 s7, 0
	v_writelane_b32 v52, s7, 34
	s_cselect_b64 s[2:3], -1, 0
	v_writelane_b32 v52, s2, 35
	v_mul_f32_e32 v2, 0x4f7ffffe, v2
	v_writelane_b32 v52, s3, 36
	v_cvt_u32_f32_e32 v2, v2
	v_writelane_b32 v52, s5, 37
	s_cmp_lg_u32 s6, s5
	v_writelane_b32 v52, s6, 38
	s_cselect_b64 s[2:3], -1, 0
	v_writelane_b32 v52, s2, 39
	v_writelane_b32 v52, s3, 40
	s_sub_i32 s2, 0, s79
	v_readfirstlane_b32 s3, v2
	v_cvt_f32_u32_e32 v2, s66
	s_mul_i32 s2, s2, s3
	s_mul_hi_u32 s2, s3, s2
	s_add_i32 s2, s3, s2
	v_writelane_b32 v52, s2, 41
	s_mul_hi_u32 s2, s60, s2
	v_rcp_iflag_f32_e32 v5, v2
	s_mul_i32 s2, s2, s79
	s_sub_i32 s2, s60, s2
	s_sub_i32 s3, s2, s79
	s_cmp_ge_u32 s2, s79
	v_mul_f32_e32 v5, 0x4f7ffffe, v5
	s_cselect_b32 s2, s3, s2
	v_cvt_u32_f32_e32 v5, v5
	s_sub_i32 s3, s2, s79
	s_cmp_ge_u32 s2, s79
	s_cselect_b32 s2, s3, s2
	v_lshlrev_b32_e32 v21, 2, v0
	s_sub_i32 s13, s60, s2
	s_sub_i32 s3, 0, s66
	v_readfirstlane_b32 s5, v5
	v_cmp_gt_u32_e64 s[6:7], s13, v21
	s_mul_i32 s3, s3, s5
	v_writelane_b32 v52, s6, 42
	s_mul_hi_u32 s3, s5, s3
	v_writelane_b32 v52, s7, 43
	s_add_i32 s3, s5, s3
	v_writelane_b32 v52, s3, 44
	s_mul_hi_u32 s3, s4, s3
	s_mul_i32 s3, s3, s66
	s_sub_i32 s3, s4, s3
	s_sub_i32 s5, s3, s66
	v_add_u32_e32 v24, s13, v0
	s_cmp_ge_u32 s3, s66
	v_mul_lo_u32 v10, v24, s75
	s_cselect_b32 s3, s5, s3
	v_not_b32_e32 v7, v3
	v_lshlrev_b64 v[2:3], 2, v[10:11]
	s_sub_i32 s5, s3, s66
	v_add_co_u32_e32 v14, vcc, s33, v2
	s_cmp_ge_u32 s3, s66
	v_mul_lo_u32 v2, s75, v21
	s_cselect_b32 s3, s5, s3
	v_add_u32_e32 v25, s75, v2
	v_or_b32_e32 v2, 2, v21
	s_sub_i32 s6, s4, s3
	v_mul_lo_u32 v26, s75, v2
	v_or_b32_e32 v2, 3, v21
	s_add_i32 s3, s66, s60
	v_mul_lo_u32 v27, s75, v2
	v_add_u32_e32 v2, s3, v0
	v_lshlrev_b32_e32 v4, 2, v1
	v_mov_b32_e32 v10, s64
	v_cmp_gt_u32_e64 s[4:5], s6, v0
	s_mul_i32 s76, s75, s66
	v_subrev_u32_e32 v2, s2, v2
	v_cmp_eq_u32_e64 s[0:1], 0, v1
	v_add_u32_e32 v23, 0xc00, v21
	v_and_b32_e32 v20, 0x100, v4
	v_cmp_gt_u32_e64 s[14:15], s60, v24
	v_addc_co_u32_e32 v15, vcc, v10, v3, vcc
	v_writelane_b32 v52, s4, 45
	s_lshl_b32 s7, s76, 2
	v_lshlrev_b32_e32 v28, 2, v12
	v_mul_lo_u32 v29, s75, v2
	v_lshlrev_b32_e32 v30, 4, v0
	s_lshl_b32 s12, s66, 4
	v_or_b32_e32 v31, 0xc00, v4
	s_mov_b32 s72, 30
	s_mov_b64 s[90:91], 0
	v_mov_b32_e32 v35, s61
	v_mov_b32_e32 v16, 1
	;; [unrolled: 1-line block ×4, first 2 shown]
	s_mov_b32 s73, 0
	v_mov_b32_e32 v34, 0
	v_mov_b32_e32 v33, 0
	v_writelane_b32 v52, s5, 46
                                        ; implicit-def: $sgpr92_sgpr93
                                        ; implicit-def: $sgpr94_sgpr95
                                        ; implicit-def: $sgpr70_sgpr71
                                        ; implicit-def: $sgpr2_sgpr3
                                        ; implicit-def: $sgpr68_sgpr69
                                        ; implicit-def: $sgpr84_sgpr85
                                        ; implicit-def: $sgpr86_sgpr87
                                        ; implicit-def: $sgpr88_sgpr89
                                        ; implicit-def: $sgpr80_sgpr81
                                        ; implicit-def: $sgpr82_sgpr83
	s_branch .LBB39_15
.LBB39_13:                              ;   in Loop: Header=BB39_15 Depth=1
	s_or_b64 exec, exec, s[20:21]
	s_andn2_b64 s[4:5], s[82:83], exec
	s_and_b64 s[10:11], s[18:19], exec
	s_or_b64 s[82:83], s[4:5], s[10:11]
	s_andn2_b64 s[80:81], s[80:81], exec
	s_andn2_b64 s[88:89], s[88:89], exec
	;; [unrolled: 1-line block ×4, first 2 shown]
	s_orn2_b64 s[16:17], s[16:17], exec
	v_mov_b32_e32 v33, v5
	v_mov_b32_e32 v34, v4
	;; [unrolled: 1-line block ×4, first 2 shown]
.LBB39_14:                              ;   in Loop: Header=BB39_15 Depth=1
	s_or_b64 exec, exec, s[8:9]
	s_and_b64 s[4:5], exec, s[16:17]
	s_or_b64 s[90:91], s[4:5], s[90:91]
	s_andn2_b64 s[4:5], s[68:69], exec
	s_and_b64 s[8:9], s[82:83], exec
	s_or_b64 s[68:69], s[4:5], s[8:9]
	s_andn2_b64 s[2:3], s[2:3], exec
	s_and_b64 s[4:5], s[80:81], exec
	;; [unrolled: 3-line block ×5, first 2 shown]
	s_or_b64 s[92:93], s[4:5], s[8:9]
	s_andn2_b64 exec, exec, s[90:91]
	s_cbranch_execz .LBB39_419
.LBB39_15:                              ; =>This Loop Header: Depth=1
                                        ;     Child Loop BB39_23 Depth 2
                                        ;     Child Loop BB39_41 Depth 2
	;; [unrolled: 1-line block ×25, first 2 shown]
	ds_read_b64 v[2:3], v11 offset:4096
	s_waitcnt lgkmcnt(0)
	v_readfirstlane_b32 s4, v2
	s_cmp_lg_u32 s4, 0
	s_cbranch_scc1 .LBB39_48
; %bb.16:                               ;   in Loop: Header=BB39_15 Depth=1
	v_readlane_b32 s4, v52, 18
	v_readlane_b32 s5, v52, 19
	s_and_b64 vcc, exec, s[4:5]
	s_cbranch_vccz .LBB39_31
; %bb.17:                               ;   in Loop: Header=BB39_15 Depth=1
	s_movk_i32 s4, 0x301
	v_cmp_gt_u32_e32 vcc, s4, v3
	s_mov_b64 s[8:9], 0
	s_mov_b64 s[16:17], 0
	s_cbranch_vccz .LBB39_32
; %bb.18:                               ;   in Loop: Header=BB39_15 Depth=1
	v_mov_b32_e32 v2, 0
	s_mov_b64 s[16:17], exec
	v_readlane_b32 s4, v52, 27
	v_readlane_b32 s5, v52, 28
	s_and_b64 s[4:5], s[16:17], s[4:5]
	s_mov_b64 exec, s[4:5]
	s_cbranch_execz .LBB39_20
; %bb.19:                               ;   in Loop: Header=BB39_15 Depth=1
	global_load_dword v2, v[8:9], off
.LBB39_20:                              ;   in Loop: Header=BB39_15 Depth=1
	s_or_b64 exec, exec, s[16:17]
	s_mov_b64 s[16:17], exec
	v_readlane_b32 s4, v52, 27
	v_readlane_b32 s5, v52, 28
	s_and_b64 s[4:5], s[16:17], s[4:5]
	s_mov_b64 exec, s[4:5]
	s_cbranch_execz .LBB39_33
; %bb.21:                               ;   in Loop: Header=BB39_15 Depth=1
	v_readlane_b32 s4, v52, 23
	v_readlane_b32 s5, v52, 24
	s_mov_b64 s[22:23], 0
	s_nop 3
	global_load_ushort v3, v11, s[4:5]
	s_waitcnt vmcnt(0)
	v_add_u32_e32 v5, v0, v3
	v_mul_lo_u32 v4, s75, v3
	v_mul_lo_u32 v10, s75, v5
	v_mov_b32_e32 v5, v0
	s_branch .LBB39_23
.LBB39_22:                              ;   in Loop: Header=BB39_23 Depth=2
	s_or_b64 exec, exec, s[20:21]
	v_add_u32_e32 v10, v10, v4
	s_waitcnt vmcnt(0)
	v_mov_b32_e32 v2, v17
	s_andn2_b64 exec, exec, s[22:23]
	s_cbranch_execz .LBB39_33
.LBB39_23:                              ;   Parent Loop BB39_15 Depth=1
                                        ; =>  This Inner Loop Header: Depth=2
	v_add_u32_e32 v5, v5, v3
	v_cmp_gt_u32_e64 s[18:19], s60, v5
	v_cmp_le_u32_e32 vcc, s60, v5
	s_waitcnt lgkmcnt(0)
	v_mov_b32_e32 v18, 0
	v_mov_b32_e32 v17, 0
	s_and_saveexec_b64 s[20:21], s[18:19]
	s_cbranch_execz .LBB39_25
; %bb.24:                               ;   in Loop: Header=BB39_23 Depth=2
	v_lshlrev_b64 v[36:37], 2, v[10:11]
	v_add_co_u32_e64 v36, s[18:19], s33, v36
	v_addc_co_u32_e64 v37, s[18:19], v13, v37, s[18:19]
	global_load_dword v17, v[36:37], off
.LBB39_25:                              ;   in Loop: Header=BB39_23 Depth=2
	s_or_b64 exec, exec, s[20:21]
	v_xor_b32_e32 v36, 0x80000000, v2
	v_and_b32_e32 v36, v36, v33
	v_cmp_eq_u32_e64 s[18:19], v36, v34
	s_cmp_lg_u64 s[18:19], 0
	s_cselect_b64 s[4:5], -1, 0
	s_and_b64 s[4:5], s[0:1], s[4:5]
	s_and_saveexec_b64 s[24:25], s[4:5]
	s_cbranch_execz .LBB39_29
; %bb.26:                               ;   in Loop: Header=BB39_23 Depth=2
	s_mov_b64 s[28:29], exec
	v_mbcnt_lo_u32_b32 v18, s28, 0
	v_mbcnt_hi_u32_b32 v18, s29, v18
	s_bcnt1_i32_b64 s4, s[18:19]
	v_cmp_eq_u32_e64 s[20:21], 0, v18
                                        ; implicit-def: $vgpr36
	s_and_saveexec_b64 s[26:27], s[20:21]
	s_cbranch_execz .LBB39_28
; %bb.27:                               ;   in Loop: Header=BB39_23 Depth=2
	s_bcnt1_i32_b64 s5, s[28:29]
	s_mul_i32 s5, s4, s5
	v_mov_b32_e32 v36, s5
	ds_add_rtn_u32 v36, v11, v36 offset:4104
.LBB39_28:                              ;   in Loop: Header=BB39_23 Depth=2
	s_or_b64 exec, exec, s[26:27]
	s_waitcnt lgkmcnt(0)
	v_readfirstlane_b32 s5, v36
	v_mov_b32_e32 v36, s5
	v_mad_u32_u24 v18, s4, v18, v36
.LBB39_29:                              ;   in Loop: Header=BB39_23 Depth=2
	s_or_b64 exec, exec, s[24:25]
	ds_bpermute_b32 v18, v20, v18
	s_and_b64 s[4:5], exec, vcc
	s_or_b64 s[22:23], s[4:5], s[22:23]
	s_and_saveexec_b64 s[20:21], s[18:19]
	s_cbranch_execz .LBB39_22
; %bb.30:                               ;   in Loop: Header=BB39_23 Depth=2
	v_and_b32_e32 v37, s18, v6
	v_and_b32_e32 v36, s19, v7
	v_bcnt_u32_b32 v37, v37, 0
	v_bcnt_u32_b32 v36, v36, v37
	v_lshlrev_b32_e32 v36, 2, v36
	s_waitcnt lgkmcnt(0)
	v_lshl_add_u32 v18, v18, 2, v36
	ds_write_b32 v18, v2
	s_branch .LBB39_22
.LBB39_31:                              ;   in Loop: Header=BB39_15 Depth=1
	s_mov_b64 s[16:17], 0
                                        ; implicit-def: $sgpr4
	s_cbranch_execnz .LBB39_36
	s_branch .LBB39_46
.LBB39_32:                              ;   in Loop: Header=BB39_15 Depth=1
	s_mov_b32 s4, 0
	s_and_b64 vcc, exec, s[8:9]
	s_cbranch_vccnz .LBB39_36
	s_branch .LBB39_46
.LBB39_33:                              ;   in Loop: Header=BB39_15 Depth=1
	s_or_b64 exec, exec, s[16:17]
	s_waitcnt lgkmcnt(0)
	s_barrier
	s_mov_b64 s[16:17], exec
	v_readlane_b32 s4, v52, 5
	v_readlane_b32 s5, v52, 6
	s_and_b64 s[4:5], s[16:17], s[4:5]
	s_mov_b64 exec, s[4:5]
	s_cbranch_execz .LBB39_35
; %bb.34:                               ;   in Loop: Header=BB39_15 Depth=1
	s_waitcnt vmcnt(0)
	ds_read_b32 v2, v11 offset:4104
	s_waitcnt lgkmcnt(0)
	ds_write_b32 v11, v2 offset:4096
.LBB39_35:                              ;   in Loop: Header=BB39_15 Depth=1
	s_or_b64 exec, exec, s[16:17]
	s_waitcnt lgkmcnt(0)
	s_barrier
	s_mov_b64 s[16:17], -1
	s_mov_b32 s4, 0
	s_and_b64 vcc, exec, s[8:9]
	s_cbranch_vccz .LBB39_46
.LBB39_36:                              ;   in Loop: Header=BB39_15 Depth=1
	s_waitcnt vmcnt(0)
	v_mov_b32_e32 v2, 0
	s_mov_b64 s[8:9], exec
	v_readlane_b32 s4, v52, 27
	v_readlane_b32 s5, v52, 28
	s_and_b64 s[4:5], s[8:9], s[4:5]
	s_mov_b64 exec, s[4:5]
	s_cbranch_execz .LBB39_38
; %bb.37:                               ;   in Loop: Header=BB39_15 Depth=1
	global_load_dword v2, v[8:9], off
.LBB39_38:                              ;   in Loop: Header=BB39_15 Depth=1
	s_or_b64 exec, exec, s[8:9]
	s_mov_b64 s[8:9], exec
	v_readlane_b32 s4, v52, 27
	v_readlane_b32 s5, v52, 28
	s_and_b64 s[4:5], s[8:9], s[4:5]
	s_mov_b64 exec, s[4:5]
	s_cbranch_execz .LBB39_43
; %bb.39:                               ;   in Loop: Header=BB39_15 Depth=1
	v_readlane_b32 s4, v52, 23
	v_readlane_b32 s5, v52, 24
	s_mov_b64 s[16:17], 0
	v_mov_b32_e32 v4, v21
	v_mov_b32_e32 v18, v0
	s_nop 1
	global_load_ushort v3, v11, s[4:5]
	s_waitcnt vmcnt(0)
	v_add_u32_e32 v10, v0, v3
	v_lshlrev_b32_e32 v5, 2, v3
	v_mul_lo_u32 v17, s75, v3
	v_mul_lo_u32 v10, s75, v10
	s_branch .LBB39_41
.LBB39_40:                              ;   in Loop: Header=BB39_41 Depth=2
	s_or_b64 exec, exec, s[20:21]
	s_and_b64 s[4:5], exec, vcc
	s_or_b64 s[16:17], s[4:5], s[16:17]
	ds_write_b32 v4, v2
	v_add_u32_e32 v4, v4, v5
	v_add_u32_e32 v10, v10, v17
	s_waitcnt vmcnt(0)
	v_mov_b32_e32 v2, v36
	s_andn2_b64 exec, exec, s[16:17]
	s_cbranch_execz .LBB39_43
.LBB39_41:                              ;   Parent Loop BB39_15 Depth=1
                                        ; =>  This Inner Loop Header: Depth=2
	v_add_u32_e32 v18, v18, v3
	v_cmp_gt_u32_e64 s[18:19], s60, v18
	v_cmp_le_u32_e32 vcc, s60, v18
	v_mov_b32_e32 v36, 0
	s_and_saveexec_b64 s[20:21], s[18:19]
	s_cbranch_execz .LBB39_40
; %bb.42:                               ;   in Loop: Header=BB39_41 Depth=2
	v_lshlrev_b64 v[36:37], 2, v[10:11]
	v_mov_b32_e32 v38, s64
	v_add_co_u32_e64 v36, s[18:19], s33, v36
	v_addc_co_u32_e64 v37, s[18:19], v38, v37, s[18:19]
	global_load_dword v36, v[36:37], off
	s_branch .LBB39_40
.LBB39_43:                              ;   in Loop: Header=BB39_15 Depth=1
	s_or_b64 exec, exec, s[8:9]
	s_waitcnt lgkmcnt(0)
	s_barrier
	s_mov_b64 s[8:9], exec
	v_readlane_b32 s4, v52, 5
	v_readlane_b32 s5, v52, 6
	s_and_b64 s[4:5], s[8:9], s[4:5]
	s_mov_b64 exec, s[4:5]
	s_cbranch_execz .LBB39_45
; %bb.44:                               ;   in Loop: Header=BB39_15 Depth=1
	s_waitcnt vmcnt(0)
	v_mov_b32_e32 v2, s60
	ds_write_b32 v11, v2 offset:4096
.LBB39_45:                              ;   in Loop: Header=BB39_15 Depth=1
	s_or_b64 exec, exec, s[8:9]
	s_mov_b64 s[16:17], -1
	s_waitcnt lgkmcnt(0)
	s_barrier
                                        ; implicit-def: $sgpr4
.LBB39_46:                              ;   in Loop: Header=BB39_15 Depth=1
	s_and_b64 vcc, exec, s[16:17]
	s_cbranch_vccz .LBB39_48
; %bb.47:                               ;   in Loop: Header=BB39_15 Depth=1
	s_waitcnt vmcnt(0)
	ds_read_b32 v2, v11 offset:4096
	s_waitcnt lgkmcnt(0)
	v_readfirstlane_b32 s4, v2
.LBB39_48:                              ;   in Loop: Header=BB39_15 Depth=1
	s_cmp_lt_i32 s4, 1
	s_cbranch_scc0 .LBB39_52
; %bb.49:                               ;   in Loop: Header=BB39_15 Depth=1
	s_waitcnt vmcnt(0)
	v_mov_b32_e32 v2, 0
	s_mov_b32 s5, 0
	v_mov_b32_e32 v3, 0
	v_mov_b32_e32 v4, v2
	;; [unrolled: 1-line block ×3, first 2 shown]
	s_mov_b64 s[48:49], exec
	v_readlane_b32 s8, v52, 42
	v_readlane_b32 s9, v52, 43
	s_and_b64 s[8:9], s[48:49], s[8:9]
	s_mov_b64 exec, s[8:9]
	s_cbranch_execnz .LBB39_53
; %bb.50:                               ;   in Loop: Header=BB39_15 Depth=1
	s_or_b64 exec, exec, s[48:49]
	v_mov_b32_e32 v18, 0
	s_and_saveexec_b64 s[8:9], s[14:15]
	s_cbranch_execnz .LBB39_56
.LBB39_51:                              ;   in Loop: Header=BB39_15 Depth=1
	s_or_b64 exec, exec, s[8:9]
	s_and_saveexec_b64 s[8:9], s[14:15]
	s_cbranch_execnz .LBB39_57
	s_branch .LBB39_62
.LBB39_52:                              ;   in Loop: Header=BB39_15 Depth=1
                                        ; implicit-def: $vgpr5
	s_cbranch_execnz .LBB39_63
	s_branch .LBB39_72
.LBB39_53:                              ;   in Loop: Header=BB39_15 Depth=1
	s_and_b32 s8, s72, 0xfe
	s_mov_b64 s[50:51], 0
	s_mov_b32 s9, 0
	s_mov_b32 s10, 0
	;; [unrolled: 1-line block ×4, first 2 shown]
	v_mov_b32_e32 v17, v21
.LBB39_54:                              ;   Parent Loop BB39_15 Depth=1
                                        ; =>  This Inner Loop Header: Depth=2
	v_add_u32_e32 v10, s5, v28
	v_lshlrev_b64 v[2:3], 2, v[10:11]
	v_mov_b32_e32 v18, s64
	v_add_u32_e32 v10, s5, v25
	v_add_co_u32_e64 v2, s[18:19], s33, v2
	v_lshlrev_b64 v[4:5], 2, v[10:11]
	v_addc_co_u32_e64 v3, s[18:19], v18, v3, s[18:19]
	v_add_u32_e32 v10, s5, v26
	v_add_co_u32_e64 v4, s[18:19], s33, v4
	v_lshlrev_b64 v[36:37], 2, v[10:11]
	v_add_u32_e32 v10, s5, v27
	v_addc_co_u32_e64 v5, s[18:19], v18, v5, s[18:19]
	global_load_dword v38, v[2:3], off
	v_lshlrev_b64 v[2:3], 2, v[10:11]
	global_load_dword v10, v[4:5], off
	v_add_co_u32_e64 v4, s[18:19], s33, v36
	v_addc_co_u32_e64 v5, s[18:19], v18, v37, s[18:19]
	v_add_co_u32_e64 v2, s[18:19], s33, v2
	global_load_dword v4, v[4:5], off
	v_addc_co_u32_e64 v3, s[18:19], v18, v3, s[18:19]
	global_load_dword v2, v[2:3], off
	v_add_u32_e32 v17, s79, v17
	v_cmp_le_u32_e32 vcc, s13, v17
	s_add_i32 s5, s5, s7
	s_waitcnt vmcnt(3)
	v_xor_b32_e32 v3, 0x80000000, v38
	s_waitcnt vmcnt(2)
	v_xor_b32_e32 v5, 0x80000000, v10
	v_and_b32_e32 v10, v3, v33
	v_bfe_u32 v3, v3, s8, 2
	v_cmp_eq_u32_e64 s[18:19], v10, v34
	v_cmp_eq_u32_e64 s[20:21], 0, v3
	v_and_b32_e32 v10, v5, v33
	v_bfe_u32 v5, v5, s8, 2
	v_cmp_eq_u32_e64 s[22:23], 1, v3
	s_and_b64 s[20:21], s[18:19], s[20:21]
	s_waitcnt vmcnt(1)
	v_xor_b32_e32 v4, 0x80000000, v4
	v_cmp_eq_u32_e64 s[24:25], 2, v3
	v_cmp_eq_u32_e64 s[26:27], 3, v3
	;; [unrolled: 1-line block ×6, first 2 shown]
	v_cndmask_b32_e64 v5, 0, 1, s[20:21]
	s_and_b64 s[20:21], s[18:19], s[22:23]
	s_waitcnt vmcnt(0)
	v_xor_b32_e32 v2, 0x80000000, v2
	v_cmp_eq_u32_e64 s[28:29], v10, v34
	v_and_b32_e32 v3, v4, v33
	v_bfe_u32 v4, v4, s8, 2
	v_cndmask_b32_e64 v10, 0, 1, s[20:21]
	s_and_b64 s[20:21], s[18:19], s[24:25]
	s_and_b64 s[18:19], s[18:19], s[26:27]
	v_cndmask_b32_e64 v18, 0, 1, s[20:21]
	v_cndmask_b32_e64 v36, 0, 1, s[18:19]
	v_cmp_eq_u32_e64 s[18:19], v3, v34
	v_and_b32_e32 v3, v2, v33
	v_bfe_u32 v2, v2, s8, 2
	v_cmp_eq_u32_e64 s[20:21], 0, v4
	s_and_b64 s[30:31], s[28:29], s[30:31]
	s_and_b64 s[34:35], s[28:29], s[34:35]
	;; [unrolled: 1-line block ×4, first 2 shown]
	v_cmp_eq_u32_e64 s[22:23], 1, v4
	v_cmp_eq_u32_e64 s[24:25], 2, v4
	;; [unrolled: 1-line block ×3, first 2 shown]
	v_cmp_ne_u32_e64 s[40:41], 0, v5
	v_cndmask_b32_e64 v5, 0, 1, s[34:35]
	v_cmp_ne_u32_e64 s[34:35], 0, v18
	v_cndmask_b32_e64 v18, 0, 1, s[28:29]
	v_cmp_eq_u32_e64 s[28:29], v3, v34
	v_cmp_eq_u32_e64 s[38:39], 0, v2
	s_and_b64 s[20:21], s[18:19], s[20:21]
	v_cmp_eq_u32_e64 s[42:43], 1, v2
	v_cmp_eq_u32_e64 s[44:45], 2, v2
	;; [unrolled: 1-line block ×3, first 2 shown]
	s_bcnt1_i32_b64 s17, s[40:41]
	v_cndmask_b32_e64 v2, 0, 1, s[20:21]
	s_and_b64 s[22:23], s[18:19], s[22:23]
	s_and_b64 s[24:25], s[18:19], s[24:25]
	;; [unrolled: 1-line block ×4, first 2 shown]
	v_cndmask_b32_e64 v4, 0, 1, s[30:31]
	v_cmp_ne_u32_e64 s[30:31], 0, v10
	v_cndmask_b32_e64 v10, 0, 1, s[36:37]
	v_cmp_ne_u32_e64 s[20:21], 0, v5
	v_cndmask_b32_e64 v3, 0, 1, s[22:23]
	v_cndmask_b32_e64 v5, 0, 1, s[18:19]
	v_cmp_ne_u32_e64 s[18:19], 0, v2
	v_cndmask_b32_e64 v2, 0, 1, s[26:27]
	s_add_i32 s26, s16, s17
	s_and_b64 s[16:17], s[28:29], s[42:43]
	v_cmp_ne_u32_e64 s[36:37], 0, v36
	v_cmp_ne_u32_e64 s[40:41], 0, v4
	s_bcnt1_i32_b64 s30, s[30:31]
	s_bcnt1_i32_b64 s31, s[34:35]
	v_cmp_ne_u32_e64 s[22:23], 0, v10
	v_cndmask_b32_e64 v4, 0, 1, s[24:25]
	s_bcnt1_i32_b64 s27, s[20:21]
	v_cmp_ne_u32_e64 s[20:21], 0, v3
	v_cndmask_b32_e64 v3, 0, 1, s[16:17]
	s_and_b64 s[16:17], s[28:29], s[44:45]
	s_bcnt1_i32_b64 s34, s[36:37]
	v_cmp_ne_u32_e64 s[24:25], 0, v18
	s_add_i32 s30, s11, s30
	s_bcnt1_i32_b64 s36, s[22:23]
	v_cmp_ne_u32_e64 s[22:23], 0, v4
	v_cndmask_b32_e64 v4, 0, 1, s[16:17]
	s_add_i32 s16, s10, s31
	s_and_b64 s[10:11], s[28:29], s[46:47]
	s_bcnt1_i32_b64 s35, s[40:41]
	s_bcnt1_i32_b64 s17, s[24:25]
	v_cmp_ne_u32_e64 s[24:25], 0, v5
	v_cndmask_b32_e64 v5, 0, 1, s[10:11]
	s_add_i32 s9, s9, s34
	s_bcnt1_i32_b64 s10, s[18:19]
	v_cmp_ne_u32_e64 s[18:19], 0, v2
	s_add_i32 s11, s26, s35
	s_bcnt1_i32_b64 s26, s[20:21]
	v_cmp_ne_u32_e64 s[20:21], 0, v3
	;; [unrolled: 3-line block ×4, first 2 shown]
	s_add_i32 s9, s9, s17
	s_bcnt1_i32_b64 s17, s[18:19]
	s_add_i32 s10, s11, s10
	s_bcnt1_i32_b64 s11, s[20:21]
	;; [unrolled: 2-line block ×4, first 2 shown]
	s_add_i32 s9, s9, s29
	s_add_i32 s16, s10, s17
	;; [unrolled: 1-line block ×5, first 2 shown]
	s_or_b64 s[50:51], vcc, s[50:51]
	v_mov_b32_e32 v2, s16
	v_mov_b32_e32 v3, s11
	v_mov_b32_e32 v4, s10
	v_mov_b32_e32 v5, s9
	s_andn2_b64 exec, exec, s[50:51]
	s_cbranch_execnz .LBB39_54
; %bb.55:                               ;   in Loop: Header=BB39_15 Depth=1
	s_or_b64 exec, exec, s[50:51]
	s_or_b64 exec, exec, s[48:49]
	v_mov_b32_e32 v18, 0
	s_and_saveexec_b64 s[8:9], s[14:15]
	s_cbranch_execz .LBB39_51
.LBB39_56:                              ;   in Loop: Header=BB39_15 Depth=1
	global_load_dword v18, v[14:15], off
	s_or_b64 exec, exec, s[8:9]
	s_and_saveexec_b64 s[8:9], s[14:15]
	s_cbranch_execz .LBB39_62
.LBB39_57:                              ;   in Loop: Header=BB39_15 Depth=1
	s_and_b32 s5, s72, 0xfe
	s_mov_b64 s[16:17], 0
	v_mov_b32_e32 v10, v29
	v_mov_b32_e32 v17, v24
	s_branch .LBB39_59
.LBB39_58:                              ;   in Loop: Header=BB39_59 Depth=2
	s_or_b64 exec, exec, s[20:21]
	s_waitcnt vmcnt(0)
	v_xor_b32_e32 v18, 0x80000000, v18
	s_and_b64 s[10:11], exec, vcc
	v_and_b32_e32 v37, v18, v33
	v_bfe_u32 v18, v18, s5, 2
	s_or_b64 s[16:17], s[10:11], s[16:17]
	v_cmp_eq_u32_e32 vcc, v37, v34
	v_cmp_eq_u32_e64 s[18:19], 0, v18
	s_and_b64 s[10:11], vcc, s[18:19]
	v_cndmask_b32_e64 v37, 0, 1, s[10:11]
	v_cmp_ne_u32_e64 s[18:19], 0, v37
	s_bcnt1_i32_b64 s10, s[18:19]
	v_cmp_eq_u32_e64 s[18:19], 1, v18
	v_add_u32_e32 v2, s10, v2
	s_and_b64 s[10:11], vcc, s[18:19]
	v_cndmask_b32_e64 v37, 0, 1, s[10:11]
	v_cmp_ne_u32_e64 s[18:19], 0, v37
	s_bcnt1_i32_b64 s10, s[18:19]
	v_cmp_eq_u32_e64 s[18:19], 2, v18
	v_add_u32_e32 v3, s10, v3
	;; [unrolled: 6-line block ×3, first 2 shown]
	s_and_b64 s[10:11], vcc, s[18:19]
	v_cndmask_b32_e64 v18, 0, 1, s[10:11]
	v_cmp_ne_u32_e32 vcc, 0, v18
	s_bcnt1_i32_b64 s10, vcc
	v_add_u32_e32 v5, s10, v5
	v_add_u32_e32 v10, s76, v10
	v_mov_b32_e32 v18, v36
	s_andn2_b64 exec, exec, s[16:17]
	s_cbranch_execz .LBB39_61
.LBB39_59:                              ;   Parent Loop BB39_15 Depth=1
                                        ; =>  This Inner Loop Header: Depth=2
	v_add_u32_e32 v17, s66, v17
	v_cmp_gt_u32_e64 s[18:19], s60, v17
	v_cmp_le_u32_e32 vcc, s60, v17
	v_mov_b32_e32 v36, 0
	s_and_saveexec_b64 s[20:21], s[18:19]
	s_cbranch_execz .LBB39_58
; %bb.60:                               ;   in Loop: Header=BB39_59 Depth=2
	v_lshlrev_b64 v[36:37], 2, v[10:11]
	v_mov_b32_e32 v38, s64
	v_add_co_u32_e64 v36, s[18:19], s33, v36
	v_addc_co_u32_e64 v37, s[18:19], v38, v37, s[18:19]
	global_load_dword v36, v[36:37], off
	s_branch .LBB39_58
.LBB39_61:                              ;   in Loop: Header=BB39_15 Depth=1
	s_or_b64 exec, exec, s[16:17]
.LBB39_62:                              ;   in Loop: Header=BB39_15 Depth=1
	s_or_b64 exec, exec, s[8:9]
	s_branch .LBB39_72
.LBB39_63:                              ;   in Loop: Header=BB39_15 Depth=1
	v_readlane_b32 s5, v52, 41
	s_mul_hi_u32 s5, s4, s5
	s_mul_i32 s5, s5, s79
	s_sub_i32 s5, s4, s5
	s_sub_i32 s8, s5, s79
	s_cmp_ge_u32 s5, s79
	s_cselect_b32 s5, s8, s5
	s_sub_i32 s8, s5, s79
	s_cmp_ge_u32 s5, s79
	s_cselect_b32 s5, s8, s5
	s_sub_i32 s5, s4, s5
	v_cmp_gt_u32_e32 vcc, s5, v21
	s_mov_b32 s11, 0
	s_waitcnt vmcnt(0)
	v_mov_b32_e32 v2, 0
	v_mov_b32_e32 v3, 0
	;; [unrolled: 1-line block ×4, first 2 shown]
	s_and_saveexec_b64 s[16:17], vcc
	s_cbranch_execz .LBB39_67
; %bb.64:                               ;   in Loop: Header=BB39_15 Depth=1
	s_and_b32 s10, s72, 0xfe
	s_mov_b64 s[8:9], 0
	v_mov_b32_e32 v10, v30
	s_mov_b32 s62, 0
	s_mov_b32 s63, 0
	;; [unrolled: 1-line block ×3, first 2 shown]
	v_mov_b32_e32 v17, v21
.LBB39_65:                              ;   Parent Loop BB39_15 Depth=1
                                        ; =>  This Inner Loop Header: Depth=2
	ds_read_b128 v[2:5], v10
	v_add_u32_e32 v17, s79, v17
	v_cmp_le_u32_e32 vcc, s5, v17
	v_add_u32_e32 v10, s12, v10
	s_waitcnt lgkmcnt(0)
	v_xor_b32_e32 v2, 0x80000000, v2
	v_xor_b32_e32 v3, 0x80000000, v3
	v_and_b32_e32 v18, v2, v33
	v_bfe_u32 v2, v2, s10, 2
	v_xor_b32_e32 v4, 0x80000000, v4
	v_and_b32_e32 v36, v3, v33
	v_bfe_u32 v3, v3, s10, 2
	v_cmp_eq_u32_e64 s[18:19], v18, v34
	v_cmp_eq_u32_e64 s[26:27], 0, v2
	v_xor_b32_e32 v5, 0x80000000, v5
	v_and_b32_e32 v37, v4, v33
	v_bfe_u32 v4, v4, s10, 2
	v_cmp_eq_u32_e64 s[20:21], v36, v34
	v_cmp_eq_u32_e64 s[28:29], 0, v3
	s_and_b64 s[26:27], s[18:19], s[26:27]
	v_and_b32_e32 v38, v5, v33
	v_bfe_u32 v5, v5, s10, 2
	v_cmp_eq_u32_e64 s[22:23], v37, v34
	v_cmp_eq_u32_e64 s[30:31], 0, v4
	;; [unrolled: 1-line block ×5, first 2 shown]
	v_cndmask_b32_e64 v2, 0, 1, s[26:27]
	s_and_b64 s[26:27], s[20:21], s[28:29]
	v_cmp_eq_u32_e64 s[24:25], v38, v34
	v_cmp_eq_u32_e64 s[34:35], 0, v5
	;; [unrolled: 1-line block ×5, first 2 shown]
	v_cndmask_b32_e64 v3, 0, 1, s[26:27]
	s_and_b64 s[26:27], s[22:23], s[30:31]
	v_cmp_eq_u32_e64 s[40:41], 1, v4
	v_cmp_eq_u32_e64 s[48:49], 2, v4
	;; [unrolled: 1-line block ×3, first 2 shown]
	v_cndmask_b32_e64 v4, 0, 1, s[26:27]
	s_and_b64 s[26:27], s[24:25], s[34:35]
	v_cmp_eq_u32_e64 s[42:43], 1, v5
	v_cmp_eq_u32_e64 s[50:51], 2, v5
	;; [unrolled: 1-line block ×3, first 2 shown]
	v_cndmask_b32_e64 v5, 0, 1, s[26:27]
	s_and_b64 s[26:27], s[18:19], s[36:37]
	v_cndmask_b32_e64 v18, 0, 1, s[26:27]
	s_and_b64 s[26:27], s[20:21], s[38:39]
	;; [unrolled: 2-line block ×5, first 2 shown]
	s_and_b64 s[18:19], s[18:19], s[52:53]
	v_cndmask_b32_e64 v39, 0, 1, s[26:27]
	s_and_b64 s[26:27], s[20:21], s[46:47]
	v_cndmask_b32_e64 v43, 0, 1, s[18:19]
	;; [unrolled: 2-line block ×7, first 2 shown]
	v_cndmask_b32_e64 v46, 0, 1, s[18:19]
	v_cmp_ne_u32_e64 s[18:19], 0, v2
	v_cmp_ne_u32_e64 s[20:21], 0, v3
	;; [unrolled: 1-line block ×11, first 2 shown]
	s_bcnt1_i32_b64 s18, s[18:19]
	s_bcnt1_i32_b64 s19, s[20:21]
	;; [unrolled: 1-line block ×8, first 2 shown]
	v_cmp_ne_u32_e64 s[34:35], 0, v38
	v_cmp_ne_u32_e64 s[40:41], 0, v41
	;; [unrolled: 1-line block ×3, first 2 shown]
	s_bcnt1_i32_b64 s23, s[28:29]
	s_bcnt1_i32_b64 s27, s[38:39]
	;; [unrolled: 1-line block ×3, first 2 shown]
	s_add_i32 s18, s74, s18
	s_add_i32 s22, s63, s22
	;; [unrolled: 1-line block ×4, first 2 shown]
	v_cmp_ne_u32_e64 s[42:43], 0, v42
	v_cmp_ne_u32_e64 s[50:51], 0, v46
	s_bcnt1_i32_b64 s25, s[34:35]
	s_bcnt1_i32_b64 s28, s[40:41]
	;; [unrolled: 1-line block ×3, first 2 shown]
	s_add_i32 s18, s18, s19
	s_add_i32 s19, s22, s23
	;; [unrolled: 1-line block ×4, first 2 shown]
	s_bcnt1_i32_b64 s29, s[42:43]
	s_bcnt1_i32_b64 s35, s[50:51]
	s_add_i32 s18, s18, s20
	s_add_i32 s19, s19, s24
	;; [unrolled: 1-line block ×8, first 2 shown]
	s_or_b64 s[8:9], vcc, s[8:9]
	v_mov_b32_e32 v2, s74
	v_mov_b32_e32 v3, s63
	;; [unrolled: 1-line block ×4, first 2 shown]
	s_andn2_b64 exec, exec, s[8:9]
	s_cbranch_execnz .LBB39_65
; %bb.66:                               ;   in Loop: Header=BB39_15 Depth=1
	s_or_b64 exec, exec, s[8:9]
.LBB39_67:                              ;   in Loop: Header=BB39_15 Depth=1
	s_or_b64 exec, exec, s[16:17]
	v_add_u32_e32 v10, s5, v0
	v_cmp_gt_u32_e32 vcc, s4, v10
	s_and_saveexec_b64 s[8:9], vcc
	s_cbranch_execz .LBB39_71
; %bb.68:                               ;   in Loop: Header=BB39_15 Depth=1
	s_and_b32 s5, s72, 0xfe
	v_lshlrev_b32_e32 v17, 2, v10
	s_mov_b64 s[16:17], 0
.LBB39_69:                              ;   Parent Loop BB39_15 Depth=1
                                        ; =>  This Inner Loop Header: Depth=2
	ds_read_b32 v18, v17
	v_add_u32_e32 v10, s66, v10
	v_cmp_le_u32_e32 vcc, s4, v10
	v_add_u32_e32 v17, s79, v17
	s_waitcnt lgkmcnt(0)
	v_xor_b32_e32 v18, 0x80000000, v18
	v_and_b32_e32 v36, v18, v33
	v_bfe_u32 v18, v18, s5, 2
	v_cmp_eq_u32_e64 s[18:19], v36, v34
	v_cmp_eq_u32_e64 s[20:21], 0, v18
	;; [unrolled: 1-line block ×3, first 2 shown]
	s_and_b64 s[10:11], s[18:19], s[20:21]
	v_cmp_eq_u32_e64 s[24:25], 2, v18
	v_cmp_eq_u32_e64 s[26:27], 3, v18
	v_cndmask_b32_e64 v18, 0, 1, s[10:11]
	s_and_b64 s[10:11], s[18:19], s[22:23]
	v_cndmask_b32_e64 v36, 0, 1, s[10:11]
	s_and_b64 s[10:11], s[18:19], s[24:25]
	;; [unrolled: 2-line block ×3, first 2 shown]
	v_cndmask_b32_e64 v38, 0, 1, s[10:11]
	v_cmp_ne_u32_e64 s[18:19], 0, v18
	v_cmp_ne_u32_e64 s[20:21], 0, v36
	;; [unrolled: 1-line block ×4, first 2 shown]
	s_bcnt1_i32_b64 s10, s[18:19]
	s_bcnt1_i32_b64 s11, s[20:21]
	;; [unrolled: 1-line block ×4, first 2 shown]
	v_add_u32_e32 v2, s10, v2
	v_add_u32_e32 v3, s11, v3
	;; [unrolled: 1-line block ×3, first 2 shown]
	s_or_b64 s[16:17], vcc, s[16:17]
	v_add_u32_e32 v5, s19, v5
	s_andn2_b64 exec, exec, s[16:17]
	s_cbranch_execnz .LBB39_69
; %bb.70:                               ;   in Loop: Header=BB39_15 Depth=1
	s_or_b64 exec, exec, s[16:17]
.LBB39_71:                              ;   in Loop: Header=BB39_15 Depth=1
	s_or_b64 exec, exec, s[8:9]
.LBB39_72:                              ;   in Loop: Header=BB39_15 Depth=1
	s_lshl_b32 s4, s73, 6
	s_and_saveexec_b64 s[8:9], s[0:1]
	s_cbranch_execz .LBB39_74
; %bb.73:                               ;   in Loop: Header=BB39_15 Depth=1
	v_or_b32_e32 v10, s4, v22
	v_lshlrev_b32_e32 v10, 2, v10
	s_waitcnt vmcnt(0)
	ds_write_b128 v10, v[2:5] offset:3072
.LBB39_74:                              ;   in Loop: Header=BB39_15 Depth=1
	s_or_b64 exec, exec, s[8:9]
	s_waitcnt lgkmcnt(0)
	s_barrier
	s_mov_b64 s[8:9], exec
	v_readlane_b32 s10, v52, 16
	v_readlane_b32 s11, v52, 17
	s_and_b64 s[10:11], s[8:9], s[10:11]
	s_mov_b64 exec, s[10:11]
	s_cbranch_execz .LBB39_88
; %bb.75:                               ;   in Loop: Header=BB39_15 Depth=1
	v_readlane_b32 s10, v52, 20
	v_readlane_b32 s11, v52, 21
	v_add_u32_e32 v4, s4, v1
	s_andn2_b64 vcc, exec, s[10:11]
	s_waitcnt vmcnt(0)
	v_mov_b32_e32 v2, 0
	s_cbranch_vccnz .LBB39_87
; %bb.76:                               ;   in Loop: Header=BB39_15 Depth=1
	v_readlane_b32 s10, v52, 25
	v_readlane_b32 s11, v52, 26
	s_mov_b32 s5, 0
	s_and_b64 vcc, exec, s[10:11]
	v_mov_b32_e32 v2, 0
	s_cbranch_vccz .LBB39_80
; %bb.77:                               ;   in Loop: Header=BB39_15 Depth=1
	v_readlane_b32 s10, v52, 31
	v_readlane_b32 s16, v52, 10
	;; [unrolled: 1-line block ×3, first 2 shown]
	v_lshl_add_u32 v5, v4, 2, v32
	v_readlane_b32 s17, v52, 11
	s_andn2_b64 vcc, exec, s[10:11]
	s_cbranch_vccnz .LBB39_81
; %bb.78:                               ;   in Loop: Header=BB39_15 Depth=1
	v_writelane_b32 v52, s16, 10
	v_writelane_b32 v52, s17, 11
	s_mov_b32 s17, 1
	s_mov_b32 s16, 0
	v_mov_b32_e32 v2, 0
	v_readlane_b32 s5, v52, 33
	v_mov_b32_e32 v3, 0
.LBB39_79:                              ;   Parent Loop BB39_15 Depth=1
                                        ; =>  This Inner Loop Header: Depth=2
	v_lshl_add_u32 v10, s16, 4, v5
	v_lshl_add_u32 v17, s17, 4, v5
	ds_read2_b32 v[36:37], v10 offset1:8
	ds_read2_b32 v[38:39], v17 offset1:8
	ds_read2_b32 v[40:41], v10 offset0:16 offset1:24
	ds_read2_b32 v[42:43], v17 offset0:16 offset1:24
	;; [unrolled: 1-line block ×6, first 2 shown]
	s_waitcnt lgkmcnt(7)
	v_add3_u32 v2, v36, v2, v37
	s_waitcnt lgkmcnt(6)
	v_add3_u32 v3, v38, v3, v39
	;; [unrolled: 2-line block ×3, first 2 shown]
	v_add3_u32 v2, v40, v2, v41
	s_add_i32 s17, s17, 16
	s_add_i32 s16, s16, 16
	s_add_i32 s5, s5, -8
	s_waitcnt lgkmcnt(3)
	v_add3_u32 v2, v44, v2, v45
	s_waitcnt lgkmcnt(2)
	v_add3_u32 v3, v46, v3, v47
	s_cmp_lg_u32 s5, 0
	s_waitcnt lgkmcnt(0)
	v_add3_u32 v3, v50, v3, v51
	v_add3_u32 v2, v48, v2, v49
	s_cbranch_scc1 .LBB39_79
	s_branch .LBB39_82
.LBB39_80:                              ;   in Loop: Header=BB39_15 Depth=1
	s_cbranch_execnz .LBB39_85
	s_branch .LBB39_87
.LBB39_81:                              ;   in Loop: Header=BB39_15 Depth=1
	s_mov_b32 s10, s16
	s_mov_b32 s17, s16
	v_writelane_b32 v52, s10, 10
	v_pk_mov_b32 v[2:3], s[16:17], s[16:17] op_sel:[0,1]
	s_mov_b32 s17, 1
	v_writelane_b32 v52, s11, 11
.LBB39_82:                              ;   in Loop: Header=BB39_15 Depth=1
	v_readlane_b32 s10, v52, 35
	v_readlane_b32 s11, v52, 36
	s_andn2_b64 vcc, exec, s[10:11]
	v_readlane_b32 s5, v52, 34
	s_cbranch_vccnz .LBB39_84
.LBB39_83:                              ;   Parent Loop BB39_15 Depth=1
                                        ; =>  This Inner Loop Header: Depth=2
	v_lshl_add_u32 v10, s16, 4, v5
	v_lshl_add_u32 v17, s17, 4, v5
	ds_read_b32 v17, v17
	ds_read_b32 v10, v10
	s_add_i32 s17, s17, 2
	s_add_i32 s16, s16, 2
	s_add_i32 s5, s5, -1
	s_cmp_lg_u32 s5, 0
	s_waitcnt lgkmcnt(1)
	v_add_u32_e32 v3, v17, v3
	s_waitcnt lgkmcnt(0)
	v_add_u32_e32 v2, v10, v2
	s_cbranch_scc1 .LBB39_83
.LBB39_84:                              ;   in Loop: Header=BB39_15 Depth=1
	v_readlane_b32 s16, v52, 39
	v_add_u32_e32 v2, v2, v3
	v_readlane_b32 s5, v52, 38
	v_readlane_b32 s17, v52, 40
	s_and_b64 vcc, exec, s[16:17]
	s_cbranch_vccz .LBB39_87
.LBB39_85:                              ;   in Loop: Header=BB39_15 Depth=1
	s_lshl_b32 s10, s73, 8
	s_lshl_b32 s11, s5, 4
	s_add_i32 s10, s10, s11
	v_add_u32_e32 v3, s10, v31
	v_readlane_b32 s10, v52, 37
	s_sub_i32 s5, s10, s5
.LBB39_86:                              ;   Parent Loop BB39_15 Depth=1
                                        ; =>  This Inner Loop Header: Depth=2
	ds_read_b32 v5, v3
	s_add_i32 s5, s5, -1
	v_add_u32_e32 v3, 16, v3
	s_cmp_eq_u32 s5, 0
	s_waitcnt lgkmcnt(0)
	v_add_u32_e32 v2, v5, v2
	s_cbranch_scc0 .LBB39_86
.LBB39_87:                              ;   in Loop: Header=BB39_15 Depth=1
	v_lshlrev_b32_e32 v3, 2, v4
	ds_write_b32 v3, v2 offset:3072
.LBB39_88:                              ;   in Loop: Header=BB39_15 Depth=1
	s_or_b64 exec, exec, s[8:9]
	s_lshl_b32 s4, s4, 2
	s_waitcnt vmcnt(0)
	v_mov_b32_e32 v2, s4
	s_waitcnt lgkmcnt(0)
	s_barrier
	ds_read_b128 v[2:5], v2 offset:3072
	s_and_b32 s62, s72, 0xfe
	v_readlane_b32 s8, v52, 14
	s_lshl_b32 s11, 3, s62
	v_readlane_b32 s9, v52, 15
	s_waitcnt lgkmcnt(0)
	v_readfirstlane_b32 s10, v2
	v_readfirstlane_b32 s51, v3
	;; [unrolled: 1-line block ×4, first 2 shown]
	s_not_b32 s50, s11
	s_andn2_b64 vcc, exec, s[8:9]
	v_cmp_eq_u32_e64 s[18:19], 1, v35
	s_cbranch_vccnz .LBB39_101
; %bb.89:                               ;   in Loop: Header=BB39_15 Depth=1
	s_cmp_eq_u32 s10, 1
	s_cselect_b64 s[8:9], -1, 0
	s_and_b64 s[36:37], s[8:9], s[18:19]
	s_mov_b64 s[8:9], -1
	v_mov_b32_e32 v4, v34
	v_mov_b32_e32 v5, v33
	;; [unrolled: 1-line block ×3, first 2 shown]
                                        ; implicit-def: $sgpr22_sgpr23
                                        ; implicit-def: $sgpr28_sgpr29
                                        ; implicit-def: $sgpr26_sgpr27
	s_and_saveexec_b64 s[24:25], s[36:37]
	s_cbranch_execz .LBB39_117
; %bb.90:                               ;   in Loop: Header=BB39_15 Depth=1
	ds_read_b32 v2, v11 offset:4096
	s_waitcnt lgkmcnt(0)
	s_barrier
	v_readfirstlane_b32 s5, v2
	s_mov_b64 s[8:9], exec
	v_readlane_b32 s16, v52, 29
	v_readlane_b32 s17, v52, 30
	s_and_b64 s[16:17], s[8:9], s[16:17]
	s_mov_b64 exec, s[16:17]
	s_cbranch_execz .LBB39_92
; %bb.91:                               ;   in Loop: Header=BB39_15 Depth=1
	ds_write_b32 v23, v11
.LBB39_92:                              ;   in Loop: Header=BB39_15 Depth=1
	s_or_b64 exec, exec, s[8:9]
	v_and_b32_e32 v4, s50, v34
	v_or_b32_e32 v5, s11, v33
	s_cmp_eq_u32 s5, 0
	s_waitcnt lgkmcnt(0)
	s_barrier
	s_cbranch_scc1 .LBB39_103
; %bb.93:                               ;   in Loop: Header=BB39_15 Depth=1
	v_readlane_b32 s8, v52, 22
	s_add_i32 s8, s5, s8
	v_readlane_b32 s9, v52, 44
	s_mul_hi_u32 s9, s8, s9
	s_mul_i32 s9, s9, s66
	s_sub_i32 s9, s8, s9
	s_sub_i32 s16, s9, s66
	s_cmp_ge_u32 s9, s66
	s_cselect_b32 s9, s16, s9
	s_sub_i32 s16, s9, s66
	s_cmp_ge_u32 s9, s66
	s_cselect_b32 s9, s16, s9
	s_sub_i32 s26, s8, s9
	v_cmp_gt_u32_e32 vcc, s26, v0
	s_mov_b64 s[16:17], 0
                                        ; implicit-def: $vgpr3
	s_and_saveexec_b64 s[8:9], vcc
	s_cbranch_execz .LBB39_105
; %bb.94:                               ;   in Loop: Header=BB39_15 Depth=1
	v_mov_b32_e32 v10, v21
	v_mov_b32_e32 v18, v0
                                        ; implicit-def: $sgpr20_sgpr21
	s_branch .LBB39_96
.LBB39_95:                              ;   in Loop: Header=BB39_96 Depth=2
	s_or_b64 exec, exec, s[22:23]
	s_waitcnt lgkmcnt(0)
	s_barrier
	ds_read_b64 v[2:3], v11 offset:3072
	v_add_u32_e32 v18, s66, v18
	v_cmp_le_u32_e32 vcc, s26, v18
	v_add_u32_e32 v10, s79, v10
	s_waitcnt lgkmcnt(0)
	v_readfirstlane_b32 s22, v2
	s_cmp_lg_u32 s22, 0
	s_cselect_b64 s[22:23], -1, 0
	s_or_b64 s[28:29], vcc, s[22:23]
	s_and_b64 s[28:29], exec, s[28:29]
	s_or_b64 s[16:17], s[28:29], s[16:17]
	s_andn2_b64 s[20:21], s[20:21], exec
	s_and_b64 s[22:23], s[22:23], exec
	s_or_b64 s[20:21], s[20:21], s[22:23]
	s_barrier
	s_andn2_b64 exec, exec, s[16:17]
	s_cbranch_execz .LBB39_104
.LBB39_96:                              ;   Parent Loop BB39_15 Depth=1
                                        ; =>  This Inner Loop Header: Depth=2
	v_cmp_gt_u32_e32 vcc, s5, v18
	v_mov_b32_e32 v17, 0
	s_and_saveexec_b64 s[22:23], vcc
	s_cbranch_execz .LBB39_98
; %bb.97:                               ;   in Loop: Header=BB39_96 Depth=2
	ds_read_b32 v17, v10
.LBB39_98:                              ;   in Loop: Header=BB39_96 Depth=2
	s_or_b64 exec, exec, s[22:23]
	s_and_saveexec_b64 s[22:23], vcc
	s_cbranch_execz .LBB39_95
; %bb.99:                               ;   in Loop: Header=BB39_96 Depth=2
	s_waitcnt lgkmcnt(0)
	v_xor_b32_e32 v2, 0x80000000, v17
	v_and_b32_e32 v2, v2, v5
	v_cmp_eq_u32_e32 vcc, v2, v4
	s_and_b64 exec, exec, vcc
	s_cbranch_execz .LBB39_95
; %bb.100:                              ;   in Loop: Header=BB39_96 Depth=2
	ds_write_b64 v11, v[16:17] offset:3072
	s_branch .LBB39_95
.LBB39_101:                             ;   in Loop: Header=BB39_15 Depth=1
	s_mov_b64 s[24:25], 0
	s_mov_b64 s[20:21], 0
                                        ; implicit-def: $sgpr26_sgpr27
                                        ; implicit-def: $sgpr28_sgpr29
                                        ; implicit-def: $sgpr22_sgpr23
                                        ; implicit-def: $vgpr2
                                        ; implicit-def: $vgpr36
                                        ; implicit-def: $vgpr4
                                        ; implicit-def: $vgpr5
                                        ; implicit-def: $vgpr3
	s_cbranch_execnz .LBB39_253
.LBB39_102:                             ;   in Loop: Header=BB39_15 Depth=1
	s_mov_b64 s[30:31], s[22:23]
	s_mov_b64 s[34:35], s[22:23]
	s_and_saveexec_b64 s[8:9], s[24:25]
	s_cbranch_execnz .LBB39_415
	s_branch .LBB39_416
.LBB39_103:                             ;   in Loop: Header=BB39_15 Depth=1
	s_mov_b64 s[22:23], -1
	s_mov_b64 s[16:17], 0
                                        ; implicit-def: $sgpr26_sgpr27
                                        ; implicit-def: $vgpr3
	s_mov_b64 s[28:29], s[22:23]
	s_cbranch_execnz .LBB39_106
	s_branch .LBB39_116
.LBB39_104:                             ;   in Loop: Header=BB39_15 Depth=1
	s_or_b64 exec, exec, s[16:17]
	s_and_b64 s[16:17], s[20:21], exec
.LBB39_105:                             ;   in Loop: Header=BB39_15 Depth=1
	s_or_b64 exec, exec, s[8:9]
	s_mov_b64 s[26:27], -1
	s_mov_b64 s[22:23], 0
	s_mov_b64 s[28:29], s[22:23]
	s_branch .LBB39_116
.LBB39_106:                             ;   in Loop: Header=BB39_15 Depth=1
	s_mov_b64 s[16:17], 0
                                        ; implicit-def: $vgpr3
	s_mov_b64 s[8:9], exec
	v_readlane_b32 s20, v52, 45
	v_readlane_b32 s21, v52, 46
	s_and_b64 s[20:21], s[8:9], s[20:21]
	s_mov_b64 exec, s[20:21]
	s_cbranch_execz .LBB39_115
; %bb.107:                              ;   in Loop: Header=BB39_15 Depth=1
	v_mov_b32_e32 v10, v12
	v_mov_b32_e32 v18, v0
                                        ; implicit-def: $sgpr22_sgpr23
	s_branch .LBB39_109
.LBB39_108:                             ;   in Loop: Header=BB39_109 Depth=2
	s_or_b64 exec, exec, s[20:21]
	s_waitcnt lgkmcnt(0)
	s_barrier
	ds_read_b64 v[2:3], v11 offset:3072
	v_add_u32_e32 v18, s66, v18
	v_cmp_le_u32_e32 vcc, s6, v18
	v_add_u32_e32 v10, s76, v10
	s_waitcnt lgkmcnt(0)
	v_readfirstlane_b32 s5, v2
	s_cmp_lg_u32 s5, 0
	s_cselect_b64 s[20:21], -1, 0
	s_or_b64 s[26:27], vcc, s[20:21]
	s_and_b64 s[26:27], exec, s[26:27]
	s_or_b64 s[16:17], s[26:27], s[16:17]
	s_andn2_b64 s[22:23], s[22:23], exec
	s_and_b64 s[20:21], s[20:21], exec
	s_or_b64 s[22:23], s[22:23], s[20:21]
	s_barrier
	s_andn2_b64 exec, exec, s[16:17]
	s_cbranch_execz .LBB39_114
.LBB39_109:                             ;   Parent Loop BB39_15 Depth=1
                                        ; =>  This Inner Loop Header: Depth=2
	v_cmp_gt_u32_e32 vcc, s60, v18
	s_waitcnt vmcnt(0)
	v_mov_b32_e32 v17, 0
	s_and_saveexec_b64 s[26:27], vcc
	s_cbranch_execz .LBB39_111
; %bb.110:                              ;   in Loop: Header=BB39_109 Depth=2
	v_lshlrev_b64 v[2:3], 2, v[10:11]
	v_mov_b32_e32 v17, s64
	v_add_co_u32_e64 v2, s[20:21], s33, v2
	v_addc_co_u32_e64 v3, s[20:21], v17, v3, s[20:21]
	global_load_dword v17, v[2:3], off
.LBB39_111:                             ;   in Loop: Header=BB39_109 Depth=2
	s_or_b64 exec, exec, s[26:27]
	s_and_saveexec_b64 s[20:21], vcc
	s_cbranch_execz .LBB39_108
; %bb.112:                              ;   in Loop: Header=BB39_109 Depth=2
	s_waitcnt vmcnt(0)
	v_xor_b32_e32 v2, 0x80000000, v17
	v_and_b32_e32 v2, v2, v5
	v_cmp_eq_u32_e32 vcc, v2, v4
	s_and_b64 exec, exec, vcc
	s_cbranch_execz .LBB39_108
; %bb.113:                              ;   in Loop: Header=BB39_109 Depth=2
	ds_write_b64 v11, v[16:17] offset:3072
	s_branch .LBB39_108
.LBB39_114:                             ;   in Loop: Header=BB39_15 Depth=1
	s_or_b64 exec, exec, s[16:17]
	s_and_b64 s[16:17], s[22:23], exec
.LBB39_115:                             ;   in Loop: Header=BB39_15 Depth=1
	s_or_b64 exec, exec, s[8:9]
	s_mov_b64 s[28:29], -1
	s_mov_b64 s[22:23], 0
	s_mov_b64 s[26:27], 0
.LBB39_116:                             ;   in Loop: Header=BB39_15 Depth=1
	s_orn2_b64 s[8:9], s[16:17], exec
.LBB39_117:                             ;   in Loop: Header=BB39_15 Depth=1
	s_or_b64 exec, exec, s[24:25]
	s_mov_b64 s[30:31], 0
	s_mov_b64 s[24:25], 0
	;; [unrolled: 1-line block ×3, first 2 shown]
                                        ; implicit-def: $vgpr2
                                        ; implicit-def: $vgpr36
	s_and_saveexec_b64 s[34:35], s[8:9]
	s_cbranch_execz .LBB39_252
; %bb.118:                              ;   in Loop: Header=BB39_15 Depth=1
	s_xor_b64 s[16:17], s[36:37], -1
	v_mov_b32_e32 v36, 1
	v_mov_b32_e32 v2, 1
	s_and_saveexec_b64 s[8:9], s[16:17]
	s_cbranch_execz .LBB39_128
; %bb.119:                              ;   in Loop: Header=BB39_15 Depth=1
	v_cmp_ge_u32_e32 vcc, s10, v35
                                        ; implicit-def: $sgpr5
                                        ; implicit-def: $sgpr16_sgpr17
	s_and_saveexec_b64 s[20:21], vcc
	s_xor_b64 s[20:21], exec, s[20:21]
	s_cbranch_execz .LBB39_125
; %bb.120:                              ;   in Loop: Header=BB39_15 Depth=1
	ds_read_b32 v2, v11 offset:4096
	s_waitcnt lgkmcnt(0)
	v_cmp_ne_u32_e32 vcc, 0, v2
	s_cbranch_vccnz .LBB39_124
; %bb.121:                              ;   in Loop: Header=BB39_15 Depth=1
	s_mov_b64 s[16:17], exec
	v_readlane_b32 s24, v52, 5
	v_readlane_b32 s25, v52, 6
	s_and_b64 s[24:25], s[16:17], s[24:25]
	s_mov_b64 exec, s[24:25]
	s_cbranch_execz .LBB39_123
; %bb.122:                              ;   in Loop: Header=BB39_15 Depth=1
	v_mov_b32_e32 v2, s10
	ds_write_b32 v11, v2 offset:4100
.LBB39_123:                             ;   in Loop: Header=BB39_15 Depth=1
	s_or_b64 exec, exec, s[16:17]
	s_waitcnt lgkmcnt(0)
	s_barrier
.LBB39_124:                             ;   in Loop: Header=BB39_15 Depth=1
	v_and_b32_e32 v4, s50, v4
	v_or_b32_e32 v5, s11, v5
	s_mov_b64 s[16:17], 0
	s_mov_b32 s5, 8
.LBB39_125:                             ;   in Loop: Header=BB39_15 Depth=1
	s_or_saveexec_b64 s[20:21], s[20:21]
	v_mov_b32_e32 v2, s5
	v_mov_b32_e32 v36, v35
	s_xor_b64 exec, exec, s[20:21]
; %bb.126:                              ;   in Loop: Header=BB39_15 Depth=1
	v_subrev_u32_e32 v36, s10, v35
	v_mov_b32_e32 v2, 0
	s_or_b64 s[16:17], s[16:17], exec
; %bb.127:                              ;   in Loop: Header=BB39_15 Depth=1
	s_or_b64 exec, exec, s[20:21]
	s_and_b64 s[20:21], s[16:17], exec
.LBB39_128:                             ;   in Loop: Header=BB39_15 Depth=1
	s_or_b64 exec, exec, s[8:9]
	s_mov_b64 s[38:39], -1
                                        ; implicit-def: $sgpr8_sgpr9
                                        ; implicit-def: $sgpr16_sgpr17
                                        ; implicit-def: $sgpr36_sgpr37
	s_and_saveexec_b64 s[24:25], s[20:21]
	s_xor_b64 s[24:25], exec, s[24:25]
	s_cbranch_execz .LBB39_249
; %bb.129:                              ;   in Loop: Header=BB39_15 Depth=1
	s_cmp_eq_u32 s51, 1
	s_cselect_b64 s[8:9], -1, 0
	v_cmp_eq_u32_e32 vcc, 1, v36
	s_and_b64 s[44:45], s[8:9], vcc
	s_mov_b64 s[8:9], -1
                                        ; implicit-def: $sgpr36_sgpr37
                                        ; implicit-def: $sgpr40_sgpr41
                                        ; implicit-def: $sgpr38_sgpr39
	s_and_saveexec_b64 s[42:43], s[44:45]
	s_cbranch_execz .LBB39_155
; %bb.130:                              ;   in Loop: Header=BB39_15 Depth=1
	ds_read_b32 v2, v11 offset:4096
	s_waitcnt lgkmcnt(0)
	s_barrier
	v_readfirstlane_b32 s5, v2
	s_mov_b64 s[8:9], exec
	v_readlane_b32 s16, v52, 29
	v_readlane_b32 s17, v52, 30
	s_and_b64 s[16:17], s[8:9], s[16:17]
	s_mov_b64 exec, s[16:17]
	s_cbranch_execz .LBB39_132
; %bb.131:                              ;   in Loop: Header=BB39_15 Depth=1
	ds_write_b32 v23, v11
.LBB39_132:                             ;   in Loop: Header=BB39_15 Depth=1
	s_or_b64 exec, exec, s[8:9]
	v_and_b32_e32 v2, s50, v4
	v_lshl_or_b32 v4, 1, s62, v2
	v_or_b32_e32 v5, s11, v5
	s_cmp_eq_u32 s5, 0
	s_waitcnt lgkmcnt(0)
	s_barrier
	s_cbranch_scc1 .LBB39_141
; %bb.133:                              ;   in Loop: Header=BB39_15 Depth=1
	v_readlane_b32 s8, v52, 22
	s_add_i32 s8, s5, s8
	v_readlane_b32 s9, v52, 44
	s_mul_hi_u32 s9, s8, s9
	s_mul_i32 s9, s9, s66
	s_sub_i32 s9, s8, s9
	s_sub_i32 s16, s9, s66
	s_cmp_ge_u32 s9, s66
	s_cselect_b32 s9, s16, s9
	s_sub_i32 s16, s9, s66
	s_cmp_ge_u32 s9, s66
	s_cselect_b32 s9, s16, s9
	s_sub_i32 s38, s8, s9
	v_cmp_gt_u32_e32 vcc, s38, v0
	s_mov_b64 s[16:17], 0
                                        ; implicit-def: $vgpr3
	s_and_saveexec_b64 s[8:9], vcc
	s_cbranch_execz .LBB39_143
; %bb.134:                              ;   in Loop: Header=BB39_15 Depth=1
	v_mov_b32_e32 v10, v21
	v_mov_b32_e32 v18, v0
                                        ; implicit-def: $sgpr20_sgpr21
	s_branch .LBB39_136
.LBB39_135:                             ;   in Loop: Header=BB39_136 Depth=2
	s_or_b64 exec, exec, s[36:37]
	s_waitcnt lgkmcnt(0)
	s_barrier
	ds_read_b64 v[2:3], v11 offset:3072
	v_add_u32_e32 v18, s66, v18
	v_cmp_le_u32_e32 vcc, s38, v18
	v_add_u32_e32 v10, s79, v10
	s_waitcnt lgkmcnt(0)
	v_readfirstlane_b32 s36, v2
	s_cmp_lg_u32 s36, 0
	s_cselect_b64 s[36:37], -1, 0
	s_or_b64 s[40:41], vcc, s[36:37]
	s_and_b64 s[40:41], exec, s[40:41]
	s_or_b64 s[16:17], s[40:41], s[16:17]
	s_andn2_b64 s[20:21], s[20:21], exec
	s_and_b64 s[36:37], s[36:37], exec
	s_or_b64 s[20:21], s[20:21], s[36:37]
	s_barrier
	s_andn2_b64 exec, exec, s[16:17]
	s_cbranch_execz .LBB39_142
.LBB39_136:                             ;   Parent Loop BB39_15 Depth=1
                                        ; =>  This Inner Loop Header: Depth=2
	v_cmp_gt_u32_e32 vcc, s5, v18
	s_waitcnt vmcnt(0)
	v_mov_b32_e32 v17, 0
	s_and_saveexec_b64 s[36:37], vcc
	s_cbranch_execz .LBB39_138
; %bb.137:                              ;   in Loop: Header=BB39_136 Depth=2
	ds_read_b32 v17, v10
.LBB39_138:                             ;   in Loop: Header=BB39_136 Depth=2
	s_or_b64 exec, exec, s[36:37]
	s_and_saveexec_b64 s[36:37], vcc
	s_cbranch_execz .LBB39_135
; %bb.139:                              ;   in Loop: Header=BB39_136 Depth=2
	s_waitcnt lgkmcnt(0)
	v_xor_b32_e32 v2, 0x80000000, v17
	v_and_b32_e32 v2, v2, v5
	v_cmp_eq_u32_e32 vcc, v2, v4
	s_and_b64 exec, exec, vcc
	s_cbranch_execz .LBB39_135
; %bb.140:                              ;   in Loop: Header=BB39_136 Depth=2
	ds_write_b64 v11, v[16:17] offset:3072
	s_branch .LBB39_135
.LBB39_141:                             ;   in Loop: Header=BB39_15 Depth=1
	s_mov_b64 s[36:37], -1
	s_mov_b64 s[16:17], 0
                                        ; implicit-def: $sgpr38_sgpr39
                                        ; implicit-def: $vgpr3
	s_mov_b64 s[40:41], s[36:37]
	s_cbranch_execnz .LBB39_144
	s_branch .LBB39_154
.LBB39_142:                             ;   in Loop: Header=BB39_15 Depth=1
	s_or_b64 exec, exec, s[16:17]
	s_and_b64 s[16:17], s[20:21], exec
.LBB39_143:                             ;   in Loop: Header=BB39_15 Depth=1
	s_or_b64 exec, exec, s[8:9]
	s_mov_b64 s[38:39], -1
	s_mov_b64 s[36:37], 0
	s_mov_b64 s[40:41], s[36:37]
	s_branch .LBB39_154
.LBB39_144:                             ;   in Loop: Header=BB39_15 Depth=1
	s_mov_b64 s[16:17], 0
                                        ; implicit-def: $vgpr3
	s_mov_b64 s[8:9], exec
	v_readlane_b32 s20, v52, 45
	v_readlane_b32 s21, v52, 46
	s_and_b64 s[20:21], s[8:9], s[20:21]
	s_mov_b64 exec, s[20:21]
	s_cbranch_execz .LBB39_153
; %bb.145:                              ;   in Loop: Header=BB39_15 Depth=1
	v_mov_b32_e32 v10, v12
	v_mov_b32_e32 v18, v0
                                        ; implicit-def: $sgpr36_sgpr37
	s_branch .LBB39_147
.LBB39_146:                             ;   in Loop: Header=BB39_147 Depth=2
	s_or_b64 exec, exec, s[20:21]
	s_waitcnt lgkmcnt(0)
	s_barrier
	ds_read_b64 v[2:3], v11 offset:3072
	v_add_u32_e32 v18, s66, v18
	v_cmp_le_u32_e32 vcc, s6, v18
	v_add_u32_e32 v10, s76, v10
	s_waitcnt lgkmcnt(0)
	v_readfirstlane_b32 s5, v2
	s_cmp_lg_u32 s5, 0
	s_cselect_b64 s[20:21], -1, 0
	s_or_b64 s[38:39], vcc, s[20:21]
	s_and_b64 s[38:39], exec, s[38:39]
	s_or_b64 s[16:17], s[38:39], s[16:17]
	s_andn2_b64 s[36:37], s[36:37], exec
	s_and_b64 s[20:21], s[20:21], exec
	s_or_b64 s[36:37], s[36:37], s[20:21]
	s_barrier
	s_andn2_b64 exec, exec, s[16:17]
	s_cbranch_execz .LBB39_152
.LBB39_147:                             ;   Parent Loop BB39_15 Depth=1
                                        ; =>  This Inner Loop Header: Depth=2
	v_cmp_gt_u32_e32 vcc, s60, v18
	s_waitcnt vmcnt(0)
	v_mov_b32_e32 v17, 0
	s_and_saveexec_b64 s[38:39], vcc
	s_cbranch_execz .LBB39_149
; %bb.148:                              ;   in Loop: Header=BB39_147 Depth=2
	v_lshlrev_b64 v[2:3], 2, v[10:11]
	v_mov_b32_e32 v17, s64
	v_add_co_u32_e64 v2, s[20:21], s33, v2
	v_addc_co_u32_e64 v3, s[20:21], v17, v3, s[20:21]
	global_load_dword v17, v[2:3], off
.LBB39_149:                             ;   in Loop: Header=BB39_147 Depth=2
	s_or_b64 exec, exec, s[38:39]
	s_and_saveexec_b64 s[20:21], vcc
	s_cbranch_execz .LBB39_146
; %bb.150:                              ;   in Loop: Header=BB39_147 Depth=2
	s_waitcnt vmcnt(0)
	v_xor_b32_e32 v2, 0x80000000, v17
	v_and_b32_e32 v2, v2, v5
	v_cmp_eq_u32_e32 vcc, v2, v4
	s_and_b64 exec, exec, vcc
	s_cbranch_execz .LBB39_146
; %bb.151:                              ;   in Loop: Header=BB39_147 Depth=2
	ds_write_b64 v11, v[16:17] offset:3072
	s_branch .LBB39_146
.LBB39_152:                             ;   in Loop: Header=BB39_15 Depth=1
	s_or_b64 exec, exec, s[16:17]
	s_and_b64 s[16:17], s[36:37], exec
.LBB39_153:                             ;   in Loop: Header=BB39_15 Depth=1
	s_or_b64 exec, exec, s[8:9]
	s_mov_b64 s[40:41], -1
	s_mov_b64 s[36:37], 0
	s_mov_b64 s[38:39], 0
.LBB39_154:                             ;   in Loop: Header=BB39_15 Depth=1
	s_orn2_b64 s[8:9], s[16:17], exec
.LBB39_155:                             ;   in Loop: Header=BB39_15 Depth=1
	s_or_b64 exec, exec, s[42:43]
	s_mov_b64 s[20:21], 0
                                        ; implicit-def: $vgpr2
	s_and_saveexec_b64 s[42:43], s[8:9]
	s_cbranch_execz .LBB39_248
; %bb.156:                              ;   in Loop: Header=BB39_15 Depth=1
	s_xor_b64 s[16:17], s[44:45], -1
	s_mov_b64 s[48:49], 0
	v_mov_b32_e32 v18, 1
	v_mov_b32_e32 v2, 1
	s_and_saveexec_b64 s[8:9], s[16:17]
	s_cbranch_execz .LBB39_166
; %bb.157:                              ;   in Loop: Header=BB39_15 Depth=1
	v_cmp_ge_u32_e32 vcc, s51, v36
                                        ; implicit-def: $sgpr5
                                        ; implicit-def: $sgpr16_sgpr17
	s_and_saveexec_b64 s[20:21], vcc
	s_xor_b64 s[20:21], exec, s[20:21]
	s_cbranch_execz .LBB39_163
; %bb.158:                              ;   in Loop: Header=BB39_15 Depth=1
	ds_read_b32 v2, v11 offset:4096
	s_waitcnt lgkmcnt(0)
	v_cmp_ne_u32_e32 vcc, 0, v2
	s_cbranch_vccnz .LBB39_162
; %bb.159:                              ;   in Loop: Header=BB39_15 Depth=1
	s_mov_b64 s[16:17], exec
	v_readlane_b32 s44, v52, 5
	v_readlane_b32 s45, v52, 6
	s_and_b64 s[44:45], s[16:17], s[44:45]
	s_mov_b64 exec, s[44:45]
	s_cbranch_execz .LBB39_161
; %bb.160:                              ;   in Loop: Header=BB39_15 Depth=1
	v_mov_b32_e32 v2, s51
	ds_write_b32 v11, v2 offset:4100
.LBB39_161:                             ;   in Loop: Header=BB39_15 Depth=1
	s_or_b64 exec, exec, s[16:17]
	s_waitcnt lgkmcnt(0)
	s_barrier
.LBB39_162:                             ;   in Loop: Header=BB39_15 Depth=1
	v_and_b32_e32 v2, s50, v4
	v_lshl_or_b32 v4, 1, s62, v2
	v_or_b32_e32 v5, s11, v5
	s_mov_b64 s[16:17], 0
	s_mov_b32 s5, 8
.LBB39_163:                             ;   in Loop: Header=BB39_15 Depth=1
	s_or_saveexec_b64 s[20:21], s[20:21]
	v_mov_b32_e32 v2, s5
	s_xor_b64 exec, exec, s[20:21]
; %bb.164:                              ;   in Loop: Header=BB39_15 Depth=1
	v_subrev_u32_e32 v36, s51, v36
	v_mov_b32_e32 v2, 0
	s_or_b64 s[16:17], s[16:17], exec
; %bb.165:                              ;   in Loop: Header=BB39_15 Depth=1
	s_or_b64 exec, exec, s[20:21]
	s_and_b64 s[48:49], s[16:17], exec
	v_mov_b32_e32 v18, v36
.LBB39_166:                             ;   in Loop: Header=BB39_15 Depth=1
	s_or_b64 exec, exec, s[8:9]
	s_mov_b64 s[8:9], -1
                                        ; implicit-def: $sgpr16_sgpr17
                                        ; implicit-def: $sgpr20_sgpr21
                                        ; implicit-def: $sgpr46_sgpr47
	s_and_saveexec_b64 s[44:45], s[48:49]
	s_cbranch_execz .LBB39_247
; %bb.167:                              ;   in Loop: Header=BB39_15 Depth=1
	s_cmp_eq_u32 s63, 1
	s_cselect_b64 s[8:9], -1, 0
	v_cmp_eq_u32_e32 vcc, 1, v18
	s_and_b64 s[54:55], s[8:9], vcc
	s_mov_b64 s[16:17], -1
                                        ; implicit-def: $sgpr46_sgpr47
                                        ; implicit-def: $sgpr48_sgpr49
                                        ; implicit-def: $sgpr8_sgpr9
                                        ; kill: killed $sgpr8_sgpr9
	s_and_saveexec_b64 s[52:53], s[54:55]
	s_cbranch_execz .LBB39_193
; %bb.168:                              ;   in Loop: Header=BB39_15 Depth=1
	ds_read_b32 v2, v11 offset:4096
	s_waitcnt lgkmcnt(0)
	s_barrier
	v_readfirstlane_b32 s5, v2
	s_mov_b64 s[8:9], exec
	v_readlane_b32 s16, v52, 29
	v_readlane_b32 s17, v52, 30
	s_and_b64 s[16:17], s[8:9], s[16:17]
	s_mov_b64 exec, s[16:17]
	s_cbranch_execz .LBB39_170
; %bb.169:                              ;   in Loop: Header=BB39_15 Depth=1
	ds_write_b32 v23, v11
.LBB39_170:                             ;   in Loop: Header=BB39_15 Depth=1
	s_or_b64 exec, exec, s[8:9]
	v_and_b32_e32 v2, s50, v4
	v_lshl_or_b32 v4, 2, s62, v2
	v_or_b32_e32 v5, s11, v5
	s_cmp_eq_u32 s5, 0
	s_waitcnt lgkmcnt(0)
	s_barrier
	s_cbranch_scc1 .LBB39_179
; %bb.171:                              ;   in Loop: Header=BB39_15 Depth=1
	v_readlane_b32 s8, v52, 22
	s_add_i32 s8, s5, s8
	v_readlane_b32 s9, v52, 44
	s_mul_hi_u32 s9, s8, s9
	s_mul_i32 s9, s9, s66
	s_sub_i32 s9, s8, s9
	s_sub_i32 s16, s9, s66
	s_cmp_ge_u32 s9, s66
	s_cselect_b32 s9, s16, s9
	s_sub_i32 s16, s9, s66
	s_cmp_ge_u32 s9, s66
	s_cselect_b32 s9, s16, s9
	s_sub_i32 s48, s8, s9
	v_cmp_gt_u32_e32 vcc, s48, v0
	s_mov_b64 s[16:17], 0
                                        ; implicit-def: $vgpr3
	s_and_saveexec_b64 s[8:9], vcc
	s_cbranch_execz .LBB39_181
; %bb.172:                              ;   in Loop: Header=BB39_15 Depth=1
	v_mov_b32_e32 v10, v21
	v_mov_b32_e32 v36, v0
                                        ; implicit-def: $sgpr20_sgpr21
	s_branch .LBB39_174
.LBB39_173:                             ;   in Loop: Header=BB39_174 Depth=2
	s_or_b64 exec, exec, s[46:47]
	s_waitcnt lgkmcnt(0)
	s_barrier
	ds_read_b64 v[2:3], v11 offset:3072
	v_add_u32_e32 v36, s66, v36
	v_cmp_le_u32_e32 vcc, s48, v36
	v_add_u32_e32 v10, s79, v10
	s_waitcnt lgkmcnt(0)
	v_readfirstlane_b32 s46, v2
	s_cmp_lg_u32 s46, 0
	s_cselect_b64 s[46:47], -1, 0
	s_or_b64 s[56:57], vcc, s[46:47]
	s_and_b64 s[56:57], exec, s[56:57]
	s_or_b64 s[16:17], s[56:57], s[16:17]
	s_andn2_b64 s[20:21], s[20:21], exec
	s_and_b64 s[46:47], s[46:47], exec
	s_or_b64 s[20:21], s[20:21], s[46:47]
	s_barrier
	s_andn2_b64 exec, exec, s[16:17]
	s_cbranch_execz .LBB39_180
.LBB39_174:                             ;   Parent Loop BB39_15 Depth=1
                                        ; =>  This Inner Loop Header: Depth=2
	v_cmp_gt_u32_e32 vcc, s5, v36
	s_waitcnt vmcnt(0)
	v_mov_b32_e32 v17, 0
	s_and_saveexec_b64 s[46:47], vcc
	s_cbranch_execz .LBB39_176
; %bb.175:                              ;   in Loop: Header=BB39_174 Depth=2
	ds_read_b32 v17, v10
.LBB39_176:                             ;   in Loop: Header=BB39_174 Depth=2
	s_or_b64 exec, exec, s[46:47]
	s_and_saveexec_b64 s[46:47], vcc
	s_cbranch_execz .LBB39_173
; %bb.177:                              ;   in Loop: Header=BB39_174 Depth=2
	s_waitcnt lgkmcnt(0)
	v_xor_b32_e32 v2, 0x80000000, v17
	v_and_b32_e32 v2, v2, v5
	v_cmp_eq_u32_e32 vcc, v2, v4
	s_and_b64 exec, exec, vcc
	s_cbranch_execz .LBB39_173
; %bb.178:                              ;   in Loop: Header=BB39_174 Depth=2
	ds_write_b64 v11, v[16:17] offset:3072
	s_branch .LBB39_173
.LBB39_179:                             ;   in Loop: Header=BB39_15 Depth=1
	s_mov_b64 s[46:47], -1
	s_mov_b64 s[16:17], 0
                                        ; implicit-def: $sgpr8_sgpr9
                                        ; implicit-def: $vgpr3
	s_mov_b64 s[48:49], s[46:47]
	s_cbranch_execnz .LBB39_182
	s_branch .LBB39_192
.LBB39_180:                             ;   in Loop: Header=BB39_15 Depth=1
	s_or_b64 exec, exec, s[16:17]
	s_and_b64 s[16:17], s[20:21], exec
.LBB39_181:                             ;   in Loop: Header=BB39_15 Depth=1
	s_or_b64 exec, exec, s[8:9]
	s_mov_b64 s[8:9], -1
	s_mov_b64 s[46:47], 0
	s_mov_b64 s[48:49], s[46:47]
	s_branch .LBB39_192
.LBB39_182:                             ;   in Loop: Header=BB39_15 Depth=1
	s_mov_b64 s[16:17], 0
                                        ; implicit-def: $vgpr3
	s_mov_b64 s[8:9], exec
	v_readlane_b32 s20, v52, 45
	v_readlane_b32 s21, v52, 46
	s_and_b64 s[20:21], s[8:9], s[20:21]
	s_mov_b64 exec, s[20:21]
	s_cbranch_execz .LBB39_191
; %bb.183:                              ;   in Loop: Header=BB39_15 Depth=1
	v_mov_b32_e32 v10, v12
	v_mov_b32_e32 v36, v0
                                        ; implicit-def: $sgpr46_sgpr47
	s_branch .LBB39_185
.LBB39_184:                             ;   in Loop: Header=BB39_185 Depth=2
	s_or_b64 exec, exec, s[20:21]
	s_waitcnt lgkmcnt(0)
	s_barrier
	ds_read_b64 v[2:3], v11 offset:3072
	v_add_u32_e32 v36, s66, v36
	v_cmp_le_u32_e32 vcc, s6, v36
	v_add_u32_e32 v10, s76, v10
	s_waitcnt lgkmcnt(0)
	v_readfirstlane_b32 s5, v2
	s_cmp_lg_u32 s5, 0
	s_cselect_b64 s[20:21], -1, 0
	s_or_b64 s[48:49], vcc, s[20:21]
	s_and_b64 s[48:49], exec, s[48:49]
	s_or_b64 s[16:17], s[48:49], s[16:17]
	s_andn2_b64 s[46:47], s[46:47], exec
	s_and_b64 s[20:21], s[20:21], exec
	s_or_b64 s[46:47], s[46:47], s[20:21]
	s_barrier
	s_andn2_b64 exec, exec, s[16:17]
	s_cbranch_execz .LBB39_190
.LBB39_185:                             ;   Parent Loop BB39_15 Depth=1
                                        ; =>  This Inner Loop Header: Depth=2
	v_cmp_gt_u32_e32 vcc, s60, v36
	s_waitcnt vmcnt(0)
	v_mov_b32_e32 v17, 0
	s_and_saveexec_b64 s[48:49], vcc
	s_cbranch_execz .LBB39_187
; %bb.186:                              ;   in Loop: Header=BB39_185 Depth=2
	v_lshlrev_b64 v[2:3], 2, v[10:11]
	v_mov_b32_e32 v17, s64
	v_add_co_u32_e64 v2, s[20:21], s33, v2
	v_addc_co_u32_e64 v3, s[20:21], v17, v3, s[20:21]
	global_load_dword v17, v[2:3], off
.LBB39_187:                             ;   in Loop: Header=BB39_185 Depth=2
	s_or_b64 exec, exec, s[48:49]
	s_and_saveexec_b64 s[20:21], vcc
	s_cbranch_execz .LBB39_184
; %bb.188:                              ;   in Loop: Header=BB39_185 Depth=2
	s_waitcnt vmcnt(0)
	v_xor_b32_e32 v2, 0x80000000, v17
	v_and_b32_e32 v2, v2, v5
	v_cmp_eq_u32_e32 vcc, v2, v4
	s_and_b64 exec, exec, vcc
	s_cbranch_execz .LBB39_184
; %bb.189:                              ;   in Loop: Header=BB39_185 Depth=2
	ds_write_b64 v11, v[16:17] offset:3072
	s_branch .LBB39_184
.LBB39_190:                             ;   in Loop: Header=BB39_15 Depth=1
	s_or_b64 exec, exec, s[16:17]
	s_and_b64 s[16:17], s[46:47], exec
.LBB39_191:                             ;   in Loop: Header=BB39_15 Depth=1
	s_or_b64 exec, exec, s[8:9]
	s_mov_b64 s[48:49], -1
	s_mov_b64 s[46:47], 0
	s_mov_b64 s[8:9], 0
.LBB39_192:                             ;   in Loop: Header=BB39_15 Depth=1
	v_writelane_b32 v52, s8, 51
	s_orn2_b64 s[16:17], s[16:17], exec
	v_writelane_b32 v52, s9, 52
.LBB39_193:                             ;   in Loop: Header=BB39_15 Depth=1
	s_or_b64 exec, exec, s[52:53]
	s_mov_b64 s[8:9], 0
                                        ; implicit-def: $vgpr2
	s_and_saveexec_b64 s[52:53], s[16:17]
	s_cbranch_execz .LBB39_246
; %bb.194:                              ;   in Loop: Header=BB39_15 Depth=1
	s_xor_b64 s[16:17], s[54:55], -1
	s_mov_b64 s[58:59], 0
	v_mov_b32_e32 v36, 1
	v_mov_b32_e32 v2, 1
	s_and_saveexec_b64 s[8:9], s[16:17]
	s_cbranch_execz .LBB39_204
; %bb.195:                              ;   in Loop: Header=BB39_15 Depth=1
	v_cmp_ge_u32_e32 vcc, s63, v18
                                        ; implicit-def: $sgpr5
                                        ; implicit-def: $sgpr16_sgpr17
	s_and_saveexec_b64 s[20:21], vcc
	s_xor_b64 s[20:21], exec, s[20:21]
	s_cbranch_execz .LBB39_201
; %bb.196:                              ;   in Loop: Header=BB39_15 Depth=1
	ds_read_b32 v2, v11 offset:4096
	s_waitcnt lgkmcnt(0)
	v_cmp_ne_u32_e32 vcc, 0, v2
	s_cbranch_vccnz .LBB39_200
; %bb.197:                              ;   in Loop: Header=BB39_15 Depth=1
	s_mov_b64 s[16:17], exec
	v_readlane_b32 s54, v52, 5
	v_readlane_b32 s55, v52, 6
	s_and_b64 s[54:55], s[16:17], s[54:55]
	s_mov_b64 exec, s[54:55]
	s_cbranch_execz .LBB39_199
; %bb.198:                              ;   in Loop: Header=BB39_15 Depth=1
	v_mov_b32_e32 v2, s63
	ds_write_b32 v11, v2 offset:4100
.LBB39_199:                             ;   in Loop: Header=BB39_15 Depth=1
	s_or_b64 exec, exec, s[16:17]
	s_waitcnt lgkmcnt(0)
	s_barrier
.LBB39_200:                             ;   in Loop: Header=BB39_15 Depth=1
	v_and_b32_e32 v2, s50, v4
	v_lshl_or_b32 v4, 2, s62, v2
	v_or_b32_e32 v5, s11, v5
	s_mov_b64 s[16:17], 0
	s_mov_b32 s5, 8
.LBB39_201:                             ;   in Loop: Header=BB39_15 Depth=1
	s_or_saveexec_b64 s[20:21], s[20:21]
	v_mov_b32_e32 v2, s5
	s_xor_b64 exec, exec, s[20:21]
; %bb.202:                              ;   in Loop: Header=BB39_15 Depth=1
	v_subrev_u32_e32 v18, s63, v18
	v_mov_b32_e32 v2, 0
	s_or_b64 s[16:17], s[16:17], exec
; %bb.203:                              ;   in Loop: Header=BB39_15 Depth=1
	s_or_b64 exec, exec, s[20:21]
	s_and_b64 s[58:59], s[16:17], exec
	v_mov_b32_e32 v36, v18
.LBB39_204:                             ;   in Loop: Header=BB39_15 Depth=1
	s_or_b64 exec, exec, s[8:9]
	s_mov_b64 s[56:57], -1
                                        ; implicit-def: $sgpr8_sgpr9
                                        ; implicit-def: $sgpr20_sgpr21
                                        ; implicit-def: $sgpr16_sgpr17
	s_and_saveexec_b64 s[54:55], s[58:59]
	s_cbranch_execz .LBB39_245
; %bb.205:                              ;   in Loop: Header=BB39_15 Depth=1
	s_cmp_eq_u32 s4, 1
	s_cselect_b64 s[8:9], -1, 0
	v_cmp_eq_u32_e32 vcc, 1, v36
	v_writelane_b32 v52, s75, 53
	s_and_b64 s[74:75], s[8:9], vcc
                                        ; implicit-def: $sgpr8_sgpr9
                                        ; implicit-def: $sgpr20_sgpr21
                                        ; implicit-def: $sgpr16_sgpr17
	s_mov_b64 s[58:59], exec
	v_writelane_b32 v52, s74, 54
	v_writelane_b32 v52, s75, 55
	s_and_b64 s[74:75], s[58:59], s[74:75]
	s_mov_b64 exec, s[74:75]
	s_cbranch_execz .LBB39_232
; %bb.206:                              ;   in Loop: Header=BB39_15 Depth=1
	ds_read_b32 v2, v11 offset:4096
	s_waitcnt lgkmcnt(0)
	s_barrier
	v_readfirstlane_b32 s5, v2
	s_mov_b64 s[8:9], exec
	v_readlane_b32 s16, v52, 29
	v_readlane_b32 s17, v52, 30
	s_and_b64 s[16:17], s[8:9], s[16:17]
	s_mov_b64 exec, s[16:17]
	s_cbranch_execz .LBB39_208
; %bb.207:                              ;   in Loop: Header=BB39_15 Depth=1
	ds_write_b32 v23, v11
.LBB39_208:                             ;   in Loop: Header=BB39_15 Depth=1
	s_or_b64 exec, exec, s[8:9]
	v_or_b32_e32 v4, s11, v4
	v_or_b32_e32 v5, s11, v5
	s_cmp_eq_u32 s5, 0
	s_waitcnt lgkmcnt(0)
	s_barrier
	s_cbranch_scc1 .LBB39_217
; %bb.209:                              ;   in Loop: Header=BB39_15 Depth=1
	v_readlane_b32 s8, v52, 22
	s_add_i32 s8, s5, s8
	v_readlane_b32 s9, v52, 44
	s_mul_hi_u32 s9, s8, s9
	s_mul_i32 s9, s9, s66
	s_sub_i32 s9, s8, s9
	s_sub_i32 s16, s9, s66
	s_cmp_ge_u32 s9, s66
	s_cselect_b32 s9, s16, s9
	s_sub_i32 s16, s9, s66
	s_cmp_ge_u32 s9, s66
	s_cselect_b32 s9, s16, s9
	s_sub_i32 s74, s8, s9
	s_mov_b64 s[56:57], 0
	v_cmp_gt_u32_e32 vcc, s74, v0
                                        ; implicit-def: $vgpr3
	s_mov_b64 s[8:9], exec
	v_writelane_b32 v52, s8, 56
	s_and_b64 s[16:17], s[8:9], vcc
	v_writelane_b32 v52, s9, 57
	s_mov_b64 exec, s[16:17]
	s_cbranch_execz .LBB39_219
; %bb.210:                              ;   in Loop: Header=BB39_15 Depth=1
	s_mov_b64 s[16:17], 0
	v_mov_b32_e32 v10, v21
	v_mov_b32_e32 v18, v0
                                        ; implicit-def: $sgpr20_sgpr21
	s_branch .LBB39_212
.LBB39_211:                             ;   in Loop: Header=BB39_212 Depth=2
	s_or_b64 exec, exec, s[56:57]
	s_waitcnt lgkmcnt(0)
	s_barrier
	ds_read_b64 v[2:3], v11 offset:3072
	v_add_u32_e32 v18, s66, v18
	v_cmp_le_u32_e32 vcc, s74, v18
	v_add_u32_e32 v10, s79, v10
	s_waitcnt lgkmcnt(0)
	v_readfirstlane_b32 s8, v2
	s_cmp_lg_u32 s8, 0
	s_cselect_b64 s[8:9], -1, 0
	s_or_b64 s[56:57], vcc, s[8:9]
	s_and_b64 s[56:57], exec, s[56:57]
	s_or_b64 s[16:17], s[56:57], s[16:17]
	s_andn2_b64 s[20:21], s[20:21], exec
	s_and_b64 s[8:9], s[8:9], exec
	s_or_b64 s[20:21], s[20:21], s[8:9]
	s_barrier
	s_andn2_b64 exec, exec, s[16:17]
	s_cbranch_execz .LBB39_218
.LBB39_212:                             ;   Parent Loop BB39_15 Depth=1
                                        ; =>  This Inner Loop Header: Depth=2
	v_cmp_gt_u32_e32 vcc, s5, v18
	s_waitcnt vmcnt(0)
	v_mov_b32_e32 v17, 0
	s_and_saveexec_b64 s[56:57], vcc
	s_cbranch_execz .LBB39_214
; %bb.213:                              ;   in Loop: Header=BB39_212 Depth=2
	ds_read_b32 v17, v10
.LBB39_214:                             ;   in Loop: Header=BB39_212 Depth=2
	s_or_b64 exec, exec, s[56:57]
	s_and_saveexec_b64 s[56:57], vcc
	s_cbranch_execz .LBB39_211
; %bb.215:                              ;   in Loop: Header=BB39_212 Depth=2
	s_waitcnt lgkmcnt(0)
	v_xor_b32_e32 v2, 0x80000000, v17
	v_and_b32_e32 v2, v2, v5
	v_cmp_eq_u32_e32 vcc, v2, v4
	s_and_b64 exec, exec, vcc
	s_cbranch_execz .LBB39_211
; %bb.216:                              ;   in Loop: Header=BB39_212 Depth=2
	ds_write_b64 v11, v[16:17] offset:3072
	s_branch .LBB39_211
.LBB39_217:                             ;   in Loop: Header=BB39_15 Depth=1
	s_mov_b64 s[8:9], -1
	s_mov_b64 s[56:57], 0
                                        ; implicit-def: $sgpr16_sgpr17
                                        ; implicit-def: $vgpr3
	s_branch .LBB39_220
.LBB39_218:                             ;   in Loop: Header=BB39_15 Depth=1
	s_or_b64 exec, exec, s[16:17]
	s_and_b64 s[56:57], s[20:21], exec
.LBB39_219:                             ;   in Loop: Header=BB39_15 Depth=1
	v_readlane_b32 s8, v52, 56
	v_readlane_b32 s9, v52, 57
	s_or_b64 exec, exec, s[8:9]
	s_mov_b64 s[16:17], -1
	s_mov_b64 s[8:9], 0
.LBB39_220:                             ;   in Loop: Header=BB39_15 Depth=1
	s_and_b64 vcc, exec, s[8:9]
	s_mov_b64 s[20:21], s[8:9]
	s_cbranch_vccz .LBB39_231
; %bb.221:                              ;   in Loop: Header=BB39_15 Depth=1
	s_mov_b64 s[56:57], 0
                                        ; implicit-def: $vgpr3
	s_mov_b64 s[74:75], exec
	v_readlane_b32 s8, v52, 45
	v_readlane_b32 s9, v52, 46
	s_and_b64 s[8:9], s[74:75], s[8:9]
	s_mov_b64 exec, s[8:9]
	s_cbranch_execz .LBB39_230
; %bb.222:                              ;   in Loop: Header=BB39_15 Depth=1
	s_mov_b64 s[16:17], 0
	v_mov_b32_e32 v10, v12
	v_mov_b32_e32 v18, v0
                                        ; implicit-def: $sgpr56_sgpr57
	s_branch .LBB39_224
.LBB39_223:                             ;   in Loop: Header=BB39_224 Depth=2
	s_or_b64 exec, exec, s[20:21]
	s_waitcnt lgkmcnt(0)
	s_barrier
	ds_read_b64 v[2:3], v11 offset:3072
	v_add_u32_e32 v18, s66, v18
	v_cmp_le_u32_e32 vcc, s6, v18
	v_add_u32_e32 v10, s76, v10
	s_waitcnt lgkmcnt(0)
	v_readfirstlane_b32 s5, v2
	s_cmp_lg_u32 s5, 0
	s_cselect_b64 s[8:9], -1, 0
	s_or_b64 s[20:21], vcc, s[8:9]
	s_and_b64 s[20:21], exec, s[20:21]
	s_or_b64 s[16:17], s[20:21], s[16:17]
	s_andn2_b64 s[20:21], s[56:57], exec
	s_and_b64 s[8:9], s[8:9], exec
	s_or_b64 s[56:57], s[20:21], s[8:9]
	s_barrier
	s_andn2_b64 exec, exec, s[16:17]
	s_cbranch_execz .LBB39_229
.LBB39_224:                             ;   Parent Loop BB39_15 Depth=1
                                        ; =>  This Inner Loop Header: Depth=2
	v_cmp_gt_u32_e32 vcc, s60, v18
	s_waitcnt vmcnt(0)
	v_mov_b32_e32 v17, 0
	s_and_saveexec_b64 s[8:9], vcc
	s_cbranch_execz .LBB39_226
; %bb.225:                              ;   in Loop: Header=BB39_224 Depth=2
	v_lshlrev_b64 v[2:3], 2, v[10:11]
	v_mov_b32_e32 v17, s64
	v_add_co_u32_e64 v2, s[20:21], s33, v2
	v_addc_co_u32_e64 v3, s[20:21], v17, v3, s[20:21]
	global_load_dword v17, v[2:3], off
.LBB39_226:                             ;   in Loop: Header=BB39_224 Depth=2
	s_or_b64 exec, exec, s[8:9]
	s_and_saveexec_b64 s[20:21], vcc
	s_cbranch_execz .LBB39_223
; %bb.227:                              ;   in Loop: Header=BB39_224 Depth=2
	s_waitcnt vmcnt(0)
	v_xor_b32_e32 v2, 0x80000000, v17
	v_and_b32_e32 v2, v2, v5
	v_cmp_eq_u32_e32 vcc, v2, v4
	s_and_b64 exec, exec, vcc
	s_cbranch_execz .LBB39_223
; %bb.228:                              ;   in Loop: Header=BB39_224 Depth=2
	ds_write_b64 v11, v[16:17] offset:3072
	s_branch .LBB39_223
.LBB39_229:                             ;   in Loop: Header=BB39_15 Depth=1
	s_or_b64 exec, exec, s[16:17]
	s_and_b64 s[56:57], s[56:57], exec
.LBB39_230:                             ;   in Loop: Header=BB39_15 Depth=1
	s_or_b64 exec, exec, s[74:75]
	s_mov_b64 s[20:21], -1
	s_mov_b64 s[8:9], 0
	s_mov_b64 s[16:17], 0
.LBB39_231:                             ;   in Loop: Header=BB39_15 Depth=1
	s_orn2_b64 s[56:57], s[56:57], exec
.LBB39_232:                             ;   in Loop: Header=BB39_15 Depth=1
	s_or_b64 exec, exec, s[58:59]
	s_mov_b64 vcc, 0
                                        ; implicit-def: $vgpr2
                                        ; implicit-def: $vgpr10
	s_and_saveexec_b64 s[58:59], s[56:57]
	s_cbranch_execz .LBB39_244
; %bb.233:                              ;   in Loop: Header=BB39_15 Depth=1
	v_readlane_b32 s56, v52, 54
	v_readlane_b32 s57, v52, 55
	s_xor_b64 s[74:75], s[56:57], -1
	v_mov_b32_e32 v2, 1
	v_mov_b32_e32 v10, 1
	s_and_saveexec_b64 s[56:57], s[74:75]
	s_cbranch_execz .LBB39_243
; %bb.234:                              ;   in Loop: Header=BB39_15 Depth=1
	v_cmp_ge_u32_e32 vcc, s4, v36
                                        ; implicit-def: $sgpr5
	s_and_saveexec_b64 s[74:75], vcc
	s_xor_b64 s[74:75], exec, s[74:75]
	s_cbranch_execz .LBB39_240
; %bb.235:                              ;   in Loop: Header=BB39_15 Depth=1
	ds_read_b32 v2, v11 offset:4096
	s_waitcnt lgkmcnt(0)
	v_cmp_ne_u32_e32 vcc, 0, v2
	s_cbranch_vccnz .LBB39_239
; %bb.236:                              ;   in Loop: Header=BB39_15 Depth=1
	v_writelane_b32 v52, s74, 58
	v_writelane_b32 v52, s75, 59
	s_mov_b64 vcc, exec
	v_readlane_b32 s74, v52, 5
	v_readlane_b32 s75, v52, 6
	s_and_b64 s[74:75], vcc, s[74:75]
	s_mov_b64 exec, s[74:75]
	s_cbranch_execz .LBB39_238
; %bb.237:                              ;   in Loop: Header=BB39_15 Depth=1
	v_mov_b32_e32 v2, s4
	ds_write_b32 v11, v2 offset:4100
.LBB39_238:                             ;   in Loop: Header=BB39_15 Depth=1
	s_or_b64 exec, exec, vcc
	v_readlane_b32 s74, v52, 58
	v_readlane_b32 s75, v52, 59
	s_waitcnt lgkmcnt(0)
	s_barrier
.LBB39_239:                             ;   in Loop: Header=BB39_15 Depth=1
	v_or_b32_e32 v4, s11, v4
	v_or_b32_e32 v5, s11, v5
	s_mov_b32 s5, 8
.LBB39_240:                             ;   in Loop: Header=BB39_15 Depth=1
	s_or_saveexec_b64 vcc, s[74:75]
	v_mov_b32_e32 v2, s5
	s_xor_b64 exec, exec, vcc
; %bb.241:                              ;   in Loop: Header=BB39_15 Depth=1
	v_subrev_u32_e32 v36, s4, v36
	v_mov_b32_e32 v2, 8
; %bb.242:                              ;   in Loop: Header=BB39_15 Depth=1
	s_or_b64 exec, exec, vcc
	v_mov_b32_e32 v10, v36
.LBB39_243:                             ;   in Loop: Header=BB39_15 Depth=1
	s_or_b64 exec, exec, s[56:57]
	s_mov_b64 vcc, exec
.LBB39_244:                             ;   in Loop: Header=BB39_15 Depth=1
	s_or_b64 exec, exec, s[58:59]
	s_orn2_b64 s[56:57], vcc, exec
	v_mov_b32_e32 v36, v10
	v_readlane_b32 s75, v52, 53
.LBB39_245:                             ;   in Loop: Header=BB39_15 Depth=1
	s_or_b64 exec, exec, s[54:55]
	s_andn2_b64 s[46:47], s[46:47], exec
	s_and_b64 s[8:9], s[8:9], exec
	s_or_b64 s[46:47], s[46:47], s[8:9]
	s_andn2_b64 s[8:9], s[48:49], exec
	s_and_b64 s[20:21], s[20:21], exec
	s_or_b64 s[48:49], s[8:9], s[20:21]
	v_readlane_b32 s8, v52, 51
	v_readlane_b32 s9, v52, 52
	s_andn2_b64 s[8:9], s[8:9], exec
	s_and_b64 s[16:17], s[16:17], exec
	s_or_b64 s[8:9], s[8:9], s[16:17]
	v_writelane_b32 v52, s8, 51
	v_writelane_b32 v52, s9, 52
	s_and_b64 s[8:9], s[56:57], exec
	v_mov_b32_e32 v18, v36
.LBB39_246:                             ;   in Loop: Header=BB39_15 Depth=1
	s_or_b64 exec, exec, s[52:53]
	v_readlane_b32 s16, v52, 51
	v_readlane_b32 s17, v52, 52
	s_and_b64 s[46:47], s[46:47], exec
	s_and_b64 s[20:21], s[48:49], exec
	;; [unrolled: 1-line block ×3, first 2 shown]
	s_orn2_b64 s[8:9], s[8:9], exec
.LBB39_247:                             ;   in Loop: Header=BB39_15 Depth=1
	s_or_b64 exec, exec, s[44:45]
	s_andn2_b64 s[40:41], s[40:41], exec
	s_and_b64 s[20:21], s[20:21], exec
	s_andn2_b64 s[36:37], s[36:37], exec
	s_and_b64 s[44:45], s[46:47], exec
	s_or_b64 s[40:41], s[40:41], s[20:21]
	s_andn2_b64 s[20:21], s[38:39], exec
	s_and_b64 s[16:17], s[16:17], exec
	s_or_b64 s[36:37], s[36:37], s[44:45]
	s_or_b64 s[38:39], s[20:21], s[16:17]
	s_and_b64 s[20:21], s[8:9], exec
	v_mov_b32_e32 v36, v18
.LBB39_248:                             ;   in Loop: Header=BB39_15 Depth=1
	s_or_b64 exec, exec, s[42:43]
	s_and_b64 s[36:37], s[36:37], exec
	s_and_b64 s[16:17], s[40:41], exec
	;; [unrolled: 1-line block ×3, first 2 shown]
	s_orn2_b64 s[38:39], s[20:21], exec
.LBB39_249:                             ;   in Loop: Header=BB39_15 Depth=1
	s_or_b64 exec, exec, s[24:25]
	s_mov_b64 s[24:25], 0
	s_mov_b64 s[20:21], 0
	s_and_saveexec_b64 s[40:41], s[38:39]
	s_xor_b64 s[38:39], exec, s[40:41]
; %bb.250:                              ;   in Loop: Header=BB39_15 Depth=1
	v_cmp_eq_u32_e32 vcc, 8, v2
	v_cmp_ne_u32_e64 s[20:21], 8, v2
	s_andn2_b64 s[36:37], s[36:37], exec
	s_andn2_b64 s[16:17], s[16:17], exec
	;; [unrolled: 1-line block ×3, first 2 shown]
	s_and_b64 s[20:21], s[20:21], exec
	s_and_b64 s[24:25], vcc, exec
; %bb.251:                              ;   in Loop: Header=BB39_15 Depth=1
	s_or_b64 exec, exec, s[38:39]
	s_andn2_b64 s[28:29], s[28:29], exec
	s_and_b64 s[16:17], s[16:17], exec
	s_andn2_b64 s[22:23], s[22:23], exec
	s_and_b64 s[36:37], s[36:37], exec
	s_or_b64 s[28:29], s[28:29], s[16:17]
	s_andn2_b64 s[16:17], s[26:27], exec
	s_and_b64 s[8:9], s[8:9], exec
	s_or_b64 s[22:23], s[22:23], s[36:37]
	s_or_b64 s[26:27], s[16:17], s[8:9]
	s_and_b64 s[20:21], s[20:21], exec
	s_and_b64 s[24:25], s[24:25], exec
.LBB39_252:                             ;   in Loop: Header=BB39_15 Depth=1
	s_or_b64 exec, exec, s[34:35]
	s_and_b64 vcc, exec, s[30:31]
	s_cbranch_vccz .LBB39_102
.LBB39_253:                             ;   in Loop: Header=BB39_15 Depth=1
	s_cmp_eq_u32 s4, 1
	s_cselect_b64 s[8:9], -1, 0
	s_and_b64 s[28:29], s[8:9], s[18:19]
	s_mov_b64 s[8:9], -1
                                        ; implicit-def: $sgpr30_sgpr31
                                        ; implicit-def: $sgpr34_sgpr35
                                        ; implicit-def: $sgpr22_sgpr23
	s_and_saveexec_b64 s[26:27], s[28:29]
	s_cbranch_execz .LBB39_279
; %bb.254:                              ;   in Loop: Header=BB39_15 Depth=1
	ds_read_b32 v2, v11 offset:4096
	s_waitcnt lgkmcnt(0)
	s_barrier
	v_readfirstlane_b32 s5, v2
	s_mov_b64 s[8:9], exec
	v_readlane_b32 s16, v52, 29
	v_readlane_b32 s17, v52, 30
	s_and_b64 s[16:17], s[8:9], s[16:17]
	s_mov_b64 exec, s[16:17]
	s_cbranch_execz .LBB39_256
; %bb.255:                              ;   in Loop: Header=BB39_15 Depth=1
	ds_write_b32 v23, v11
.LBB39_256:                             ;   in Loop: Header=BB39_15 Depth=1
	s_or_b64 exec, exec, s[8:9]
	v_or_b32_e32 v34, s11, v34
	v_or_b32_e32 v33, s11, v33
	s_cmp_eq_u32 s5, 0
	s_waitcnt lgkmcnt(0)
	s_barrier
	s_cbranch_scc1 .LBB39_265
; %bb.257:                              ;   in Loop: Header=BB39_15 Depth=1
	v_readlane_b32 s8, v52, 22
	s_add_i32 s8, s5, s8
	v_readlane_b32 s9, v52, 44
	s_mul_hi_u32 s9, s8, s9
	s_mul_i32 s9, s9, s66
	s_sub_i32 s9, s8, s9
	s_sub_i32 s16, s9, s66
	s_cmp_ge_u32 s9, s66
	s_cselect_b32 s9, s16, s9
	s_sub_i32 s16, s9, s66
	s_cmp_ge_u32 s9, s66
	s_cselect_b32 s9, s16, s9
	s_sub_i32 s30, s8, s9
	v_cmp_gt_u32_e32 vcc, s30, v0
	s_mov_b64 s[16:17], 0
                                        ; implicit-def: $vgpr19
	s_and_saveexec_b64 s[8:9], vcc
	s_cbranch_execz .LBB39_267
; %bb.258:                              ;   in Loop: Header=BB39_15 Depth=1
	v_mov_b32_e32 v2, v21
	v_mov_b32_e32 v3, v0
                                        ; implicit-def: $sgpr18_sgpr19
	s_branch .LBB39_260
.LBB39_259:                             ;   in Loop: Header=BB39_260 Depth=2
	s_or_b64 exec, exec, s[22:23]
	s_waitcnt lgkmcnt(0)
	s_barrier
	ds_read_b64 v[18:19], v11 offset:3072
	v_add_u32_e32 v3, s66, v3
	v_cmp_le_u32_e32 vcc, s30, v3
	v_add_u32_e32 v2, s79, v2
	s_waitcnt lgkmcnt(0)
	v_readfirstlane_b32 s22, v18
	s_cmp_lg_u32 s22, 0
	s_cselect_b64 s[22:23], -1, 0
	s_or_b64 s[34:35], vcc, s[22:23]
	s_and_b64 s[34:35], exec, s[34:35]
	s_or_b64 s[16:17], s[34:35], s[16:17]
	s_andn2_b64 s[18:19], s[18:19], exec
	s_and_b64 s[22:23], s[22:23], exec
	s_or_b64 s[18:19], s[18:19], s[22:23]
	s_barrier
	s_andn2_b64 exec, exec, s[16:17]
	s_cbranch_execz .LBB39_266
.LBB39_260:                             ;   Parent Loop BB39_15 Depth=1
                                        ; =>  This Inner Loop Header: Depth=2
	v_cmp_gt_u32_e32 vcc, s5, v3
	s_waitcnt vmcnt(0)
	v_mov_b32_e32 v17, 0
	s_and_saveexec_b64 s[22:23], vcc
	s_cbranch_execz .LBB39_262
; %bb.261:                              ;   in Loop: Header=BB39_260 Depth=2
	ds_read_b32 v17, v2
.LBB39_262:                             ;   in Loop: Header=BB39_260 Depth=2
	s_or_b64 exec, exec, s[22:23]
	s_and_saveexec_b64 s[22:23], vcc
	s_cbranch_execz .LBB39_259
; %bb.263:                              ;   in Loop: Header=BB39_260 Depth=2
	s_waitcnt lgkmcnt(0)
	v_xor_b32_e32 v4, 0x80000000, v17
	v_and_b32_e32 v4, v4, v33
	v_cmp_eq_u32_e32 vcc, v4, v34
	s_and_b64 exec, exec, vcc
	s_cbranch_execz .LBB39_259
; %bb.264:                              ;   in Loop: Header=BB39_260 Depth=2
	ds_write_b64 v11, v[16:17] offset:3072
	s_branch .LBB39_259
.LBB39_265:                             ;   in Loop: Header=BB39_15 Depth=1
	s_mov_b64 s[30:31], -1
	s_mov_b64 s[16:17], 0
                                        ; implicit-def: $sgpr34_sgpr35
                                        ; implicit-def: $vgpr19
	s_mov_b64 s[22:23], s[30:31]
	s_cbranch_execnz .LBB39_268
	s_branch .LBB39_278
.LBB39_266:                             ;   in Loop: Header=BB39_15 Depth=1
	s_or_b64 exec, exec, s[16:17]
	s_and_b64 s[16:17], s[18:19], exec
.LBB39_267:                             ;   in Loop: Header=BB39_15 Depth=1
	s_or_b64 exec, exec, s[8:9]
	s_mov_b64 s[30:31], 0
	s_mov_b64 s[34:35], -1
	s_mov_b64 s[22:23], s[30:31]
	s_branch .LBB39_278
.LBB39_268:                             ;   in Loop: Header=BB39_15 Depth=1
	s_mov_b64 s[16:17], 0
                                        ; implicit-def: $vgpr19
	s_mov_b64 s[8:9], exec
	v_readlane_b32 s18, v52, 45
	v_readlane_b32 s19, v52, 46
	s_and_b64 s[18:19], s[8:9], s[18:19]
	s_mov_b64 exec, s[18:19]
	s_cbranch_execz .LBB39_277
; %bb.269:                              ;   in Loop: Header=BB39_15 Depth=1
	v_mov_b32_e32 v10, v12
	v_mov_b32_e32 v2, v0
                                        ; implicit-def: $sgpr22_sgpr23
	s_branch .LBB39_271
.LBB39_270:                             ;   in Loop: Header=BB39_271 Depth=2
	s_or_b64 exec, exec, s[18:19]
	s_waitcnt lgkmcnt(0)
	s_barrier
	ds_read_b64 v[18:19], v11 offset:3072
	v_add_u32_e32 v2, s66, v2
	v_cmp_le_u32_e32 vcc, s6, v2
	v_add_u32_e32 v10, s76, v10
	s_waitcnt lgkmcnt(0)
	v_readfirstlane_b32 s5, v18
	s_cmp_lg_u32 s5, 0
	s_cselect_b64 s[18:19], -1, 0
	s_or_b64 s[30:31], vcc, s[18:19]
	s_and_b64 s[30:31], exec, s[30:31]
	s_or_b64 s[16:17], s[30:31], s[16:17]
	s_andn2_b64 s[22:23], s[22:23], exec
	s_and_b64 s[18:19], s[18:19], exec
	s_or_b64 s[22:23], s[22:23], s[18:19]
	s_barrier
	s_andn2_b64 exec, exec, s[16:17]
	s_cbranch_execz .LBB39_276
.LBB39_271:                             ;   Parent Loop BB39_15 Depth=1
                                        ; =>  This Inner Loop Header: Depth=2
	v_cmp_gt_u32_e32 vcc, s60, v2
	s_waitcnt vmcnt(0)
	v_mov_b32_e32 v17, 0
	s_and_saveexec_b64 s[30:31], vcc
	s_cbranch_execz .LBB39_273
; %bb.272:                              ;   in Loop: Header=BB39_271 Depth=2
	v_lshlrev_b64 v[4:5], 2, v[10:11]
	v_mov_b32_e32 v3, s64
	v_add_co_u32_e64 v4, s[18:19], s33, v4
	v_addc_co_u32_e64 v5, s[18:19], v3, v5, s[18:19]
	global_load_dword v17, v[4:5], off
.LBB39_273:                             ;   in Loop: Header=BB39_271 Depth=2
	s_or_b64 exec, exec, s[30:31]
	s_and_saveexec_b64 s[18:19], vcc
	s_cbranch_execz .LBB39_270
; %bb.274:                              ;   in Loop: Header=BB39_271 Depth=2
	s_waitcnt vmcnt(0)
	v_xor_b32_e32 v3, 0x80000000, v17
	v_and_b32_e32 v3, v3, v33
	v_cmp_eq_u32_e32 vcc, v3, v34
	s_and_b64 exec, exec, vcc
	s_cbranch_execz .LBB39_270
; %bb.275:                              ;   in Loop: Header=BB39_271 Depth=2
	ds_write_b64 v11, v[16:17] offset:3072
	s_branch .LBB39_270
.LBB39_276:                             ;   in Loop: Header=BB39_15 Depth=1
	s_or_b64 exec, exec, s[16:17]
	s_and_b64 s[16:17], s[22:23], exec
.LBB39_277:                             ;   in Loop: Header=BB39_15 Depth=1
	s_or_b64 exec, exec, s[8:9]
	s_mov_b64 s[34:35], 0
	s_mov_b64 s[30:31], -1
	s_mov_b64 s[22:23], 0
.LBB39_278:                             ;   in Loop: Header=BB39_15 Depth=1
	s_orn2_b64 s[8:9], s[16:17], exec
.LBB39_279:                             ;   in Loop: Header=BB39_15 Depth=1
	s_or_b64 exec, exec, s[26:27]
                                        ; implicit-def: $vgpr2
                                        ; implicit-def: $vgpr36
                                        ; implicit-def: $vgpr4
                                        ; implicit-def: $vgpr5
                                        ; implicit-def: $vgpr3
	s_and_saveexec_b64 s[26:27], s[8:9]
	s_cbranch_execz .LBB39_414
; %bb.280:                              ;   in Loop: Header=BB39_15 Depth=1
	s_xor_b64 s[16:17], s[28:29], -1
	s_mov_b64 s[18:19], 0
	v_mov_b32_e32 v36, 1
	v_mov_b32_e32 v2, 1
	s_and_saveexec_b64 s[8:9], s[16:17]
	s_cbranch_execz .LBB39_290
; %bb.281:                              ;   in Loop: Header=BB39_15 Depth=1
	v_cmp_ge_u32_e32 vcc, s4, v35
                                        ; implicit-def: $sgpr5
                                        ; implicit-def: $sgpr16_sgpr17
	s_and_saveexec_b64 s[18:19], vcc
	s_xor_b64 s[18:19], exec, s[18:19]
	s_cbranch_execz .LBB39_287
; %bb.282:                              ;   in Loop: Header=BB39_15 Depth=1
	ds_read_b32 v2, v11 offset:4096
	s_waitcnt lgkmcnt(0)
	v_cmp_ne_u32_e32 vcc, 0, v2
	s_cbranch_vccnz .LBB39_286
; %bb.283:                              ;   in Loop: Header=BB39_15 Depth=1
	s_mov_b64 s[16:17], exec
	v_readlane_b32 s28, v52, 5
	v_readlane_b32 s29, v52, 6
	s_and_b64 s[28:29], s[16:17], s[28:29]
	s_mov_b64 exec, s[28:29]
	s_cbranch_execz .LBB39_285
; %bb.284:                              ;   in Loop: Header=BB39_15 Depth=1
	v_mov_b32_e32 v2, s4
	ds_write_b32 v11, v2 offset:4100
.LBB39_285:                             ;   in Loop: Header=BB39_15 Depth=1
	s_or_b64 exec, exec, s[16:17]
	s_waitcnt lgkmcnt(0)
	s_barrier
.LBB39_286:                             ;   in Loop: Header=BB39_15 Depth=1
	v_or_b32_e32 v34, s11, v34
	v_or_b32_e32 v33, s11, v33
	s_mov_b64 s[16:17], 0
	s_mov_b32 s5, 5
.LBB39_287:                             ;   in Loop: Header=BB39_15 Depth=1
	s_or_saveexec_b64 s[18:19], s[18:19]
	v_mov_b32_e32 v2, s5
	s_xor_b64 exec, exec, s[18:19]
; %bb.288:                              ;   in Loop: Header=BB39_15 Depth=1
	v_subrev_u32_e32 v35, s4, v35
	v_mov_b32_e32 v2, 0
	s_or_b64 s[16:17], s[16:17], exec
; %bb.289:                              ;   in Loop: Header=BB39_15 Depth=1
	s_or_b64 exec, exec, s[18:19]
	s_and_b64 s[18:19], s[16:17], exec
	v_mov_b32_e32 v36, v35
.LBB39_290:                             ;   in Loop: Header=BB39_15 Depth=1
	s_or_b64 exec, exec, s[8:9]
	s_mov_b64 s[38:39], -1
                                        ; implicit-def: $sgpr8_sgpr9
                                        ; implicit-def: $sgpr16_sgpr17
                                        ; implicit-def: $sgpr36_sgpr37
	s_and_saveexec_b64 s[4:5], s[18:19]
	s_xor_b64 s[28:29], exec, s[4:5]
	s_cbranch_execz .LBB39_411
; %bb.291:                              ;   in Loop: Header=BB39_15 Depth=1
	s_cmp_eq_u32 s63, 1
	s_cselect_b64 s[4:5], -1, 0
	v_cmp_eq_u32_e32 vcc, 1, v36
	s_and_b64 s[44:45], s[4:5], vcc
	s_mov_b64 s[8:9], -1
                                        ; implicit-def: $sgpr36_sgpr37
                                        ; implicit-def: $sgpr38_sgpr39
                                        ; implicit-def: $sgpr40_sgpr41
	s_and_saveexec_b64 s[42:43], s[44:45]
	s_cbranch_execz .LBB39_317
; %bb.292:                              ;   in Loop: Header=BB39_15 Depth=1
	ds_read_b32 v2, v11 offset:4096
	s_waitcnt lgkmcnt(0)
	s_barrier
	v_readfirstlane_b32 s4, v2
	s_mov_b64 s[8:9], exec
	v_readlane_b32 s16, v52, 29
	v_readlane_b32 s17, v52, 30
	s_and_b64 s[16:17], s[8:9], s[16:17]
	s_mov_b64 exec, s[16:17]
	s_cbranch_execz .LBB39_294
; %bb.293:                              ;   in Loop: Header=BB39_15 Depth=1
	ds_write_b32 v23, v11
.LBB39_294:                             ;   in Loop: Header=BB39_15 Depth=1
	s_or_b64 exec, exec, s[8:9]
	v_and_b32_e32 v2, s50, v34
	v_lshl_or_b32 v34, 2, s62, v2
	v_or_b32_e32 v33, s11, v33
	s_cmp_eq_u32 s4, 0
	s_waitcnt lgkmcnt(0)
	s_barrier
	s_cbranch_scc1 .LBB39_303
; %bb.295:                              ;   in Loop: Header=BB39_15 Depth=1
	v_readlane_b32 s5, v52, 22
	s_add_i32 s5, s4, s5
	v_readlane_b32 s8, v52, 44
	s_mul_hi_u32 s8, s5, s8
	s_mul_i32 s8, s8, s66
	s_sub_i32 s8, s5, s8
	s_sub_i32 s9, s8, s66
	s_cmp_ge_u32 s8, s66
	s_cselect_b32 s8, s9, s8
	s_sub_i32 s9, s8, s66
	s_cmp_ge_u32 s8, s66
	s_cselect_b32 s8, s9, s8
	s_sub_i32 s5, s5, s8
	v_cmp_gt_u32_e32 vcc, s5, v0
	s_mov_b64 s[16:17], 0
                                        ; implicit-def: $vgpr19
	s_and_saveexec_b64 s[8:9], vcc
	s_cbranch_execz .LBB39_305
; %bb.296:                              ;   in Loop: Header=BB39_15 Depth=1
	v_mov_b32_e32 v2, v21
	v_mov_b32_e32 v3, v0
                                        ; implicit-def: $sgpr18_sgpr19
	s_branch .LBB39_298
.LBB39_297:                             ;   in Loop: Header=BB39_298 Depth=2
	s_or_b64 exec, exec, s[36:37]
	s_waitcnt lgkmcnt(0)
	s_barrier
	ds_read_b64 v[18:19], v11 offset:3072
	v_add_u32_e32 v3, s66, v3
	v_cmp_le_u32_e32 vcc, s5, v3
	v_add_u32_e32 v2, s79, v2
	s_waitcnt lgkmcnt(0)
	v_readfirstlane_b32 s36, v18
	s_cmp_lg_u32 s36, 0
	s_cselect_b64 s[36:37], -1, 0
	s_or_b64 s[38:39], vcc, s[36:37]
	s_and_b64 s[38:39], exec, s[38:39]
	s_or_b64 s[16:17], s[38:39], s[16:17]
	s_andn2_b64 s[18:19], s[18:19], exec
	s_and_b64 s[36:37], s[36:37], exec
	s_or_b64 s[18:19], s[18:19], s[36:37]
	s_barrier
	s_andn2_b64 exec, exec, s[16:17]
	s_cbranch_execz .LBB39_304
.LBB39_298:                             ;   Parent Loop BB39_15 Depth=1
                                        ; =>  This Inner Loop Header: Depth=2
	v_cmp_gt_u32_e32 vcc, s4, v3
	s_waitcnt vmcnt(0)
	v_mov_b32_e32 v17, 0
	s_and_saveexec_b64 s[36:37], vcc
	s_cbranch_execz .LBB39_300
; %bb.299:                              ;   in Loop: Header=BB39_298 Depth=2
	ds_read_b32 v17, v2
.LBB39_300:                             ;   in Loop: Header=BB39_298 Depth=2
	s_or_b64 exec, exec, s[36:37]
	s_and_saveexec_b64 s[36:37], vcc
	s_cbranch_execz .LBB39_297
; %bb.301:                              ;   in Loop: Header=BB39_298 Depth=2
	s_waitcnt lgkmcnt(0)
	v_xor_b32_e32 v4, 0x80000000, v17
	v_and_b32_e32 v4, v4, v33
	v_cmp_eq_u32_e32 vcc, v4, v34
	s_and_b64 exec, exec, vcc
	s_cbranch_execz .LBB39_297
; %bb.302:                              ;   in Loop: Header=BB39_298 Depth=2
	ds_write_b64 v11, v[16:17] offset:3072
	s_branch .LBB39_297
.LBB39_303:                             ;   in Loop: Header=BB39_15 Depth=1
	s_mov_b64 s[36:37], -1
	s_mov_b64 s[16:17], 0
                                        ; implicit-def: $sgpr38_sgpr39
                                        ; implicit-def: $vgpr19
	s_mov_b64 s[40:41], s[36:37]
	s_cbranch_execnz .LBB39_306
	s_branch .LBB39_316
.LBB39_304:                             ;   in Loop: Header=BB39_15 Depth=1
	s_or_b64 exec, exec, s[16:17]
	s_and_b64 s[16:17], s[18:19], exec
.LBB39_305:                             ;   in Loop: Header=BB39_15 Depth=1
	s_or_b64 exec, exec, s[8:9]
	s_mov_b64 s[36:37], 0
	s_mov_b64 s[38:39], -1
	s_mov_b64 s[40:41], s[36:37]
	s_branch .LBB39_316
.LBB39_306:                             ;   in Loop: Header=BB39_15 Depth=1
	s_mov_b64 s[16:17], 0
                                        ; implicit-def: $vgpr19
	s_mov_b64 s[8:9], exec
	v_readlane_b32 s4, v52, 45
	v_readlane_b32 s5, v52, 46
	s_and_b64 s[4:5], s[8:9], s[4:5]
	s_mov_b64 exec, s[4:5]
	s_cbranch_execz .LBB39_315
; %bb.307:                              ;   in Loop: Header=BB39_15 Depth=1
	v_mov_b32_e32 v10, v12
	v_mov_b32_e32 v2, v0
                                        ; implicit-def: $sgpr36_sgpr37
	s_branch .LBB39_309
.LBB39_308:                             ;   in Loop: Header=BB39_309 Depth=2
	s_or_b64 exec, exec, s[18:19]
	s_waitcnt lgkmcnt(0)
	s_barrier
	ds_read_b64 v[18:19], v11 offset:3072
	v_add_u32_e32 v2, s66, v2
	v_cmp_le_u32_e32 vcc, s6, v2
	v_add_u32_e32 v10, s76, v10
	s_waitcnt lgkmcnt(0)
	v_readfirstlane_b32 s4, v18
	s_cmp_lg_u32 s4, 0
	s_cselect_b64 s[4:5], -1, 0
	s_or_b64 s[18:19], vcc, s[4:5]
	s_and_b64 s[18:19], exec, s[18:19]
	s_or_b64 s[16:17], s[18:19], s[16:17]
	s_andn2_b64 s[18:19], s[36:37], exec
	s_and_b64 s[4:5], s[4:5], exec
	s_or_b64 s[36:37], s[18:19], s[4:5]
	s_barrier
	s_andn2_b64 exec, exec, s[16:17]
	s_cbranch_execz .LBB39_314
.LBB39_309:                             ;   Parent Loop BB39_15 Depth=1
                                        ; =>  This Inner Loop Header: Depth=2
	v_cmp_gt_u32_e32 vcc, s60, v2
	s_waitcnt vmcnt(0)
	v_mov_b32_e32 v17, 0
	s_and_saveexec_b64 s[38:39], vcc
	s_cbranch_execz .LBB39_311
; %bb.310:                              ;   in Loop: Header=BB39_309 Depth=2
	v_lshlrev_b64 v[4:5], 2, v[10:11]
	v_mov_b32_e32 v3, s64
	v_add_co_u32_e64 v4, s[18:19], s33, v4
	v_addc_co_u32_e64 v5, s[18:19], v3, v5, s[18:19]
	global_load_dword v17, v[4:5], off
.LBB39_311:                             ;   in Loop: Header=BB39_309 Depth=2
	s_or_b64 exec, exec, s[38:39]
	s_and_saveexec_b64 s[18:19], vcc
	s_cbranch_execz .LBB39_308
; %bb.312:                              ;   in Loop: Header=BB39_309 Depth=2
	s_waitcnt vmcnt(0)
	v_xor_b32_e32 v3, 0x80000000, v17
	v_and_b32_e32 v3, v3, v33
	v_cmp_eq_u32_e32 vcc, v3, v34
	s_and_b64 exec, exec, vcc
	s_cbranch_execz .LBB39_308
; %bb.313:                              ;   in Loop: Header=BB39_309 Depth=2
	ds_write_b64 v11, v[16:17] offset:3072
	s_branch .LBB39_308
.LBB39_314:                             ;   in Loop: Header=BB39_15 Depth=1
	s_or_b64 exec, exec, s[16:17]
	s_and_b64 s[16:17], s[36:37], exec
.LBB39_315:                             ;   in Loop: Header=BB39_15 Depth=1
	s_or_b64 exec, exec, s[8:9]
	s_mov_b64 s[38:39], 0
	s_mov_b64 s[36:37], -1
	s_mov_b64 s[40:41], 0
.LBB39_316:                             ;   in Loop: Header=BB39_15 Depth=1
	s_orn2_b64 s[8:9], s[16:17], exec
.LBB39_317:                             ;   in Loop: Header=BB39_15 Depth=1
	s_or_b64 exec, exec, s[42:43]
	s_mov_b64 s[18:19], 0
                                        ; implicit-def: $vgpr2
	s_and_saveexec_b64 s[42:43], s[8:9]
	s_cbranch_execz .LBB39_410
; %bb.318:                              ;   in Loop: Header=BB39_15 Depth=1
	s_xor_b64 s[4:5], s[44:45], -1
	s_mov_b64 s[48:49], 0
	v_mov_b32_e32 v3, 1
	v_mov_b32_e32 v2, 1
	s_and_saveexec_b64 s[8:9], s[4:5]
	s_cbranch_execz .LBB39_328
; %bb.319:                              ;   in Loop: Header=BB39_15 Depth=1
	v_cmp_ge_u32_e32 vcc, s63, v36
                                        ; implicit-def: $sgpr4
                                        ; implicit-def: $sgpr16_sgpr17
	s_and_saveexec_b64 s[18:19], vcc
	s_xor_b64 s[18:19], exec, s[18:19]
	s_cbranch_execz .LBB39_325
; %bb.320:                              ;   in Loop: Header=BB39_15 Depth=1
	ds_read_b32 v2, v11 offset:4096
	s_waitcnt lgkmcnt(0)
	v_cmp_ne_u32_e32 vcc, 0, v2
	s_cbranch_vccnz .LBB39_324
; %bb.321:                              ;   in Loop: Header=BB39_15 Depth=1
	s_mov_b64 s[16:17], exec
	v_readlane_b32 s4, v52, 5
	v_readlane_b32 s5, v52, 6
	s_and_b64 s[4:5], s[16:17], s[4:5]
	s_mov_b64 exec, s[4:5]
	s_cbranch_execz .LBB39_323
; %bb.322:                              ;   in Loop: Header=BB39_15 Depth=1
	v_mov_b32_e32 v2, s63
	ds_write_b32 v11, v2 offset:4100
.LBB39_323:                             ;   in Loop: Header=BB39_15 Depth=1
	s_or_b64 exec, exec, s[16:17]
	s_waitcnt lgkmcnt(0)
	s_barrier
.LBB39_324:                             ;   in Loop: Header=BB39_15 Depth=1
	v_and_b32_e32 v2, s50, v34
	v_lshl_or_b32 v34, 2, s62, v2
	v_or_b32_e32 v33, s11, v33
	s_mov_b64 s[16:17], 0
	s_mov_b32 s4, 5
.LBB39_325:                             ;   in Loop: Header=BB39_15 Depth=1
	s_or_saveexec_b64 s[18:19], s[18:19]
	v_mov_b32_e32 v2, s4
	s_xor_b64 exec, exec, s[18:19]
; %bb.326:                              ;   in Loop: Header=BB39_15 Depth=1
	v_subrev_u32_e32 v36, s63, v36
	v_mov_b32_e32 v2, 0
	s_or_b64 s[16:17], s[16:17], exec
; %bb.327:                              ;   in Loop: Header=BB39_15 Depth=1
	s_or_b64 exec, exec, s[18:19]
	s_and_b64 s[48:49], s[16:17], exec
	v_mov_b32_e32 v3, v36
.LBB39_328:                             ;   in Loop: Header=BB39_15 Depth=1
	s_or_b64 exec, exec, s[8:9]
	s_mov_b64 s[8:9], -1
                                        ; implicit-def: $sgpr16_sgpr17
                                        ; implicit-def: $sgpr18_sgpr19
                                        ; implicit-def: $sgpr46_sgpr47
	s_and_saveexec_b64 s[44:45], s[48:49]
	s_cbranch_execz .LBB39_409
; %bb.329:                              ;   in Loop: Header=BB39_15 Depth=1
	s_cmp_eq_u32 s51, 1
	s_cselect_b64 s[4:5], -1, 0
	v_cmp_eq_u32_e32 vcc, 1, v3
	s_and_b64 s[54:55], s[4:5], vcc
	s_mov_b64 s[16:17], -1
                                        ; implicit-def: $sgpr46_sgpr47
                                        ; implicit-def: $sgpr4_sgpr5
                                        ; kill: killed $sgpr4_sgpr5
                                        ; implicit-def: $sgpr48_sgpr49
	s_and_saveexec_b64 s[52:53], s[54:55]
	s_cbranch_execz .LBB39_355
; %bb.330:                              ;   in Loop: Header=BB39_15 Depth=1
	ds_read_b32 v2, v11 offset:4096
	s_waitcnt lgkmcnt(0)
	s_barrier
	v_readfirstlane_b32 s4, v2
	s_mov_b64 s[8:9], exec
	v_readlane_b32 s16, v52, 29
	v_readlane_b32 s17, v52, 30
	s_and_b64 s[16:17], s[8:9], s[16:17]
	s_mov_b64 exec, s[16:17]
	s_cbranch_execz .LBB39_332
; %bb.331:                              ;   in Loop: Header=BB39_15 Depth=1
	ds_write_b32 v23, v11
.LBB39_332:                             ;   in Loop: Header=BB39_15 Depth=1
	s_or_b64 exec, exec, s[8:9]
	v_and_b32_e32 v2, s50, v34
	v_lshl_or_b32 v34, 1, s62, v2
	v_or_b32_e32 v33, s11, v33
	s_cmp_eq_u32 s4, 0
	s_waitcnt lgkmcnt(0)
	s_barrier
	s_cbranch_scc1 .LBB39_341
; %bb.333:                              ;   in Loop: Header=BB39_15 Depth=1
	v_readlane_b32 s5, v52, 22
	s_add_i32 s5, s4, s5
	v_readlane_b32 s8, v52, 44
	s_mul_hi_u32 s8, s5, s8
	s_mul_i32 s8, s8, s66
	s_sub_i32 s8, s5, s8
	s_sub_i32 s9, s8, s66
	s_cmp_ge_u32 s8, s66
	s_cselect_b32 s8, s9, s8
	s_sub_i32 s9, s8, s66
	s_cmp_ge_u32 s8, s66
	s_cselect_b32 s8, s9, s8
	s_sub_i32 s5, s5, s8
	v_cmp_gt_u32_e32 vcc, s5, v0
	s_mov_b64 s[16:17], 0
                                        ; implicit-def: $vgpr19
	s_and_saveexec_b64 s[8:9], vcc
	s_cbranch_execz .LBB39_343
; %bb.334:                              ;   in Loop: Header=BB39_15 Depth=1
	v_mov_b32_e32 v2, v21
	v_mov_b32_e32 v4, v0
                                        ; implicit-def: $sgpr18_sgpr19
	s_branch .LBB39_336
.LBB39_335:                             ;   in Loop: Header=BB39_336 Depth=2
	s_or_b64 exec, exec, s[46:47]
	s_waitcnt lgkmcnt(0)
	s_barrier
	ds_read_b64 v[18:19], v11 offset:3072
	v_add_u32_e32 v4, s66, v4
	v_cmp_le_u32_e32 vcc, s5, v4
	v_add_u32_e32 v2, s79, v2
	s_waitcnt lgkmcnt(0)
	v_readfirstlane_b32 s46, v18
	s_cmp_lg_u32 s46, 0
	s_cselect_b64 s[46:47], -1, 0
	s_or_b64 s[48:49], vcc, s[46:47]
	s_and_b64 s[48:49], exec, s[48:49]
	s_or_b64 s[16:17], s[48:49], s[16:17]
	s_andn2_b64 s[18:19], s[18:19], exec
	s_and_b64 s[46:47], s[46:47], exec
	s_or_b64 s[18:19], s[18:19], s[46:47]
	s_barrier
	s_andn2_b64 exec, exec, s[16:17]
	s_cbranch_execz .LBB39_342
.LBB39_336:                             ;   Parent Loop BB39_15 Depth=1
                                        ; =>  This Inner Loop Header: Depth=2
	v_cmp_gt_u32_e32 vcc, s4, v4
	s_waitcnt vmcnt(0)
	v_mov_b32_e32 v17, 0
	s_and_saveexec_b64 s[46:47], vcc
	s_cbranch_execz .LBB39_338
; %bb.337:                              ;   in Loop: Header=BB39_336 Depth=2
	ds_read_b32 v17, v2
.LBB39_338:                             ;   in Loop: Header=BB39_336 Depth=2
	s_or_b64 exec, exec, s[46:47]
	s_and_saveexec_b64 s[46:47], vcc
	s_cbranch_execz .LBB39_335
; %bb.339:                              ;   in Loop: Header=BB39_336 Depth=2
	s_waitcnt lgkmcnt(0)
	v_xor_b32_e32 v5, 0x80000000, v17
	v_and_b32_e32 v5, v5, v33
	v_cmp_eq_u32_e32 vcc, v5, v34
	s_and_b64 exec, exec, vcc
	s_cbranch_execz .LBB39_335
; %bb.340:                              ;   in Loop: Header=BB39_336 Depth=2
	ds_write_b64 v11, v[16:17] offset:3072
	s_branch .LBB39_335
.LBB39_341:                             ;   in Loop: Header=BB39_15 Depth=1
	s_mov_b64 s[46:47], -1
	s_mov_b64 s[16:17], 0
                                        ; implicit-def: $sgpr4_sgpr5
                                        ; kill: killed $sgpr4_sgpr5
                                        ; implicit-def: $vgpr19
	s_mov_b64 s[48:49], s[46:47]
	s_cbranch_execnz .LBB39_344
	s_branch .LBB39_354
.LBB39_342:                             ;   in Loop: Header=BB39_15 Depth=1
	s_or_b64 exec, exec, s[16:17]
	s_and_b64 s[16:17], s[18:19], exec
.LBB39_343:                             ;   in Loop: Header=BB39_15 Depth=1
	s_or_b64 exec, exec, s[8:9]
	s_mov_b64 s[4:5], -1
	s_mov_b64 s[46:47], 0
	v_writelane_b32 v52, s4, 47
	v_writelane_b32 v52, s5, 48
	s_mov_b64 s[48:49], s[46:47]
	s_branch .LBB39_354
.LBB39_344:                             ;   in Loop: Header=BB39_15 Depth=1
	s_mov_b64 s[16:17], 0
                                        ; implicit-def: $vgpr19
	s_mov_b64 s[8:9], exec
	v_readlane_b32 s4, v52, 45
	v_readlane_b32 s5, v52, 46
	s_and_b64 s[4:5], s[8:9], s[4:5]
	s_mov_b64 exec, s[4:5]
	s_cbranch_execz .LBB39_353
; %bb.345:                              ;   in Loop: Header=BB39_15 Depth=1
	v_mov_b32_e32 v10, v12
	v_mov_b32_e32 v2, v0
                                        ; implicit-def: $sgpr46_sgpr47
	s_branch .LBB39_347
.LBB39_346:                             ;   in Loop: Header=BB39_347 Depth=2
	s_or_b64 exec, exec, s[18:19]
	s_waitcnt lgkmcnt(0)
	s_barrier
	ds_read_b64 v[18:19], v11 offset:3072
	v_add_u32_e32 v2, s66, v2
	v_cmp_le_u32_e32 vcc, s6, v2
	v_add_u32_e32 v10, s76, v10
	s_waitcnt lgkmcnt(0)
	v_readfirstlane_b32 s4, v18
	s_cmp_lg_u32 s4, 0
	s_cselect_b64 s[4:5], -1, 0
	s_or_b64 s[18:19], vcc, s[4:5]
	s_and_b64 s[18:19], exec, s[18:19]
	s_or_b64 s[16:17], s[18:19], s[16:17]
	s_andn2_b64 s[18:19], s[46:47], exec
	s_and_b64 s[4:5], s[4:5], exec
	s_or_b64 s[46:47], s[18:19], s[4:5]
	s_barrier
	s_andn2_b64 exec, exec, s[16:17]
	s_cbranch_execz .LBB39_352
.LBB39_347:                             ;   Parent Loop BB39_15 Depth=1
                                        ; =>  This Inner Loop Header: Depth=2
	v_cmp_gt_u32_e32 vcc, s60, v2
	s_waitcnt vmcnt(0)
	v_mov_b32_e32 v17, 0
	s_and_saveexec_b64 s[48:49], vcc
	s_cbranch_execz .LBB39_349
; %bb.348:                              ;   in Loop: Header=BB39_347 Depth=2
	v_lshlrev_b64 v[4:5], 2, v[10:11]
	v_mov_b32_e32 v17, s64
	v_add_co_u32_e64 v4, s[18:19], s33, v4
	v_addc_co_u32_e64 v5, s[18:19], v17, v5, s[18:19]
	global_load_dword v17, v[4:5], off
.LBB39_349:                             ;   in Loop: Header=BB39_347 Depth=2
	s_or_b64 exec, exec, s[48:49]
	s_and_saveexec_b64 s[18:19], vcc
	s_cbranch_execz .LBB39_346
; %bb.350:                              ;   in Loop: Header=BB39_347 Depth=2
	s_waitcnt vmcnt(0)
	v_xor_b32_e32 v4, 0x80000000, v17
	v_and_b32_e32 v4, v4, v33
	v_cmp_eq_u32_e32 vcc, v4, v34
	s_and_b64 exec, exec, vcc
	s_cbranch_execz .LBB39_346
; %bb.351:                              ;   in Loop: Header=BB39_347 Depth=2
	ds_write_b64 v11, v[16:17] offset:3072
	s_branch .LBB39_346
.LBB39_352:                             ;   in Loop: Header=BB39_15 Depth=1
	s_or_b64 exec, exec, s[16:17]
	s_and_b64 s[16:17], s[46:47], exec
.LBB39_353:                             ;   in Loop: Header=BB39_15 Depth=1
	s_or_b64 exec, exec, s[8:9]
	s_mov_b64 s[4:5], 0
	v_writelane_b32 v52, s4, 47
	s_mov_b64 s[46:47], -1
	s_mov_b64 s[48:49], 0
	v_writelane_b32 v52, s5, 48
.LBB39_354:                             ;   in Loop: Header=BB39_15 Depth=1
	s_orn2_b64 s[16:17], s[16:17], exec
.LBB39_355:                             ;   in Loop: Header=BB39_15 Depth=1
	s_or_b64 exec, exec, s[52:53]
	s_mov_b64 s[8:9], 0
                                        ; implicit-def: $vgpr2
	s_and_saveexec_b64 s[52:53], s[16:17]
	s_cbranch_execz .LBB39_408
; %bb.356:                              ;   in Loop: Header=BB39_15 Depth=1
	s_xor_b64 s[4:5], s[54:55], -1
	s_mov_b64 s[58:59], 0
	v_mov_b32_e32 v4, 1
	v_mov_b32_e32 v2, 1
	s_and_saveexec_b64 s[8:9], s[4:5]
	s_cbranch_execz .LBB39_366
; %bb.357:                              ;   in Loop: Header=BB39_15 Depth=1
	v_cmp_ge_u32_e32 vcc, s51, v3
                                        ; implicit-def: $sgpr4
                                        ; implicit-def: $sgpr16_sgpr17
	s_and_saveexec_b64 s[18:19], vcc
	s_xor_b64 s[18:19], exec, s[18:19]
	s_cbranch_execz .LBB39_363
; %bb.358:                              ;   in Loop: Header=BB39_15 Depth=1
	ds_read_b32 v2, v11 offset:4096
	s_waitcnt lgkmcnt(0)
	v_cmp_ne_u32_e32 vcc, 0, v2
	s_cbranch_vccnz .LBB39_362
; %bb.359:                              ;   in Loop: Header=BB39_15 Depth=1
	s_mov_b64 s[16:17], exec
	v_readlane_b32 s4, v52, 5
	v_readlane_b32 s5, v52, 6
	s_and_b64 s[4:5], s[16:17], s[4:5]
	s_mov_b64 exec, s[4:5]
	s_cbranch_execz .LBB39_361
; %bb.360:                              ;   in Loop: Header=BB39_15 Depth=1
	v_mov_b32_e32 v2, s51
	ds_write_b32 v11, v2 offset:4100
.LBB39_361:                             ;   in Loop: Header=BB39_15 Depth=1
	s_or_b64 exec, exec, s[16:17]
	s_waitcnt lgkmcnt(0)
	s_barrier
.LBB39_362:                             ;   in Loop: Header=BB39_15 Depth=1
	v_and_b32_e32 v2, s50, v34
	v_lshl_or_b32 v34, 1, s62, v2
	v_or_b32_e32 v33, s11, v33
	s_mov_b64 s[16:17], 0
	s_mov_b32 s4, 5
.LBB39_363:                             ;   in Loop: Header=BB39_15 Depth=1
	s_or_saveexec_b64 s[18:19], s[18:19]
	v_mov_b32_e32 v2, s4
	s_xor_b64 exec, exec, s[18:19]
; %bb.364:                              ;   in Loop: Header=BB39_15 Depth=1
	v_subrev_u32_e32 v3, s51, v3
	v_mov_b32_e32 v2, 0
	s_or_b64 s[16:17], s[16:17], exec
; %bb.365:                              ;   in Loop: Header=BB39_15 Depth=1
	s_or_b64 exec, exec, s[18:19]
	s_and_b64 s[58:59], s[16:17], exec
	v_mov_b32_e32 v4, v3
.LBB39_366:                             ;   in Loop: Header=BB39_15 Depth=1
	s_or_b64 exec, exec, s[8:9]
	s_mov_b64 s[56:57], -1
                                        ; implicit-def: $sgpr8_sgpr9
                                        ; implicit-def: $sgpr16_sgpr17
                                        ; implicit-def: $sgpr18_sgpr19
	s_and_saveexec_b64 s[54:55], s[58:59]
	s_cbranch_execz .LBB39_407
; %bb.367:                              ;   in Loop: Header=BB39_15 Depth=1
	s_cmp_eq_u32 s10, 1
	s_cselect_b64 s[4:5], -1, 0
	v_cmp_eq_u32_e32 vcc, 1, v4
	s_and_b64 s[4:5], s[4:5], vcc
                                        ; implicit-def: $sgpr8_sgpr9
                                        ; implicit-def: $sgpr16_sgpr17
                                        ; implicit-def: $sgpr18_sgpr19
	s_mov_b64 s[58:59], exec
	v_writelane_b32 v52, s4, 49
	v_writelane_b32 v52, s5, 50
	s_and_b64 s[4:5], s[58:59], s[4:5]
	s_mov_b64 exec, s[4:5]
	s_cbranch_execz .LBB39_394
; %bb.368:                              ;   in Loop: Header=BB39_15 Depth=1
	ds_read_b32 v2, v11 offset:4096
	s_waitcnt lgkmcnt(0)
	s_barrier
	v_readfirstlane_b32 s4, v2
	s_mov_b64 s[8:9], exec
	v_readlane_b32 s16, v52, 29
	v_readlane_b32 s17, v52, 30
	s_and_b64 s[16:17], s[8:9], s[16:17]
	s_mov_b64 exec, s[16:17]
	s_cbranch_execz .LBB39_370
; %bb.369:                              ;   in Loop: Header=BB39_15 Depth=1
	ds_write_b32 v23, v11
.LBB39_370:                             ;   in Loop: Header=BB39_15 Depth=1
	s_or_b64 exec, exec, s[8:9]
	v_and_b32_e32 v34, s50, v34
	v_or_b32_e32 v33, s11, v33
	s_cmp_eq_u32 s4, 0
	s_waitcnt lgkmcnt(0)
	s_barrier
	s_cbranch_scc1 .LBB39_379
; %bb.371:                              ;   in Loop: Header=BB39_15 Depth=1
	v_readlane_b32 s5, v52, 22
	s_add_i32 s5, s4, s5
	v_readlane_b32 s8, v52, 44
	s_mul_hi_u32 s8, s5, s8
	s_mul_i32 s8, s8, s66
	s_sub_i32 s8, s5, s8
	s_sub_i32 s9, s8, s66
	s_cmp_ge_u32 s8, s66
	s_cselect_b32 s8, s9, s8
	s_sub_i32 s9, s8, s66
	s_cmp_ge_u32 s8, s66
	s_cselect_b32 s8, s9, s8
	s_sub_i32 s5, s5, s8
	v_cmp_gt_u32_e32 vcc, s5, v0
	s_mov_b64 s[56:57], 0
                                        ; implicit-def: $vgpr19
	s_and_saveexec_b64 s[8:9], vcc
	s_cbranch_execz .LBB39_381
; %bb.372:                              ;   in Loop: Header=BB39_15 Depth=1
	s_mov_b64 s[16:17], 0
	v_mov_b32_e32 v2, v21
	v_mov_b32_e32 v3, v0
                                        ; implicit-def: $sgpr18_sgpr19
	s_branch .LBB39_374
.LBB39_373:                             ;   in Loop: Header=BB39_374 Depth=2
	s_or_b64 exec, exec, s[56:57]
	s_waitcnt lgkmcnt(0)
	s_barrier
	ds_read_b64 v[18:19], v11 offset:3072
	v_add_u32_e32 v3, s66, v3
	v_cmp_le_u32_e32 vcc, s5, v3
	v_add_u32_e32 v2, s79, v2
	s_waitcnt lgkmcnt(0)
	v_readfirstlane_b32 s51, v18
	s_cmp_lg_u32 s51, 0
	s_cselect_b64 s[56:57], -1, 0
	s_or_b64 s[62:63], vcc, s[56:57]
	s_and_b64 s[62:63], exec, s[62:63]
	s_or_b64 s[16:17], s[62:63], s[16:17]
	s_andn2_b64 s[18:19], s[18:19], exec
	s_and_b64 s[56:57], s[56:57], exec
	s_or_b64 s[18:19], s[18:19], s[56:57]
	s_barrier
	s_andn2_b64 exec, exec, s[16:17]
	s_cbranch_execz .LBB39_380
.LBB39_374:                             ;   Parent Loop BB39_15 Depth=1
                                        ; =>  This Inner Loop Header: Depth=2
	v_cmp_gt_u32_e32 vcc, s4, v3
	s_waitcnt vmcnt(0)
	v_mov_b32_e32 v17, 0
	s_and_saveexec_b64 s[56:57], vcc
	s_cbranch_execz .LBB39_376
; %bb.375:                              ;   in Loop: Header=BB39_374 Depth=2
	ds_read_b32 v17, v2
.LBB39_376:                             ;   in Loop: Header=BB39_374 Depth=2
	s_or_b64 exec, exec, s[56:57]
	s_and_saveexec_b64 s[56:57], vcc
	s_cbranch_execz .LBB39_373
; %bb.377:                              ;   in Loop: Header=BB39_374 Depth=2
	s_waitcnt lgkmcnt(0)
	v_xor_b32_e32 v5, 0x80000000, v17
	v_and_b32_e32 v5, v5, v33
	v_cmp_eq_u32_e32 vcc, v5, v34
	s_and_b64 exec, exec, vcc
	s_cbranch_execz .LBB39_373
; %bb.378:                              ;   in Loop: Header=BB39_374 Depth=2
	ds_write_b64 v11, v[16:17] offset:3072
	s_branch .LBB39_373
.LBB39_379:                             ;   in Loop: Header=BB39_15 Depth=1
	s_mov_b64 s[8:9], -1
	s_mov_b64 s[56:57], 0
                                        ; implicit-def: $sgpr16_sgpr17
                                        ; implicit-def: $vgpr19
	s_branch .LBB39_382
.LBB39_380:                             ;   in Loop: Header=BB39_15 Depth=1
	s_or_b64 exec, exec, s[16:17]
	s_and_b64 s[56:57], s[18:19], exec
.LBB39_381:                             ;   in Loop: Header=BB39_15 Depth=1
	s_or_b64 exec, exec, s[8:9]
	s_mov_b64 s[8:9], 0
	s_mov_b64 s[16:17], -1
.LBB39_382:                             ;   in Loop: Header=BB39_15 Depth=1
	s_and_b64 vcc, exec, s[8:9]
	s_mov_b64 s[18:19], s[8:9]
	s_cbranch_vccz .LBB39_393
; %bb.383:                              ;   in Loop: Header=BB39_15 Depth=1
	s_mov_b64 s[56:57], 0
                                        ; implicit-def: $vgpr19
	s_mov_b64 s[62:63], exec
	v_readlane_b32 s4, v52, 45
	v_readlane_b32 s5, v52, 46
	s_and_b64 s[4:5], s[62:63], s[4:5]
	s_mov_b64 exec, s[4:5]
	s_cbranch_execz .LBB39_392
; %bb.384:                              ;   in Loop: Header=BB39_15 Depth=1
	s_mov_b64 s[16:17], 0
	v_mov_b32_e32 v10, v12
	v_mov_b32_e32 v2, v0
                                        ; implicit-def: $sgpr56_sgpr57
	s_branch .LBB39_386
.LBB39_385:                             ;   in Loop: Header=BB39_386 Depth=2
	s_or_b64 exec, exec, s[18:19]
	s_waitcnt lgkmcnt(0)
	s_barrier
	ds_read_b64 v[18:19], v11 offset:3072
	v_add_u32_e32 v2, s66, v2
	v_cmp_le_u32_e32 vcc, s6, v2
	v_add_u32_e32 v10, s76, v10
	s_waitcnt lgkmcnt(0)
	v_readfirstlane_b32 s4, v18
	s_cmp_lg_u32 s4, 0
	s_cselect_b64 s[4:5], -1, 0
	s_or_b64 s[8:9], vcc, s[4:5]
	s_and_b64 s[8:9], exec, s[8:9]
	s_or_b64 s[16:17], s[8:9], s[16:17]
	s_andn2_b64 s[8:9], s[56:57], exec
	s_and_b64 s[4:5], s[4:5], exec
	s_or_b64 s[56:57], s[8:9], s[4:5]
	s_barrier
	s_andn2_b64 exec, exec, s[16:17]
	s_cbranch_execz .LBB39_391
.LBB39_386:                             ;   Parent Loop BB39_15 Depth=1
                                        ; =>  This Inner Loop Header: Depth=2
	v_cmp_gt_u32_e32 vcc, s60, v2
	s_waitcnt vmcnt(0)
	v_mov_b32_e32 v17, 0
	s_and_saveexec_b64 s[8:9], vcc
	s_cbranch_execz .LBB39_388
; %bb.387:                              ;   in Loop: Header=BB39_386 Depth=2
	v_lshlrev_b64 v[18:19], 2, v[10:11]
	v_mov_b32_e32 v3, s64
	v_add_co_u32_e64 v18, s[18:19], s33, v18
	v_addc_co_u32_e64 v19, s[18:19], v3, v19, s[18:19]
	global_load_dword v17, v[18:19], off
.LBB39_388:                             ;   in Loop: Header=BB39_386 Depth=2
	s_or_b64 exec, exec, s[8:9]
	s_and_saveexec_b64 s[18:19], vcc
	s_cbranch_execz .LBB39_385
; %bb.389:                              ;   in Loop: Header=BB39_386 Depth=2
	s_waitcnt vmcnt(0)
	v_xor_b32_e32 v3, 0x80000000, v17
	v_and_b32_e32 v3, v3, v33
	v_cmp_eq_u32_e32 vcc, v3, v34
	s_and_b64 exec, exec, vcc
	s_cbranch_execz .LBB39_385
; %bb.390:                              ;   in Loop: Header=BB39_386 Depth=2
	ds_write_b64 v11, v[16:17] offset:3072
	s_branch .LBB39_385
.LBB39_391:                             ;   in Loop: Header=BB39_15 Depth=1
	s_or_b64 exec, exec, s[16:17]
	s_and_b64 s[56:57], s[56:57], exec
.LBB39_392:                             ;   in Loop: Header=BB39_15 Depth=1
	s_or_b64 exec, exec, s[62:63]
	s_mov_b64 s[16:17], 0
	s_mov_b64 s[8:9], -1
	s_mov_b64 s[18:19], 0
.LBB39_393:                             ;   in Loop: Header=BB39_15 Depth=1
	s_orn2_b64 s[56:57], s[56:57], exec
.LBB39_394:                             ;   in Loop: Header=BB39_15 Depth=1
	s_or_b64 exec, exec, s[58:59]
	s_mov_b64 vcc, 0
                                        ; implicit-def: $vgpr2
                                        ; implicit-def: $vgpr3
	s_and_saveexec_b64 s[58:59], s[56:57]
	s_cbranch_execz .LBB39_406
; %bb.395:                              ;   in Loop: Header=BB39_15 Depth=1
	v_readlane_b32 s4, v52, 49
	v_readlane_b32 s5, v52, 50
	s_xor_b64 s[4:5], s[4:5], -1
	v_mov_b32_e32 v2, 1
	v_mov_b32_e32 v3, 1
	s_and_saveexec_b64 s[56:57], s[4:5]
	s_cbranch_execz .LBB39_405
; %bb.396:                              ;   in Loop: Header=BB39_15 Depth=1
	s_mov_b32 s51, s75
	v_cmp_ge_u32_e32 vcc, s10, v4
                                        ; implicit-def: $sgpr4
	s_and_saveexec_b64 s[62:63], vcc
	s_xor_b64 s[62:63], exec, s[62:63]
	s_cbranch_execz .LBB39_402
; %bb.397:                              ;   in Loop: Header=BB39_15 Depth=1
	ds_read_b32 v2, v11 offset:4096
	s_waitcnt lgkmcnt(0)
	v_cmp_ne_u32_e32 vcc, 0, v2
	s_cbranch_vccnz .LBB39_401
; %bb.398:                              ;   in Loop: Header=BB39_15 Depth=1
	s_mov_b64 vcc, exec
	v_readlane_b32 s4, v52, 5
	v_readlane_b32 s5, v52, 6
	s_and_b64 s[4:5], vcc, s[4:5]
	s_mov_b64 exec, s[4:5]
	s_cbranch_execz .LBB39_400
; %bb.399:                              ;   in Loop: Header=BB39_15 Depth=1
	v_mov_b32_e32 v2, s10
	ds_write_b32 v11, v2 offset:4100
.LBB39_400:                             ;   in Loop: Header=BB39_15 Depth=1
	s_or_b64 exec, exec, vcc
	s_waitcnt lgkmcnt(0)
	s_barrier
.LBB39_401:                             ;   in Loop: Header=BB39_15 Depth=1
	v_and_b32_e32 v34, s50, v34
	v_or_b32_e32 v33, s11, v33
	s_mov_b32 s4, 5
.LBB39_402:                             ;   in Loop: Header=BB39_15 Depth=1
	s_or_saveexec_b64 vcc, s[62:63]
	v_mov_b32_e32 v2, s4
	s_xor_b64 exec, exec, vcc
; %bb.403:                              ;   in Loop: Header=BB39_15 Depth=1
	v_subrev_u32_e32 v4, s10, v4
	v_mov_b32_e32 v2, 5
; %bb.404:                              ;   in Loop: Header=BB39_15 Depth=1
	s_or_b64 exec, exec, vcc
	v_mov_b32_e32 v3, v4
	s_mov_b32 s75, s51
.LBB39_405:                             ;   in Loop: Header=BB39_15 Depth=1
	s_or_b64 exec, exec, s[56:57]
	s_mov_b64 vcc, exec
.LBB39_406:                             ;   in Loop: Header=BB39_15 Depth=1
	s_or_b64 exec, exec, s[58:59]
	s_orn2_b64 s[56:57], vcc, exec
	v_mov_b32_e32 v4, v3
.LBB39_407:                             ;   in Loop: Header=BB39_15 Depth=1
	s_or_b64 exec, exec, s[54:55]
	s_andn2_b64 s[4:5], s[46:47], exec
	s_and_b64 s[8:9], s[8:9], exec
	s_or_b64 s[46:47], s[4:5], s[8:9]
	v_readlane_b32 s4, v52, 47
	v_readlane_b32 s5, v52, 48
	s_andn2_b64 s[4:5], s[4:5], exec
	s_and_b64 s[8:9], s[16:17], exec
	s_or_b64 s[4:5], s[4:5], s[8:9]
	v_writelane_b32 v52, s4, 47
	v_writelane_b32 v52, s5, 48
	s_andn2_b64 s[4:5], s[48:49], exec
	s_and_b64 s[8:9], s[18:19], exec
	s_or_b64 s[48:49], s[4:5], s[8:9]
	s_and_b64 s[8:9], s[56:57], exec
	v_mov_b32_e32 v3, v4
.LBB39_408:                             ;   in Loop: Header=BB39_15 Depth=1
	s_or_b64 exec, exec, s[52:53]
	v_readlane_b32 s4, v52, 47
	v_readlane_b32 s5, v52, 48
	s_and_b64 s[46:47], s[46:47], exec
	s_and_b64 s[18:19], s[4:5], exec
	;; [unrolled: 1-line block ×3, first 2 shown]
	s_orn2_b64 s[8:9], s[8:9], exec
.LBB39_409:                             ;   in Loop: Header=BB39_15 Depth=1
	s_or_b64 exec, exec, s[44:45]
	s_andn2_b64 s[4:5], s[36:37], exec
	s_and_b64 s[10:11], s[46:47], exec
	s_or_b64 s[36:37], s[4:5], s[10:11]
	s_andn2_b64 s[4:5], s[38:39], exec
	s_and_b64 s[10:11], s[18:19], exec
	s_or_b64 s[38:39], s[4:5], s[10:11]
	;; [unrolled: 3-line block ×3, first 2 shown]
	s_and_b64 s[18:19], s[8:9], exec
	v_mov_b32_e32 v36, v3
.LBB39_410:                             ;   in Loop: Header=BB39_15 Depth=1
	s_or_b64 exec, exec, s[42:43]
	s_and_b64 s[36:37], s[36:37], exec
	s_and_b64 s[16:17], s[38:39], exec
	;; [unrolled: 1-line block ×3, first 2 shown]
	s_orn2_b64 s[38:39], s[18:19], exec
.LBB39_411:                             ;   in Loop: Header=BB39_15 Depth=1
	s_or_b64 exec, exec, s[28:29]
	s_mov_b64 s[18:19], s[24:25]
	s_mov_b64 s[28:29], s[20:21]
	s_and_saveexec_b64 s[40:41], s[38:39]
; %bb.412:                              ;   in Loop: Header=BB39_15 Depth=1
	v_cmp_ne_u32_e64 s[18:19], 5, v2
	v_cmp_eq_u32_e32 vcc, 5, v2
	s_andn2_b64 s[4:5], s[20:21], exec
	s_and_b64 s[10:11], s[18:19], exec
	s_or_b64 s[28:29], s[4:5], s[10:11]
	s_andn2_b64 s[4:5], s[24:25], exec
	s_and_b64 s[10:11], vcc, exec
	s_andn2_b64 s[36:37], s[36:37], exec
	s_andn2_b64 s[16:17], s[16:17], exec
	;; [unrolled: 1-line block ×3, first 2 shown]
	s_or_b64 s[18:19], s[4:5], s[10:11]
; %bb.413:                              ;   in Loop: Header=BB39_15 Depth=1
	s_or_b64 exec, exec, s[40:41]
	s_andn2_b64 s[4:5], s[30:31], exec
	s_and_b64 s[10:11], s[36:37], exec
	s_or_b64 s[30:31], s[4:5], s[10:11]
	s_andn2_b64 s[4:5], s[34:35], exec
	s_and_b64 s[10:11], s[16:17], exec
	s_or_b64 s[34:35], s[4:5], s[10:11]
	;; [unrolled: 3-line block ×5, first 2 shown]
	v_mov_b32_e32 v4, v34
	v_mov_b32_e32 v5, v33
	;; [unrolled: 1-line block ×3, first 2 shown]
.LBB39_414:                             ;   in Loop: Header=BB39_15 Depth=1
	s_or_b64 exec, exec, s[26:27]
	s_mov_b64 s[28:29], s[22:23]
	s_mov_b64 s[26:27], s[22:23]
	s_and_saveexec_b64 s[8:9], s[24:25]
.LBB39_415:                             ;   in Loop: Header=BB39_15 Depth=1
	v_mov_b32_e32 v2, 0
	s_andn2_b64 s[22:23], s[22:23], exec
	s_andn2_b64 s[30:31], s[30:31], exec
	;; [unrolled: 1-line block ×5, first 2 shown]
	s_or_b64 s[20:21], s[20:21], exec
.LBB39_416:                             ;   in Loop: Header=BB39_15 Depth=1
	s_or_b64 exec, exec, s[8:9]
	s_andn2_b64 s[4:5], s[82:83], exec
	s_and_b64 s[8:9], s[22:23], exec
	s_or_b64 s[82:83], s[4:5], s[8:9]
	s_andn2_b64 s[4:5], s[80:81], exec
	s_and_b64 s[8:9], s[30:31], exec
	s_or_b64 s[80:81], s[4:5], s[8:9]
	;; [unrolled: 3-line block ×4, first 2 shown]
	s_andn2_b64 s[4:5], s[84:85], exec
	s_and_b64 s[8:9], s[26:27], exec
	s_mov_b64 s[16:17], -1
	s_or_b64 s[84:85], s[4:5], s[8:9]
                                        ; implicit-def: $vgpr33
                                        ; implicit-def: $vgpr34
                                        ; implicit-def: $vgpr35
                                        ; implicit-def: $vgpr19
	s_and_saveexec_b64 s[4:5], s[20:21]
	s_xor_b64 s[8:9], exec, s[4:5]
	s_cbranch_execz .LBB39_14
; %bb.417:                              ;   in Loop: Header=BB39_15 Depth=1
	v_cmp_eq_u32_e32 vcc, 0, v2
	s_mov_b64 s[18:19], -1
	s_and_saveexec_b64 s[20:21], vcc
	s_cbranch_execz .LBB39_13
; %bb.418:                              ;   in Loop: Header=BB39_15 Depth=1
	s_xor_b32 s73, s73, 1
	s_add_i32 s10, s72, -2
	s_cmp_eq_u32 s72, 0
	s_cselect_b64 s[4:5], -1, 0
	s_xor_b64 s[18:19], exec, -1
	s_orn2_b64 s[16:17], s[4:5], exec
	s_mov_b32 s72, s10
	s_branch .LBB39_13
.LBB39_419:
	s_or_b64 exec, exec, s[90:91]
	s_xor_b64 s[8:9], s[2:3], -1
	s_xor_b64 s[18:19], s[70:71], -1
	;; [unrolled: 1-line block ×5, first 2 shown]
	s_mov_b64 s[12:13], 0
	s_and_saveexec_b64 s[6:7], s[4:5]
	s_xor_b64 s[10:11], exec, s[6:7]
	s_cbranch_execnz .LBB39_424
; %bb.420:
	s_andn2_saveexec_b64 s[0:1], s[10:11]
	s_cbranch_execnz .LBB39_443
.LBB39_421:
	s_or_b64 exec, exec, s[0:1]
	s_and_saveexec_b64 s[0:1], s[12:13]
.LBB39_422:
	; divergent unreachable
.LBB39_423:
	s_endpgm
.LBB39_424:
	s_mov_b64 s[14:15], 0
	s_and_saveexec_b64 s[4:5], s[16:17]
	s_xor_b64 s[12:13], exec, s[4:5]
	s_cbranch_execz .LBB39_441
; %bb.425:
	s_mov_b64 s[16:17], 0
	s_and_saveexec_b64 s[4:5], s[18:19]
	s_xor_b64 s[14:15], exec, s[4:5]
	s_cbranch_execz .LBB39_439
; %bb.426:
	;; [unrolled: 5-line block ×3, first 2 shown]
	s_and_saveexec_b64 s[4:5], s[2:3]
	s_xor_b64 s[2:3], exec, s[4:5]
; %bb.428:
	v_xor_b32_e32 v3, 0x80000000, v4
; %bb.429:
	s_or_b64 exec, exec, s[2:3]
	s_mov_b64 s[2:3], exec
	v_readlane_b32 s4, v52, 5
	v_readlane_b32 s5, v52, 6
	;; [unrolled: 1-line block ×3, first 2 shown]
	s_and_b64 s[4:5], s[2:3], s[4:5]
	v_readlane_b32 s9, v52, 8
	s_mov_b64 exec, s[4:5]
	s_cbranch_execz .LBB39_431
; %bb.430:
	v_mov_b32_e32 v1, 0
	ds_write_b32 v1, v1 offset:4108
.LBB39_431:
	s_or_b64 exec, exec, s[2:3]
	v_mov_b32_e32 v2, 0
	s_waitcnt lgkmcnt(0)
	s_barrier
	s_mov_b64 s[2:3], exec
	v_readlane_b32 s4, v52, 27
	v_readlane_b32 s5, v52, 28
	s_and_b64 s[4:5], s[2:3], s[4:5]
	s_mov_b64 exec, s[4:5]
	s_cbranch_execz .LBB39_433
; %bb.432:
	global_load_dword v2, v[8:9], off
.LBB39_433:
	s_or_b64 exec, exec, s[2:3]
	v_readlane_b32 s2, v52, 0
	v_readlane_b32 s3, v52, 9
	s_mul_i32 s2, s2, s78
	s_mul_i32 s3, s3, s77
	s_add_i32 s40, s60, 63
	s_add_i32 s2, s2, s65
	;; [unrolled: 1-line block ×3, first 2 shown]
	s_mov_b32 s3, 0
	s_andn2_b32 s40, s40, 63
	s_lshl_b64 s[6:7], s[2:3], 2
	v_readlane_b32 s18, v52, 1
	s_load_dword s45, s[8:9], 0x1c8
	s_load_dword s46, s[8:9], 0x2a8
	v_readlane_b32 s19, v52, 2
	s_add_u32 s41, s18, s6
	s_mov_b32 s5, s3
	s_addc_u32 s42, s19, s7
	s_lshl_b64 s[2:3], s[4:5], 3
	v_readlane_b32 s4, v52, 3
	v_readlane_b32 s5, v52, 4
	s_add_u32 s43, s4, s2
	v_add_u32_e32 v5, s66, v0
	s_addc_u32 s44, s5, s3
	v_cmp_gt_u32_e32 vcc, s40, v0
	s_mov_b64 s[18:19], -1
	s_mov_b64 s[2:3], 0
	v_mul_lo_u32 v4, s75, v5
	s_mov_b64 s[4:5], 0
	s_and_saveexec_b64 s[8:9], vcc
	s_cbranch_execnz .LBB39_444
; %bb.434:
	s_or_b64 exec, exec, s[8:9]
	s_and_saveexec_b64 s[8:9], s[18:19]
	s_cbranch_execnz .LBB39_459
.LBB39_435:
	s_or_b64 exec, exec, s[8:9]
	s_and_saveexec_b64 s[0:1], s[4:5]
	s_xor_b64 s[0:1], exec, s[0:1]
	s_cbranch_execnz .LBB39_481
.LBB39_436:
	s_or_b64 exec, exec, s[0:1]
	s_and_b64 s[18:19], s[2:3], exec
.LBB39_437:
	s_andn2_saveexec_b64 s[0:1], s[16:17]
	s_cbranch_execnz .LBB39_484
.LBB39_438:
	s_or_b64 exec, exec, s[0:1]
	s_and_b64 s[16:17], s[18:19], exec
.LBB39_439:
	s_andn2_saveexec_b64 s[0:1], s[14:15]
	s_cbranch_execnz .LBB39_483
.LBB39_440:
	s_or_b64 exec, exec, s[0:1]
	s_and_b64 s[14:15], s[16:17], exec
.LBB39_441:
	s_andn2_saveexec_b64 s[0:1], s[12:13]
	s_cbranch_execnz .LBB39_482
.LBB39_442:
	s_or_b64 exec, exec, s[0:1]
	s_and_b64 s[12:13], s[14:15], exec
	s_andn2_saveexec_b64 s[0:1], s[10:11]
	s_cbranch_execz .LBB39_421
.LBB39_443:
	s_or_b64 s[12:13], s[12:13], exec
	s_trap 2
	s_or_b64 exec, exec, s[0:1]
	s_and_saveexec_b64 s[0:1], s[12:13]
	s_cbranch_execnz .LBB39_422
	s_branch .LBB39_423
.LBB39_444:
	v_readlane_b32 s30, v52, 12
	v_xor_b32_e32 v1, 0x80000000, v3
	v_mul_lo_u32 v10, s75, v5
	s_mov_b64 s[18:19], 0
	v_mov_b32_e32 v11, 0
	v_mov_b32_e32 v12, v0
	v_readlane_b32 s31, v52, 13
                                        ; implicit-def: $sgpr20_sgpr21
                                        ; implicit-def: $vgpr14
	s_branch .LBB39_446
.LBB39_445:                             ;   in Loop: Header=BB39_446 Depth=1
	s_or_b64 exec, exec, s[22:23]
	s_xor_b64 s[6:7], s[26:27], -1
	s_and_b64 s[4:5], exec, s[4:5]
	s_or_b64 s[18:19], s[4:5], s[18:19]
	s_andn2_b64 s[4:5], s[20:21], exec
	s_and_b64 s[6:7], s[6:7], exec
	s_or_b64 s[20:21], s[4:5], s[6:7]
	v_mov_b32_e32 v2, v15
	v_mov_b32_e32 v12, v5
	s_andn2_b64 exec, exec, s[18:19]
	s_cbranch_execz .LBB39_458
.LBB39_446:                             ; =>This Inner Loop Header: Depth=1
	v_add_u32_e32 v5, s66, v12
	v_cmp_gt_u32_e32 vcc, s60, v5
	v_mov_b32_e32 v15, 0
	s_and_saveexec_b64 s[4:5], vcc
	s_cbranch_execz .LBB39_448
; %bb.447:                              ;   in Loop: Header=BB39_446 Depth=1
	s_waitcnt vmcnt(0)
	v_lshlrev_b64 v[16:17], 2, v[10:11]
	v_mov_b32_e32 v13, s64
	v_add_co_u32_e32 v16, vcc, s33, v16
	v_addc_co_u32_e32 v17, vcc, v13, v17, vcc
	global_load_dword v15, v[16:17], off
.LBB39_448:                             ;   in Loop: Header=BB39_446 Depth=1
	s_or_b64 exec, exec, s[4:5]
	s_waitcnt vmcnt(0)
	v_xor_b32_e32 v13, 0x80000000, v2
	v_cmp_gt_u32_e64 s[4:5], v13, v1
	v_cndmask_b32_e64 v16, 0, 1, s[4:5]
	v_cmp_lt_u32_e64 s[4:5], v13, v1
	v_cndmask_b32_e64 v13, 0, 1, s[4:5]
	v_cndmask_b32_e64 v13, v13, v16, s[30:31]
	v_and_b32_e32 v13, 1, v13
	v_cmp_gt_u32_e32 vcc, s60, v12
	v_cmp_eq_u32_e64 s[4:5], 1, v13
	s_and_b64 s[24:25], vcc, s[4:5]
	v_cndmask_b32_e64 v13, 0, 1, s[24:25]
	v_cmp_ne_u32_e32 vcc, 0, v13
	s_cmp_lg_u64 vcc, 0
	s_cselect_b64 s[4:5], -1, 0
	s_and_b64 s[4:5], s[0:1], s[4:5]
	s_and_saveexec_b64 s[22:23], s[4:5]
	s_cbranch_execz .LBB39_452
; %bb.449:                              ;   in Loop: Header=BB39_446 Depth=1
	s_mov_b64 s[28:29], exec
	v_mbcnt_lo_u32_b32 v13, s28, 0
	v_mbcnt_hi_u32_b32 v13, s29, v13
	s_bcnt1_i32_b64 s6, vcc
	v_cmp_eq_u32_e64 s[4:5], 0, v13
                                        ; implicit-def: $vgpr14
	s_and_saveexec_b64 s[26:27], s[4:5]
	s_cbranch_execz .LBB39_451
; %bb.450:                              ;   in Loop: Header=BB39_446 Depth=1
	s_bcnt1_i32_b64 s4, s[28:29]
	s_mul_i32 s4, s6, s4
	s_waitcnt lgkmcnt(0)
	v_mov_b32_e32 v14, s4
	ds_add_rtn_u32 v14, v11, v14 offset:4108
.LBB39_451:                             ;   in Loop: Header=BB39_446 Depth=1
	s_or_b64 exec, exec, s[26:27]
	s_waitcnt lgkmcnt(0)
	v_readfirstlane_b32 s4, v14
	v_mov_b32_e32 v14, s4
	v_mad_u32_u24 v14, s6, v13, v14
.LBB39_452:                             ;   in Loop: Header=BB39_446 Depth=1
	s_or_b64 exec, exec, s[22:23]
	s_waitcnt lgkmcnt(0)
	ds_bpermute_b32 v14, v20, v14
	s_mov_b64 s[4:5], -1
	s_mov_b64 s[28:29], -1
                                        ; implicit-def: $sgpr26_sgpr27
	s_and_saveexec_b64 s[22:23], s[24:25]
	s_cbranch_execz .LBB39_456
; %bb.453:                              ;   in Loop: Header=BB39_446 Depth=1
	v_and_b32_e32 v16, vcc_lo, v6
	v_and_b32_e32 v13, vcc_hi, v7
	v_bcnt_u32_b32 v16, v16, 0
	v_bcnt_u32_b32 v13, v13, v16
	s_waitcnt lgkmcnt(0)
	v_add_u32_e32 v13, v14, v13
	v_cmp_gt_u32_e32 vcc, s61, v13
	s_mov_b64 s[24:25], 0
	s_and_saveexec_b64 s[26:27], vcc
	s_cbranch_execz .LBB39_455
; %bb.454:                              ;   in Loop: Header=BB39_446 Depth=1
	v_mul_lo_u32 v16, v13, s45
	v_mov_b32_e32 v17, v11
	v_lshlrev_b64 v[16:17], 2, v[16:17]
	v_mul_lo_u32 v18, v13, s46
	v_mov_b32_e32 v13, s42
	v_add_co_u32_e32 v16, vcc, s41, v16
	v_addc_co_u32_e32 v17, vcc, v13, v17, vcc
	v_mov_b32_e32 v19, v11
	global_store_dword v[16:17], v2, off
	v_lshlrev_b64 v[16:17], 3, v[18:19]
	v_mov_b32_e32 v2, s44
	v_add_co_u32_e32 v16, vcc, s43, v16
	s_mov_b64 s[24:25], exec
	v_mov_b32_e32 v13, v11
	v_addc_co_u32_e32 v17, vcc, v2, v17, vcc
	global_store_dwordx2 v[16:17], v[12:13], off
.LBB39_455:                             ;   in Loop: Header=BB39_446 Depth=1
	s_or_b64 exec, exec, s[26:27]
	s_mov_b64 s[26:27], -1
	s_orn2_b64 s[28:29], s[24:25], exec
.LBB39_456:                             ;   in Loop: Header=BB39_446 Depth=1
	s_or_b64 exec, exec, s[22:23]
	s_and_saveexec_b64 s[22:23], s[28:29]
	s_cbranch_execz .LBB39_445
; %bb.457:                              ;   in Loop: Header=BB39_446 Depth=1
	v_cmp_le_u32_e32 vcc, s40, v5
	v_add_u32_e32 v10, s76, v10
	s_andn2_b64 s[26:27], s[26:27], exec
	s_orn2_b64 s[4:5], vcc, exec
	s_branch .LBB39_445
.LBB39_458:
	s_or_b64 exec, exec, s[18:19]
	s_mov_b64 s[4:5], exec
	s_orn2_b64 s[18:19], s[20:21], exec
	s_or_b64 exec, exec, s[8:9]
	s_and_saveexec_b64 s[8:9], s[18:19]
	s_cbranch_execz .LBB39_435
.LBB39_459:
	v_mov_b32_e32 v5, 0
	v_mov_b32_e32 v1, 0
	s_waitcnt lgkmcnt(0)
	s_barrier
	s_mov_b64 s[2:3], exec
	v_readlane_b32 s6, v52, 27
	v_readlane_b32 s7, v52, 28
	s_and_b64 s[6:7], s[2:3], s[6:7]
	s_mov_b64 exec, s[6:7]
	s_cbranch_execz .LBB39_461
; %bb.460:
	global_load_dword v1, v[8:9], off
.LBB39_461:
	s_or_b64 exec, exec, s[2:3]
	s_mov_b64 s[18:19], 0
                                        ; implicit-def: $sgpr6_sgpr7
                                        ; implicit-def: $sgpr20_sgpr21
                                        ; implicit-def: $sgpr22_sgpr23
                                        ; implicit-def: $vgpr2
	s_branch .LBB39_464
.LBB39_462:                             ;   in Loop: Header=BB39_464 Depth=1
	s_or_b64 exec, exec, s[28:29]
	s_andn2_b64 s[2:3], s[22:23], exec
	s_and_b64 s[22:23], s[34:35], exec
	s_or_b64 s[22:23], s[2:3], s[22:23]
	s_andn2_b64 s[2:3], s[20:21], exec
	s_and_b64 s[20:21], s[26:27], exec
	s_or_b64 s[20:21], s[2:3], s[20:21]
	v_mov_b32_e32 v0, v8
.LBB39_463:                             ;   in Loop: Header=BB39_464 Depth=1
	s_or_b64 exec, exec, s[24:25]
	s_xor_b64 s[2:3], s[22:23], -1
	s_and_b64 s[24:25], exec, s[20:21]
	s_or_b64 s[18:19], s[24:25], s[18:19]
	s_andn2_b64 s[6:7], s[6:7], exec
	s_and_b64 s[2:3], s[2:3], exec
	s_or_b64 s[6:7], s[6:7], s[2:3]
	s_andn2_b64 exec, exec, s[18:19]
	s_cbranch_execz .LBB39_479
.LBB39_464:                             ; =>This Inner Loop Header: Depth=1
	v_cmp_gt_u32_e32 vcc, s40, v0
	s_or_b64 s[22:23], s[22:23], exec
	s_or_b64 s[20:21], s[20:21], exec
	s_and_saveexec_b64 s[24:25], vcc
	s_cbranch_execz .LBB39_463
; %bb.465:                              ;   in Loop: Header=BB39_464 Depth=1
	v_add_u32_e32 v8, s66, v0
	v_cmp_gt_u32_e32 vcc, s60, v8
	v_mov_b32_e32 v9, 0
	s_and_saveexec_b64 s[2:3], vcc
	s_cbranch_execz .LBB39_467
; %bb.466:                              ;   in Loop: Header=BB39_464 Depth=1
	v_lshlrev_b64 v[10:11], 2, v[4:5]
	v_mov_b32_e32 v9, s64
	v_add_co_u32_e32 v10, vcc, s33, v10
	v_addc_co_u32_e32 v11, vcc, v9, v11, vcc
	global_load_dword v9, v[10:11], off
.LBB39_467:                             ;   in Loop: Header=BB39_464 Depth=1
	s_or_b64 exec, exec, s[2:3]
	v_cmp_gt_u32_e32 vcc, s60, v0
	s_waitcnt vmcnt(0)
	v_cmp_eq_u32_e64 s[2:3], v1, v3
	s_and_b64 s[28:29], vcc, s[2:3]
	v_cndmask_b32_e64 v10, 0, 1, s[28:29]
	v_cmp_ne_u32_e32 vcc, 0, v10
	s_cmp_lg_u64 vcc, 0
	s_cselect_b64 s[2:3], -1, 0
	s_and_b64 s[2:3], s[0:1], s[2:3]
	s_and_saveexec_b64 s[26:27], s[2:3]
	s_cbranch_execz .LBB39_471
; %bb.468:                              ;   in Loop: Header=BB39_464 Depth=1
	s_mov_b64 s[34:35], exec
	v_mbcnt_lo_u32_b32 v2, s34, 0
	v_mbcnt_hi_u32_b32 v2, s35, v2
	s_bcnt1_i32_b64 s36, vcc
	v_cmp_eq_u32_e64 s[2:3], 0, v2
                                        ; implicit-def: $vgpr10
	s_and_saveexec_b64 s[30:31], s[2:3]
	s_cbranch_execz .LBB39_470
; %bb.469:                              ;   in Loop: Header=BB39_464 Depth=1
	s_bcnt1_i32_b64 s2, s[34:35]
	s_mul_i32 s2, s36, s2
	v_mov_b32_e32 v10, s2
	ds_add_rtn_u32 v10, v5, v10 offset:4108
.LBB39_470:                             ;   in Loop: Header=BB39_464 Depth=1
	s_or_b64 exec, exec, s[30:31]
	s_waitcnt lgkmcnt(0)
	v_readfirstlane_b32 s2, v10
	v_mov_b32_e32 v10, s2
	v_mad_u32_u24 v2, s36, v2, v10
.LBB39_471:                             ;   in Loop: Header=BB39_464 Depth=1
	s_or_b64 exec, exec, s[26:27]
	ds_bpermute_b32 v2, v20, v2
	s_cmp_eq_u64 vcc, 0
	s_cselect_b64 s[30:31], -1, 0
	s_mov_b64 s[26:27], -1
	s_mov_b64 s[34:35], -1
	s_waitcnt lgkmcnt(0)
	v_cmp_gt_u32_e64 s[2:3], s61, v2
	s_or_b64 s[2:3], s[30:31], s[2:3]
	v_cndmask_b32_e64 v1, v1, v9, s[2:3]
	s_and_b64 s[36:37], s[28:29], s[2:3]
	s_mov_b64 s[30:31], -1
	s_and_saveexec_b64 s[28:29], s[36:37]
	s_cbranch_execz .LBB39_477
; %bb.472:                              ;   in Loop: Header=BB39_464 Depth=1
	v_and_b32_e32 v10, vcc_lo, v6
	v_and_b32_e32 v1, vcc_hi, v7
	v_bcnt_u32_b32 v10, v10, 0
	v_bcnt_u32_b32 v1, v1, v10
	v_sub_u32_e32 v10, s61, v2
	v_cmp_le_u32_e64 s[30:31], v10, v1
	v_cmp_gt_u32_e32 vcc, v10, v1
	s_mov_b64 s[36:37], -1
	s_and_saveexec_b64 s[34:35], vcc
	s_cbranch_execz .LBB39_476
; %bb.473:                              ;   in Loop: Header=BB39_464 Depth=1
	v_add_u32_e32 v1, v2, v1
	v_cmp_gt_u32_e32 vcc, s61, v1
	s_mov_b64 s[38:39], s[30:31]
	s_and_saveexec_b64 s[36:37], vcc
	s_cbranch_execz .LBB39_475
; %bb.474:                              ;   in Loop: Header=BB39_464 Depth=1
	v_mul_lo_u32 v10, v1, s45
	v_mov_b32_e32 v11, v5
	v_lshlrev_b64 v[10:11], 2, v[10:11]
	v_mul_lo_u32 v12, v1, s46
	v_mov_b32_e32 v1, s42
	v_add_co_u32_e32 v10, vcc, s41, v10
	v_addc_co_u32_e32 v11, vcc, v1, v11, vcc
	v_mov_b32_e32 v13, v5
	global_store_dword v[10:11], v3, off
	v_lshlrev_b64 v[10:11], 3, v[12:13]
	v_mov_b32_e32 v12, s44
	v_add_co_u32_e32 v10, vcc, s43, v10
	v_mov_b32_e32 v1, v5
	v_addc_co_u32_e32 v11, vcc, v12, v11, vcc
	s_or_b64 s[38:39], s[30:31], exec
	global_store_dwordx2 v[10:11], v[0:1], off
.LBB39_475:                             ;   in Loop: Header=BB39_464 Depth=1
	s_or_b64 exec, exec, s[36:37]
	s_andn2_b64 s[30:31], s[30:31], exec
	s_and_b64 s[38:39], s[38:39], exec
	s_xor_b64 s[36:37], exec, -1
	s_or_b64 s[30:31], s[30:31], s[38:39]
.LBB39_476:                             ;   in Loop: Header=BB39_464 Depth=1
	s_or_b64 exec, exec, s[34:35]
	s_orn2_b64 s[34:35], s[36:37], exec
	s_or_b64 s[2:3], s[2:3], exec
	s_orn2_b64 s[30:31], s[30:31], exec
	v_mov_b32_e32 v1, v9
.LBB39_477:                             ;   in Loop: Header=BB39_464 Depth=1
	s_or_b64 exec, exec, s[28:29]
	s_and_saveexec_b64 s[28:29], s[30:31]
	s_cbranch_execz .LBB39_462
; %bb.478:                              ;   in Loop: Header=BB39_464 Depth=1
	s_xor_b64 s[2:3], s[2:3], -1
	v_add_u32_e32 v4, s76, v4
	s_or_b64 s[34:35], s[34:35], exec
	s_orn2_b64 s[26:27], s[2:3], exec
	s_branch .LBB39_462
.LBB39_479:
	s_or_b64 exec, exec, s[18:19]
	s_mov_b64 s[0:1], 0
	s_and_saveexec_b64 s[2:3], s[6:7]
	s_xor_b64 s[2:3], exec, s[2:3]
	s_cbranch_execnz .LBB39_485
.LBB39_480:
	s_or_b64 exec, exec, s[2:3]
	s_and_b64 s[2:3], s[0:1], exec
	s_andn2_b64 s[4:5], s[4:5], exec
	s_or_b64 exec, exec, s[8:9]
	s_and_saveexec_b64 s[0:1], s[4:5]
	s_xor_b64 s[0:1], exec, s[0:1]
	s_cbranch_execz .LBB39_436
.LBB39_481:
	s_or_b64 s[2:3], s[2:3], exec
	s_trap 2
	s_branch .LBB39_436
.LBB39_482:
	s_or_b64 s[14:15], s[14:15], exec
	s_trap 2
	s_branch .LBB39_442
.LBB39_483:
	s_or_b64 s[16:17], s[16:17], exec
	s_trap 2
	s_branch .LBB39_440
.LBB39_484:
	s_trap 2
	s_or_b64 s[18:19], s[18:19], exec
	s_branch .LBB39_438
.LBB39_485:
	s_mov_b64 s[0:1], exec
	s_trap 2
	s_branch .LBB39_480
	.section	.rodata,"a",@progbits
	.p2align	6, 0x0
	.amdhsa_kernel _ZN2at6native6sbtopk10gatherTopKIijLin1ELb0EEEvNS_4cuda6detail10TensorInfoIKT_T0_EES8_S8_bS8_S8_NS5_IS6_S8_EES8_NS5_IlS8_EES8_PS6_
		.amdhsa_group_segment_fixed_size 4112
		.amdhsa_private_segment_fixed_size 0
		.amdhsa_kernarg_size 952
		.amdhsa_user_sgpr_count 6
		.amdhsa_user_sgpr_private_segment_buffer 1
		.amdhsa_user_sgpr_dispatch_ptr 0
		.amdhsa_user_sgpr_queue_ptr 0
		.amdhsa_user_sgpr_kernarg_segment_ptr 1
		.amdhsa_user_sgpr_dispatch_id 0
		.amdhsa_user_sgpr_flat_scratch_init 0
		.amdhsa_user_sgpr_kernarg_preload_length 0
		.amdhsa_user_sgpr_kernarg_preload_offset 0
		.amdhsa_user_sgpr_private_segment_size 0
		.amdhsa_uses_dynamic_stack 0
		.amdhsa_system_sgpr_private_segment_wavefront_offset 0
		.amdhsa_system_sgpr_workgroup_id_x 1
		.amdhsa_system_sgpr_workgroup_id_y 1
		.amdhsa_system_sgpr_workgroup_id_z 1
		.amdhsa_system_sgpr_workgroup_info 0
		.amdhsa_system_vgpr_workitem_id 0
		.amdhsa_next_free_vgpr 53
		.amdhsa_next_free_sgpr 96
		.amdhsa_accum_offset 56
		.amdhsa_reserve_vcc 1
		.amdhsa_reserve_flat_scratch 0
		.amdhsa_float_round_mode_32 0
		.amdhsa_float_round_mode_16_64 0
		.amdhsa_float_denorm_mode_32 3
		.amdhsa_float_denorm_mode_16_64 3
		.amdhsa_dx10_clamp 1
		.amdhsa_ieee_mode 1
		.amdhsa_fp16_overflow 0
		.amdhsa_tg_split 0
		.amdhsa_exception_fp_ieee_invalid_op 0
		.amdhsa_exception_fp_denorm_src 0
		.amdhsa_exception_fp_ieee_div_zero 0
		.amdhsa_exception_fp_ieee_overflow 0
		.amdhsa_exception_fp_ieee_underflow 0
		.amdhsa_exception_fp_ieee_inexact 0
		.amdhsa_exception_int_div_zero 0
	.end_amdhsa_kernel
	.section	.text._ZN2at6native6sbtopk10gatherTopKIijLin1ELb0EEEvNS_4cuda6detail10TensorInfoIKT_T0_EES8_S8_bS8_S8_NS5_IS6_S8_EES8_NS5_IlS8_EES8_PS6_,"axG",@progbits,_ZN2at6native6sbtopk10gatherTopKIijLin1ELb0EEEvNS_4cuda6detail10TensorInfoIKT_T0_EES8_S8_bS8_S8_NS5_IS6_S8_EES8_NS5_IlS8_EES8_PS6_,comdat
.Lfunc_end39:
	.size	_ZN2at6native6sbtopk10gatherTopKIijLin1ELb0EEEvNS_4cuda6detail10TensorInfoIKT_T0_EES8_S8_bS8_S8_NS5_IS6_S8_EES8_NS5_IlS8_EES8_PS6_, .Lfunc_end39-_ZN2at6native6sbtopk10gatherTopKIijLin1ELb0EEEvNS_4cuda6detail10TensorInfoIKT_T0_EES8_S8_bS8_S8_NS5_IS6_S8_EES8_NS5_IlS8_EES8_PS6_
                                        ; -- End function
	.section	.AMDGPU.csdata,"",@progbits
; Kernel info:
; codeLenInByte = 16260
; NumSgprs: 100
; NumVgprs: 53
; NumAgprs: 0
; TotalNumVgprs: 53
; ScratchSize: 0
; MemoryBound: 0
; FloatMode: 240
; IeeeMode: 1
; LDSByteSize: 4112 bytes/workgroup (compile time only)
; SGPRBlocks: 12
; VGPRBlocks: 6
; NumSGPRsForWavesPerEU: 100
; NumVGPRsForWavesPerEU: 53
; AccumOffset: 56
; Occupancy: 8
; WaveLimiterHint : 1
; COMPUTE_PGM_RSRC2:SCRATCH_EN: 0
; COMPUTE_PGM_RSRC2:USER_SGPR: 6
; COMPUTE_PGM_RSRC2:TRAP_HANDLER: 0
; COMPUTE_PGM_RSRC2:TGID_X_EN: 1
; COMPUTE_PGM_RSRC2:TGID_Y_EN: 1
; COMPUTE_PGM_RSRC2:TGID_Z_EN: 1
; COMPUTE_PGM_RSRC2:TIDIG_COMP_CNT: 0
; COMPUTE_PGM_RSRC3_GFX90A:ACCUM_OFFSET: 13
; COMPUTE_PGM_RSRC3_GFX90A:TG_SPLIT: 0
	.section	.text._ZN2at6native6mbtopk23computeBlockDigitCountsIljmLi1EEEvNS_4cuda6detail10TensorInfoIKT_T0_EEjPjjS8_iijT1_PSB_Ps,"axG",@progbits,_ZN2at6native6mbtopk23computeBlockDigitCountsIljmLi1EEEvNS_4cuda6detail10TensorInfoIKT_T0_EEjPjjS8_iijT1_PSB_Ps,comdat
	.protected	_ZN2at6native6mbtopk23computeBlockDigitCountsIljmLi1EEEvNS_4cuda6detail10TensorInfoIKT_T0_EEjPjjS8_iijT1_PSB_Ps ; -- Begin function _ZN2at6native6mbtopk23computeBlockDigitCountsIljmLi1EEEvNS_4cuda6detail10TensorInfoIKT_T0_EEjPjjS8_iijT1_PSB_Ps
	.globl	_ZN2at6native6mbtopk23computeBlockDigitCountsIljmLi1EEEvNS_4cuda6detail10TensorInfoIKT_T0_EEjPjjS8_iijT1_PSB_Ps
	.p2align	8
	.type	_ZN2at6native6mbtopk23computeBlockDigitCountsIljmLi1EEEvNS_4cuda6detail10TensorInfoIKT_T0_EEjPjjS8_iijT1_PSB_Ps,@function
_ZN2at6native6mbtopk23computeBlockDigitCountsIljmLi1EEEvNS_4cuda6detail10TensorInfoIKT_T0_EEjPjjS8_iijT1_PSB_Ps: ; @_ZN2at6native6mbtopk23computeBlockDigitCountsIljmLi1EEEvNS_4cuda6detail10TensorInfoIKT_T0_EEjPjjS8_iijT1_PSB_Ps
; %bb.0:
	s_load_dword s20, s[4:5], 0xf8
	s_load_dwordx4 s[12:15], s[4:5], 0xe8
	s_load_dwordx2 s[0:1], s[4:5], 0x118
	s_waitcnt lgkmcnt(0)
	v_cvt_f32_u32_e32 v1, s20
	s_sub_i32 s2, 0, s20
	s_mul_i32 s1, s1, s8
	s_add_i32 s1, s1, s7
	v_rcp_iflag_f32_e32 v1, v1
	s_mul_i32 s18, s1, s0
	s_add_i32 s18, s18, s6
	v_mul_f32_e32 v1, 0x4f7ffffe, v1
	v_cvt_u32_f32_e32 v1, v1
	v_readfirstlane_b32 s0, v1
	s_mul_i32 s2, s2, s0
	s_mul_hi_u32 s1, s0, s2
	s_add_i32 s0, s0, s1
	s_mul_hi_u32 s0, s18, s0
	s_mul_i32 s1, s0, s20
	s_sub_i32 s1, s18, s1
	s_add_i32 s2, s0, 1
	s_sub_i32 s3, s1, s20
	s_cmp_ge_u32 s1, s20
	s_cselect_b32 s0, s2, s0
	s_cselect_b32 s1, s3, s1
	s_add_i32 s2, s0, 1
	s_cmp_ge_u32 s1, s20
	s_cselect_b32 s0, s2, s0
	s_cmp_ge_u32 s0, s12
	s_mov_b32 s1, 0
	s_cbranch_scc1 .LBB40_29
; %bb.1:
	s_load_dwordx4 s[8:11], s[4:5], 0x100
	s_load_dwordx2 s[2:3], s[4:5], 0x110
	s_lshl_b64 s[6:7], s[0:1], 3
	s_movk_i32 s1, 0x100
	v_cmp_gt_u32_e32 vcc, s1, v0
	s_waitcnt lgkmcnt(0)
	s_add_u32 s16, s10, s6
	s_addc_u32 s17, s11, s7
	v_lshlrev_b32_e32 v1, 2, v0
	s_and_saveexec_b64 s[6:7], vcc
	s_cbranch_execz .LBB40_3
; %bb.2:
	v_mov_b32_e32 v2, 0
	ds_write_b32 v1, v2
.LBB40_3:
	s_or_b64 exec, exec, s[6:7]
	s_load_dword s12, s[4:5], 0xd8
	s_mul_i32 s1, s0, s20
	s_sub_i32 s1, s18, s1
	s_add_i32 s6, s1, 1
	s_mul_i32 s1, s15, s1
	s_lshl_b32 s19, s1, 8
	s_waitcnt lgkmcnt(0)
	s_sub_i32 s1, s12, s19
	s_add_u32 s1, s1, 0xff
	s_addc_u32 s7, 0, 0
	v_mov_b32_e32 v2, s1
	v_alignbit_b32 v2, s7, v2, 8
	s_cmp_lt_u32 s6, s20
	v_readfirstlane_b32 s1, v2
	s_cselect_b32 s20, s15, s1
	s_cmp_lt_i32 s20, 1
	s_mov_b32 s11, 0
	s_barrier
	s_cbranch_scc1 .LBB40_25
; %bb.4:
	s_load_dword s1, s[4:5], 0x6c
	s_load_dwordx2 s[22:23], s[4:5], 0x0
	s_load_dwordx2 s[6:7], s[16:17], 0x0
	s_waitcnt lgkmcnt(0)
	s_mul_i32 s10, s1, s0
	s_lshl_b64 s[0:1], s[10:11], 3
	s_add_u32 s10, s22, s0
	s_addc_u32 s15, s23, s1
	s_and_b32 s14, s14, 0xff
	s_cmp_lt_u32 s20, 4
	s_cbranch_scc1 .LBB40_19
; %bb.5:
	v_add_u32_e32 v2, s19, v0
	v_add_u32_e32 v3, 0x200, v2
	;; [unrolled: 1-line block ×3, first 2 shown]
	v_mul_lo_u32 v8, s13, v3
	v_add_u32_e32 v3, 0x100, v2
	s_and_b32 s11, s20, 0x7ffffffc
	v_mul_lo_u32 v7, s13, v6
	s_lshl_b32 s16, s13, 10
	v_mul_lo_u32 v9, s13, v3
	v_mul_lo_u32 v10, s13, v2
	s_mov_b32 s17, 0
	v_mov_b32_e32 v3, 0
	v_mov_b32_e32 v11, 1
	v_mov_b32_e32 v12, 2
	s_mov_b32 s21, 0
	s_branch .LBB40_7
.LBB40_6:                               ;   in Loop: Header=BB40_7 Depth=1
	s_or_b64 exec, exec, s[4:5]
	s_add_i32 s21, s21, 4
	s_add_i32 s17, s17, s16
	s_cmp_eq_u32 s11, s21
	v_add_u32_e32 v6, 0x400, v6
	s_cbranch_scc1 .LBB40_19
.LBB40_7:                               ; =>This Inner Loop Header: Depth=1
	v_add_u32_e32 v2, 0xfffffd00, v6
	v_cmp_gt_u32_e64 s[0:1], s12, v2
	s_and_saveexec_b64 s[4:5], s[0:1]
	s_cbranch_execz .LBB40_10
; %bb.8:                                ;   in Loop: Header=BB40_7 Depth=1
	v_add_u32_e32 v2, s17, v10
	v_lshlrev_b64 v[4:5], 3, v[2:3]
	v_mov_b32_e32 v2, s15
	v_add_co_u32_e64 v4, s[0:1], s10, v4
	v_addc_co_u32_e64 v5, s[0:1], v2, v5, s[0:1]
	global_load_dwordx2 v[4:5], v[4:5], off
	s_waitcnt vmcnt(0)
	v_xor_b32_e32 v5, 0x80000000, v5
	v_xor_b32_e32 v2, s6, v4
	;; [unrolled: 1-line block ×3, first 2 shown]
	v_and_b32_e32 v15, s9, v13
	v_and_b32_e32 v14, s8, v2
	v_cmp_eq_u64_e64 s[0:1], 0, v[14:15]
	s_and_b64 exec, exec, s[0:1]
	s_cbranch_execz .LBB40_10
; %bb.9:                                ;   in Loop: Header=BB40_7 Depth=1
	v_lshrrev_b64 v[4:5], s14, v[4:5]
	v_lshlrev_b32_sdwa v2, v12, v4 dst_sel:DWORD dst_unused:UNUSED_PAD src0_sel:DWORD src1_sel:BYTE_0
	ds_add_u32 v2, v11
.LBB40_10:                              ;   in Loop: Header=BB40_7 Depth=1
	s_or_b64 exec, exec, s[4:5]
	v_add_u32_e32 v2, 0xfffffe00, v6
	v_cmp_gt_u32_e64 s[0:1], s12, v2
	s_and_saveexec_b64 s[4:5], s[0:1]
	s_cbranch_execz .LBB40_13
; %bb.11:                               ;   in Loop: Header=BB40_7 Depth=1
	v_add_u32_e32 v2, s17, v9
	v_lshlrev_b64 v[4:5], 3, v[2:3]
	v_mov_b32_e32 v2, s15
	v_add_co_u32_e64 v4, s[0:1], s10, v4
	v_addc_co_u32_e64 v5, s[0:1], v2, v5, s[0:1]
	global_load_dwordx2 v[4:5], v[4:5], off
	s_waitcnt vmcnt(0)
	v_xor_b32_e32 v5, 0x80000000, v5
	v_xor_b32_e32 v2, s6, v4
	;; [unrolled: 1-line block ×3, first 2 shown]
	v_and_b32_e32 v15, s9, v13
	v_and_b32_e32 v14, s8, v2
	v_cmp_eq_u64_e64 s[0:1], 0, v[14:15]
	s_and_b64 exec, exec, s[0:1]
	s_cbranch_execz .LBB40_13
; %bb.12:                               ;   in Loop: Header=BB40_7 Depth=1
	v_lshrrev_b64 v[4:5], s14, v[4:5]
	v_lshlrev_b32_sdwa v2, v12, v4 dst_sel:DWORD dst_unused:UNUSED_PAD src0_sel:DWORD src1_sel:BYTE_0
	ds_add_u32 v2, v11
.LBB40_13:                              ;   in Loop: Header=BB40_7 Depth=1
	s_or_b64 exec, exec, s[4:5]
	v_add_u32_e32 v2, 0xffffff00, v6
	v_cmp_gt_u32_e64 s[0:1], s12, v2
	s_and_saveexec_b64 s[4:5], s[0:1]
	s_cbranch_execz .LBB40_16
; %bb.14:                               ;   in Loop: Header=BB40_7 Depth=1
	v_add_u32_e32 v2, s17, v8
	v_lshlrev_b64 v[4:5], 3, v[2:3]
	v_mov_b32_e32 v2, s15
	v_add_co_u32_e64 v4, s[0:1], s10, v4
	v_addc_co_u32_e64 v5, s[0:1], v2, v5, s[0:1]
	global_load_dwordx2 v[4:5], v[4:5], off
	s_waitcnt vmcnt(0)
	v_xor_b32_e32 v5, 0x80000000, v5
	v_xor_b32_e32 v2, s6, v4
	;; [unrolled: 1-line block ×3, first 2 shown]
	v_and_b32_e32 v15, s9, v13
	v_and_b32_e32 v14, s8, v2
	v_cmp_eq_u64_e64 s[0:1], 0, v[14:15]
	s_and_b64 exec, exec, s[0:1]
	s_cbranch_execz .LBB40_16
; %bb.15:                               ;   in Loop: Header=BB40_7 Depth=1
	v_lshrrev_b64 v[4:5], s14, v[4:5]
	v_lshlrev_b32_sdwa v2, v12, v4 dst_sel:DWORD dst_unused:UNUSED_PAD src0_sel:DWORD src1_sel:BYTE_0
	ds_add_u32 v2, v11
.LBB40_16:                              ;   in Loop: Header=BB40_7 Depth=1
	s_or_b64 exec, exec, s[4:5]
	v_cmp_gt_u32_e64 s[0:1], s12, v6
	s_and_saveexec_b64 s[4:5], s[0:1]
	s_cbranch_execz .LBB40_6
; %bb.17:                               ;   in Loop: Header=BB40_7 Depth=1
	v_add_u32_e32 v2, s17, v7
	v_lshlrev_b64 v[4:5], 3, v[2:3]
	v_mov_b32_e32 v2, s15
	v_add_co_u32_e64 v4, s[0:1], s10, v4
	v_addc_co_u32_e64 v5, s[0:1], v2, v5, s[0:1]
	global_load_dwordx2 v[4:5], v[4:5], off
	s_waitcnt vmcnt(0)
	v_xor_b32_e32 v5, 0x80000000, v5
	v_xor_b32_e32 v2, s6, v4
	;; [unrolled: 1-line block ×3, first 2 shown]
	v_and_b32_e32 v15, s9, v13
	v_and_b32_e32 v14, s8, v2
	v_cmp_eq_u64_e64 s[0:1], 0, v[14:15]
	s_and_b64 exec, exec, s[0:1]
	s_cbranch_execz .LBB40_6
; %bb.18:                               ;   in Loop: Header=BB40_7 Depth=1
	v_lshrrev_b64 v[4:5], s14, v[4:5]
	v_lshlrev_b32_sdwa v2, v12, v4 dst_sel:DWORD dst_unused:UNUSED_PAD src0_sel:DWORD src1_sel:BYTE_0
	ds_add_u32 v2, v11
	s_branch .LBB40_6
.LBB40_19:
	s_and_b32 s16, s20, 3
	s_cmp_eq_u32 s16, 0
	s_cbranch_scc1 .LBB40_25
; %bb.20:
	s_lshl_b32 s0, s11, 8
	s_add_i32 s0, s0, s19
	v_add_u32_e32 v6, s0, v0
	v_mul_lo_u32 v2, s13, v6
	s_lshl_b32 s11, s13, 8
	v_mov_b32_e32 v3, 0
	v_mov_b32_e32 v7, 1
	;; [unrolled: 1-line block ×3, first 2 shown]
	s_branch .LBB40_22
.LBB40_21:                              ;   in Loop: Header=BB40_22 Depth=1
	s_or_b64 exec, exec, s[4:5]
	s_add_i32 s16, s16, -1
	v_add_u32_e32 v2, s11, v2
	s_cmp_lg_u32 s16, 0
	v_add_u32_e32 v6, 0x100, v6
	s_cbranch_scc0 .LBB40_25
.LBB40_22:                              ; =>This Inner Loop Header: Depth=1
	v_cmp_gt_u32_e64 s[0:1], s12, v6
	s_and_saveexec_b64 s[4:5], s[0:1]
	s_cbranch_execz .LBB40_21
; %bb.23:                               ;   in Loop: Header=BB40_22 Depth=1
	v_lshlrev_b64 v[4:5], 3, v[2:3]
	v_mov_b32_e32 v9, s15
	v_add_co_u32_e64 v4, s[0:1], s10, v4
	v_addc_co_u32_e64 v5, s[0:1], v9, v5, s[0:1]
	global_load_dwordx2 v[4:5], v[4:5], off
	s_waitcnt vmcnt(0)
	v_xor_b32_e32 v5, 0x80000000, v5
	v_xor_b32_e32 v9, s6, v4
	;; [unrolled: 1-line block ×3, first 2 shown]
	v_and_b32_e32 v11, s9, v10
	v_and_b32_e32 v10, s8, v9
	v_cmp_eq_u64_e64 s[0:1], 0, v[10:11]
	s_and_b64 exec, exec, s[0:1]
	s_cbranch_execz .LBB40_21
; %bb.24:                               ;   in Loop: Header=BB40_22 Depth=1
	v_lshrrev_b64 v[4:5], s14, v[4:5]
	v_lshlrev_b32_sdwa v4, v8, v4 dst_sel:DWORD dst_unused:UNUSED_PAD src0_sel:DWORD src1_sel:BYTE_0
	ds_add_u32 v4, v7
	s_branch .LBB40_21
.LBB40_25:
	v_mov_b32_e32 v2, 0
	s_waitcnt lgkmcnt(0)
	s_barrier
	s_and_saveexec_b64 s[0:1], vcc
	s_cbranch_execz .LBB40_27
; %bb.26:
	ds_read_b32 v2, v1
.LBB40_27:
	s_or_b64 exec, exec, s[0:1]
	s_and_saveexec_b64 s[0:1], vcc
	s_cbranch_execz .LBB40_29
; %bb.28:
	v_lshl_or_b32 v0, s18, 8, v0
	v_mov_b32_e32 v1, 0
	v_lshlrev_b64 v[0:1], 1, v[0:1]
	v_mov_b32_e32 v3, s3
	v_add_co_u32_e32 v0, vcc, s2, v0
	v_addc_co_u32_e32 v1, vcc, v3, v1, vcc
	s_waitcnt lgkmcnt(0)
	global_store_short v[0:1], v2, off
.LBB40_29:
	s_endpgm
	.section	.rodata,"a",@progbits
	.p2align	6, 0x0
	.amdhsa_kernel _ZN2at6native6mbtopk23computeBlockDigitCountsIljmLi1EEEvNS_4cuda6detail10TensorInfoIKT_T0_EEjPjjS8_iijT1_PSB_Ps
		.amdhsa_group_segment_fixed_size 1024
		.amdhsa_private_segment_fixed_size 0
		.amdhsa_kernarg_size 536
		.amdhsa_user_sgpr_count 6
		.amdhsa_user_sgpr_private_segment_buffer 1
		.amdhsa_user_sgpr_dispatch_ptr 0
		.amdhsa_user_sgpr_queue_ptr 0
		.amdhsa_user_sgpr_kernarg_segment_ptr 1
		.amdhsa_user_sgpr_dispatch_id 0
		.amdhsa_user_sgpr_flat_scratch_init 0
		.amdhsa_user_sgpr_kernarg_preload_length 0
		.amdhsa_user_sgpr_kernarg_preload_offset 0
		.amdhsa_user_sgpr_private_segment_size 0
		.amdhsa_uses_dynamic_stack 0
		.amdhsa_system_sgpr_private_segment_wavefront_offset 0
		.amdhsa_system_sgpr_workgroup_id_x 1
		.amdhsa_system_sgpr_workgroup_id_y 1
		.amdhsa_system_sgpr_workgroup_id_z 1
		.amdhsa_system_sgpr_workgroup_info 0
		.amdhsa_system_vgpr_workitem_id 0
		.amdhsa_next_free_vgpr 16
		.amdhsa_next_free_sgpr 24
		.amdhsa_accum_offset 16
		.amdhsa_reserve_vcc 1
		.amdhsa_reserve_flat_scratch 0
		.amdhsa_float_round_mode_32 0
		.amdhsa_float_round_mode_16_64 0
		.amdhsa_float_denorm_mode_32 3
		.amdhsa_float_denorm_mode_16_64 3
		.amdhsa_dx10_clamp 1
		.amdhsa_ieee_mode 1
		.amdhsa_fp16_overflow 0
		.amdhsa_tg_split 0
		.amdhsa_exception_fp_ieee_invalid_op 0
		.amdhsa_exception_fp_denorm_src 0
		.amdhsa_exception_fp_ieee_div_zero 0
		.amdhsa_exception_fp_ieee_overflow 0
		.amdhsa_exception_fp_ieee_underflow 0
		.amdhsa_exception_fp_ieee_inexact 0
		.amdhsa_exception_int_div_zero 0
	.end_amdhsa_kernel
	.section	.text._ZN2at6native6mbtopk23computeBlockDigitCountsIljmLi1EEEvNS_4cuda6detail10TensorInfoIKT_T0_EEjPjjS8_iijT1_PSB_Ps,"axG",@progbits,_ZN2at6native6mbtopk23computeBlockDigitCountsIljmLi1EEEvNS_4cuda6detail10TensorInfoIKT_T0_EEjPjjS8_iijT1_PSB_Ps,comdat
.Lfunc_end40:
	.size	_ZN2at6native6mbtopk23computeBlockDigitCountsIljmLi1EEEvNS_4cuda6detail10TensorInfoIKT_T0_EEjPjjS8_iijT1_PSB_Ps, .Lfunc_end40-_ZN2at6native6mbtopk23computeBlockDigitCountsIljmLi1EEEvNS_4cuda6detail10TensorInfoIKT_T0_EEjPjjS8_iijT1_PSB_Ps
                                        ; -- End function
	.section	.AMDGPU.csdata,"",@progbits
; Kernel info:
; codeLenInByte = 1308
; NumSgprs: 28
; NumVgprs: 16
; NumAgprs: 0
; TotalNumVgprs: 16
; ScratchSize: 0
; MemoryBound: 0
; FloatMode: 240
; IeeeMode: 1
; LDSByteSize: 1024 bytes/workgroup (compile time only)
; SGPRBlocks: 3
; VGPRBlocks: 1
; NumSGPRsForWavesPerEU: 28
; NumVGPRsForWavesPerEU: 16
; AccumOffset: 16
; Occupancy: 8
; WaveLimiterHint : 1
; COMPUTE_PGM_RSRC2:SCRATCH_EN: 0
; COMPUTE_PGM_RSRC2:USER_SGPR: 6
; COMPUTE_PGM_RSRC2:TRAP_HANDLER: 0
; COMPUTE_PGM_RSRC2:TGID_X_EN: 1
; COMPUTE_PGM_RSRC2:TGID_Y_EN: 1
; COMPUTE_PGM_RSRC2:TGID_Z_EN: 1
; COMPUTE_PGM_RSRC2:TIDIG_COMP_CNT: 0
; COMPUTE_PGM_RSRC3_GFX90A:ACCUM_OFFSET: 3
; COMPUTE_PGM_RSRC3_GFX90A:TG_SPLIT: 0
	.section	.text._ZN2at6native6mbtopk29computeBlockwiseWithinKCountsImlEEvPT_PsPjjibS6_PT0_S6_S4_S6_j,"axG",@progbits,_ZN2at6native6mbtopk29computeBlockwiseWithinKCountsImlEEvPT_PsPjjibS6_PT0_S6_S4_S6_j,comdat
	.protected	_ZN2at6native6mbtopk29computeBlockwiseWithinKCountsImlEEvPT_PsPjjibS6_PT0_S6_S4_S6_j ; -- Begin function _ZN2at6native6mbtopk29computeBlockwiseWithinKCountsImlEEvPT_PsPjjibS6_PT0_S6_S4_S6_j
	.globl	_ZN2at6native6mbtopk29computeBlockwiseWithinKCountsImlEEvPT_PsPjjibS6_PT0_S6_S4_S6_j
	.p2align	8
	.type	_ZN2at6native6mbtopk29computeBlockwiseWithinKCountsImlEEvPT_PsPjjibS6_PT0_S6_S4_S6_j,@function
_ZN2at6native6mbtopk29computeBlockwiseWithinKCountsImlEEvPT_PsPjjibS6_PT0_S6_S4_S6_j: ; @_ZN2at6native6mbtopk29computeBlockwiseWithinKCountsImlEEvPT_PsPjjibS6_PT0_S6_S4_S6_j
; %bb.0:
	s_load_dwordx4 s[16:19], s[4:5], 0x18
	s_load_dword s2, s[4:5], 0x50
	s_load_dwordx2 s[0:1], s[4:5], 0x58
	s_waitcnt lgkmcnt(0)
	v_cvt_f32_u32_e32 v1, s16
	s_mul_i32 s1, s1, s8
	s_add_i32 s1, s1, s7
	v_rcp_iflag_f32_e32 v1, v1
	s_mul_i32 s0, s1, s0
	s_add_i32 s6, s0, s6
	s_cmp_ge_u32 s6, s2
	v_mul_f32_e32 v1, 0x4f7ffffe, v1
	v_cvt_u32_f32_e32 v1, v1
	v_readfirstlane_b32 s0, v1
	s_cbranch_scc1 .LBB41_49
; %bb.1:
	s_sub_i32 s1, 0, s16
	s_mul_i32 s1, s1, s0
	s_mul_hi_u32 s1, s0, s1
	s_add_i32 s0, s0, s1
	s_mul_hi_u32 s2, s6, s0
	s_mul_i32 s3, s2, s16
	s_sub_i32 s3, s6, s3
	s_add_i32 s8, s2, 1
	s_sub_i32 s9, s3, s16
	s_cmp_ge_u32 s3, s16
	s_load_dwordx4 s[20:23], s[4:5], 0x0
	s_load_dwordx2 s[0:1], s[4:5], 0x10
	s_cselect_b32 s2, s8, s2
	s_cselect_b32 s3, s9, s3
	s_add_i32 s8, s2, 1
	s_mov_b32 s7, 0
	s_cmp_ge_u32 s3, s16
	s_cselect_b32 s26, s8, s2
	s_mov_b32 s27, s7
	s_lshl_b64 s[24:25], s[26:27], 2
	s_waitcnt lgkmcnt(0)
	s_add_u32 s0, s0, s24
	s_addc_u32 s1, s1, s25
	s_load_dword s19, s[0:1], 0x0
	s_movk_i32 s0, 0x100
	v_cmp_gt_u32_e64 s[0:1], s0, v0
	s_and_saveexec_b64 s[2:3], s[0:1]
	s_cbranch_execz .LBB41_17
; %bb.2:
	s_mul_i32 s8, s26, s16
	s_lshl_b32 s8, s8, 8
	s_mov_b32 s9, s7
	s_lshl_b64 s[12:13], s[8:9], 1
	s_add_u32 s8, s22, s12
	s_addc_u32 s9, s23, s13
	v_lshlrev_b32_e32 v4, 1, v0
	v_mov_b32_e32 v3, s9
	v_add_co_u32_e32 v2, vcc, s8, v4
	v_mov_b32_e32 v1, 0
	s_cmp_lt_u32 s16, 4
	v_addc_co_u32_e32 v3, vcc, 0, v3, vcc
	s_cbranch_scc1 .LBB41_7
; %bb.3:
	s_add_i32 s8, s16, -4
	s_mov_b32 s14, 0
	s_cmp_gt_u32 s8, 3
	v_mov_b32_e32 v1, 0
	s_cbranch_scc0 .LBB41_8
; %bb.4:
	s_lshr_b32 s8, s8, 2
	s_add_i32 s8, s8, 1
	s_and_b32 s10, s8, 0x7ffffffe
	s_add_u32 s12, s22, s12
	s_addc_u32 s13, s23, s13
	v_mov_b32_e32 v5, s13
	v_add_co_u32_e32 v4, vcc, s12, v4
	s_mov_b32 s9, 0
	v_addc_co_u32_e32 v5, vcc, 0, v5, vcc
	s_mov_b32 s11, s9
	v_add_co_u32_e32 v4, vcc, 0xe00, v4
	v_mov_b32_e32 v1, 0
	v_addc_co_u32_e32 v5, vcc, 0, v5, vcc
	s_mov_b64 s[12:13], s[10:11]
	v_mov_b32_e32 v6, 0
.LBB41_5:                               ; =>This Inner Loop Header: Depth=1
	global_load_sshort v7, v[4:5], off offset:-3584
	global_load_sshort v8, v[4:5], off offset:-3072
	;; [unrolled: 1-line block ×6, first 2 shown]
	global_load_sshort v13, v[4:5], off
	global_load_sshort v14, v[4:5], off offset:-2048
	s_add_u32 s12, s12, -2
	v_add_co_u32_e32 v4, vcc, 0x1000, v4
	s_addc_u32 s13, s13, -1
	v_addc_co_u32_e32 v5, vcc, 0, v5, vcc
	s_cmp_lg_u64 s[12:13], 0
	s_waitcnt vmcnt(6)
	v_add3_u32 v1, v1, v7, v8
	s_waitcnt vmcnt(3)
	v_add3_u32 v6, v6, v10, v11
	;; [unrolled: 2-line block ×4, first 2 shown]
	s_cbranch_scc1 .LBB41_5
; %bb.6:
	s_lshl_b64 s[12:13], s[10:11], 11
	s_lshl_b32 s14, s10, 2
	v_mov_b32_e32 v4, s13
	v_add_co_u32_e32 v2, vcc, s12, v2
	s_cmp_lg_u64 s[10:11], s[8:9]
	v_addc_co_u32_e32 v3, vcc, v3, v4, vcc
	v_add_u32_e32 v1, v1, v6
	s_cselect_b64 s[8:9], -1, 0
	s_and_b64 vcc, exec, s[8:9]
	s_cbranch_vccnz .LBB41_9
	s_branch .LBB41_10
.LBB41_7:
	s_mov_b32 s14, s7
	s_branch .LBB41_10
.LBB41_8:
	s_cbranch_execz .LBB41_10
.LBB41_9:                               ; =>This Inner Loop Header: Depth=1
	global_load_sshort v4, v[2:3], off
	global_load_sshort v5, v[2:3], off offset:512
	global_load_sshort v6, v[2:3], off offset:1024
	;; [unrolled: 1-line block ×3, first 2 shown]
	s_mov_b32 s8, s14
	v_add_co_u32_e32 v2, vcc, 0x800, v2
	s_add_i32 s14, s14, 4
	s_add_i32 s8, s8, 7
	v_addc_co_u32_e32 v3, vcc, 0, v3, vcc
	s_cmp_ge_u32 s8, s16
	s_waitcnt vmcnt(2)
	v_add3_u32 v1, v1, v4, v5
	s_waitcnt vmcnt(0)
	v_add3_u32 v1, v1, v6, v7
	s_cbranch_scc0 .LBB41_9
.LBB41_10:
	s_cmp_ge_u32 s14, s16
	s_cbranch_scc1 .LBB41_16
; %bb.11:
	s_not_b32 s8, s14
	s_add_i32 s8, s8, s16
	s_cmp_lg_u32 s8, 0
	s_cbranch_scc0 .LBB41_50
; %bb.12:
	s_add_u32 s8, s8, 1
	s_addc_u32 s9, 0, 0
	s_and_b32 s10, s8, -2
	s_mov_b32 s11, s9
	v_add_co_u32_e32 v4, vcc, 0x200, v2
	v_addc_co_u32_e32 v5, vcc, 0, v3, vcc
	v_mov_b32_e32 v6, 0
	s_mov_b64 s[12:13], s[10:11]
.LBB41_13:                              ; =>This Inner Loop Header: Depth=1
	global_load_sshort v7, v[4:5], off
	global_load_sshort v8, v[4:5], off offset:-512
	s_add_u32 s12, s12, -2
	v_add_co_u32_e32 v4, vcc, 0x400, v4
	s_addc_u32 s13, s13, -1
	v_addc_co_u32_e32 v5, vcc, 0, v5, vcc
	s_cmp_lg_u64 s[12:13], 0
	s_waitcnt vmcnt(1)
	v_add_u32_e32 v6, v6, v7
	s_waitcnt vmcnt(0)
	v_add_u32_e32 v1, v1, v8
	s_cbranch_scc1 .LBB41_13
; %bb.14:
	s_lshl_b64 s[12:13], s[10:11], 9
	s_add_i32 s14, s14, s10
	v_mov_b32_e32 v4, s13
	v_add_co_u32_e32 v2, vcc, s12, v2
	s_cmp_lg_u64 s[8:9], s[10:11]
	v_addc_co_u32_e32 v3, vcc, v3, v4, vcc
	v_add_u32_e32 v1, v1, v6
	s_cselect_b64 s[8:9], -1, 0
	s_and_b64 vcc, exec, s[8:9]
	s_cbranch_vccz .LBB41_16
.LBB41_15:                              ; =>This Inner Loop Header: Depth=1
	global_load_sshort v4, v[2:3], off
	v_add_co_u32_e32 v2, vcc, 0x200, v2
	s_add_i32 s14, s14, 1
	v_addc_co_u32_e32 v3, vcc, 0, v3, vcc
	s_cmp_lt_u32 s14, s16
	s_waitcnt vmcnt(0)
	v_add_u32_e32 v1, v1, v4
	s_cbranch_scc1 .LBB41_15
.LBB41_16:
	v_lshlrev_b32_e32 v2, 2, v0
	ds_write_b32 v2, v1 offset:1056
.LBB41_17:
	s_or_b64 exec, exec, s[2:3]
	v_mov_b32_e32 v2, 0
	s_waitcnt lgkmcnt(0)
	s_barrier
	s_and_saveexec_b64 s[2:3], s[0:1]
	s_cbranch_execz .LBB41_19
; %bb.18:
	v_lshlrev_b32_e32 v1, 2, v0
	ds_read_b32 v2, v1 offset:1056
.LBB41_19:
	s_or_b64 exec, exec, s[2:3]
	v_lshrrev_b32_e32 v1, 5, v0
	v_add_lshl_u32 v1, v1, v0, 2
	v_cmp_gt_u32_e64 s[2:3], 64, v0
	v_mbcnt_lo_u32_b32 v4, -1, 0
	s_waitcnt lgkmcnt(0)
	ds_write_b32 v1, v2
	s_waitcnt lgkmcnt(0)
	s_barrier
	s_and_saveexec_b64 s[8:9], s[2:3]
	s_cbranch_execz .LBB41_21
; %bb.20:
	v_lshlrev_b32_e32 v3, 2, v0
	v_lshrrev_b32_e32 v5, 3, v0
	v_add_lshl_u32 v5, v5, v3, 2
	ds_read2_b32 v[6:7], v5 offset1:1
	ds_read2_b32 v[8:9], v5 offset0:2 offset1:3
	v_mbcnt_hi_u32_b32 v3, -1, v4
	v_and_b32_e32 v10, 15, v3
	v_cmp_ne_u32_e32 vcc, 0, v10
	s_waitcnt lgkmcnt(1)
	v_add_u32_e32 v7, v7, v6
	s_waitcnt lgkmcnt(0)
	v_add3_u32 v7, v7, v8, v9
	v_bfe_i32 v9, v3, 4, 1
	s_nop 0
	v_mov_b32_dpp v8, v7 row_shr:1 row_mask:0xf bank_mask:0xf
	v_cndmask_b32_e32 v8, 0, v8, vcc
	v_add_u32_e32 v7, v8, v7
	v_cmp_lt_u32_e32 vcc, 1, v10
	; wave barrier
	s_nop 0
	v_mov_b32_dpp v8, v7 row_shr:2 row_mask:0xf bank_mask:0xf
	v_cndmask_b32_e32 v8, 0, v8, vcc
	v_add_u32_e32 v7, v7, v8
	v_cmp_lt_u32_e32 vcc, 3, v10
	s_nop 0
	v_mov_b32_dpp v8, v7 row_shr:4 row_mask:0xf bank_mask:0xf
	v_cndmask_b32_e32 v8, 0, v8, vcc
	v_add_u32_e32 v7, v7, v8
	v_cmp_lt_u32_e32 vcc, 7, v10
	;; [unrolled: 5-line block ×3, first 2 shown]
	s_nop 0
	v_mov_b32_dpp v8, v7 row_bcast:15 row_mask:0xf bank_mask:0xf
	v_and_b32_e32 v8, v9, v8
	v_add_u32_e32 v7, v7, v8
	v_and_b32_e32 v9, 64, v3
	s_nop 0
	v_mov_b32_dpp v8, v7 row_bcast:31 row_mask:0xf bank_mask:0xf
	v_cndmask_b32_e32 v8, 0, v8, vcc
	v_add_u32_e32 v7, v7, v8
	v_add_u32_e32 v8, -1, v3
	v_cmp_lt_i32_e32 vcc, v8, v9
	v_cndmask_b32_e32 v3, v8, v3, vcc
	v_lshlrev_b32_e32 v3, 2, v3
	ds_bpermute_b32 v3, v3, v7
	v_cmp_eq_u32_e32 vcc, 0, v0
	s_waitcnt lgkmcnt(0)
	v_add_u32_e32 v3, v3, v6
	v_cndmask_b32_e32 v6, v3, v2, vcc
	ds_write_b32 v5, v6
	; wave barrier
	ds_read2_b32 v[2:3], v5 offset0:1 offset1:2
	ds_read_b32 v7, v5 offset:12
	s_waitcnt lgkmcnt(1)
	v_add_u32_e32 v2, v2, v6
	v_add_u32_e32 v3, v3, v2
	ds_write2_b32 v5, v2, v3 offset0:1 offset1:2
	s_waitcnt lgkmcnt(1)
	v_add_u32_e32 v2, v7, v3
	ds_write_b32 v5, v2 offset:12
.LBB41_21:
	s_or_b64 exec, exec, s[8:9]
	s_waitcnt lgkmcnt(0)
	s_barrier
	ds_read_b32 v1, v1
	s_waitcnt lgkmcnt(0)
	s_barrier
	s_and_saveexec_b64 s[8:9], s[0:1]
	s_cbranch_execz .LBB41_23
; %bb.22:
	v_lshlrev_b32_e32 v2, 2, v0
	ds_write_b32 v2, v1 offset:1056
.LBB41_23:
	s_or_b64 exec, exec, s[8:9]
	s_load_dwordx8 s[8:15], s[4:5], 0x28
	s_load_dwordx2 s[28:29], s[4:5], 0x48
	s_waitcnt lgkmcnt(0)
	s_barrier
	s_and_saveexec_b64 s[4:5], s[0:1]
	s_cbranch_execz .LBB41_32
; %bb.24:
	v_cmp_ne_u32_e32 vcc, 0, v0
	v_mov_b32_e32 v5, 0
	s_and_saveexec_b64 s[0:1], vcc
	s_cbranch_execz .LBB41_26
; %bb.25:
	v_lshlrev_b32_e32 v2, 2, v0
	ds_read_b32 v5, v2 offset:1052
.LBB41_26:
	s_or_b64 exec, exec, s[0:1]
	s_waitcnt lgkmcnt(0)
	v_cmp_gt_u32_e32 vcc, s19, v5
	v_cmp_le_u32_e64 s[0:1], s19, v1
	s_and_b64 s[0:1], vcc, s[0:1]
	s_and_b64 exec, exec, s[0:1]
	s_cbranch_execz .LBB41_32
; %bb.27:
	s_lshl_b64 s[0:1], s[26:27], 3
	s_add_u32 s20, s20, s0
	s_addc_u32 s21, s21, s1
	v_mov_b32_e32 v1, 0
	global_load_dwordx2 v[2:3], v1, s[20:21]
	s_lshl_b64 s[20:21], 0xff, s17
	v_not_b32_e32 v8, s20
	v_not_b32_e32 v9, s21
	s_mul_i32 s16, s26, s16
	v_lshlrev_b64 v[6:7], s17, v[0:1]
	s_cmp_lg_u32 s6, s16
	s_waitcnt vmcnt(0)
	v_and_b32_e32 v2, v2, v8
	v_and_b32_e32 v3, v3, v9
	v_or_b32_e32 v3, v3, v7
	v_or_b32_e32 v2, v2, v6
	ds_write_b64 v1, v[2:3] offset:2096
	s_cbranch_scc1 .LBB41_32
; %bb.28:
	s_add_u32 s14, s14, s0
	s_addc_u32 s15, s15, s1
	global_store_dwordx2 v1, v[2:3], s[14:15]
	s_cmp_lt_i32 s17, 1
	s_mov_b64 s[14:15], -1
	s_cbranch_scc0 .LBB41_30
; %bb.29:
	s_add_u32 s0, s10, s0
	v_xor_b32_e32 v3, 0x80000000, v3
	s_addc_u32 s1, s11, s1
	v_mov_b32_e32 v1, 0
	global_store_dwordx2 v1, v[2:3], s[0:1]
	s_mov_b64 s[14:15], 0
.LBB41_30:
	s_andn2_b64 vcc, exec, s[14:15]
	s_cbranch_vccnz .LBB41_32
; %bb.31:
	s_add_u32 s0, s12, s24
	v_sub_u32_e32 v1, s19, v5
	s_addc_u32 s1, s13, s25
	v_mov_b32_e32 v2, 0
	global_store_dword v2, v1, s[0:1]
.LBB41_32:
	s_or_b64 exec, exec, s[4:5]
	v_mov_b32_e32 v1, 0
	s_waitcnt lgkmcnt(0)
	s_barrier
	ds_read_b64 v[2:3], v1 offset:2096
	s_bitcmp0_b32 s18, 0
	s_waitcnt lgkmcnt(0)
	v_lshrrev_b64 v[2:3], s17, v[2:3]
	v_and_b32_e32 v2, 0xff, v2
	v_mov_b32_e32 v3, 0
	s_cbranch_scc0 .LBB41_34
; %bb.33:
	v_and_b32_e32 v6, 0xc0, v0
	v_mov_b32_e32 v7, v1
	v_cmp_gt_u64_e32 vcc, v[2:3], v[6:7]
	v_cmp_gt_u64_e64 s[0:1], v[2:3], v[0:1]
	s_and_b64 s[10:11], vcc, exec
	s_and_b64 s[4:5], s[0:1], exec
	s_cbranch_execz .LBB41_35
	s_branch .LBB41_36
.LBB41_34:
                                        ; implicit-def: $sgpr4_sgpr5
                                        ; implicit-def: $sgpr10_sgpr11
.LBB41_35:
	v_or_b32_e32 v6, 63, v0
	v_mov_b32_e32 v7, 0
	v_cmp_lt_u64_e64 s[0:1], v[2:3], v[0:1]
	v_cmp_lt_u64_e32 vcc, v[2:3], v[6:7]
	s_andn2_b64 s[4:5], s[4:5], exec
	s_and_b64 s[0:1], s[0:1], exec
	s_or_b64 s[4:5], s[4:5], s[0:1]
	s_andn2_b64 s[0:1], s[10:11], exec
	s_and_b64 s[10:11], vcc, exec
	s_or_b64 s[10:11], s[0:1], s[10:11]
.LBB41_36:
	v_mov_b32_e32 v1, 0
	s_and_saveexec_b64 s[0:1], s[10:11]
	s_cbranch_execz .LBB41_40
; %bb.37:
	v_mov_b32_e32 v1, 0
	s_and_saveexec_b64 s[10:11], s[4:5]
	s_cbranch_execz .LBB41_39
; %bb.38:
	s_lshl_b32 s4, s6, 8
	s_mov_b32 s5, 0
	s_lshl_b64 s[4:5], s[4:5], 1
	s_add_u32 s4, s22, s4
	s_addc_u32 s5, s23, s5
	v_lshlrev_b32_e32 v1, 1, v0
	global_load_sshort v1, v1, s[4:5]
.LBB41_39:
	s_or_b64 exec, exec, s[10:11]
	v_mbcnt_hi_u32_b32 v2, -1, v4
	v_and_b32_e32 v3, 63, v2
	v_cmp_gt_u32_e32 vcc, 32, v3
	v_cndmask_b32_e64 v5, 0, 1, vcc
	v_lshlrev_b32_e32 v5, 5, v5
	v_add_lshl_u32 v5, v5, v2, 2
	s_waitcnt vmcnt(0)
	ds_bpermute_b32 v5, v5, v1
	v_cmp_gt_u32_e32 vcc, 48, v3
	v_cndmask_b32_e64 v6, 0, 1, vcc
	v_lshlrev_b32_e32 v6, 4, v6
	v_cmp_gt_u32_e32 vcc, 56, v3
	s_waitcnt lgkmcnt(0)
	v_add_u32_e32 v1, v5, v1
	v_add_lshl_u32 v5, v6, v2, 2
	ds_bpermute_b32 v5, v5, v1
	v_cndmask_b32_e64 v6, 0, 1, vcc
	v_lshlrev_b32_e32 v6, 3, v6
	v_cmp_gt_u32_e32 vcc, 60, v3
	s_waitcnt lgkmcnt(0)
	v_add_u32_e32 v1, v5, v1
	v_add_lshl_u32 v5, v6, v2, 2
	ds_bpermute_b32 v5, v5, v1
	;; [unrolled: 7-line block ×3, first 2 shown]
	v_cndmask_b32_e64 v6, 0, 1, vcc
	v_lshlrev_b32_e32 v6, 1, v6
	v_cmp_ne_u32_e32 vcc, 63, v3
	s_waitcnt lgkmcnt(0)
	v_add_u32_e32 v1, v5, v1
	v_add_lshl_u32 v5, v6, v2, 2
	ds_bpermute_b32 v5, v5, v1
	v_addc_co_u32_e32 v2, vcc, 0, v2, vcc
	v_lshlrev_b32_e32 v2, 2, v2
	s_waitcnt lgkmcnt(0)
	v_add_u32_e32 v1, v5, v1
	ds_bpermute_b32 v2, v2, v1
	s_waitcnt lgkmcnt(0)
	v_add_u32_e32 v1, v2, v1
.LBB41_40:
	s_or_b64 exec, exec, s[0:1]
	v_and_b32_e32 v2, 63, v0
	v_cmp_eq_u32_e32 vcc, 0, v2
	s_and_saveexec_b64 s[0:1], vcc
	s_cbranch_execz .LBB41_42
; %bb.41:
	v_lshrrev_b32_e32 v2, 4, v0
	v_and_b32_e32 v2, 12, v2
	ds_write_b32 v2, v1 offset:2080
.LBB41_42:
	s_or_b64 exec, exec, s[0:1]
	s_waitcnt lgkmcnt(0)
	s_barrier
	s_and_saveexec_b64 s[0:1], s[2:3]
	s_cbranch_execz .LBB41_49
; %bb.43:
	v_cmp_gt_u32_e32 vcc, 4, v0
	v_mov_b32_e32 v1, 0
	s_and_saveexec_b64 s[0:1], vcc
	s_cbranch_execz .LBB41_45
; %bb.44:
	v_lshlrev_b32_e32 v1, 2, v0
	ds_read_b32 v1, v1 offset:2080
.LBB41_45:
	s_or_b64 exec, exec, s[0:1]
	v_mbcnt_hi_u32_b32 v2, -1, v4
	v_and_b32_e32 v3, 63, v2
	v_cmp_gt_u32_e32 vcc, 62, v3
	v_cndmask_b32_e64 v4, 0, 1, vcc
	v_lshlrev_b32_e32 v4, 1, v4
	v_add_lshl_u32 v4, v4, v2, 2
	s_waitcnt lgkmcnt(0)
	ds_bpermute_b32 v4, v4, v1
	v_cmp_ne_u32_e32 vcc, 63, v3
	v_addc_co_u32_e32 v2, vcc, 0, v2, vcc
	v_lshlrev_b32_e32 v2, 2, v2
	s_waitcnt lgkmcnt(0)
	v_add_u32_e32 v1, v4, v1
	ds_bpermute_b32 v2, v2, v1
	v_cmp_eq_u32_e32 vcc, 0, v0
	s_and_saveexec_b64 s[0:1], vcc
	s_cbranch_execz .LBB41_47
; %bb.46:
	s_lshl_b64 s[2:3], s[6:7], 2
	s_add_u32 s2, s8, s2
	s_addc_u32 s3, s9, s3
	v_mov_b32_e32 v3, 0
	global_load_dword v4, v3, s[2:3]
	s_waitcnt vmcnt(0) lgkmcnt(0)
	v_add3_u32 v1, v2, v1, v4
	global_store_dword v3, v1, s[2:3]
.LBB41_47:
	s_or_b64 exec, exec, s[0:1]
	v_or_b32_e32 v0, s17, v0
	v_cmp_eq_u32_e32 vcc, 0, v0
	s_and_b64 exec, exec, vcc
	s_cbranch_execz .LBB41_49
; %bb.48:
	v_mov_b32_e32 v0, 0
	ds_read_b32 v1, v0 offset:2096
	s_lshl_b32 s0, s6, 8
	s_mov_b32 s1, 0
	s_lshl_b64 s[0:1], s[0:1], 1
	s_add_u32 s0, s22, s0
	s_waitcnt lgkmcnt(1)
	v_mov_b32_e32 v2, 1
	s_addc_u32 s1, s23, s1
	s_waitcnt lgkmcnt(0)
	v_lshlrev_b32_sdwa v1, v2, v1 dst_sel:DWORD dst_unused:UNUSED_PAD src0_sel:DWORD src1_sel:BYTE_0
	global_load_sshort v1, v1, s[0:1]
	s_lshl_b64 s[0:1], s[6:7], 2
	s_add_u32 s0, s28, s0
	s_addc_u32 s1, s29, s1
	s_waitcnt vmcnt(0)
	global_store_dword v0, v1, s[0:1]
.LBB41_49:
	s_endpgm
.LBB41_50:
	s_cbranch_execnz .LBB41_15
	s_branch .LBB41_16
	.section	.rodata,"a",@progbits
	.p2align	6, 0x0
	.amdhsa_kernel _ZN2at6native6mbtopk29computeBlockwiseWithinKCountsImlEEvPT_PsPjjibS6_PT0_S6_S4_S6_j
		.amdhsa_group_segment_fixed_size 2104
		.amdhsa_private_segment_fixed_size 0
		.amdhsa_kernarg_size 344
		.amdhsa_user_sgpr_count 6
		.amdhsa_user_sgpr_private_segment_buffer 1
		.amdhsa_user_sgpr_dispatch_ptr 0
		.amdhsa_user_sgpr_queue_ptr 0
		.amdhsa_user_sgpr_kernarg_segment_ptr 1
		.amdhsa_user_sgpr_dispatch_id 0
		.amdhsa_user_sgpr_flat_scratch_init 0
		.amdhsa_user_sgpr_kernarg_preload_length 0
		.amdhsa_user_sgpr_kernarg_preload_offset 0
		.amdhsa_user_sgpr_private_segment_size 0
		.amdhsa_uses_dynamic_stack 0
		.amdhsa_system_sgpr_private_segment_wavefront_offset 0
		.amdhsa_system_sgpr_workgroup_id_x 1
		.amdhsa_system_sgpr_workgroup_id_y 1
		.amdhsa_system_sgpr_workgroup_id_z 1
		.amdhsa_system_sgpr_workgroup_info 0
		.amdhsa_system_vgpr_workitem_id 0
		.amdhsa_next_free_vgpr 15
		.amdhsa_next_free_sgpr 30
		.amdhsa_accum_offset 16
		.amdhsa_reserve_vcc 1
		.amdhsa_reserve_flat_scratch 0
		.amdhsa_float_round_mode_32 0
		.amdhsa_float_round_mode_16_64 0
		.amdhsa_float_denorm_mode_32 3
		.amdhsa_float_denorm_mode_16_64 3
		.amdhsa_dx10_clamp 1
		.amdhsa_ieee_mode 1
		.amdhsa_fp16_overflow 0
		.amdhsa_tg_split 0
		.amdhsa_exception_fp_ieee_invalid_op 0
		.amdhsa_exception_fp_denorm_src 0
		.amdhsa_exception_fp_ieee_div_zero 0
		.amdhsa_exception_fp_ieee_overflow 0
		.amdhsa_exception_fp_ieee_underflow 0
		.amdhsa_exception_fp_ieee_inexact 0
		.amdhsa_exception_int_div_zero 0
	.end_amdhsa_kernel
	.section	.text._ZN2at6native6mbtopk29computeBlockwiseWithinKCountsImlEEvPT_PsPjjibS6_PT0_S6_S4_S6_j,"axG",@progbits,_ZN2at6native6mbtopk29computeBlockwiseWithinKCountsImlEEvPT_PsPjjibS6_PT0_S6_S4_S6_j,comdat
.Lfunc_end41:
	.size	_ZN2at6native6mbtopk29computeBlockwiseWithinKCountsImlEEvPT_PsPjjibS6_PT0_S6_S4_S6_j, .Lfunc_end41-_ZN2at6native6mbtopk29computeBlockwiseWithinKCountsImlEEvPT_PsPjjibS6_PT0_S6_S4_S6_j
                                        ; -- End function
	.section	.AMDGPU.csdata,"",@progbits
; Kernel info:
; codeLenInByte = 2356
; NumSgprs: 34
; NumVgprs: 15
; NumAgprs: 0
; TotalNumVgprs: 15
; ScratchSize: 0
; MemoryBound: 0
; FloatMode: 240
; IeeeMode: 1
; LDSByteSize: 2104 bytes/workgroup (compile time only)
; SGPRBlocks: 4
; VGPRBlocks: 1
; NumSGPRsForWavesPerEU: 34
; NumVGPRsForWavesPerEU: 15
; AccumOffset: 16
; Occupancy: 8
; WaveLimiterHint : 1
; COMPUTE_PGM_RSRC2:SCRATCH_EN: 0
; COMPUTE_PGM_RSRC2:USER_SGPR: 6
; COMPUTE_PGM_RSRC2:TRAP_HANDLER: 0
; COMPUTE_PGM_RSRC2:TGID_X_EN: 1
; COMPUTE_PGM_RSRC2:TGID_Y_EN: 1
; COMPUTE_PGM_RSRC2:TGID_Z_EN: 1
; COMPUTE_PGM_RSRC2:TIDIG_COMP_CNT: 0
; COMPUTE_PGM_RSRC3_GFX90A:ACCUM_OFFSET: 3
; COMPUTE_PGM_RSRC3_GFX90A:TG_SPLIT: 0
	.section	.text._ZN2at6native6mbtopk10gatherTopKIljLi1EEEvNS_4cuda6detail10TensorInfoIKT_T0_EES8_S8_bjS8_NS5_IS6_S8_EES8_NS5_IlS8_EES8_jjPS6_PjSD_j,"axG",@progbits,_ZN2at6native6mbtopk10gatherTopKIljLi1EEEvNS_4cuda6detail10TensorInfoIKT_T0_EES8_S8_bjS8_NS5_IS6_S8_EES8_NS5_IlS8_EES8_jjPS6_PjSD_j,comdat
	.protected	_ZN2at6native6mbtopk10gatherTopKIljLi1EEEvNS_4cuda6detail10TensorInfoIKT_T0_EES8_S8_bjS8_NS5_IS6_S8_EES8_NS5_IlS8_EES8_jjPS6_PjSD_j ; -- Begin function _ZN2at6native6mbtopk10gatherTopKIljLi1EEEvNS_4cuda6detail10TensorInfoIKT_T0_EES8_S8_bjS8_NS5_IS6_S8_EES8_NS5_IlS8_EES8_jjPS6_PjSD_j
	.globl	_ZN2at6native6mbtopk10gatherTopKIljLi1EEEvNS_4cuda6detail10TensorInfoIKT_T0_EES8_S8_bjS8_NS5_IS6_S8_EES8_NS5_IlS8_EES8_jjPS6_PjSD_j
	.p2align	8
	.type	_ZN2at6native6mbtopk10gatherTopKIljLi1EEEvNS_4cuda6detail10TensorInfoIKT_T0_EES8_S8_bjS8_NS5_IS6_S8_EES8_NS5_IlS8_EES8_jjPS6_PjSD_j,@function
_ZN2at6native6mbtopk10gatherTopKIljLi1EEEvNS_4cuda6detail10TensorInfoIKT_T0_EES8_S8_bjS8_NS5_IS6_S8_EES8_NS5_IlS8_EES8_jjPS6_PjSD_j: ; @_ZN2at6native6mbtopk10gatherTopKIljLi1EEEvNS_4cuda6detail10TensorInfoIKT_T0_EES8_S8_bjS8_NS5_IS6_S8_EES8_NS5_IlS8_EES8_jjPS6_PjSD_j
; %bb.0:
	s_load_dwordx2 s[0:1], s[4:5], 0x2d8
	s_load_dword s2, s[4:5], 0x2d0
	s_waitcnt lgkmcnt(0)
	s_mul_i32 s1, s1, s8
	s_add_i32 s1, s1, s7
	s_mul_i32 s0, s1, s0
	s_add_i32 s0, s0, s6
	s_cmp_ge_u32 s0, s2
	s_cbranch_scc1 .LBB42_40
; %bb.1:
	s_load_dwordx8 s[8:15], s[4:5], 0x2a8
	s_mov_b32 s27, 0
	s_load_dwordx2 s[6:7], s[4:5], 0x1d0
	s_load_dwordx2 s[22:23], s[4:5], 0xf0
	;; [unrolled: 1-line block ×3, first 2 shown]
	s_waitcnt lgkmcnt(0)
	v_cvt_f32_u32_e32 v1, s10
	s_sub_i32 s1, 0, s10
	v_rcp_iflag_f32_e32 v1, v1
	v_mul_f32_e32 v1, 0x4f7ffffe, v1
	v_cvt_u32_f32_e32 v1, v1
	v_readfirstlane_b32 s2, v1
	s_mul_i32 s1, s1, s2
	s_mul_hi_u32 s1, s2, s1
	s_add_i32 s2, s2, s1
	s_mul_hi_u32 s1, s0, s2
	s_mul_i32 s2, s1, s10
	s_sub_i32 s2, s0, s2
	s_add_i32 s3, s1, 1
	s_sub_i32 s11, s2, s10
	s_cmp_ge_u32 s2, s10
	s_cselect_b32 s1, s3, s1
	s_cselect_b32 s2, s11, s2
	s_add_i32 s3, s1, 1
	s_cmp_ge_u32 s2, s10
	s_cselect_b32 s26, s3, s1
	s_mul_i32 s16, s26, s10
	s_sub_i32 s11, s0, s16
	s_lshl_b64 s[0:1], s[26:27], 3
	s_add_u32 s0, s12, s0
	s_addc_u32 s1, s13, s1
	s_load_dwordx2 s[20:21], s[0:1], 0x0
	v_cmp_ne_u32_e64 s[0:1], 0, v0
	v_cmp_eq_u32_e64 s[2:3], 0, v0
	s_and_saveexec_b64 s[12:13], s[2:3]
	s_cbranch_execz .LBB42_17
; %bb.2:
	s_load_dwordx2 s[28:29], s[4:5], 0x2c8
	s_mov_b32 s17, s27
	s_lshl_b64 s[30:31], s[16:17], 2
	s_add_u32 s16, s14, s30
	s_addc_u32 s17, s15, s31
	s_waitcnt lgkmcnt(0)
	s_add_u32 s18, s28, s30
	s_addc_u32 s19, s29, s31
	s_cmp_lt_u32 s10, 4
	s_cbranch_scc1 .LBB42_14
; %bb.3:
	s_mov_b32 s33, s27
	s_mov_b32 s36, s27
	;; [unrolled: 1-line block ×3, first 2 shown]
.LBB42_4:                               ; =>This Inner Loop Header: Depth=1
	s_add_u32 s16, s14, s30
	s_addc_u32 s17, s15, s31
	s_load_dwordx4 s[16:19], s[16:17], 0x0
	s_add_u32 s34, s28, s30
	s_addc_u32 s35, s29, s31
	s_cmp_ge_u32 s37, s11
	s_cbranch_scc0 .LBB42_11
; %bb.5:                                ;   in Loop: Header=BB42_4 Depth=1
	s_add_i32 s38, s37, 1
	s_cmp_ge_u32 s38, s11
	s_cbranch_scc0 .LBB42_12
.LBB42_6:                               ;   in Loop: Header=BB42_4 Depth=1
	s_add_i32 s38, s38, 1
	s_cmp_ge_u32 s38, s11
	s_cbranch_scc0 .LBB42_13
.LBB42_7:                               ;   in Loop: Header=BB42_4 Depth=1
	s_add_i32 s38, s38, 1
	s_cmp_ge_u32 s38, s11
	s_cbranch_scc1 .LBB42_9
.LBB42_8:                               ;   in Loop: Header=BB42_4 Depth=1
	s_load_dword s34, s[34:35], 0xc
	s_waitcnt lgkmcnt(0)
	s_add_i32 s27, s27, s19
	s_add_i32 s33, s34, s33
.LBB42_9:                               ;   in Loop: Header=BB42_4 Depth=1
	s_waitcnt lgkmcnt(0)
	s_add_i32 s16, s16, s36
	s_add_i32 s16, s16, s17
	s_add_i32 s16, s16, s18
	s_add_i32 s36, s16, s19
	s_add_u32 s14, s14, 16
	s_addc_u32 s15, s15, 0
	s_add_u32 s28, s28, 16
	s_addc_u32 s29, s29, 0
	s_add_i32 s35, s38, 4
	s_add_u32 s18, s28, s30
	s_addc_u32 s19, s29, s31
	s_add_u32 s16, s14, s30
	s_addc_u32 s17, s15, s31
	s_add_i32 s34, s38, 1
	s_cmp_ge_u32 s35, s10
	s_cbranch_scc1 .LBB42_15
; %bb.10:                               ;   in Loop: Header=BB42_4 Depth=1
	s_mov_b32 s37, s34
	s_branch .LBB42_4
.LBB42_11:                              ;   in Loop: Header=BB42_4 Depth=1
	s_load_dword s38, s[34:35], 0x0
	s_waitcnt lgkmcnt(0)
	s_add_i32 s27, s16, s27
	s_add_i32 s33, s38, s33
	s_add_i32 s38, s37, 1
	s_cmp_ge_u32 s38, s11
	s_cbranch_scc1 .LBB42_6
.LBB42_12:                              ;   in Loop: Header=BB42_4 Depth=1
	s_load_dword s39, s[34:35], 0x4
	s_waitcnt lgkmcnt(0)
	s_add_i32 s27, s27, s17
	s_add_i32 s33, s39, s33
	;; [unrolled: 1-line block ×3, first 2 shown]
	s_cmp_ge_u32 s38, s11
	s_cbranch_scc1 .LBB42_7
.LBB42_13:                              ;   in Loop: Header=BB42_4 Depth=1
	s_load_dword s39, s[34:35], 0x8
	s_waitcnt lgkmcnt(0)
	s_add_i32 s27, s27, s18
	s_add_i32 s33, s39, s33
	;; [unrolled: 1-line block ×3, first 2 shown]
	s_cmp_ge_u32 s38, s11
	s_cbranch_scc0 .LBB42_8
	s_branch .LBB42_9
.LBB42_14:
	s_mov_b32 s33, 0
	s_mov_b32 s36, 0
	;; [unrolled: 1-line block ×3, first 2 shown]
	s_cmp_ge_u32 s14, s10
	s_cbranch_scc0 .LBB42_38
	s_branch .LBB42_16
.LBB42_15:
	s_add_i32 s14, s37, 4
	s_cmp_ge_u32 s14, s10
	s_cbranch_scc0 .LBB42_38
.LBB42_16:
	v_mov_b32_e32 v2, s33
	v_mov_b32_e32 v3, s36
	;; [unrolled: 1-line block ×4, first 2 shown]
	ds_write_b96 v1, v[2:4] offset:1056
.LBB42_17:
	s_or_b64 exec, exec, s[12:13]
	s_load_dword s16, s[4:5], 0x23c
	s_load_dword s17, s[4:5], 0x15c
	;; [unrolled: 1-line block ×3, first 2 shown]
	s_load_dwordx4 s[12:15], s[4:5], 0xd8
	s_waitcnt lgkmcnt(0)
	s_mul_i32 s15, s9, s11
	s_lshl_b32 s15, s15, 8
	s_add_i32 s19, s11, 1
	s_mov_b32 s11, 0
	s_sub_i32 s27, s12, s15
	s_add_u32 s27, s27, 0xff
	s_addc_u32 s28, 0, 0
	v_mov_b32_e32 v1, s27
	v_alignbit_b32 v1, s28, v1, 8
	s_cmp_lt_u32 s19, s10
	v_readfirstlane_b32 s10, v1
	s_cselect_b32 s9, s9, s10
	s_cmp_eq_u32 s9, 0
	s_barrier
	s_cbranch_scc1 .LBB42_40
; %bb.18:
	s_mul_i32 s10, s26, s18
	v_mov_b32_e32 v1, 0
	s_mul_i32 s18, s26, s17
	s_mul_i32 s26, s26, s16
	s_lshl_b64 s[16:17], s[10:11], 3
	ds_read_b96 v[2:4], v1 offset:1056
	s_add_u32 s16, s24, s16
	s_mov_b32 s19, s11
	s_addc_u32 s17, s25, s17
	s_lshl_b64 s[18:19], s[18:19], 3
	s_add_u32 s18, s22, s18
	s_mov_b32 s27, s11
	s_addc_u32 s19, s23, s19
	s_lshl_b64 s[10:11], s[26:27], 3
	s_add_u32 s22, s6, s10
	s_waitcnt lgkmcnt(0)
	v_add_u32_e32 v5, v2, v3
	v_lshrrev_b32_e32 v2, 5, v0
	s_addc_u32 s23, s7, s11
	s_xor_b32 s11, s21, 0x80000000
	v_add_lshl_u32 v8, v2, v0, 2
	v_lshlrev_b32_e32 v2, 2, v0
	v_lshrrev_b32_e32 v3, 3, v0
	s_bitcmp1_b32 s14, 0
	s_load_dword s14, s[4:5], 0xe8
	s_load_dword s24, s[4:5], 0x1c8
	v_add_lshl_u32 v9, v3, v2, 2
	v_add_u32_e32 v2, -1, v0
	v_lshrrev_b32_e32 v3, 5, v2
	v_add_lshl_u32 v10, v3, v2, 2
	v_mbcnt_lo_u32_b32 v3, -1, 0
	v_add_u32_e32 v2, s15, v0
	v_mbcnt_hi_u32_b32 v11, -1, v3
	s_mov_b32 s10, s20
	s_cselect_b64 s[6:7], -1, 0
	v_cmp_gt_u32_e64 s[4:5], 64, v0
	s_waitcnt lgkmcnt(0)
	v_mul_lo_u32 v0, s14, v2
	s_lshl_b32 s25, s14, 8
	v_and_b32_e32 v12, 15, v11
	v_bfe_i32 v13, v11, 4, 1
	v_add_u32_e32 v14, -1, v11
	v_and_b32_e32 v15, 64, v11
                                        ; implicit-def: $vgpr6_vgpr7
	s_branch .LBB42_21
.LBB42_19:                              ;   in Loop: Header=BB42_21 Depth=1
	s_or_b64 exec, exec, s[14:15]
	v_add_u32_e32 v5, v18, v5
.LBB42_20:                              ;   in Loop: Header=BB42_21 Depth=1
	s_add_i32 s9, s9, -1
	v_add_u32_e32 v4, v17, v4
	v_add_u32_e32 v0, s25, v0
	s_cmp_lg_u32 s9, 0
	v_add_u32_e32 v2, 0x100, v2
	s_cbranch_scc0 .LBB42_40
.LBB42_21:                              ; =>This Inner Loop Header: Depth=1
	v_cmp_gt_u32_e32 vcc, s12, v2
	v_mov_b32_e32 v3, 0
	v_mov_b32_e32 v16, 0
	s_and_saveexec_b64 s[14:15], vcc
	s_cbranch_execz .LBB42_23
; %bb.22:                               ;   in Loop: Header=BB42_21 Depth=1
	v_lshlrev_b64 v[6:7], 3, v[0:1]
	v_mov_b32_e32 v3, s17
	v_add_co_u32_e32 v6, vcc, s16, v6
	v_addc_co_u32_e32 v7, vcc, v3, v7, vcc
	global_load_dwordx2 v[6:7], v[6:7], off
	s_waitcnt vmcnt(0)
	v_xor_b32_e32 v17, 0x80000000, v7
	v_mov_b32_e32 v16, v6
	v_cmp_lt_u64_e32 vcc, s[10:11], v[16:17]
	v_cndmask_b32_e64 v3, 0, 1, vcc
	v_cmp_gt_u64_e32 vcc, s[10:11], v[16:17]
	v_cndmask_b32_e64 v16, 0, 1, vcc
	v_cndmask_b32_e64 v3, v16, v3, s[6:7]
	v_cmp_eq_u64_e32 vcc, s[20:21], v[6:7]
	v_and_b32_e32 v3, 1, v3
	v_cndmask_b32_e64 v16, 0, 1, vcc
.LBB42_23:                              ;   in Loop: Header=BB42_21 Depth=1
	s_or_b64 exec, exec, s[14:15]
	ds_write_b32 v8, v3
	s_waitcnt lgkmcnt(0)
	s_barrier
	s_and_saveexec_b64 s[14:15], s[4:5]
	s_cbranch_execz .LBB42_25
; %bb.24:                               ;   in Loop: Header=BB42_21 Depth=1
	ds_read2_b32 v[18:19], v9 offset1:1
	ds_read2_b32 v[20:21], v9 offset0:2 offset1:3
	v_cmp_ne_u32_e32 vcc, 0, v12
	; wave barrier
	s_waitcnt lgkmcnt(1)
	v_add_u32_e32 v17, v19, v18
	s_waitcnt lgkmcnt(0)
	v_add3_u32 v17, v17, v20, v21
	s_nop 1
	v_mov_b32_dpp v19, v17 row_shr:1 row_mask:0xf bank_mask:0xf
	v_cndmask_b32_e32 v19, 0, v19, vcc
	v_add_u32_e32 v17, v19, v17
	v_cmp_lt_u32_e32 vcc, 1, v12
	s_nop 0
	v_mov_b32_dpp v19, v17 row_shr:2 row_mask:0xf bank_mask:0xf
	v_cndmask_b32_e32 v19, 0, v19, vcc
	v_add_u32_e32 v17, v17, v19
	v_cmp_lt_u32_e32 vcc, 3, v12
	;; [unrolled: 5-line block ×4, first 2 shown]
	s_nop 0
	v_mov_b32_dpp v19, v17 row_bcast:15 row_mask:0xf bank_mask:0xf
	v_and_b32_e32 v19, v13, v19
	v_add_u32_e32 v17, v17, v19
	s_nop 1
	v_mov_b32_dpp v19, v17 row_bcast:31 row_mask:0xf bank_mask:0xf
	v_cndmask_b32_e32 v19, 0, v19, vcc
	v_cmp_lt_i32_e32 vcc, v14, v15
	v_add_u32_e32 v17, v17, v19
	v_cndmask_b32_e32 v19, v14, v11, vcc
	v_lshlrev_b32_e32 v19, 2, v19
	ds_bpermute_b32 v17, v19, v17
	s_waitcnt lgkmcnt(0)
	v_add_u32_e32 v17, v17, v18
	v_cndmask_b32_e64 v17, v17, v3, s[2:3]
	ds_write_b32 v9, v17
	; wave barrier
	ds_read2_b32 v[18:19], v9 offset0:1 offset1:2
	ds_read_b32 v20, v9 offset:12
	s_waitcnt lgkmcnt(1)
	v_add_u32_e32 v17, v18, v17
	v_add_u32_e32 v18, v19, v17
	ds_write2_b32 v9, v17, v18 offset0:1 offset1:2
	s_waitcnt lgkmcnt(1)
	v_add_u32_e32 v17, v20, v18
	ds_write_b32 v9, v17 offset:12
.LBB42_25:                              ;   in Loop: Header=BB42_21 Depth=1
	s_or_b64 exec, exec, s[14:15]
	v_mov_b32_e32 v18, 0
	s_waitcnt lgkmcnt(0)
	s_barrier
	s_and_saveexec_b64 s[14:15], s[0:1]
	s_cbranch_execz .LBB42_27
; %bb.26:                               ;   in Loop: Header=BB42_21 Depth=1
	ds_read_b32 v18, v10
.LBB42_27:                              ;   in Loop: Header=BB42_21 Depth=1
	s_or_b64 exec, exec, s[14:15]
	ds_read_b32 v17, v1 offset:1048
	v_cmp_ne_u32_e32 vcc, 0, v3
	s_waitcnt lgkmcnt(0)
	s_barrier
	s_and_saveexec_b64 s[14:15], vcc
	s_cbranch_execz .LBB42_29
; %bb.28:                               ;   in Loop: Header=BB42_21 Depth=1
	v_add_u32_e32 v20, v18, v4
	v_mul_lo_u32 v18, v20, s24
	v_mov_b32_e32 v19, v1
	v_lshlrev_b64 v[18:19], 3, v[18:19]
	v_mov_b32_e32 v3, s19
	v_add_co_u32_e32 v18, vcc, s18, v18
	v_addc_co_u32_e32 v19, vcc, v3, v19, vcc
	global_store_dwordx2 v[18:19], v[6:7], off
	v_mul_lo_u32 v18, v20, s8
	v_mov_b32_e32 v19, v1
	v_lshlrev_b64 v[18:19], 3, v[18:19]
	v_mov_b32_e32 v20, s23
	v_add_co_u32_e32 v18, vcc, s22, v18
	v_mov_b32_e32 v3, v1
	v_addc_co_u32_e32 v19, vcc, v20, v19, vcc
	global_store_dwordx2 v[18:19], v[2:3], off
.LBB42_29:                              ;   in Loop: Header=BB42_21 Depth=1
	s_or_b64 exec, exec, s[14:15]
	v_cmp_le_u32_e32 vcc, s13, v5
	s_cbranch_vccnz .LBB42_20
; %bb.30:                               ;   in Loop: Header=BB42_21 Depth=1
	ds_write_b32 v8, v16
	s_waitcnt lgkmcnt(0)
	s_barrier
	s_and_saveexec_b64 s[14:15], s[4:5]
	s_cbranch_execz .LBB42_32
; %bb.31:                               ;   in Loop: Header=BB42_21 Depth=1
	ds_read2_b32 v[18:19], v9 offset1:1
	ds_read2_b32 v[20:21], v9 offset0:2 offset1:3
	v_cmp_ne_u32_e32 vcc, 0, v12
	; wave barrier
	s_waitcnt lgkmcnt(1)
	v_add_u32_e32 v3, v19, v18
	s_waitcnt lgkmcnt(0)
	v_add3_u32 v3, v3, v20, v21
	s_nop 1
	v_mov_b32_dpp v19, v3 row_shr:1 row_mask:0xf bank_mask:0xf
	v_cndmask_b32_e32 v19, 0, v19, vcc
	v_add_u32_e32 v3, v19, v3
	v_cmp_lt_u32_e32 vcc, 1, v12
	s_nop 0
	v_mov_b32_dpp v19, v3 row_shr:2 row_mask:0xf bank_mask:0xf
	v_cndmask_b32_e32 v19, 0, v19, vcc
	v_add_u32_e32 v3, v3, v19
	v_cmp_lt_u32_e32 vcc, 3, v12
	;; [unrolled: 5-line block ×4, first 2 shown]
	s_nop 0
	v_mov_b32_dpp v19, v3 row_bcast:15 row_mask:0xf bank_mask:0xf
	v_and_b32_e32 v19, v13, v19
	v_add_u32_e32 v3, v3, v19
	s_nop 1
	v_mov_b32_dpp v19, v3 row_bcast:31 row_mask:0xf bank_mask:0xf
	v_cndmask_b32_e32 v19, 0, v19, vcc
	v_cmp_lt_i32_e32 vcc, v14, v15
	v_add_u32_e32 v3, v3, v19
	v_cndmask_b32_e32 v19, v14, v11, vcc
	v_lshlrev_b32_e32 v19, 2, v19
	ds_bpermute_b32 v3, v19, v3
	s_waitcnt lgkmcnt(0)
	v_add_u32_e32 v3, v3, v18
	v_cndmask_b32_e64 v3, v3, v16, s[2:3]
	ds_write_b32 v9, v3
	; wave barrier
	ds_read2_b32 v[18:19], v9 offset0:1 offset1:2
	ds_read_b32 v20, v9 offset:12
	s_waitcnt lgkmcnt(1)
	v_add_u32_e32 v3, v18, v3
	v_add_u32_e32 v18, v19, v3
	ds_write2_b32 v9, v3, v18 offset0:1 offset1:2
	s_waitcnt lgkmcnt(1)
	v_add_u32_e32 v3, v20, v18
	ds_write_b32 v9, v3 offset:12
.LBB42_32:                              ;   in Loop: Header=BB42_21 Depth=1
	s_or_b64 exec, exec, s[14:15]
	v_mov_b32_e32 v3, 0
	s_waitcnt lgkmcnt(0)
	s_barrier
	s_and_saveexec_b64 s[14:15], s[0:1]
	s_cbranch_execz .LBB42_34
; %bb.33:                               ;   in Loop: Header=BB42_21 Depth=1
	ds_read_b32 v3, v10
.LBB42_34:                              ;   in Loop: Header=BB42_21 Depth=1
	s_or_b64 exec, exec, s[14:15]
	ds_read_b32 v18, v1 offset:1048
	v_cmp_ne_u32_e32 vcc, 0, v16
	s_waitcnt lgkmcnt(0)
	s_barrier
	s_and_saveexec_b64 s[14:15], vcc
	s_cbranch_execz .LBB42_19
; %bb.35:                               ;   in Loop: Header=BB42_21 Depth=1
	v_add_u32_e32 v16, v3, v5
	v_cmp_gt_u32_e32 vcc, s13, v16
	s_and_b64 exec, exec, vcc
	s_cbranch_execz .LBB42_19
; %bb.36:                               ;   in Loop: Header=BB42_21 Depth=1
	v_mul_lo_u32 v20, v16, s24
	v_mov_b32_e32 v21, v1
	v_lshlrev_b64 v[20:21], 3, v[20:21]
	v_mov_b32_e32 v3, s19
	v_add_co_u32_e32 v20, vcc, s18, v20
	v_addc_co_u32_e32 v21, vcc, v3, v21, vcc
	global_store_dwordx2 v[20:21], v[6:7], off
	v_mul_lo_u32 v20, v16, s8
	v_mov_b32_e32 v21, v1
	v_lshlrev_b64 v[20:21], 3, v[20:21]
	v_mov_b32_e32 v16, s23
	v_add_co_u32_e32 v20, vcc, s22, v20
	v_mov_b32_e32 v3, v1
	v_addc_co_u32_e32 v21, vcc, v16, v21, vcc
	global_store_dwordx2 v[20:21], v[2:3], off
	s_branch .LBB42_19
.LBB42_37:                              ;   in Loop: Header=BB42_38 Depth=1
	s_add_u32 s16, s16, 4
	s_addc_u32 s17, s17, 0
	s_waitcnt lgkmcnt(0)
	s_add_i32 s36, s15, s36
	s_add_u32 s18, s18, 4
	s_addc_u32 s19, s19, 0
	s_add_i32 s14, s14, 1
	s_cmp_lt_u32 s14, s10
	s_cbranch_scc0 .LBB42_16
.LBB42_38:                              ; =>This Inner Loop Header: Depth=1
	s_load_dword s15, s[16:17], 0x0
	s_cmp_ge_u32 s14, s11
	s_cbranch_scc1 .LBB42_37
; %bb.39:                               ;   in Loop: Header=BB42_38 Depth=1
	s_load_dword s28, s[18:19], 0x0
	s_waitcnt lgkmcnt(0)
	s_add_i32 s27, s15, s27
	s_add_i32 s33, s28, s33
	s_branch .LBB42_37
.LBB42_40:
	s_endpgm
	.section	.rodata,"a",@progbits
	.p2align	6, 0x0
	.amdhsa_kernel _ZN2at6native6mbtopk10gatherTopKIljLi1EEEvNS_4cuda6detail10TensorInfoIKT_T0_EES8_S8_bjS8_NS5_IS6_S8_EES8_NS5_IlS8_EES8_jjPS6_PjSD_j
		.amdhsa_group_segment_fixed_size 1068
		.amdhsa_private_segment_fixed_size 0
		.amdhsa_kernarg_size 984
		.amdhsa_user_sgpr_count 6
		.amdhsa_user_sgpr_private_segment_buffer 1
		.amdhsa_user_sgpr_dispatch_ptr 0
		.amdhsa_user_sgpr_queue_ptr 0
		.amdhsa_user_sgpr_kernarg_segment_ptr 1
		.amdhsa_user_sgpr_dispatch_id 0
		.amdhsa_user_sgpr_flat_scratch_init 0
		.amdhsa_user_sgpr_kernarg_preload_length 0
		.amdhsa_user_sgpr_kernarg_preload_offset 0
		.amdhsa_user_sgpr_private_segment_size 0
		.amdhsa_uses_dynamic_stack 0
		.amdhsa_system_sgpr_private_segment_wavefront_offset 0
		.amdhsa_system_sgpr_workgroup_id_x 1
		.amdhsa_system_sgpr_workgroup_id_y 1
		.amdhsa_system_sgpr_workgroup_id_z 1
		.amdhsa_system_sgpr_workgroup_info 0
		.amdhsa_system_vgpr_workitem_id 0
		.amdhsa_next_free_vgpr 22
		.amdhsa_next_free_sgpr 40
		.amdhsa_accum_offset 24
		.amdhsa_reserve_vcc 1
		.amdhsa_reserve_flat_scratch 0
		.amdhsa_float_round_mode_32 0
		.amdhsa_float_round_mode_16_64 0
		.amdhsa_float_denorm_mode_32 3
		.amdhsa_float_denorm_mode_16_64 3
		.amdhsa_dx10_clamp 1
		.amdhsa_ieee_mode 1
		.amdhsa_fp16_overflow 0
		.amdhsa_tg_split 0
		.amdhsa_exception_fp_ieee_invalid_op 0
		.amdhsa_exception_fp_denorm_src 0
		.amdhsa_exception_fp_ieee_div_zero 0
		.amdhsa_exception_fp_ieee_overflow 0
		.amdhsa_exception_fp_ieee_underflow 0
		.amdhsa_exception_fp_ieee_inexact 0
		.amdhsa_exception_int_div_zero 0
	.end_amdhsa_kernel
	.section	.text._ZN2at6native6mbtopk10gatherTopKIljLi1EEEvNS_4cuda6detail10TensorInfoIKT_T0_EES8_S8_bjS8_NS5_IS6_S8_EES8_NS5_IlS8_EES8_jjPS6_PjSD_j,"axG",@progbits,_ZN2at6native6mbtopk10gatherTopKIljLi1EEEvNS_4cuda6detail10TensorInfoIKT_T0_EES8_S8_bjS8_NS5_IS6_S8_EES8_NS5_IlS8_EES8_jjPS6_PjSD_j,comdat
.Lfunc_end42:
	.size	_ZN2at6native6mbtopk10gatherTopKIljLi1EEEvNS_4cuda6detail10TensorInfoIKT_T0_EES8_S8_bjS8_NS5_IS6_S8_EES8_NS5_IlS8_EES8_jjPS6_PjSD_j, .Lfunc_end42-_ZN2at6native6mbtopk10gatherTopKIljLi1EEEvNS_4cuda6detail10TensorInfoIKT_T0_EES8_S8_bjS8_NS5_IS6_S8_EES8_NS5_IlS8_EES8_jjPS6_PjSD_j
                                        ; -- End function
	.section	.AMDGPU.csdata,"",@progbits
; Kernel info:
; codeLenInByte = 2088
; NumSgprs: 44
; NumVgprs: 22
; NumAgprs: 0
; TotalNumVgprs: 22
; ScratchSize: 0
; MemoryBound: 0
; FloatMode: 240
; IeeeMode: 1
; LDSByteSize: 1068 bytes/workgroup (compile time only)
; SGPRBlocks: 5
; VGPRBlocks: 2
; NumSGPRsForWavesPerEU: 44
; NumVGPRsForWavesPerEU: 22
; AccumOffset: 24
; Occupancy: 8
; WaveLimiterHint : 1
; COMPUTE_PGM_RSRC2:SCRATCH_EN: 0
; COMPUTE_PGM_RSRC2:USER_SGPR: 6
; COMPUTE_PGM_RSRC2:TRAP_HANDLER: 0
; COMPUTE_PGM_RSRC2:TGID_X_EN: 1
; COMPUTE_PGM_RSRC2:TGID_Y_EN: 1
; COMPUTE_PGM_RSRC2:TGID_Z_EN: 1
; COMPUTE_PGM_RSRC2:TIDIG_COMP_CNT: 0
; COMPUTE_PGM_RSRC3_GFX90A:ACCUM_OFFSET: 5
; COMPUTE_PGM_RSRC3_GFX90A:TG_SPLIT: 0
	.section	.text._ZN2at6native6sbtopk10gatherTopKIljLi1ELb0EEEvNS_4cuda6detail10TensorInfoIKT_T0_EES8_S8_bS8_S8_NS5_IS6_S8_EES8_NS5_IlS8_EES8_PS6_,"axG",@progbits,_ZN2at6native6sbtopk10gatherTopKIljLi1ELb0EEEvNS_4cuda6detail10TensorInfoIKT_T0_EES8_S8_bS8_S8_NS5_IS6_S8_EES8_NS5_IlS8_EES8_PS6_,comdat
	.protected	_ZN2at6native6sbtopk10gatherTopKIljLi1ELb0EEEvNS_4cuda6detail10TensorInfoIKT_T0_EES8_S8_bS8_S8_NS5_IS6_S8_EES8_NS5_IlS8_EES8_PS6_ ; -- Begin function _ZN2at6native6sbtopk10gatherTopKIljLi1ELb0EEEvNS_4cuda6detail10TensorInfoIKT_T0_EES8_S8_bS8_S8_NS5_IS6_S8_EES8_NS5_IlS8_EES8_PS6_
	.globl	_ZN2at6native6sbtopk10gatherTopKIljLi1ELb0EEEvNS_4cuda6detail10TensorInfoIKT_T0_EES8_S8_bS8_S8_NS5_IS6_S8_EES8_NS5_IlS8_EES8_PS6_
	.p2align	8
	.type	_ZN2at6native6sbtopk10gatherTopKIljLi1ELb0EEEvNS_4cuda6detail10TensorInfoIKT_T0_EES8_S8_bS8_S8_NS5_IS6_S8_EES8_NS5_IlS8_EES8_PS6_,@function
_ZN2at6native6sbtopk10gatherTopKIljLi1ELb0EEEvNS_4cuda6detail10TensorInfoIKT_T0_EES8_S8_bS8_S8_NS5_IS6_S8_EES8_NS5_IlS8_EES8_PS6_: ; @_ZN2at6native6sbtopk10gatherTopKIljLi1ELb0EEEvNS_4cuda6detail10TensorInfoIKT_T0_EES8_S8_bS8_S8_NS5_IS6_S8_EES8_NS5_IlS8_EES8_PS6_
; %bb.0:
	s_load_dwordx2 s[10:11], s[4:5], 0x2b8
	s_load_dwordx4 s[60:63], s[4:5], 0xd8
	s_add_u32 s2, s4, 0x2b8
	s_addc_u32 s3, s5, 0
	s_waitcnt lgkmcnt(0)
	s_mul_i32 s0, s11, s8
	s_add_i32 s0, s0, s7
	s_mul_i32 s0, s0, s10
	s_add_i32 s14, s0, s6
	s_cmp_ge_u32 s14, s63
	s_cbranch_scc1 .LBB43_414
; %bb.1:
	s_load_dwordx2 s[0:1], s[4:5], 0x1d0
                                        ; implicit-def: $vgpr58 : SGPR spill to VGPR lane
	s_mov_b32 s16, 0
	v_cmp_eq_u32_e64 s[12:13], 0, v0
	s_waitcnt lgkmcnt(0)
	v_writelane_b32 v58, s0, 0
	v_writelane_b32 v58, s1, 1
	s_load_dwordx2 s[0:1], s[4:5], 0xf0
	s_waitcnt lgkmcnt(0)
	v_writelane_b32 v58, s0, 2
	v_writelane_b32 v58, s1, 3
	s_load_dword s11, s[4:5], 0xe8
	s_load_dword s7, s[4:5], 0x6c
	s_load_dwordx2 s[0:1], s[4:5], 0x0
	s_mov_b64 s[8:9], exec
	v_writelane_b32 v58, s12, 4
	v_writelane_b32 v58, s13, 5
	s_and_b64 s[12:13], s[8:9], s[12:13]
	s_mov_b64 exec, s[12:13]
	s_cbranch_execz .LBB43_3
; %bb.2:
	v_mov_b32_e32 v2, 0
	v_mov_b32_e32 v3, s60
	;; [unrolled: 1-line block ×3, first 2 shown]
	ds_write_b96 v2, v[2:4] offset:4096
.LBB43_3:
	s_or_b64 exec, exec, s[8:9]
	s_load_dword s8, s[4:5], 0x23c
	s_waitcnt lgkmcnt(0)
	s_barrier
	v_mbcnt_lo_u32_b32 v1, -1, 0
	v_writelane_b32 v58, s8, 6
	v_writelane_b32 v58, s4, 7
	;; [unrolled: 1-line block ×3, first 2 shown]
	s_load_dword s4, s[4:5], 0x15c
	s_mov_b32 s5, s16
	s_mov_b32 s8, 0
	v_mbcnt_hi_u32_b32 v1, -1, v1
	v_cmp_gt_u32_e32 vcc, 64, v0
	s_waitcnt lgkmcnt(0)
	v_writelane_b32 v58, s4, 9
	s_mul_i32 s4, s7, s14
	s_lshl_b64 s[4:5], s[4:5], 3
	s_add_u32 s33, s0, s4
	v_writelane_b32 v58, s14, 10
	s_addc_u32 s74, s1, s5
	v_writelane_b32 v58, s8, 11
	s_load_dword s0, s[2:3], 0xc
	s_bitcmp1_b32 s62, 0
	v_writelane_b32 v58, s9, 12
	s_cselect_b64 s[4:5], -1, 0
	v_writelane_b32 v58, s4, 13
	v_writelane_b32 v58, s5, 14
	s_xor_b64 s[4:5], s[4:5], -1
	v_writelane_b32 v58, s4, 15
	v_writelane_b32 v58, s5, 16
	s_waitcnt lgkmcnt(0)
	s_and_b32 s75, s0, 0xffff
	s_bfe_u32 s5, s0, 0xa0006
	v_cmp_gt_i32_e64 s[0:1], 4, v1
	s_lshl_b32 s69, s75, 2
	s_and_b64 s[70:71], vcc, s[0:1]
	s_cmpk_gt_u32 s60, 0x180
	s_cselect_b64 s[0:1], -1, 0
	v_writelane_b32 v58, s0, 17
	s_cmp_gt_u32 s75, 63
	v_writelane_b32 v58, s1, 18
	s_cselect_b64 s[0:1], -1, 0
	v_writelane_b32 v58, s0, 19
	v_writelane_b32 v58, s1, 20
	s_add_i32 s0, s75, -1
	s_add_i32 s4, s0, s60
	s_cmp_lt_u32 s6, s10
	v_writelane_b32 v58, s0, 21
	s_cselect_b32 s0, 12, 18
	s_add_u32 s0, s2, s0
	s_addc_u32 s1, s3, 0
	v_writelane_b32 v58, s0, 22
	s_add_i32 s2, s5, -2
	v_writelane_b32 v58, s1, 23
	s_lshr_b32 s0, s2, 1
	s_add_i32 s3, s0, 1
	s_cmpk_gt_u32 s75, 0x7f
	v_mov_b32_e32 v21, 0
	s_cselect_b64 s[0:1], -1, 0
	v_writelane_b32 v58, s0, 24
	v_mul_lo_u32 v22, v0, s11
	v_mov_b32_e32 v23, v21
	v_writelane_b32 v58, s1, 25
	v_cmp_gt_u32_e64 s[6:7], s60, v0
	v_lshlrev_b64 v[2:3], 3, v[22:23]
	v_writelane_b32 v58, s6, 26
	v_mov_b32_e32 v4, s74
	v_add_co_u32_e32 v18, vcc, s33, v2
	v_lshrrev_b32_e32 v2, 4, v0
	v_writelane_b32 v58, s7, 27
	v_addc_co_u32_e32 v19, vcc, v4, v3, vcc
	v_and_b32_e32 v35, 60, v2
	v_cmp_gt_u32_e64 s[6:7], 2, v0
	v_lshlrev_b64 v[2:3], v1, -1
	v_writelane_b32 v58, s6, 28
	v_not_b32_e32 v16, v2
	v_cvt_f32_u32_e32 v2, s69
	v_writelane_b32 v58, s7, 29
	s_and_b32 s6, s5, 0x3fe
	s_and_b32 s7, s3, 7
	s_cmp_gt_u32 s2, 13
	s_cselect_b64 s[8:9], -1, 0
	v_writelane_b32 v58, s8, 30
	v_rcp_iflag_f32_e32 v2, v2
	v_writelane_b32 v58, s9, 31
	s_and_b32 s2, s3, -8
	v_writelane_b32 v58, s2, 32
	s_cmp_lg_u32 s7, 0
	v_writelane_b32 v58, s7, 33
	s_cselect_b64 s[2:3], -1, 0
	v_writelane_b32 v58, s2, 34
	v_mul_f32_e32 v2, 0x4f7ffffe, v2
	v_writelane_b32 v58, s3, 35
	v_cvt_u32_f32_e32 v2, v2
	v_writelane_b32 v58, s5, 36
	s_cmp_lg_u32 s6, s5
	v_writelane_b32 v58, s6, 37
	s_cselect_b64 s[2:3], -1, 0
	v_writelane_b32 v58, s2, 38
	v_writelane_b32 v58, s3, 39
	s_sub_i32 s2, 0, s69
	v_readfirstlane_b32 s3, v2
	v_cvt_f32_u32_e32 v2, s75
	s_mul_i32 s2, s2, s3
	s_mul_hi_u32 s2, s3, s2
	s_add_i32 s2, s3, s2
	v_writelane_b32 v58, s2, 40
	s_mul_hi_u32 s2, s60, s2
	v_rcp_iflag_f32_e32 v5, v2
	s_mul_i32 s2, s2, s69
	s_sub_i32 s2, s60, s2
	s_sub_i32 s3, s2, s69
	s_cmp_ge_u32 s2, s69
	v_mul_f32_e32 v5, 0x4f7ffffe, v5
	s_cselect_b32 s2, s3, s2
	v_cvt_u32_f32_e32 v5, v5
	s_sub_i32 s3, s2, s69
	s_cmp_ge_u32 s2, s69
	s_cselect_b32 s2, s3, s2
	v_lshlrev_b32_e32 v34, 2, v0
	s_sub_i32 s13, s60, s2
	s_sub_i32 s3, 0, s75
	v_readfirstlane_b32 s5, v5
	v_cmp_gt_u32_e64 s[6:7], s13, v34
	s_mul_i32 s3, s3, s5
	v_writelane_b32 v58, s6, 41
	s_mul_hi_u32 s3, s5, s3
	v_writelane_b32 v58, s7, 42
	s_add_i32 s3, s5, s3
	v_writelane_b32 v58, s3, 43
	s_mul_hi_u32 s3, s4, s3
	s_mul_i32 s3, s3, s75
	s_sub_i32 s3, s4, s3
	s_sub_i32 s5, s3, s75
	v_add_u32_e32 v38, s13, v0
	s_cmp_ge_u32 s3, s75
	v_mul_lo_u32 v20, v38, s11
	s_cselect_b32 s3, s5, s3
	v_not_b32_e32 v17, v3
	v_lshlrev_b64 v[2:3], 3, v[20:21]
	s_sub_i32 s5, s3, s75
	v_add_co_u32_e32 v24, vcc, s33, v2
	s_cmp_ge_u32 s3, s75
	v_mul_lo_u32 v2, s11, v34
	s_cselect_b32 s3, s5, s3
	v_add_u32_e32 v39, s11, v2
	v_or_b32_e32 v2, 2, v34
	s_sub_i32 s12, s4, s3
	v_mul_lo_u32 v40, s11, v2
	v_or_b32_e32 v2, 3, v34
	s_add_i32 s3, s75, s60
	v_mov_b32_e32 v6, s74
	v_cmp_gt_u32_e64 s[4:5], s12, v0
	v_mul_lo_u32 v41, s11, v2
	v_add_u32_e32 v2, s3, v0
	v_lshlrev_b32_e32 v36, 3, v0
	v_lshlrev_b32_e32 v4, 2, v1
	v_addc_co_u32_e32 v25, vcc, v6, v3, vcc
	v_writelane_b32 v58, s4, 44
	s_mul_i32 s68, s11, s75
	v_subrev_u32_e32 v2, s2, v2
	v_pk_mov_b32 v[6:7], 0, 0
	v_cmp_eq_u32_e64 s[0:1], 0, v1
	v_add_u32_e32 v37, 0xc00, v36
	v_and_b32_e32 v23, 0x100, v4
	v_cmp_gt_u32_e64 s[14:15], s60, v38
	v_writelane_b32 v58, s5, 45
	s_lshl_b32 s6, s68, 2
	v_lshlrev_b32_e32 v42, 2, v22
	v_mul_lo_u32 v43, s11, v2
	v_lshlrev_b32_e32 v44, 5, v0
	s_lshl_b32 s7, s75, 5
	s_lshl_b32 s4, s75, 3
	v_or_b32_e32 v45, 0xc00, v4
	s_mov_b32 s5, 62
	s_mov_b64 s[86:87], 0
	v_mov_b32_e32 v47, s61
	v_mov_b32_e32 v2, 1
	;; [unrolled: 1-line block ×3, first 2 shown]
	v_pk_mov_b32 v[28:29], v[6:7], v[6:7] op_sel:[0,1]
	v_pk_mov_b32 v[26:27], v[6:7], v[6:7] op_sel:[0,1]
	s_mov_b32 s10, 0
	v_writelane_b32 v58, s11, 46
                                        ; implicit-def: $sgpr88_sgpr89
                                        ; implicit-def: $sgpr90_sgpr91
                                        ; implicit-def: $sgpr94_sgpr95
                                        ; implicit-def: $sgpr64_sgpr65
                                        ; implicit-def: $sgpr92_sgpr93
                                        ; implicit-def: $sgpr66_sgpr67
                                        ; implicit-def: $sgpr2_sgpr3
                                        ; implicit-def: $sgpr80_sgpr81
                                        ; implicit-def: $sgpr82_sgpr83
                                        ; implicit-def: $sgpr84_sgpr85
	s_branch .LBB43_6
.LBB43_4:                               ;   in Loop: Header=BB43_6 Depth=1
	s_or_b64 exec, exec, s[20:21]
	s_andn2_b64 s[20:21], s[84:85], exec
	s_and_b64 s[18:19], s[18:19], exec
	s_or_b64 s[84:85], s[20:21], s[18:19]
	s_andn2_b64 s[82:83], s[82:83], exec
	s_andn2_b64 s[80:81], s[80:81], exec
	;; [unrolled: 1-line block ×4, first 2 shown]
	s_orn2_b64 s[16:17], s[16:17], exec
	v_pk_mov_b32 v[26:27], v[14:15], v[14:15] op_sel:[0,1]
	s_waitcnt vmcnt(0)
	v_pk_mov_b32 v[28:29], v[12:13], v[12:13] op_sel:[0,1]
	v_mov_b32_e32 v47, v30
	v_pk_mov_b32 v[6:7], v[10:11], v[10:11] op_sel:[0,1]
.LBB43_5:                               ;   in Loop: Header=BB43_6 Depth=1
	s_or_b64 exec, exec, s[8:9]
	s_and_b64 s[8:9], exec, s[16:17]
	s_or_b64 s[86:87], s[8:9], s[86:87]
	s_andn2_b64 s[8:9], s[92:93], exec
	s_and_b64 s[16:17], s[84:85], exec
	s_or_b64 s[92:93], s[8:9], s[16:17]
	s_andn2_b64 s[8:9], s[64:65], exec
	s_and_b64 s[16:17], s[82:83], exec
	;; [unrolled: 3-line block ×5, first 2 shown]
	s_or_b64 s[88:89], s[8:9], s[16:17]
	s_andn2_b64 exec, exec, s[86:87]
	s_cbranch_execz .LBB43_410
.LBB43_6:                               ; =>This Loop Header: Depth=1
                                        ;     Child Loop BB43_14 Depth 2
                                        ;     Child Loop BB43_32 Depth 2
	;; [unrolled: 1-line block ×25, first 2 shown]
	s_waitcnt vmcnt(0)
	ds_read_b64 v[4:5], v21 offset:4096
	s_waitcnt lgkmcnt(0)
	v_readfirstlane_b32 s11, v4
	s_cmp_lg_u32 s11, 0
	s_cbranch_scc1 .LBB43_39
; %bb.7:                                ;   in Loop: Header=BB43_6 Depth=1
	v_readlane_b32 s8, v58, 17
	v_readlane_b32 s9, v58, 18
	s_and_b64 vcc, exec, s[8:9]
	s_cbranch_vccz .LBB43_22
; %bb.8:                                ;   in Loop: Header=BB43_6 Depth=1
	s_movk_i32 s8, 0x181
	v_cmp_gt_u32_e32 vcc, s8, v5
	s_mov_b64 s[16:17], 0
	s_mov_b64 s[8:9], 0
	s_cbranch_vccz .LBB43_23
; %bb.9:                                ;   in Loop: Header=BB43_6 Depth=1
	v_pk_mov_b32 v[4:5], 0, 0
	s_mov_b64 s[8:9], exec
	v_readlane_b32 s18, v58, 26
	v_readlane_b32 s19, v58, 27
	s_and_b64 s[18:19], s[8:9], s[18:19]
	s_mov_b64 exec, s[18:19]
	s_cbranch_execz .LBB43_11
; %bb.10:                               ;   in Loop: Header=BB43_6 Depth=1
	global_load_dwordx2 v[4:5], v[18:19], off
.LBB43_11:                              ;   in Loop: Header=BB43_6 Depth=1
	s_or_b64 exec, exec, s[8:9]
	s_mov_b64 s[22:23], exec
	v_readlane_b32 s8, v58, 26
	v_readlane_b32 s9, v58, 27
	s_and_b64 s[8:9], s[22:23], s[8:9]
	s_mov_b64 exec, s[8:9]
	s_cbranch_execz .LBB43_24
; %bb.12:                               ;   in Loop: Header=BB43_6 Depth=1
	v_readlane_b32 s8, v58, 22
	v_readlane_b32 s9, v58, 23
	s_mov_b64 s[24:25], 0
	v_mov_b32_e32 v11, v0
	s_nop 2
	global_load_ushort v3, v21, s[8:9]
	v_readlane_b32 s8, v58, 46
	s_waitcnt vmcnt(0)
	v_add_u32_e32 v8, v0, v3
	v_mul_lo_u32 v10, s8, v3
	v_mul_lo_u32 v20, s8, v8
	s_branch .LBB43_14
.LBB43_13:                              ;   in Loop: Header=BB43_14 Depth=2
	s_or_b64 exec, exec, s[8:9]
	v_add_u32_e32 v20, v20, v10
	s_waitcnt vmcnt(0)
	v_pk_mov_b32 v[4:5], v[8:9], v[8:9] op_sel:[0,1]
	s_andn2_b64 exec, exec, s[24:25]
	s_cbranch_execz .LBB43_24
.LBB43_14:                              ;   Parent Loop BB43_6 Depth=1
                                        ; =>  This Inner Loop Header: Depth=2
	v_add_u32_e32 v11, v11, v3
	v_cmp_gt_u32_e64 s[18:19], s60, v11
	v_cmp_le_u32_e32 vcc, s60, v11
	v_pk_mov_b32 v[8:9], 0, 0
	s_and_saveexec_b64 s[8:9], s[18:19]
	s_cbranch_execz .LBB43_16
; %bb.15:                               ;   in Loop: Header=BB43_14 Depth=2
	v_lshlrev_b64 v[8:9], 3, v[20:21]
	s_waitcnt lgkmcnt(0)
	v_mov_b32_e32 v12, s74
	v_add_co_u32_e64 v8, s[18:19], s33, v8
	v_addc_co_u32_e64 v9, s[18:19], v12, v9, s[18:19]
	global_load_dwordx2 v[8:9], v[8:9], off
.LBB43_16:                              ;   in Loop: Header=BB43_14 Depth=2
	s_or_b64 exec, exec, s[8:9]
	s_waitcnt lgkmcnt(0)
	v_xor_b32_e32 v12, 0x80000000, v5
	v_and_b32_e32 v13, v12, v27
	v_and_b32_e32 v12, v4, v26
	v_cmp_eq_u64_e64 s[18:19], v[12:13], v[28:29]
	s_cmp_lg_u64 s[18:19], 0
	s_cselect_b64 s[8:9], -1, 0
	s_and_b64 s[20:21], s[0:1], s[8:9]
	v_mov_b32_e32 v12, 0
	s_and_saveexec_b64 s[8:9], s[20:21]
	s_cbranch_execz .LBB43_20
; %bb.17:                               ;   in Loop: Header=BB43_14 Depth=2
	s_mov_b64 s[28:29], exec
	v_mbcnt_lo_u32_b32 v12, s28, 0
	v_mbcnt_hi_u32_b32 v12, s29, v12
	s_bcnt1_i32_b64 s11, s[18:19]
	v_cmp_eq_u32_e64 s[20:21], 0, v12
                                        ; implicit-def: $vgpr13
	s_and_saveexec_b64 s[26:27], s[20:21]
	s_cbranch_execz .LBB43_19
; %bb.18:                               ;   in Loop: Header=BB43_14 Depth=2
	s_bcnt1_i32_b64 s20, s[28:29]
	s_mul_i32 s20, s11, s20
	v_mov_b32_e32 v13, s20
	ds_add_rtn_u32 v13, v21, v13 offset:4104
.LBB43_19:                              ;   in Loop: Header=BB43_14 Depth=2
	s_or_b64 exec, exec, s[26:27]
	s_waitcnt lgkmcnt(0)
	v_readfirstlane_b32 s20, v13
	v_mov_b32_e32 v13, s20
	v_mad_u32_u24 v12, s11, v12, v13
.LBB43_20:                              ;   in Loop: Header=BB43_14 Depth=2
	s_or_b64 exec, exec, s[8:9]
	ds_bpermute_b32 v12, v23, v12
	s_and_b64 s[8:9], exec, vcc
	s_or_b64 s[24:25], s[8:9], s[24:25]
	s_and_saveexec_b64 s[8:9], s[18:19]
	s_cbranch_execz .LBB43_13
; %bb.21:                               ;   in Loop: Header=BB43_14 Depth=2
	v_and_b32_e32 v14, s18, v16
	v_and_b32_e32 v13, s19, v17
	v_bcnt_u32_b32 v14, v14, 0
	v_bcnt_u32_b32 v13, v13, v14
	v_lshlrev_b32_e32 v13, 3, v13
	s_waitcnt lgkmcnt(0)
	v_lshl_add_u32 v12, v12, 3, v13
	ds_write_b64 v12, v[4:5]
	s_branch .LBB43_13
.LBB43_22:                              ;   in Loop: Header=BB43_6 Depth=1
	s_mov_b64 s[8:9], 0
                                        ; implicit-def: $sgpr11
	s_cbranch_execnz .LBB43_27
	s_branch .LBB43_37
.LBB43_23:                              ;   in Loop: Header=BB43_6 Depth=1
	s_mov_b32 s11, 0
	s_and_b64 vcc, exec, s[16:17]
	s_cbranch_vccnz .LBB43_27
	s_branch .LBB43_37
.LBB43_24:                              ;   in Loop: Header=BB43_6 Depth=1
	s_or_b64 exec, exec, s[22:23]
	s_waitcnt lgkmcnt(0)
	s_barrier
	s_mov_b64 s[8:9], exec
	v_readlane_b32 s18, v58, 4
	v_readlane_b32 s19, v58, 5
	s_and_b64 s[18:19], s[8:9], s[18:19]
	s_mov_b64 exec, s[18:19]
	s_cbranch_execz .LBB43_26
; %bb.25:                               ;   in Loop: Header=BB43_6 Depth=1
	ds_read_b32 v3, v21 offset:4104
	s_waitcnt lgkmcnt(0)
	ds_write_b32 v21, v3 offset:4096
.LBB43_26:                              ;   in Loop: Header=BB43_6 Depth=1
	s_or_b64 exec, exec, s[8:9]
	s_waitcnt lgkmcnt(0)
	s_barrier
	s_mov_b64 s[8:9], -1
	s_mov_b32 s11, 0
	s_and_b64 vcc, exec, s[16:17]
	s_cbranch_vccz .LBB43_37
.LBB43_27:                              ;   in Loop: Header=BB43_6 Depth=1
	s_waitcnt vmcnt(0)
	v_pk_mov_b32 v[4:5], 0, 0
	s_mov_b64 s[8:9], exec
	v_readlane_b32 s16, v58, 26
	v_readlane_b32 s17, v58, 27
	s_and_b64 s[16:17], s[8:9], s[16:17]
	s_mov_b64 exec, s[16:17]
	s_cbranch_execz .LBB43_29
; %bb.28:                               ;   in Loop: Header=BB43_6 Depth=1
	global_load_dwordx2 v[4:5], v[18:19], off
.LBB43_29:                              ;   in Loop: Header=BB43_6 Depth=1
	s_or_b64 exec, exec, s[8:9]
	s_mov_b64 s[8:9], exec
	v_readlane_b32 s16, v58, 26
	v_readlane_b32 s17, v58, 27
	s_and_b64 s[16:17], s[8:9], s[16:17]
	s_mov_b64 exec, s[16:17]
	s_cbranch_execz .LBB43_34
; %bb.30:                               ;   in Loop: Header=BB43_6 Depth=1
	v_readlane_b32 s16, v58, 22
	v_readlane_b32 s17, v58, 23
	;; [unrolled: 1-line block ×3, first 2 shown]
	v_mov_b32_e32 v10, v36
	v_mov_b32_e32 v13, v0
	s_nop 1
	global_load_ushort v3, v21, s[16:17]
	s_mov_b64 s[16:17], 0
	s_waitcnt vmcnt(0)
	v_add_u32_e32 v8, v0, v3
	v_lshlrev_b32_e32 v11, 3, v3
	v_mul_lo_u32 v12, s11, v3
	v_mul_lo_u32 v20, s11, v8
	s_branch .LBB43_32
.LBB43_31:                              ;   in Loop: Header=BB43_32 Depth=2
	s_or_b64 exec, exec, s[20:21]
	s_and_b64 s[18:19], exec, vcc
	s_or_b64 s[16:17], s[18:19], s[16:17]
	ds_write_b64 v10, v[4:5]
	v_add_u32_e32 v10, v10, v11
	v_add_u32_e32 v20, v20, v12
	s_waitcnt vmcnt(0)
	v_pk_mov_b32 v[4:5], v[8:9], v[8:9] op_sel:[0,1]
	s_andn2_b64 exec, exec, s[16:17]
	s_cbranch_execz .LBB43_34
.LBB43_32:                              ;   Parent Loop BB43_6 Depth=1
                                        ; =>  This Inner Loop Header: Depth=2
	v_add_u32_e32 v13, v13, v3
	v_cmp_gt_u32_e64 s[18:19], s60, v13
	v_cmp_le_u32_e32 vcc, s60, v13
	v_pk_mov_b32 v[8:9], 0, 0
	s_and_saveexec_b64 s[20:21], s[18:19]
	s_cbranch_execz .LBB43_31
; %bb.33:                               ;   in Loop: Header=BB43_32 Depth=2
	v_lshlrev_b64 v[8:9], 3, v[20:21]
	v_mov_b32_e32 v14, s74
	v_add_co_u32_e64 v8, s[18:19], s33, v8
	v_addc_co_u32_e64 v9, s[18:19], v14, v9, s[18:19]
	global_load_dwordx2 v[8:9], v[8:9], off
	s_branch .LBB43_31
.LBB43_34:                              ;   in Loop: Header=BB43_6 Depth=1
	s_or_b64 exec, exec, s[8:9]
	s_waitcnt lgkmcnt(0)
	s_barrier
	s_mov_b64 s[8:9], exec
	v_readlane_b32 s16, v58, 4
	v_readlane_b32 s17, v58, 5
	s_and_b64 s[16:17], s[8:9], s[16:17]
	s_mov_b64 exec, s[16:17]
	s_cbranch_execz .LBB43_36
; %bb.35:                               ;   in Loop: Header=BB43_6 Depth=1
	v_mov_b32_e32 v3, s60
	ds_write_b32 v21, v3 offset:4096
.LBB43_36:                              ;   in Loop: Header=BB43_6 Depth=1
	s_or_b64 exec, exec, s[8:9]
	s_mov_b64 s[8:9], -1
	s_waitcnt lgkmcnt(0)
	s_barrier
                                        ; implicit-def: $sgpr11
.LBB43_37:                              ;   in Loop: Header=BB43_6 Depth=1
	s_and_b64 vcc, exec, s[8:9]
	s_cbranch_vccz .LBB43_39
; %bb.38:                               ;   in Loop: Header=BB43_6 Depth=1
	ds_read_b32 v3, v21 offset:4096
	s_waitcnt lgkmcnt(0)
	v_readfirstlane_b32 s11, v3
.LBB43_39:                              ;   in Loop: Header=BB43_6 Depth=1
	s_cmp_lt_i32 s11, 1
	s_cbranch_scc0 .LBB43_51
; %bb.40:                               ;   in Loop: Header=BB43_6 Depth=1
	v_mov_b32_e32 v8, 0
	s_mov_b32 s8, 0
	v_mov_b32_e32 v9, 0
	v_mov_b32_e32 v10, v8
	v_mov_b32_e32 v11, 0
	s_mov_b64 s[48:49], exec
	v_readlane_b32 s16, v58, 41
	v_readlane_b32 s17, v58, 42
	s_and_b64 s[16:17], s[48:49], s[16:17]
	s_mov_b64 exec, s[16:17]
	s_cbranch_execz .LBB43_44
; %bb.41:                               ;   in Loop: Header=BB43_6 Depth=1
	s_and_b32 s9, s5, 0xfe
	s_mov_b64 s[50:51], 0
	s_mov_b32 s16, 0
	s_mov_b32 s17, 0
	;; [unrolled: 1-line block ×4, first 2 shown]
	v_mov_b32_e32 v3, v34
.LBB43_42:                              ;   Parent Loop BB43_6 Depth=1
                                        ; =>  This Inner Loop Header: Depth=2
	v_add_u32_e32 v20, s8, v42
	v_lshlrev_b64 v[12:13], 3, v[20:21]
	s_waitcnt vmcnt(0)
	v_mov_b32_e32 v4, s74
	v_add_u32_e32 v20, s8, v39
	v_add_co_u32_e64 v12, s[18:19], s33, v12
	v_lshlrev_b64 v[14:15], 3, v[20:21]
	v_addc_co_u32_e64 v13, s[18:19], v4, v13, s[18:19]
	v_add_u32_e32 v20, s8, v40
	v_add_co_u32_e64 v14, s[18:19], s33, v14
	v_lshlrev_b64 v[30:31], 3, v[20:21]
	v_addc_co_u32_e64 v15, s[18:19], v4, v15, s[18:19]
	global_load_dwordx2 v[12:13], v[12:13], off
	v_add_u32_e32 v20, s8, v41
	global_load_dwordx2 v[14:15], v[14:15], off
	v_add_co_u32_e64 v30, s[18:19], s33, v30
	v_lshlrev_b64 v[32:33], 3, v[20:21]
	v_addc_co_u32_e64 v31, s[18:19], v4, v31, s[18:19]
	global_load_dwordx2 v[30:31], v[30:31], off
	v_add_co_u32_e64 v32, s[18:19], s33, v32
	v_addc_co_u32_e64 v33, s[18:19], v4, v33, s[18:19]
	global_load_dwordx2 v[32:33], v[32:33], off
	v_mov_b32_e32 v11, v21
	v_mov_b32_e32 v9, v21
	;; [unrolled: 1-line block ×3, first 2 shown]
	v_add_u32_e32 v3, s69, v3
	v_cmp_le_u32_e32 vcc, s13, v3
	s_add_i32 s8, s8, s6
	s_waitcnt vmcnt(3)
	v_xor_b32_e32 v13, 0x80000000, v13
	v_and_b32_e32 v48, v12, v26
	v_and_b32_e32 v49, v13, v27
	v_lshrrev_b64 v[12:13], s9, v[12:13]
	s_waitcnt vmcnt(2)
	v_xor_b32_e32 v15, 0x80000000, v15
	v_and_b32_e32 v20, 3, v12
	v_cmp_eq_u64_e64 s[18:19], v[48:49], v[28:29]
	v_lshrrev_b64 v[12:13], s9, v[14:15]
	v_cmp_eq_u64_e64 s[22:23], 0, v[20:21]
	s_waitcnt vmcnt(1)
	v_xor_b32_e32 v31, 0x80000000, v31
	v_and_b32_e32 v10, 3, v12
	v_cmp_eq_u64_e64 s[24:25], 1, v[20:21]
	s_and_b64 s[22:23], s[18:19], s[22:23]
	v_and_b32_e32 v50, v14, v26
	v_and_b32_e32 v51, v15, v27
	s_waitcnt vmcnt(0)
	v_xor_b32_e32 v33, 0x80000000, v33
	v_lshrrev_b64 v[12:13], s9, v[30:31]
	v_cmp_eq_u64_e64 s[26:27], 2, v[20:21]
	v_cmp_eq_u64_e64 s[34:35], 0, v[10:11]
	v_cmp_eq_u64_e64 s[36:37], 1, v[10:11]
	v_cmp_eq_u64_e64 s[38:39], 2, v[10:11]
	v_cmp_eq_u64_e64 s[40:41], 3, v[10:11]
	v_cndmask_b32_e64 v10, 0, 1, s[22:23]
	s_and_b64 s[22:23], s[18:19], s[24:25]
	v_and_b32_e32 v48, v30, v26
	v_cmp_eq_u64_e64 s[20:21], v[50:51], v[28:29]
	v_and_b32_e32 v49, v31, v27
	v_cmp_eq_u64_e64 s[28:29], 3, v[20:21]
	v_and_b32_e32 v8, 3, v12
	v_lshrrev_b64 v[12:13], s9, v[32:33]
	v_cndmask_b32_e64 v11, 0, 1, s[22:23]
	s_and_b64 s[22:23], s[18:19], s[26:27]
	v_cmp_eq_u64_e64 s[30:31], v[48:49], v[28:29]
	v_cndmask_b32_e64 v13, 0, 1, s[22:23]
	s_and_b64 s[18:19], s[18:19], s[28:29]
	v_cmp_eq_u64_e64 s[22:23], 0, v[8:9]
	v_cmp_eq_u64_e64 s[24:25], 1, v[8:9]
	s_and_b64 s[36:37], s[20:21], s[36:37]
	s_and_b64 s[38:39], s[20:21], s[38:39]
	v_and_b32_e32 v14, v32, v26
	v_and_b32_e32 v15, v33, v27
	v_cndmask_b32_e64 v20, 0, 1, s[18:19]
	v_and_b32_e32 v4, 3, v12
	v_cmp_eq_u64_e64 s[26:27], 2, v[8:9]
	v_cmp_eq_u64_e64 s[28:29], 3, v[8:9]
	v_cmp_ne_u32_e64 s[42:43], 0, v10
	s_and_b64 s[34:35], s[20:21], s[34:35]
	v_cndmask_b32_e64 v9, 0, 1, s[36:37]
	v_cndmask_b32_e64 v10, 0, 1, s[38:39]
	s_and_b64 s[20:21], s[20:21], s[40:41]
	s_and_b64 s[22:23], s[30:31], s[22:23]
	;; [unrolled: 1-line block ×3, first 2 shown]
	v_cmp_eq_u64_e64 s[18:19], v[14:15], v[28:29]
	v_cndmask_b32_e64 v8, 0, 1, s[34:35]
	v_cmp_ne_u32_e64 s[34:35], 0, v11
	v_cmp_ne_u32_e64 s[36:37], 0, v13
	;; [unrolled: 1-line block ×3, first 2 shown]
	v_cndmask_b32_e64 v11, 0, 1, s[20:21]
	v_cmp_eq_u64_e64 s[20:21], 0, v[4:5]
	v_cmp_eq_u64_e64 s[40:41], 1, v[4:5]
	;; [unrolled: 1-line block ×4, first 2 shown]
	v_cndmask_b32_e64 v4, 0, 1, s[22:23]
	v_cmp_ne_u32_e64 s[22:23], 0, v9
	v_cndmask_b32_e64 v5, 0, 1, s[24:25]
	v_cmp_ne_u32_e64 s[24:25], 0, v10
	s_and_b64 s[26:27], s[30:31], s[26:27]
	s_and_b64 s[28:29], s[30:31], s[28:29]
	s_bcnt1_i32_b64 s54, s[42:43]
	v_cmp_ne_u32_e64 s[42:43], 0, v8
	s_bcnt1_i32_b64 s34, s[34:35]
	s_bcnt1_i32_b64 s35, s[36:37]
	v_cndmask_b32_e64 v8, 0, 1, s[26:27]
	s_bcnt1_i32_b64 s36, s[38:39]
	v_cmp_ne_u32_e64 s[26:27], 0, v11
	v_cndmask_b32_e64 v9, 0, 1, s[28:29]
	s_and_b64 s[20:21], s[18:19], s[20:21]
	s_bcnt1_i32_b64 s37, s[22:23]
	s_and_b64 s[22:23], s[18:19], s[40:41]
	s_bcnt1_i32_b64 s38, s[24:25]
	s_and_b64 s[24:25], s[18:19], s[44:45]
	s_and_b64 s[18:19], s[18:19], s[46:47]
	s_bcnt1_i32_b64 s30, s[42:43]
	v_cmp_ne_u32_e64 s[28:29], 0, v4
	v_cndmask_b32_e64 v4, 0, 1, s[20:21]
	s_add_i32 s31, s53, s54
	v_cmp_ne_u32_e64 s[20:21], 0, v5
	v_cndmask_b32_e64 v5, 0, 1, s[22:23]
	s_add_i32 s34, s52, s34
	;; [unrolled: 3-line block ×3, first 2 shown]
	s_bcnt1_i32_b64 s26, s[26:27]
	v_cmp_ne_u32_e64 s[24:25], 0, v9
	v_cndmask_b32_e64 v9, 0, 1, s[18:19]
	s_add_i32 s16, s16, s36
	s_bcnt1_i32_b64 s27, s[28:29]
	v_cmp_ne_u32_e64 s[18:19], 0, v4
	s_add_i32 s28, s31, s30
	s_bcnt1_i32_b64 s29, s[20:21]
	v_cmp_ne_u32_e64 s[20:21], 0, v5
	;; [unrolled: 3-line block ×4, first 2 shown]
	s_add_i32 s16, s16, s26
	s_bcnt1_i32_b64 s18, s[18:19]
	s_add_i32 s19, s28, s27
	s_bcnt1_i32_b64 s20, s[20:21]
	s_add_i32 s21, s30, s29
	s_bcnt1_i32_b64 s22, s[22:23]
	s_add_i32 s17, s17, s31
	s_bcnt1_i32_b64 s23, s[24:25]
	s_add_i32 s16, s16, s34
	s_add_i32 s53, s19, s18
	;; [unrolled: 1-line block ×5, first 2 shown]
	s_or_b64 s[50:51], vcc, s[50:51]
	v_mov_b32_e32 v8, s53
	v_mov_b32_e32 v9, s52
	;; [unrolled: 1-line block ×4, first 2 shown]
	s_andn2_b64 exec, exec, s[50:51]
	s_cbranch_execnz .LBB43_42
; %bb.43:                               ;   in Loop: Header=BB43_6 Depth=1
	s_or_b64 exec, exec, s[50:51]
.LBB43_44:                              ;   in Loop: Header=BB43_6 Depth=1
	s_or_b64 exec, exec, s[48:49]
	v_pk_mov_b32 v[12:13], 0, 0
	s_and_saveexec_b64 s[8:9], s[14:15]
	s_cbranch_execz .LBB43_46
; %bb.45:                               ;   in Loop: Header=BB43_6 Depth=1
	global_load_dwordx2 v[12:13], v[24:25], off
.LBB43_46:                              ;   in Loop: Header=BB43_6 Depth=1
	s_or_b64 exec, exec, s[8:9]
	s_mov_b64 s[16:17], 0
	s_mov_b64 s[76:77], 0
	s_and_saveexec_b64 s[20:21], s[14:15]
	s_cbranch_execz .LBB43_53
; %bb.47:                               ;   in Loop: Header=BB43_6 Depth=1
	s_and_b32 s24, s5, 0xfe
	s_mov_b64 s[8:9], 0
	s_waitcnt vmcnt(0)
	v_mov_b32_e32 v4, v43
	v_mov_b32_e32 v3, v38
	s_branch .LBB43_49
.LBB43_48:                              ;   in Loop: Header=BB43_49 Depth=2
	s_or_b64 exec, exec, s[22:23]
	v_xor_b32_e32 v13, 0x80000000, v13
	v_and_b32_e32 v31, v13, v27
	v_and_b32_e32 v30, v12, v26
	v_lshrrev_b64 v[12:13], s24, v[12:13]
	s_and_b64 s[18:19], exec, vcc
	v_and_b32_e32 v20, 3, v12
	s_or_b64 s[8:9], s[18:19], s[8:9]
	v_cmp_eq_u64_e32 vcc, v[30:31], v[28:29]
	v_cmp_eq_u64_e64 s[18:19], 0, v[20:21]
	s_and_b64 s[18:19], vcc, s[18:19]
	v_cndmask_b32_e64 v5, 0, 1, s[18:19]
	v_cmp_ne_u32_e64 s[18:19], 0, v5
	s_bcnt1_i32_b64 s18, s[18:19]
	v_add_u32_e32 v8, s18, v8
	v_cmp_eq_u64_e64 s[18:19], 1, v[20:21]
	s_and_b64 s[18:19], vcc, s[18:19]
	v_cndmask_b32_e64 v5, 0, 1, s[18:19]
	v_cmp_ne_u32_e64 s[18:19], 0, v5
	s_bcnt1_i32_b64 s18, s[18:19]
	v_add_u32_e32 v9, s18, v9
	;; [unrolled: 6-line block ×3, first 2 shown]
	v_cmp_eq_u64_e64 s[18:19], 3, v[20:21]
	s_and_b64 s[18:19], vcc, s[18:19]
	v_cndmask_b32_e64 v5, 0, 1, s[18:19]
	v_cmp_ne_u32_e32 vcc, 0, v5
	s_bcnt1_i32_b64 s18, vcc
	v_add_u32_e32 v11, s18, v11
	v_add_u32_e32 v4, s68, v4
	s_waitcnt vmcnt(0)
	v_pk_mov_b32 v[12:13], v[14:15], v[14:15] op_sel:[0,1]
	s_andn2_b64 exec, exec, s[8:9]
	s_cbranch_execz .LBB43_52
.LBB43_49:                              ;   Parent Loop BB43_6 Depth=1
                                        ; =>  This Inner Loop Header: Depth=2
	v_add_u32_e32 v3, s75, v3
	v_cmp_gt_u32_e64 s[18:19], s60, v3
	v_cmp_le_u32_e32 vcc, s60, v3
	v_pk_mov_b32 v[14:15], 0, 0
	s_and_saveexec_b64 s[22:23], s[18:19]
	s_cbranch_execz .LBB43_48
; %bb.50:                               ;   in Loop: Header=BB43_49 Depth=2
	v_mov_b32_e32 v5, v21
	v_lshlrev_b64 v[14:15], 3, v[4:5]
	v_mov_b32_e32 v5, s74
	v_add_co_u32_e64 v14, s[18:19], s33, v14
	v_addc_co_u32_e64 v15, s[18:19], v5, v15, s[18:19]
	global_load_dwordx2 v[14:15], v[14:15], off
	s_branch .LBB43_48
.LBB43_51:                              ;   in Loop: Header=BB43_6 Depth=1
	s_mov_b64 s[76:77], 0
                                        ; implicit-def: $vgpr11
	s_cbranch_execnz .LBB43_54
	s_branch .LBB43_63
.LBB43_52:                              ;   in Loop: Header=BB43_6 Depth=1
	s_or_b64 exec, exec, s[8:9]
	s_mov_b64 s[76:77], exec
.LBB43_53:                              ;   in Loop: Header=BB43_6 Depth=1
	s_or_b64 exec, exec, s[20:21]
	s_and_b64 vcc, exec, s[16:17]
	s_cbranch_vccz .LBB43_63
.LBB43_54:                              ;   in Loop: Header=BB43_6 Depth=1
	v_readlane_b32 s8, v58, 40
	s_mul_hi_u32 s8, s11, s8
	s_mul_i32 s8, s8, s69
	s_sub_i32 s8, s11, s8
	s_sub_i32 s9, s8, s69
	s_cmp_ge_u32 s8, s69
	s_cselect_b32 s8, s9, s8
	s_sub_i32 s9, s8, s69
	s_cmp_ge_u32 s8, s69
	s_cselect_b32 s8, s9, s8
	s_sub_i32 s8, s11, s8
	v_cmp_gt_u32_e32 vcc, s8, v34
	s_mov_b32 s9, 0
	v_mov_b32_e32 v8, 0
	v_mov_b32_e32 v9, 0
	;; [unrolled: 1-line block ×4, first 2 shown]
	s_and_saveexec_b64 s[78:79], vcc
	s_cbranch_execz .LBB43_58
; %bb.55:                               ;   in Loop: Header=BB43_6 Depth=1
	s_and_b32 s62, s5, 0xfe
	s_mov_b64 s[16:17], 0
	v_mov_b32_e32 v3, v44
	s_mov_b32 s63, 0
	s_mov_b32 s72, 0
	;; [unrolled: 1-line block ×3, first 2 shown]
	v_mov_b32_e32 v48, v34
.LBB43_56:                              ;   Parent Loop BB43_6 Depth=1
                                        ; =>  This Inner Loop Header: Depth=2
	s_waitcnt vmcnt(0)
	ds_read_b128 v[12:15], v3
	ds_read_b128 v[8:11], v3 offset:16
	v_mov_b32_e32 v5, v21
	v_mov_b32_e32 v31, v21
	;; [unrolled: 1-line block ×3, first 2 shown]
	s_waitcnt lgkmcnt(1)
	v_xor_b32_e32 v13, 0x80000000, v13
	v_xor_b32_e32 v15, 0x80000000, v15
	v_and_b32_e32 v50, v12, v26
	v_and_b32_e32 v51, v13, v27
	v_lshrrev_b64 v[12:13], s62, v[12:13]
	s_waitcnt lgkmcnt(0)
	v_xor_b32_e32 v9, 0x80000000, v9
	v_and_b32_e32 v52, v14, v26
	v_and_b32_e32 v53, v15, v27
	v_lshrrev_b64 v[14:15], s62, v[14:15]
	v_and_b32_e32 v20, 3, v12
	v_xor_b32_e32 v11, 0x80000000, v11
	v_and_b32_e32 v54, v8, v26
	v_and_b32_e32 v55, v9, v27
	v_lshrrev_b64 v[8:9], s62, v[8:9]
	v_cmp_eq_u64_e64 s[18:19], v[50:51], v[28:29]
	v_and_b32_e32 v4, 3, v14
	v_cmp_eq_u64_e64 s[26:27], 0, v[20:21]
	v_and_b32_e32 v56, v10, v26
	v_and_b32_e32 v57, v11, v27
	v_lshrrev_b64 v[10:11], s62, v[10:11]
	v_cmp_eq_u64_e64 s[20:21], v[52:53], v[28:29]
	v_and_b32_e32 v30, 3, v8
	v_cmp_eq_u64_e64 s[28:29], 0, v[4:5]
	s_and_b64 s[26:27], s[18:19], s[26:27]
	v_cmp_eq_u64_e64 s[22:23], v[54:55], v[28:29]
	v_and_b32_e32 v32, 3, v10
	v_cmp_eq_u64_e64 s[30:31], 0, v[30:31]
	v_cmp_eq_u64_e64 s[38:39], 1, v[4:5]
	;; [unrolled: 1-line block ×4, first 2 shown]
	v_cndmask_b32_e64 v4, 0, 1, s[26:27]
	s_and_b64 s[26:27], s[20:21], s[28:29]
	v_cmp_eq_u64_e64 s[24:25], v[56:57], v[28:29]
	v_cmp_eq_u64_e64 s[34:35], 0, v[32:33]
	v_cndmask_b32_e64 v5, 0, 1, s[26:27]
	s_and_b64 s[26:27], s[22:23], s[30:31]
	v_cmp_eq_u64_e64 s[36:37], 1, v[20:21]
	v_cndmask_b32_e64 v8, 0, 1, s[26:27]
	s_and_b64 s[26:27], s[24:25], s[34:35]
	v_cndmask_b32_e64 v9, 0, 1, s[26:27]
	s_and_b64 s[26:27], s[18:19], s[36:37]
	v_cmp_eq_u64_e64 s[40:41], 1, v[30:31]
	v_cndmask_b32_e64 v10, 0, 1, s[26:27]
	s_and_b64 s[26:27], s[20:21], s[38:39]
	v_cmp_eq_u64_e64 s[42:43], 1, v[32:33]
	;; [unrolled: 3-line block ×3, first 2 shown]
	v_cmp_eq_u64_e64 s[52:53], 3, v[20:21]
	v_cndmask_b32_e64 v12, 0, 1, s[26:27]
	s_and_b64 s[26:27], s[24:25], s[42:43]
	v_cndmask_b32_e64 v13, 0, 1, s[26:27]
	s_and_b64 s[26:27], s[18:19], s[44:45]
	s_and_b64 s[18:19], s[18:19], s[52:53]
	v_cmp_eq_u64_e64 s[48:49], 2, v[30:31]
	v_cmp_eq_u64_e64 s[56:57], 3, v[30:31]
	v_cndmask_b32_e64 v14, 0, 1, s[26:27]
	s_and_b64 s[26:27], s[20:21], s[46:47]
	v_cndmask_b32_e64 v31, 0, 1, s[18:19]
	s_and_b64 s[18:19], s[20:21], s[54:55]
	v_cmp_eq_u64_e64 s[50:51], 2, v[32:33]
	v_cmp_eq_u64_e64 s[58:59], 3, v[32:33]
	v_cndmask_b32_e64 v15, 0, 1, s[26:27]
	s_and_b64 s[26:27], s[22:23], s[48:49]
	v_cndmask_b32_e64 v32, 0, 1, s[18:19]
	s_and_b64 s[18:19], s[22:23], s[56:57]
	;; [unrolled: 2-line block ×4, first 2 shown]
	v_cndmask_b32_e64 v30, 0, 1, s[26:27]
	v_cndmask_b32_e64 v49, 0, 1, s[18:19]
	v_cmp_ne_u32_e64 s[18:19], 0, v4
	v_cmp_ne_u32_e64 s[20:21], 0, v5
	;; [unrolled: 1-line block ×11, first 2 shown]
	s_bcnt1_i32_b64 s18, s[18:19]
	s_bcnt1_i32_b64 s19, s[20:21]
	;; [unrolled: 1-line block ×8, first 2 shown]
	v_cmp_ne_u32_e64 s[34:35], 0, v13
	v_cmp_ne_u32_e64 s[40:41], 0, v20
	;; [unrolled: 1-line block ×3, first 2 shown]
	s_bcnt1_i32_b64 s23, s[28:29]
	s_bcnt1_i32_b64 s27, s[38:39]
	;; [unrolled: 1-line block ×3, first 2 shown]
	s_add_i32 s18, s73, s18
	s_add_i32 s22, s72, s22
	;; [unrolled: 1-line block ×4, first 2 shown]
	v_cmp_ne_u32_e64 s[42:43], 0, v30
	v_cmp_ne_u32_e64 s[50:51], 0, v49
	s_bcnt1_i32_b64 s25, s[34:35]
	s_bcnt1_i32_b64 s28, s[40:41]
	;; [unrolled: 1-line block ×3, first 2 shown]
	s_add_i32 s18, s18, s19
	s_add_i32 s19, s22, s23
	;; [unrolled: 1-line block ×4, first 2 shown]
	v_add_u32_e32 v48, s69, v48
	s_bcnt1_i32_b64 s29, s[42:43]
	s_bcnt1_i32_b64 s35, s[50:51]
	s_add_i32 s18, s18, s20
	s_add_i32 s19, s19, s24
	;; [unrolled: 1-line block ×4, first 2 shown]
	v_cmp_le_u32_e32 vcc, s8, v48
	s_add_i32 s73, s18, s21
	s_add_i32 s72, s19, s25
	;; [unrolled: 1-line block ×4, first 2 shown]
	v_add_u32_e32 v3, s7, v3
	s_or_b64 s[16:17], vcc, s[16:17]
	v_mov_b32_e32 v8, s73
	v_mov_b32_e32 v9, s72
	;; [unrolled: 1-line block ×4, first 2 shown]
	s_andn2_b64 exec, exec, s[16:17]
	s_cbranch_execnz .LBB43_56
; %bb.57:                               ;   in Loop: Header=BB43_6 Depth=1
	s_or_b64 exec, exec, s[16:17]
.LBB43_58:                              ;   in Loop: Header=BB43_6 Depth=1
	s_or_b64 exec, exec, s[78:79]
	v_add_u32_e32 v3, s8, v0
	v_cmp_gt_u32_e32 vcc, s11, v3
	s_and_saveexec_b64 s[16:17], vcc
	s_cbranch_execz .LBB43_62
; %bb.59:                               ;   in Loop: Header=BB43_6 Depth=1
	s_and_b32 s8, s5, 0xfe
	s_waitcnt vmcnt(0)
	v_lshlrev_b32_e32 v4, 3, v3
	s_mov_b64 s[28:29], 0
.LBB43_60:                              ;   Parent Loop BB43_6 Depth=1
                                        ; =>  This Inner Loop Header: Depth=2
	ds_read_b64 v[12:13], v4
	v_add_u32_e32 v3, s75, v3
	v_cmp_le_u32_e32 vcc, s11, v3
	v_add_u32_e32 v4, s4, v4
	s_waitcnt lgkmcnt(0)
	v_xor_b32_e32 v13, 0x80000000, v13
	v_and_b32_e32 v14, v12, v26
	v_and_b32_e32 v15, v13, v27
	v_lshrrev_b64 v[12:13], s8, v[12:13]
	v_and_b32_e32 v20, 3, v12
	v_cmp_eq_u64_e64 s[18:19], v[14:15], v[28:29]
	v_cmp_eq_u64_e64 s[20:21], 0, v[20:21]
	;; [unrolled: 1-line block ×3, first 2 shown]
	s_and_b64 s[20:21], s[18:19], s[20:21]
	v_cmp_eq_u64_e64 s[24:25], 2, v[20:21]
	v_cmp_eq_u64_e64 s[26:27], 3, v[20:21]
	v_cndmask_b32_e64 v5, 0, 1, s[20:21]
	s_and_b64 s[20:21], s[18:19], s[22:23]
	v_cndmask_b32_e64 v12, 0, 1, s[20:21]
	s_and_b64 s[20:21], s[18:19], s[24:25]
	s_and_b64 s[18:19], s[18:19], s[26:27]
	v_cndmask_b32_e64 v13, 0, 1, s[20:21]
	v_cndmask_b32_e64 v14, 0, 1, s[18:19]
	v_cmp_ne_u32_e64 s[18:19], 0, v5
	v_cmp_ne_u32_e64 s[20:21], 0, v12
	;; [unrolled: 1-line block ×4, first 2 shown]
	s_bcnt1_i32_b64 s9, s[18:19]
	s_bcnt1_i32_b64 s18, s[20:21]
	;; [unrolled: 1-line block ×4, first 2 shown]
	v_add_u32_e32 v8, s9, v8
	v_add_u32_e32 v9, s18, v9
	;; [unrolled: 1-line block ×3, first 2 shown]
	s_or_b64 s[28:29], vcc, s[28:29]
	v_add_u32_e32 v11, s20, v11
	s_andn2_b64 exec, exec, s[28:29]
	s_cbranch_execnz .LBB43_60
; %bb.61:                               ;   in Loop: Header=BB43_6 Depth=1
	s_or_b64 exec, exec, s[28:29]
	s_or_b64 s[76:77], s[76:77], exec
.LBB43_62:                              ;   in Loop: Header=BB43_6 Depth=1
	s_or_b64 exec, exec, s[16:17]
.LBB43_63:                              ;   in Loop: Header=BB43_6 Depth=1
	s_and_saveexec_b64 s[8:9], s[76:77]
	s_or_b64 exec, exec, s[8:9]
	s_lshl_b32 s11, s10, 6
	s_and_saveexec_b64 s[8:9], s[0:1]
	s_cbranch_execz .LBB43_65
; %bb.64:                               ;   in Loop: Header=BB43_6 Depth=1
	v_or_b32_e32 v3, s11, v35
	v_lshlrev_b32_e32 v3, 2, v3
	ds_write_b128 v3, v[8:11] offset:3072
.LBB43_65:                              ;   in Loop: Header=BB43_6 Depth=1
	s_or_b64 exec, exec, s[8:9]
	s_waitcnt lgkmcnt(0)
	s_barrier
	s_and_saveexec_b64 s[16:17], s[70:71]
	s_cbranch_execz .LBB43_79
; %bb.66:                               ;   in Loop: Header=BB43_6 Depth=1
	v_readlane_b32 s8, v58, 19
	v_readlane_b32 s9, v58, 20
	v_add_u32_e32 v3, s11, v1
	s_andn2_b64 vcc, exec, s[8:9]
	s_waitcnt vmcnt(0)
	v_mov_b32_e32 v4, 0
	s_cbranch_vccnz .LBB43_78
; %bb.67:                               ;   in Loop: Header=BB43_6 Depth=1
	v_readlane_b32 s8, v58, 24
	v_readlane_b32 s9, v58, 25
	s_mov_b32 s18, 0
	s_and_b64 vcc, exec, s[8:9]
	v_mov_b32_e32 v4, 0
	s_cbranch_vccz .LBB43_71
; %bb.68:                               ;   in Loop: Header=BB43_6 Depth=1
	v_readlane_b32 s8, v58, 30
	v_readlane_b32 s18, v58, 11
	;; [unrolled: 1-line block ×3, first 2 shown]
	v_lshl_add_u32 v8, v3, 2, v46
	v_readlane_b32 s19, v58, 12
	s_andn2_b64 vcc, exec, s[8:9]
	s_cbranch_vccnz .LBB43_72
; %bb.69:                               ;   in Loop: Header=BB43_6 Depth=1
	v_writelane_b32 v58, s18, 11
	v_writelane_b32 v58, s19, 12
	s_mov_b32 s19, 1
	s_mov_b32 s18, 0
	v_mov_b32_e32 v4, 0
	v_readlane_b32 s8, v58, 32
	v_mov_b32_e32 v5, 0
.LBB43_70:                              ;   Parent Loop BB43_6 Depth=1
                                        ; =>  This Inner Loop Header: Depth=2
	v_lshl_add_u32 v9, s18, 4, v8
	v_lshl_add_u32 v20, s19, 4, v8
	ds_read2_b32 v[10:11], v9 offset1:8
	ds_read2_b32 v[12:13], v20 offset1:8
	ds_read2_b32 v[14:15], v9 offset0:16 offset1:24
	ds_read2_b32 v[30:31], v20 offset0:16 offset1:24
	;; [unrolled: 1-line block ×6, first 2 shown]
	s_waitcnt lgkmcnt(7)
	v_add3_u32 v4, v10, v4, v11
	s_waitcnt lgkmcnt(6)
	v_add3_u32 v5, v12, v5, v13
	;; [unrolled: 2-line block ×3, first 2 shown]
	v_add3_u32 v4, v14, v4, v15
	s_add_i32 s19, s19, 16
	s_add_i32 s18, s18, 16
	s_add_i32 s8, s8, -8
	s_waitcnt lgkmcnt(3)
	v_add3_u32 v4, v32, v4, v33
	s_waitcnt lgkmcnt(2)
	v_add3_u32 v5, v48, v5, v49
	s_cmp_lg_u32 s8, 0
	s_waitcnt lgkmcnt(0)
	v_add3_u32 v5, v52, v5, v53
	v_add3_u32 v4, v50, v4, v51
	s_cbranch_scc1 .LBB43_70
	s_branch .LBB43_73
.LBB43_71:                              ;   in Loop: Header=BB43_6 Depth=1
	s_cbranch_execnz .LBB43_76
	s_branch .LBB43_78
.LBB43_72:                              ;   in Loop: Header=BB43_6 Depth=1
	s_mov_b32 s8, s18
	s_mov_b32 s19, s18
	v_writelane_b32 v58, s8, 11
	v_pk_mov_b32 v[4:5], s[18:19], s[18:19] op_sel:[0,1]
	s_mov_b32 s19, 1
	v_writelane_b32 v58, s9, 12
.LBB43_73:                              ;   in Loop: Header=BB43_6 Depth=1
	v_readlane_b32 s8, v58, 34
	v_readlane_b32 s9, v58, 35
	s_andn2_b64 vcc, exec, s[8:9]
	v_readlane_b32 s8, v58, 33
	s_cbranch_vccnz .LBB43_75
.LBB43_74:                              ;   Parent Loop BB43_6 Depth=1
                                        ; =>  This Inner Loop Header: Depth=2
	v_lshl_add_u32 v9, s18, 4, v8
	v_lshl_add_u32 v10, s19, 4, v8
	ds_read_b32 v10, v10
	ds_read_b32 v9, v9
	s_add_i32 s19, s19, 2
	s_add_i32 s18, s18, 2
	s_add_i32 s8, s8, -1
	s_cmp_lg_u32 s8, 0
	s_waitcnt lgkmcnt(1)
	v_add_u32_e32 v5, v10, v5
	s_waitcnt lgkmcnt(0)
	v_add_u32_e32 v4, v9, v4
	s_cbranch_scc1 .LBB43_74
.LBB43_75:                              ;   in Loop: Header=BB43_6 Depth=1
	v_readlane_b32 s8, v58, 38
	v_add_u32_e32 v4, v4, v5
	v_readlane_b32 s18, v58, 37
	v_readlane_b32 s9, v58, 39
	s_and_b64 vcc, exec, s[8:9]
	s_cbranch_vccz .LBB43_78
.LBB43_76:                              ;   in Loop: Header=BB43_6 Depth=1
	s_lshl_b32 s8, s10, 8
	s_lshl_b32 s9, s18, 4
	s_add_i32 s8, s8, s9
	v_add_u32_e32 v5, s8, v45
	v_readlane_b32 s8, v58, 36
	s_sub_i32 s8, s8, s18
.LBB43_77:                              ;   Parent Loop BB43_6 Depth=1
                                        ; =>  This Inner Loop Header: Depth=2
	ds_read_b32 v8, v5
	s_add_i32 s8, s8, -1
	v_add_u32_e32 v5, 16, v5
	s_cmp_eq_u32 s8, 0
	s_waitcnt lgkmcnt(0)
	v_add_u32_e32 v4, v8, v4
	s_cbranch_scc0 .LBB43_77
.LBB43_78:                              ;   in Loop: Header=BB43_6 Depth=1
	v_lshlrev_b32_e32 v3, 2, v3
	ds_write_b32 v3, v4 offset:3072
.LBB43_79:                              ;   in Loop: Header=BB43_6 Depth=1
	s_or_b64 exec, exec, s[16:17]
	s_lshl_b32 s8, s11, 2
	v_mov_b32_e32 v3, s8
	s_waitcnt lgkmcnt(0)
	s_barrier
	ds_read_b128 v[8:11], v3 offset:3072
	s_and_b32 s55, s5, 0xfe
	v_readlane_b32 s8, v58, 15
	s_lshl_b64 s[22:23], 3, s55
	v_readlane_b32 s9, v58, 16
	s_waitcnt lgkmcnt(0)
	v_readfirstlane_b32 s11, v8
	v_readfirstlane_b32 s54, v9
	v_readfirstlane_b32 s62, v10
	v_readfirstlane_b32 s63, v11
	s_not_b64 s[24:25], s[22:23]
	s_andn2_b64 vcc, exec, s[8:9]
	v_cmp_eq_u32_e64 s[18:19], 1, v47
	s_cbranch_vccnz .LBB43_92
; %bb.80:                               ;   in Loop: Header=BB43_6 Depth=1
	s_cmp_eq_u32 s11, 1
	s_cselect_b64 s[8:9], -1, 0
	s_and_b64 s[40:41], s[8:9], s[18:19]
	s_mov_b64 s[8:9], -1
	s_waitcnt vmcnt(0)
	v_pk_mov_b32 v[12:13], v[28:29], v[28:29] op_sel:[0,1]
	v_pk_mov_b32 v[14:15], v[26:27], v[26:27] op_sel:[0,1]
	;; [unrolled: 1-line block ×3, first 2 shown]
                                        ; implicit-def: $sgpr26_sgpr27
                                        ; implicit-def: $sgpr34_sgpr35
                                        ; implicit-def: $sgpr30_sgpr31
	s_and_saveexec_b64 s[28:29], s[40:41]
	s_cbranch_execz .LBB43_108
; %bb.81:                               ;   in Loop: Header=BB43_6 Depth=1
	ds_read_b32 v3, v21 offset:4096
	s_waitcnt lgkmcnt(0)
	s_barrier
	v_readfirstlane_b32 s30, v3
	s_mov_b64 s[8:9], exec
	v_readlane_b32 s16, v58, 28
	v_readlane_b32 s17, v58, 29
	s_and_b64 s[16:17], s[8:9], s[16:17]
	s_mov_b64 exec, s[16:17]
	s_cbranch_execz .LBB43_83
; %bb.82:                               ;   in Loop: Header=BB43_6 Depth=1
	v_mov_b32_e32 v20, v21
	ds_write_b64 v37, v[20:21]
.LBB43_83:                              ;   in Loop: Header=BB43_6 Depth=1
	s_or_b64 exec, exec, s[8:9]
	v_and_b32_e32 v13, s25, v29
	v_and_b32_e32 v12, s24, v28
	v_or_b32_e32 v15, s23, v27
	v_or_b32_e32 v14, s22, v26
	s_cmp_eq_u32 s30, 0
	s_waitcnt lgkmcnt(0)
	s_barrier
	s_cbranch_scc1 .LBB43_94
; %bb.84:                               ;   in Loop: Header=BB43_6 Depth=1
	v_readlane_b32 s8, v58, 21
	s_add_i32 s8, s30, s8
	v_readlane_b32 s9, v58, 43
	s_mul_hi_u32 s9, s8, s9
	s_mul_i32 s9, s9, s75
	s_sub_i32 s9, s8, s9
	s_sub_i32 s16, s9, s75
	s_cmp_ge_u32 s9, s75
	s_cselect_b32 s9, s16, s9
	s_sub_i32 s16, s9, s75
	s_cmp_ge_u32 s9, s75
	s_cselect_b32 s9, s16, s9
	s_sub_i32 s31, s8, s9
	v_cmp_gt_u32_e32 vcc, s31, v0
	s_mov_b64 s[20:21], 0
                                        ; implicit-def: $vgpr10_vgpr11
	s_and_saveexec_b64 s[8:9], vcc
	s_cbranch_execz .LBB43_96
; %bb.85:                               ;   in Loop: Header=BB43_6 Depth=1
	v_mov_b32_e32 v20, v36
	v_mov_b32_e32 v30, v0
                                        ; implicit-def: $sgpr16_sgpr17
	s_branch .LBB43_87
.LBB43_86:                              ;   in Loop: Header=BB43_87 Depth=2
	s_or_b64 exec, exec, s[26:27]
	s_waitcnt lgkmcnt(0)
	s_barrier
	ds_read_b128 v[8:11], v21 offset:3072
	v_add_u32_e32 v30, s75, v30
	v_cmp_le_u32_e32 vcc, s31, v30
	v_add_u32_e32 v20, s4, v20
	s_waitcnt lgkmcnt(0)
	v_readfirstlane_b32 s27, v9
	v_readfirstlane_b32 s26, v8
	s_cmp_lg_u64 s[26:27], 0
	s_cselect_b64 s[26:27], -1, 0
	s_or_b64 s[34:35], vcc, s[26:27]
	s_and_b64 s[34:35], exec, s[34:35]
	s_or_b64 s[20:21], s[34:35], s[20:21]
	s_andn2_b64 s[16:17], s[16:17], exec
	s_and_b64 s[26:27], s[26:27], exec
	s_or_b64 s[16:17], s[16:17], s[26:27]
	s_barrier
	s_andn2_b64 exec, exec, s[20:21]
	s_cbranch_execz .LBB43_95
.LBB43_87:                              ;   Parent Loop BB43_6 Depth=1
                                        ; =>  This Inner Loop Header: Depth=2
	v_cmp_gt_u32_e32 vcc, s30, v30
	v_pk_mov_b32 v[4:5], 0, 0
	s_and_saveexec_b64 s[26:27], vcc
	s_cbranch_execz .LBB43_89
; %bb.88:                               ;   in Loop: Header=BB43_87 Depth=2
	ds_read_b64 v[4:5], v20
.LBB43_89:                              ;   in Loop: Header=BB43_87 Depth=2
	s_or_b64 exec, exec, s[26:27]
	s_and_saveexec_b64 s[26:27], vcc
	s_cbranch_execz .LBB43_86
; %bb.90:                               ;   in Loop: Header=BB43_87 Depth=2
	s_waitcnt lgkmcnt(0)
	v_xor_b32_e32 v3, 0x80000000, v5
	v_and_b32_e32 v9, v3, v15
	v_and_b32_e32 v8, v4, v14
	v_cmp_eq_u64_e32 vcc, v[8:9], v[12:13]
	s_and_b64 exec, exec, vcc
	s_cbranch_execz .LBB43_86
; %bb.91:                               ;   in Loop: Header=BB43_87 Depth=2
	v_mov_b32_e32 v3, v21
	ds_write_b128 v21, v[2:5] offset:3072
	s_branch .LBB43_86
.LBB43_92:                              ;   in Loop: Header=BB43_6 Depth=1
	s_mov_b64 s[28:29], 0
	s_mov_b64 s[20:21], 0
                                        ; implicit-def: $sgpr30_sgpr31
                                        ; implicit-def: $sgpr34_sgpr35
                                        ; implicit-def: $sgpr26_sgpr27
                                        ; implicit-def: $vgpr3
                                        ; implicit-def: $vgpr30
                                        ; implicit-def: $vgpr12_vgpr13
                                        ; implicit-def: $vgpr14_vgpr15
                                        ; implicit-def: $vgpr10_vgpr11
	s_cbranch_execnz .LBB43_244
.LBB43_93:                              ;   in Loop: Header=BB43_6 Depth=1
	s_mov_b64 s[36:37], s[26:27]
	s_mov_b64 s[38:39], s[26:27]
	s_and_saveexec_b64 s[8:9], s[28:29]
	s_cbranch_execnz .LBB43_406
	s_branch .LBB43_407
.LBB43_94:                              ;   in Loop: Header=BB43_6 Depth=1
	s_mov_b64 s[26:27], -1
	s_mov_b64 s[20:21], 0
                                        ; implicit-def: $sgpr30_sgpr31
                                        ; implicit-def: $vgpr10_vgpr11
	s_mov_b64 s[34:35], s[26:27]
	s_cbranch_execnz .LBB43_97
	s_branch .LBB43_107
.LBB43_95:                              ;   in Loop: Header=BB43_6 Depth=1
	s_or_b64 exec, exec, s[20:21]
	s_and_b64 s[20:21], s[16:17], exec
.LBB43_96:                              ;   in Loop: Header=BB43_6 Depth=1
	s_or_b64 exec, exec, s[8:9]
	s_mov_b64 s[30:31], -1
	s_mov_b64 s[26:27], 0
	s_mov_b64 s[34:35], s[26:27]
	s_branch .LBB43_107
.LBB43_97:                              ;   in Loop: Header=BB43_6 Depth=1
	s_mov_b64 s[20:21], 0
                                        ; implicit-def: $vgpr10_vgpr11
	s_mov_b64 s[16:17], exec
	v_readlane_b32 s8, v58, 44
	v_readlane_b32 s9, v58, 45
	s_and_b64 s[8:9], s[16:17], s[8:9]
	s_mov_b64 exec, s[8:9]
	s_cbranch_execz .LBB43_106
; %bb.98:                               ;   in Loop: Header=BB43_6 Depth=1
	s_mov_b64 s[26:27], 0
	v_mov_b32_e32 v20, v22
	v_mov_b32_e32 v30, v0
                                        ; implicit-def: $sgpr8_sgpr9
	s_branch .LBB43_100
.LBB43_99:                              ;   in Loop: Header=BB43_100 Depth=2
	s_or_b64 exec, exec, s[20:21]
	s_waitcnt lgkmcnt(0)
	s_barrier
	ds_read_b128 v[8:11], v21 offset:3072
	v_add_u32_e32 v30, s75, v30
	v_cmp_le_u32_e32 vcc, s12, v30
	v_add_u32_e32 v20, s68, v20
	s_waitcnt lgkmcnt(0)
	v_readfirstlane_b32 s21, v9
	v_readfirstlane_b32 s20, v8
	s_cmp_lg_u64 s[20:21], 0
	s_cselect_b64 s[20:21], -1, 0
	s_or_b64 s[30:31], vcc, s[20:21]
	s_and_b64 s[30:31], exec, s[30:31]
	s_or_b64 s[26:27], s[30:31], s[26:27]
	s_andn2_b64 s[8:9], s[8:9], exec
	s_and_b64 s[20:21], s[20:21], exec
	s_or_b64 s[8:9], s[8:9], s[20:21]
	s_barrier
	s_andn2_b64 exec, exec, s[26:27]
	s_cbranch_execz .LBB43_105
.LBB43_100:                             ;   Parent Loop BB43_6 Depth=1
                                        ; =>  This Inner Loop Header: Depth=2
	v_cmp_gt_u32_e32 vcc, s60, v30
	s_waitcnt vmcnt(0)
	v_pk_mov_b32 v[4:5], 0, 0
	s_and_saveexec_b64 s[30:31], vcc
	s_cbranch_execz .LBB43_102
; %bb.101:                              ;   in Loop: Header=BB43_100 Depth=2
	v_lshlrev_b64 v[4:5], 3, v[20:21]
	v_mov_b32_e32 v3, s74
	v_add_co_u32_e64 v4, s[20:21], s33, v4
	v_addc_co_u32_e64 v5, s[20:21], v3, v5, s[20:21]
	global_load_dwordx2 v[4:5], v[4:5], off
.LBB43_102:                             ;   in Loop: Header=BB43_100 Depth=2
	s_or_b64 exec, exec, s[30:31]
	s_and_saveexec_b64 s[20:21], vcc
	s_cbranch_execz .LBB43_99
; %bb.103:                              ;   in Loop: Header=BB43_100 Depth=2
	s_waitcnt vmcnt(0)
	v_xor_b32_e32 v3, 0x80000000, v5
	v_and_b32_e32 v9, v3, v15
	v_and_b32_e32 v8, v4, v14
	v_cmp_eq_u64_e32 vcc, v[8:9], v[12:13]
	s_and_b64 exec, exec, vcc
	s_cbranch_execz .LBB43_99
; %bb.104:                              ;   in Loop: Header=BB43_100 Depth=2
	v_mov_b32_e32 v3, v21
	ds_write_b128 v21, v[2:5] offset:3072
	s_branch .LBB43_99
.LBB43_105:                             ;   in Loop: Header=BB43_6 Depth=1
	s_or_b64 exec, exec, s[26:27]
	s_and_b64 s[20:21], s[8:9], exec
.LBB43_106:                             ;   in Loop: Header=BB43_6 Depth=1
	s_or_b64 exec, exec, s[16:17]
	s_mov_b64 s[34:35], -1
	s_mov_b64 s[26:27], 0
	s_mov_b64 s[30:31], 0
.LBB43_107:                             ;   in Loop: Header=BB43_6 Depth=1
	s_orn2_b64 s[8:9], s[20:21], exec
.LBB43_108:                             ;   in Loop: Header=BB43_6 Depth=1
	s_or_b64 exec, exec, s[28:29]
	s_mov_b64 s[36:37], 0
	s_mov_b64 s[28:29], 0
	;; [unrolled: 1-line block ×3, first 2 shown]
                                        ; implicit-def: $vgpr3
                                        ; implicit-def: $vgpr30
	s_and_saveexec_b64 s[38:39], s[8:9]
	s_cbranch_execz .LBB43_243
; %bb.109:                              ;   in Loop: Header=BB43_6 Depth=1
	s_xor_b64 s[20:21], s[40:41], -1
	s_mov_b64 s[8:9], 0
	v_mov_b32_e32 v30, 1
	v_mov_b32_e32 v3, 1
	s_and_saveexec_b64 s[16:17], s[20:21]
	s_cbranch_execz .LBB43_119
; %bb.110:                              ;   in Loop: Header=BB43_6 Depth=1
	v_cmp_ge_u32_e32 vcc, s11, v47
                                        ; implicit-def: $sgpr28
                                        ; implicit-def: $sgpr8_sgpr9
	s_and_saveexec_b64 s[20:21], vcc
	s_xor_b64 s[20:21], exec, s[20:21]
	s_cbranch_execz .LBB43_116
; %bb.111:                              ;   in Loop: Header=BB43_6 Depth=1
	ds_read_b32 v3, v21 offset:4096
	s_waitcnt lgkmcnt(0)
	v_cmp_ne_u32_e32 vcc, 0, v3
	s_cbranch_vccnz .LBB43_115
; %bb.112:                              ;   in Loop: Header=BB43_6 Depth=1
	s_mov_b64 s[8:9], exec
	v_readlane_b32 s28, v58, 4
	v_readlane_b32 s29, v58, 5
	s_and_b64 s[28:29], s[8:9], s[28:29]
	s_mov_b64 exec, s[28:29]
	s_cbranch_execz .LBB43_114
; %bb.113:                              ;   in Loop: Header=BB43_6 Depth=1
	v_mov_b32_e32 v3, s11
	ds_write_b32 v21, v3 offset:4100
.LBB43_114:                             ;   in Loop: Header=BB43_6 Depth=1
	s_or_b64 exec, exec, s[8:9]
	s_waitcnt lgkmcnt(0)
	s_barrier
.LBB43_115:                             ;   in Loop: Header=BB43_6 Depth=1
	v_and_b32_e32 v13, s25, v13
	v_and_b32_e32 v12, s24, v12
	v_or_b32_e32 v15, s23, v15
	v_or_b32_e32 v14, s22, v14
	s_mov_b64 s[8:9], 0
	s_mov_b32 s28, 8
.LBB43_116:                             ;   in Loop: Header=BB43_6 Depth=1
	s_or_saveexec_b64 s[20:21], s[20:21]
	v_mov_b32_e32 v3, s28
	v_mov_b32_e32 v30, v47
	s_xor_b64 exec, exec, s[20:21]
; %bb.117:                              ;   in Loop: Header=BB43_6 Depth=1
	v_subrev_u32_e32 v30, s11, v47
	v_mov_b32_e32 v3, 0
	s_or_b64 s[8:9], s[8:9], exec
; %bb.118:                              ;   in Loop: Header=BB43_6 Depth=1
	s_or_b64 exec, exec, s[20:21]
	s_and_b64 s[8:9], s[8:9], exec
.LBB43_119:                             ;   in Loop: Header=BB43_6 Depth=1
	s_or_b64 exec, exec, s[16:17]
	s_mov_b64 s[42:43], -1
                                        ; implicit-def: $sgpr16_sgpr17
                                        ; implicit-def: $sgpr40_sgpr41
                                        ; implicit-def: $sgpr46_sgpr47
	s_and_saveexec_b64 s[20:21], s[8:9]
	s_xor_b64 s[28:29], exec, s[20:21]
	s_cbranch_execz .LBB43_240
; %bb.120:                              ;   in Loop: Header=BB43_6 Depth=1
	s_cmp_eq_u32 s54, 1
	s_cselect_b64 s[8:9], -1, 0
	v_cmp_eq_u32_e32 vcc, 1, v30
	s_and_b64 s[48:49], s[8:9], vcc
	s_mov_b64 s[16:17], -1
                                        ; implicit-def: $sgpr40_sgpr41
                                        ; implicit-def: $sgpr44_sgpr45
                                        ; implicit-def: $sgpr42_sgpr43
	s_and_saveexec_b64 s[46:47], s[48:49]
	s_cbranch_execz .LBB43_146
; %bb.121:                              ;   in Loop: Header=BB43_6 Depth=1
	ds_read_b32 v3, v21 offset:4096
	s_waitcnt lgkmcnt(0)
	s_barrier
	v_readfirstlane_b32 s42, v3
	s_mov_b64 s[8:9], exec
	v_readlane_b32 s16, v58, 28
	v_readlane_b32 s17, v58, 29
	s_and_b64 s[16:17], s[8:9], s[16:17]
	s_mov_b64 exec, s[16:17]
	s_cbranch_execz .LBB43_123
; %bb.122:                              ;   in Loop: Header=BB43_6 Depth=1
	v_mov_b32_e32 v20, v21
	ds_write_b64 v37, v[20:21]
.LBB43_123:                             ;   in Loop: Header=BB43_6 Depth=1
	s_or_b64 exec, exec, s[8:9]
	s_lshl_b64 s[8:9], 1, s55
	v_and_b32_e32 v3, s25, v13
	s_waitcnt vmcnt(0)
	v_and_b32_e32 v4, s24, v12
	v_or_b32_e32 v13, s9, v3
	v_or_b32_e32 v12, s8, v4
	;; [unrolled: 1-line block ×4, first 2 shown]
	s_cmp_eq_u32 s42, 0
	s_waitcnt lgkmcnt(0)
	s_barrier
	s_cbranch_scc1 .LBB43_132
; %bb.124:                              ;   in Loop: Header=BB43_6 Depth=1
	v_readlane_b32 s8, v58, 21
	s_add_i32 s8, s42, s8
	v_readlane_b32 s9, v58, 43
	s_mul_hi_u32 s9, s8, s9
	s_mul_i32 s9, s9, s75
	s_sub_i32 s9, s8, s9
	s_sub_i32 s16, s9, s75
	s_cmp_ge_u32 s9, s75
	s_cselect_b32 s9, s16, s9
	s_sub_i32 s16, s9, s75
	s_cmp_ge_u32 s9, s75
	s_cselect_b32 s9, s16, s9
	s_sub_i32 s43, s8, s9
	v_cmp_gt_u32_e32 vcc, s43, v0
	s_mov_b64 s[20:21], 0
                                        ; implicit-def: $vgpr10_vgpr11
	s_and_saveexec_b64 s[8:9], vcc
	s_cbranch_execz .LBB43_134
; %bb.125:                              ;   in Loop: Header=BB43_6 Depth=1
	v_mov_b32_e32 v20, v36
	v_mov_b32_e32 v31, v0
                                        ; implicit-def: $sgpr16_sgpr17
	s_branch .LBB43_127
.LBB43_126:                             ;   in Loop: Header=BB43_127 Depth=2
	s_or_b64 exec, exec, s[40:41]
	s_waitcnt lgkmcnt(0)
	s_barrier
	ds_read_b128 v[8:11], v21 offset:3072
	v_add_u32_e32 v31, s75, v31
	v_cmp_le_u32_e32 vcc, s43, v31
	v_add_u32_e32 v20, s4, v20
	s_waitcnt lgkmcnt(0)
	v_readfirstlane_b32 s41, v9
	v_readfirstlane_b32 s40, v8
	s_cmp_lg_u64 s[40:41], 0
	s_cselect_b64 s[40:41], -1, 0
	s_or_b64 s[44:45], vcc, s[40:41]
	s_and_b64 s[44:45], exec, s[44:45]
	s_or_b64 s[20:21], s[44:45], s[20:21]
	s_andn2_b64 s[16:17], s[16:17], exec
	s_and_b64 s[40:41], s[40:41], exec
	s_or_b64 s[16:17], s[16:17], s[40:41]
	s_barrier
	s_andn2_b64 exec, exec, s[20:21]
	s_cbranch_execz .LBB43_133
.LBB43_127:                             ;   Parent Loop BB43_6 Depth=1
                                        ; =>  This Inner Loop Header: Depth=2
	v_cmp_gt_u32_e32 vcc, s42, v31
	v_pk_mov_b32 v[4:5], 0, 0
	s_and_saveexec_b64 s[40:41], vcc
	s_cbranch_execz .LBB43_129
; %bb.128:                              ;   in Loop: Header=BB43_127 Depth=2
	ds_read_b64 v[4:5], v20
.LBB43_129:                             ;   in Loop: Header=BB43_127 Depth=2
	s_or_b64 exec, exec, s[40:41]
	s_and_saveexec_b64 s[40:41], vcc
	s_cbranch_execz .LBB43_126
; %bb.130:                              ;   in Loop: Header=BB43_127 Depth=2
	s_waitcnt lgkmcnt(0)
	v_xor_b32_e32 v3, 0x80000000, v5
	v_and_b32_e32 v9, v3, v15
	v_and_b32_e32 v8, v4, v14
	v_cmp_eq_u64_e32 vcc, v[8:9], v[12:13]
	s_and_b64 exec, exec, vcc
	s_cbranch_execz .LBB43_126
; %bb.131:                              ;   in Loop: Header=BB43_127 Depth=2
	v_mov_b32_e32 v3, v21
	ds_write_b128 v21, v[2:5] offset:3072
	s_branch .LBB43_126
.LBB43_132:                             ;   in Loop: Header=BB43_6 Depth=1
	s_mov_b64 s[40:41], -1
	s_mov_b64 s[20:21], 0
                                        ; implicit-def: $sgpr42_sgpr43
                                        ; implicit-def: $vgpr10_vgpr11
	s_mov_b64 s[44:45], s[40:41]
	s_cbranch_execnz .LBB43_135
	s_branch .LBB43_145
.LBB43_133:                             ;   in Loop: Header=BB43_6 Depth=1
	s_or_b64 exec, exec, s[20:21]
	s_and_b64 s[20:21], s[16:17], exec
.LBB43_134:                             ;   in Loop: Header=BB43_6 Depth=1
	s_or_b64 exec, exec, s[8:9]
	s_mov_b64 s[42:43], -1
	s_mov_b64 s[40:41], 0
	s_mov_b64 s[44:45], s[40:41]
	s_branch .LBB43_145
.LBB43_135:                             ;   in Loop: Header=BB43_6 Depth=1
	s_mov_b64 s[20:21], 0
                                        ; implicit-def: $vgpr10_vgpr11
	s_mov_b64 s[16:17], exec
	v_readlane_b32 s8, v58, 44
	v_readlane_b32 s9, v58, 45
	s_and_b64 s[8:9], s[16:17], s[8:9]
	s_mov_b64 exec, s[8:9]
	s_cbranch_execz .LBB43_144
; %bb.136:                              ;   in Loop: Header=BB43_6 Depth=1
	s_mov_b64 s[40:41], 0
	v_mov_b32_e32 v20, v22
	v_mov_b32_e32 v31, v0
                                        ; implicit-def: $sgpr8_sgpr9
	s_branch .LBB43_138
.LBB43_137:                             ;   in Loop: Header=BB43_138 Depth=2
	s_or_b64 exec, exec, s[20:21]
	s_waitcnt lgkmcnt(0)
	s_barrier
	ds_read_b128 v[8:11], v21 offset:3072
	v_add_u32_e32 v31, s75, v31
	v_cmp_le_u32_e32 vcc, s12, v31
	v_add_u32_e32 v20, s68, v20
	s_waitcnt lgkmcnt(0)
	v_readfirstlane_b32 s21, v9
	v_readfirstlane_b32 s20, v8
	s_cmp_lg_u64 s[20:21], 0
	s_cselect_b64 s[20:21], -1, 0
	s_or_b64 s[42:43], vcc, s[20:21]
	s_and_b64 s[42:43], exec, s[42:43]
	s_or_b64 s[40:41], s[42:43], s[40:41]
	s_andn2_b64 s[8:9], s[8:9], exec
	s_and_b64 s[20:21], s[20:21], exec
	s_or_b64 s[8:9], s[8:9], s[20:21]
	s_barrier
	s_andn2_b64 exec, exec, s[40:41]
	s_cbranch_execz .LBB43_143
.LBB43_138:                             ;   Parent Loop BB43_6 Depth=1
                                        ; =>  This Inner Loop Header: Depth=2
	v_cmp_gt_u32_e32 vcc, s60, v31
	s_waitcnt vmcnt(0)
	v_pk_mov_b32 v[4:5], 0, 0
	s_and_saveexec_b64 s[42:43], vcc
	s_cbranch_execz .LBB43_140
; %bb.139:                              ;   in Loop: Header=BB43_138 Depth=2
	v_lshlrev_b64 v[4:5], 3, v[20:21]
	v_mov_b32_e32 v3, s74
	v_add_co_u32_e64 v4, s[20:21], s33, v4
	v_addc_co_u32_e64 v5, s[20:21], v3, v5, s[20:21]
	global_load_dwordx2 v[4:5], v[4:5], off
.LBB43_140:                             ;   in Loop: Header=BB43_138 Depth=2
	s_or_b64 exec, exec, s[42:43]
	s_and_saveexec_b64 s[20:21], vcc
	s_cbranch_execz .LBB43_137
; %bb.141:                              ;   in Loop: Header=BB43_138 Depth=2
	s_waitcnt vmcnt(0)
	v_xor_b32_e32 v3, 0x80000000, v5
	v_and_b32_e32 v9, v3, v15
	v_and_b32_e32 v8, v4, v14
	v_cmp_eq_u64_e32 vcc, v[8:9], v[12:13]
	s_and_b64 exec, exec, vcc
	s_cbranch_execz .LBB43_137
; %bb.142:                              ;   in Loop: Header=BB43_138 Depth=2
	v_mov_b32_e32 v3, v21
	ds_write_b128 v21, v[2:5] offset:3072
	s_branch .LBB43_137
.LBB43_143:                             ;   in Loop: Header=BB43_6 Depth=1
	s_or_b64 exec, exec, s[40:41]
	s_and_b64 s[20:21], s[8:9], exec
.LBB43_144:                             ;   in Loop: Header=BB43_6 Depth=1
	s_or_b64 exec, exec, s[16:17]
	s_mov_b64 s[44:45], -1
	s_mov_b64 s[40:41], 0
	s_mov_b64 s[42:43], 0
.LBB43_145:                             ;   in Loop: Header=BB43_6 Depth=1
	s_orn2_b64 s[16:17], s[20:21], exec
.LBB43_146:                             ;   in Loop: Header=BB43_6 Depth=1
	s_or_b64 exec, exec, s[46:47]
	s_mov_b64 s[8:9], 0
                                        ; implicit-def: $vgpr3
	s_and_saveexec_b64 s[46:47], s[16:17]
	s_cbranch_execz .LBB43_239
; %bb.147:                              ;   in Loop: Header=BB43_6 Depth=1
	s_xor_b64 s[8:9], s[48:49], -1
	s_mov_b64 s[52:53], 0
	v_mov_b32_e32 v31, 1
	v_mov_b32_e32 v3, 1
	s_and_saveexec_b64 s[16:17], s[8:9]
	s_cbranch_execz .LBB43_157
; %bb.148:                              ;   in Loop: Header=BB43_6 Depth=1
	v_cmp_ge_u32_e32 vcc, s54, v30
                                        ; implicit-def: $sgpr48
                                        ; implicit-def: $sgpr8_sgpr9
	s_and_saveexec_b64 s[20:21], vcc
	s_xor_b64 s[20:21], exec, s[20:21]
	s_cbranch_execz .LBB43_154
; %bb.149:                              ;   in Loop: Header=BB43_6 Depth=1
	ds_read_b32 v3, v21 offset:4096
	s_waitcnt lgkmcnt(0)
	v_cmp_ne_u32_e32 vcc, 0, v3
	s_cbranch_vccnz .LBB43_153
; %bb.150:                              ;   in Loop: Header=BB43_6 Depth=1
	s_mov_b64 s[8:9], exec
	v_readlane_b32 s48, v58, 4
	v_readlane_b32 s49, v58, 5
	s_and_b64 s[48:49], s[8:9], s[48:49]
	s_mov_b64 exec, s[48:49]
	s_cbranch_execz .LBB43_152
; %bb.151:                              ;   in Loop: Header=BB43_6 Depth=1
	v_mov_b32_e32 v3, s54
	ds_write_b32 v21, v3 offset:4100
.LBB43_152:                             ;   in Loop: Header=BB43_6 Depth=1
	s_or_b64 exec, exec, s[8:9]
	s_waitcnt lgkmcnt(0)
	s_barrier
.LBB43_153:                             ;   in Loop: Header=BB43_6 Depth=1
	s_lshl_b64 s[8:9], 1, s55
	v_and_b32_e32 v3, s25, v13
	s_waitcnt vmcnt(0)
	v_and_b32_e32 v4, s24, v12
	v_or_b32_e32 v13, s9, v3
	v_or_b32_e32 v12, s8, v4
	;; [unrolled: 1-line block ×4, first 2 shown]
	s_mov_b64 s[8:9], 0
	s_mov_b32 s48, 8
.LBB43_154:                             ;   in Loop: Header=BB43_6 Depth=1
	s_or_saveexec_b64 s[20:21], s[20:21]
	v_mov_b32_e32 v3, s48
	s_xor_b64 exec, exec, s[20:21]
; %bb.155:                              ;   in Loop: Header=BB43_6 Depth=1
	v_subrev_u32_e32 v30, s54, v30
	v_mov_b32_e32 v3, 0
	s_or_b64 s[8:9], s[8:9], exec
; %bb.156:                              ;   in Loop: Header=BB43_6 Depth=1
	s_or_b64 exec, exec, s[20:21]
	s_and_b64 s[52:53], s[8:9], exec
	v_mov_b32_e32 v31, v30
.LBB43_157:                             ;   in Loop: Header=BB43_6 Depth=1
	s_or_b64 exec, exec, s[16:17]
	s_mov_b64 s[8:9], -1
                                        ; implicit-def: $sgpr16_sgpr17
                                        ; implicit-def: $sgpr20_sgpr21
                                        ; implicit-def: $sgpr50_sgpr51
	s_and_saveexec_b64 s[48:49], s[52:53]
	s_cbranch_execz .LBB43_238
; %bb.158:                              ;   in Loop: Header=BB43_6 Depth=1
	s_cmp_eq_u32 s62, 1
	s_cselect_b64 s[8:9], -1, 0
	v_cmp_eq_u32_e32 vcc, 1, v31
	s_and_b64 s[58:59], s[8:9], vcc
	s_mov_b64 s[16:17], -1
                                        ; implicit-def: $sgpr50_sgpr51
                                        ; implicit-def: $sgpr52_sgpr53
                                        ; implicit-def: $vcc
	s_and_saveexec_b64 s[56:57], s[58:59]
	s_cbranch_execz .LBB43_184
; %bb.159:                              ;   in Loop: Header=BB43_6 Depth=1
	ds_read_b32 v3, v21 offset:4096
	s_waitcnt lgkmcnt(0)
	s_barrier
	v_readfirstlane_b32 s52, v3
	s_mov_b64 s[8:9], exec
	v_readlane_b32 s16, v58, 28
	v_readlane_b32 s17, v58, 29
	s_and_b64 s[16:17], s[8:9], s[16:17]
	s_mov_b64 exec, s[16:17]
	s_cbranch_execz .LBB43_161
; %bb.160:                              ;   in Loop: Header=BB43_6 Depth=1
	v_mov_b32_e32 v20, v21
	ds_write_b64 v37, v[20:21]
.LBB43_161:                             ;   in Loop: Header=BB43_6 Depth=1
	s_or_b64 exec, exec, s[8:9]
	s_lshl_b64 s[8:9], 2, s55
	v_and_b32_e32 v3, s25, v13
	s_waitcnt vmcnt(0)
	v_and_b32_e32 v4, s24, v12
	v_or_b32_e32 v13, s9, v3
	v_or_b32_e32 v12, s8, v4
	;; [unrolled: 1-line block ×4, first 2 shown]
	s_cmp_eq_u32 s52, 0
	s_waitcnt lgkmcnt(0)
	s_barrier
	s_cbranch_scc1 .LBB43_170
; %bb.162:                              ;   in Loop: Header=BB43_6 Depth=1
	v_readlane_b32 s8, v58, 21
	s_add_i32 s8, s52, s8
	v_readlane_b32 s9, v58, 43
	s_mul_hi_u32 s9, s8, s9
	s_mul_i32 s9, s9, s75
	s_sub_i32 s9, s8, s9
	s_sub_i32 s16, s9, s75
	s_cmp_ge_u32 s9, s75
	s_cselect_b32 s9, s16, s9
	s_sub_i32 s16, s9, s75
	s_cmp_ge_u32 s9, s75
	s_cselect_b32 s9, s16, s9
	s_sub_i32 s53, s8, s9
	v_cmp_gt_u32_e32 vcc, s53, v0
	s_mov_b64 s[20:21], 0
                                        ; implicit-def: $vgpr10_vgpr11
	s_and_saveexec_b64 s[8:9], vcc
	s_cbranch_execz .LBB43_172
; %bb.163:                              ;   in Loop: Header=BB43_6 Depth=1
	v_mov_b32_e32 v20, v36
	v_mov_b32_e32 v30, v0
                                        ; implicit-def: $sgpr16_sgpr17
	s_branch .LBB43_165
.LBB43_164:                             ;   in Loop: Header=BB43_165 Depth=2
	s_or_b64 exec, exec, s[50:51]
	s_waitcnt lgkmcnt(0)
	s_barrier
	ds_read_b128 v[8:11], v21 offset:3072
	v_add_u32_e32 v30, s75, v30
	v_cmp_le_u32_e32 vcc, s53, v30
	v_add_u32_e32 v20, s4, v20
	s_waitcnt lgkmcnt(0)
	v_readfirstlane_b32 s51, v9
	v_readfirstlane_b32 s50, v8
	s_cmp_lg_u64 s[50:51], 0
	s_cselect_b64 s[50:51], -1, 0
	s_or_b64 s[72:73], vcc, s[50:51]
	s_and_b64 s[72:73], exec, s[72:73]
	s_or_b64 s[20:21], s[72:73], s[20:21]
	s_andn2_b64 s[16:17], s[16:17], exec
	s_and_b64 s[50:51], s[50:51], exec
	s_or_b64 s[16:17], s[16:17], s[50:51]
	s_barrier
	s_andn2_b64 exec, exec, s[20:21]
	s_cbranch_execz .LBB43_171
.LBB43_165:                             ;   Parent Loop BB43_6 Depth=1
                                        ; =>  This Inner Loop Header: Depth=2
	v_cmp_gt_u32_e32 vcc, s52, v30
	v_pk_mov_b32 v[4:5], 0, 0
	s_and_saveexec_b64 s[50:51], vcc
	s_cbranch_execz .LBB43_167
; %bb.166:                              ;   in Loop: Header=BB43_165 Depth=2
	ds_read_b64 v[4:5], v20
.LBB43_167:                             ;   in Loop: Header=BB43_165 Depth=2
	s_or_b64 exec, exec, s[50:51]
	s_and_saveexec_b64 s[50:51], vcc
	s_cbranch_execz .LBB43_164
; %bb.168:                              ;   in Loop: Header=BB43_165 Depth=2
	s_waitcnt lgkmcnt(0)
	v_xor_b32_e32 v3, 0x80000000, v5
	v_and_b32_e32 v9, v3, v15
	v_and_b32_e32 v8, v4, v14
	v_cmp_eq_u64_e32 vcc, v[8:9], v[12:13]
	s_and_b64 exec, exec, vcc
	s_cbranch_execz .LBB43_164
; %bb.169:                              ;   in Loop: Header=BB43_165 Depth=2
	v_mov_b32_e32 v3, v21
	ds_write_b128 v21, v[2:5] offset:3072
	s_branch .LBB43_164
.LBB43_170:                             ;   in Loop: Header=BB43_6 Depth=1
	s_mov_b64 s[50:51], -1
	s_mov_b64 s[20:21], 0
                                        ; implicit-def: $sgpr8_sgpr9
                                        ; implicit-def: $vgpr10_vgpr11
	s_mov_b64 s[52:53], s[50:51]
	s_cbranch_execnz .LBB43_173
	s_branch .LBB43_183
.LBB43_171:                             ;   in Loop: Header=BB43_6 Depth=1
	s_or_b64 exec, exec, s[20:21]
	s_and_b64 s[20:21], s[16:17], exec
.LBB43_172:                             ;   in Loop: Header=BB43_6 Depth=1
	s_or_b64 exec, exec, s[8:9]
	s_mov_b64 s[8:9], -1
	s_mov_b64 s[50:51], 0
	s_mov_b64 s[52:53], s[50:51]
	s_branch .LBB43_183
.LBB43_173:                             ;   in Loop: Header=BB43_6 Depth=1
	s_mov_b64 s[20:21], 0
                                        ; implicit-def: $vgpr10_vgpr11
	s_mov_b64 s[16:17], exec
	v_readlane_b32 s8, v58, 44
	v_readlane_b32 s9, v58, 45
	s_and_b64 s[8:9], s[16:17], s[8:9]
	s_mov_b64 exec, s[8:9]
	s_cbranch_execz .LBB43_182
; %bb.174:                              ;   in Loop: Header=BB43_6 Depth=1
	s_mov_b64 s[50:51], 0
	v_mov_b32_e32 v20, v22
	v_mov_b32_e32 v30, v0
                                        ; implicit-def: $sgpr8_sgpr9
	s_branch .LBB43_176
.LBB43_175:                             ;   in Loop: Header=BB43_176 Depth=2
	s_or_b64 exec, exec, s[20:21]
	s_waitcnt lgkmcnt(0)
	s_barrier
	ds_read_b128 v[8:11], v21 offset:3072
	v_add_u32_e32 v30, s75, v30
	v_cmp_le_u32_e32 vcc, s12, v30
	v_add_u32_e32 v20, s68, v20
	s_waitcnt lgkmcnt(0)
	v_readfirstlane_b32 s21, v9
	v_readfirstlane_b32 s20, v8
	s_cmp_lg_u64 s[20:21], 0
	s_cselect_b64 s[20:21], -1, 0
	s_or_b64 s[52:53], vcc, s[20:21]
	s_and_b64 s[52:53], exec, s[52:53]
	s_or_b64 s[50:51], s[52:53], s[50:51]
	s_andn2_b64 s[8:9], s[8:9], exec
	s_and_b64 s[20:21], s[20:21], exec
	s_or_b64 s[8:9], s[8:9], s[20:21]
	s_barrier
	s_andn2_b64 exec, exec, s[50:51]
	s_cbranch_execz .LBB43_181
.LBB43_176:                             ;   Parent Loop BB43_6 Depth=1
                                        ; =>  This Inner Loop Header: Depth=2
	v_cmp_gt_u32_e32 vcc, s60, v30
	s_waitcnt vmcnt(0)
	v_pk_mov_b32 v[4:5], 0, 0
	s_and_saveexec_b64 s[52:53], vcc
	s_cbranch_execz .LBB43_178
; %bb.177:                              ;   in Loop: Header=BB43_176 Depth=2
	v_lshlrev_b64 v[4:5], 3, v[20:21]
	v_mov_b32_e32 v3, s74
	v_add_co_u32_e64 v4, s[20:21], s33, v4
	v_addc_co_u32_e64 v5, s[20:21], v3, v5, s[20:21]
	global_load_dwordx2 v[4:5], v[4:5], off
.LBB43_178:                             ;   in Loop: Header=BB43_176 Depth=2
	s_or_b64 exec, exec, s[52:53]
	s_and_saveexec_b64 s[20:21], vcc
	s_cbranch_execz .LBB43_175
; %bb.179:                              ;   in Loop: Header=BB43_176 Depth=2
	s_waitcnt vmcnt(0)
	v_xor_b32_e32 v3, 0x80000000, v5
	v_and_b32_e32 v9, v3, v15
	v_and_b32_e32 v8, v4, v14
	v_cmp_eq_u64_e32 vcc, v[8:9], v[12:13]
	s_and_b64 exec, exec, vcc
	s_cbranch_execz .LBB43_175
; %bb.180:                              ;   in Loop: Header=BB43_176 Depth=2
	v_mov_b32_e32 v3, v21
	ds_write_b128 v21, v[2:5] offset:3072
	s_branch .LBB43_175
.LBB43_181:                             ;   in Loop: Header=BB43_6 Depth=1
	s_or_b64 exec, exec, s[50:51]
	s_and_b64 s[20:21], s[8:9], exec
.LBB43_182:                             ;   in Loop: Header=BB43_6 Depth=1
	s_or_b64 exec, exec, s[16:17]
	s_mov_b64 s[52:53], -1
	s_mov_b64 s[50:51], 0
	s_mov_b64 s[8:9], 0
.LBB43_183:                             ;   in Loop: Header=BB43_6 Depth=1
	s_orn2_b64 s[16:17], s[20:21], exec
	s_mov_b64 vcc, s[8:9]
.LBB43_184:                             ;   in Loop: Header=BB43_6 Depth=1
	s_or_b64 exec, exec, s[56:57]
	s_mov_b64 s[8:9], 0
                                        ; implicit-def: $vgpr3
	s_and_saveexec_b64 s[56:57], s[16:17]
	s_cbranch_execz .LBB43_237
; %bb.185:                              ;   in Loop: Header=BB43_6 Depth=1
	s_xor_b64 s[8:9], s[58:59], -1
	s_mov_b64 s[72:73], 0
	v_mov_b32_e32 v30, 1
	v_mov_b32_e32 v3, 1
	s_and_saveexec_b64 s[16:17], s[8:9]
	s_cbranch_execz .LBB43_195
; %bb.186:                              ;   in Loop: Header=BB43_6 Depth=1
	s_mov_b64 s[76:77], vcc
	v_cmp_ge_u32_e32 vcc, s62, v31
                                        ; implicit-def: $sgpr58
                                        ; implicit-def: $sgpr8_sgpr9
	s_and_saveexec_b64 s[20:21], vcc
	s_xor_b64 s[20:21], exec, s[20:21]
	s_cbranch_execz .LBB43_192
; %bb.187:                              ;   in Loop: Header=BB43_6 Depth=1
	ds_read_b32 v3, v21 offset:4096
	s_waitcnt lgkmcnt(0)
	v_cmp_ne_u32_e32 vcc, 0, v3
	s_cbranch_vccnz .LBB43_191
; %bb.188:                              ;   in Loop: Header=BB43_6 Depth=1
	s_mov_b64 s[8:9], exec
	v_readlane_b32 s58, v58, 4
	v_readlane_b32 s59, v58, 5
	s_and_b64 s[58:59], s[8:9], s[58:59]
	s_mov_b64 exec, s[58:59]
	s_cbranch_execz .LBB43_190
; %bb.189:                              ;   in Loop: Header=BB43_6 Depth=1
	v_mov_b32_e32 v3, s62
	ds_write_b32 v21, v3 offset:4100
.LBB43_190:                             ;   in Loop: Header=BB43_6 Depth=1
	s_or_b64 exec, exec, s[8:9]
	s_waitcnt lgkmcnt(0)
	s_barrier
.LBB43_191:                             ;   in Loop: Header=BB43_6 Depth=1
	s_lshl_b64 s[8:9], 2, s55
	v_and_b32_e32 v3, s25, v13
	s_waitcnt vmcnt(0)
	v_and_b32_e32 v4, s24, v12
	v_or_b32_e32 v13, s9, v3
	v_or_b32_e32 v12, s8, v4
	;; [unrolled: 1-line block ×4, first 2 shown]
	s_mov_b64 s[8:9], 0
	s_mov_b32 s58, 8
.LBB43_192:                             ;   in Loop: Header=BB43_6 Depth=1
	s_or_saveexec_b64 s[20:21], s[20:21]
	v_mov_b32_e32 v3, s58
	s_xor_b64 exec, exec, s[20:21]
; %bb.193:                              ;   in Loop: Header=BB43_6 Depth=1
	v_subrev_u32_e32 v31, s62, v31
	v_mov_b32_e32 v3, 0
	s_or_b64 s[8:9], s[8:9], exec
; %bb.194:                              ;   in Loop: Header=BB43_6 Depth=1
	s_or_b64 exec, exec, s[20:21]
	s_and_b64 s[72:73], s[8:9], exec
	v_mov_b32_e32 v30, v31
	s_mov_b64 vcc, s[76:77]
.LBB43_195:                             ;   in Loop: Header=BB43_6 Depth=1
	s_or_b64 exec, exec, s[16:17]
	s_mov_b64 s[8:9], -1
                                        ; implicit-def: $sgpr16_sgpr17
                                        ; implicit-def: $sgpr76_sgpr77
                                        ; implicit-def: $sgpr20_sgpr21
	s_and_saveexec_b64 s[58:59], s[72:73]
	s_cbranch_execz .LBB43_236
; %bb.196:                              ;   in Loop: Header=BB43_6 Depth=1
	v_writelane_b32 v58, vcc_lo, 51
	s_cmp_eq_u32 s63, 1
	v_writelane_b32 v58, vcc_hi, 52
	s_cselect_b64 s[8:9], -1, 0
	v_cmp_eq_u32_e32 vcc, 1, v30
	s_and_b64 s[72:73], s[8:9], vcc
	s_mov_b64 s[8:9], -1
                                        ; implicit-def: $sgpr16_sgpr17
                                        ; implicit-def: $sgpr76_sgpr77
                                        ; implicit-def: $sgpr20_sgpr21
	s_mov_b64 s[78:79], exec
	v_writelane_b32 v58, s72, 53
	v_writelane_b32 v58, s73, 54
	s_and_b64 s[72:73], s[78:79], s[72:73]
	s_mov_b64 exec, s[72:73]
	s_cbranch_execz .LBB43_223
; %bb.197:                              ;   in Loop: Header=BB43_6 Depth=1
	ds_read_b32 v3, v21 offset:4096
	s_waitcnt lgkmcnt(0)
	s_barrier
	v_readfirstlane_b32 s76, v3
	s_mov_b64 s[8:9], exec
	v_readlane_b32 s16, v58, 28
	v_readlane_b32 s17, v58, 29
	s_and_b64 s[16:17], s[8:9], s[16:17]
	s_mov_b64 exec, s[16:17]
	s_cbranch_execz .LBB43_199
; %bb.198:                              ;   in Loop: Header=BB43_6 Depth=1
	v_mov_b32_e32 v20, v21
	ds_write_b64 v37, v[20:21]
.LBB43_199:                             ;   in Loop: Header=BB43_6 Depth=1
	s_or_b64 exec, exec, s[8:9]
	v_or_b32_e32 v13, s23, v13
	v_or_b32_e32 v12, s22, v12
	;; [unrolled: 1-line block ×4, first 2 shown]
	s_cmp_eq_u32 s76, 0
	s_waitcnt lgkmcnt(0)
	s_barrier
	s_cbranch_scc1 .LBB43_208
; %bb.200:                              ;   in Loop: Header=BB43_6 Depth=1
	v_readlane_b32 s8, v58, 21
	s_add_i32 s8, s76, s8
	v_readlane_b32 s9, v58, 43
	s_mul_hi_u32 s9, s8, s9
	s_mul_i32 s9, s9, s75
	s_sub_i32 s9, s8, s9
	s_sub_i32 s16, s9, s75
	s_cmp_ge_u32 s9, s75
	s_cselect_b32 s9, s16, s9
	s_sub_i32 s16, s9, s75
	s_cmp_ge_u32 s9, s75
	s_cselect_b32 s9, s16, s9
	s_sub_i32 s77, s8, s9
	s_mov_b64 s[72:73], 0
	v_cmp_gt_u32_e32 vcc, s77, v0
                                        ; implicit-def: $vgpr10_vgpr11
	s_mov_b64 s[8:9], exec
	v_writelane_b32 v58, s8, 55
	s_and_b64 s[16:17], s[8:9], vcc
	v_writelane_b32 v58, s9, 56
	s_mov_b64 exec, s[16:17]
	s_cbranch_execz .LBB43_210
; %bb.201:                              ;   in Loop: Header=BB43_6 Depth=1
	s_mov_b64 s[20:21], 0
	v_mov_b32_e32 v20, v36
	v_mov_b32_e32 v31, v0
                                        ; implicit-def: $sgpr16_sgpr17
	s_branch .LBB43_203
.LBB43_202:                             ;   in Loop: Header=BB43_203 Depth=2
	s_or_b64 exec, exec, s[72:73]
	s_waitcnt lgkmcnt(0)
	s_barrier
	ds_read_b128 v[8:11], v21 offset:3072
	v_add_u32_e32 v31, s75, v31
	v_cmp_le_u32_e32 vcc, s77, v31
	v_add_u32_e32 v20, s4, v20
	s_waitcnt lgkmcnt(0)
	v_readfirstlane_b32 s9, v9
	v_readfirstlane_b32 s8, v8
	s_cmp_lg_u64 s[8:9], 0
	s_cselect_b64 s[8:9], -1, 0
	s_or_b64 s[72:73], vcc, s[8:9]
	s_and_b64 s[72:73], exec, s[72:73]
	s_or_b64 s[20:21], s[72:73], s[20:21]
	s_andn2_b64 s[16:17], s[16:17], exec
	s_and_b64 s[8:9], s[8:9], exec
	s_or_b64 s[16:17], s[16:17], s[8:9]
	s_barrier
	s_andn2_b64 exec, exec, s[20:21]
	s_cbranch_execz .LBB43_209
.LBB43_203:                             ;   Parent Loop BB43_6 Depth=1
                                        ; =>  This Inner Loop Header: Depth=2
	v_cmp_gt_u32_e32 vcc, s76, v31
	s_waitcnt vmcnt(0)
	v_pk_mov_b32 v[4:5], 0, 0
	s_and_saveexec_b64 s[72:73], vcc
	s_cbranch_execz .LBB43_205
; %bb.204:                              ;   in Loop: Header=BB43_203 Depth=2
	ds_read_b64 v[4:5], v20
.LBB43_205:                             ;   in Loop: Header=BB43_203 Depth=2
	s_or_b64 exec, exec, s[72:73]
	s_and_saveexec_b64 s[72:73], vcc
	s_cbranch_execz .LBB43_202
; %bb.206:                              ;   in Loop: Header=BB43_203 Depth=2
	s_waitcnt lgkmcnt(0)
	v_xor_b32_e32 v3, 0x80000000, v5
	v_and_b32_e32 v9, v3, v15
	v_and_b32_e32 v8, v4, v14
	v_cmp_eq_u64_e32 vcc, v[8:9], v[12:13]
	s_and_b64 exec, exec, vcc
	s_cbranch_execz .LBB43_202
; %bb.207:                              ;   in Loop: Header=BB43_203 Depth=2
	v_mov_b32_e32 v3, v21
	ds_write_b128 v21, v[2:5] offset:3072
	s_branch .LBB43_202
.LBB43_208:                             ;   in Loop: Header=BB43_6 Depth=1
	s_mov_b64 s[16:17], -1
	s_mov_b64 s[72:73], 0
                                        ; implicit-def: $sgpr20_sgpr21
                                        ; implicit-def: $vgpr10_vgpr11
	s_branch .LBB43_211
.LBB43_209:                             ;   in Loop: Header=BB43_6 Depth=1
	s_or_b64 exec, exec, s[20:21]
	s_and_b64 s[72:73], s[16:17], exec
.LBB43_210:                             ;   in Loop: Header=BB43_6 Depth=1
	v_readlane_b32 s8, v58, 55
	v_readlane_b32 s9, v58, 56
	s_or_b64 exec, exec, s[8:9]
	s_mov_b64 s[20:21], -1
	s_mov_b64 s[16:17], 0
.LBB43_211:                             ;   in Loop: Header=BB43_6 Depth=1
	s_and_b64 vcc, exec, s[16:17]
	s_mov_b64 s[76:77], s[16:17]
	s_cbranch_vccz .LBB43_222
; %bb.212:                              ;   in Loop: Header=BB43_6 Depth=1
	s_mov_b64 s[72:73], 0
                                        ; implicit-def: $vgpr10_vgpr11
	s_mov_b64 s[16:17], exec
	v_readlane_b32 s8, v58, 44
	v_readlane_b32 s9, v58, 45
	s_and_b64 s[8:9], s[16:17], s[8:9]
	s_mov_b64 exec, s[8:9]
	s_cbranch_execz .LBB43_221
; %bb.213:                              ;   in Loop: Header=BB43_6 Depth=1
	v_mov_b32_e32 v20, v22
	v_mov_b32_e32 v31, v0
                                        ; implicit-def: $sgpr8_sgpr9
	s_branch .LBB43_215
.LBB43_214:                             ;   in Loop: Header=BB43_215 Depth=2
	s_or_b64 exec, exec, s[20:21]
	s_waitcnt lgkmcnt(0)
	s_barrier
	ds_read_b128 v[8:11], v21 offset:3072
	v_add_u32_e32 v31, s75, v31
	v_cmp_le_u32_e32 vcc, s12, v31
	v_add_u32_e32 v20, s68, v20
	s_waitcnt lgkmcnt(0)
	v_readfirstlane_b32 s21, v9
	v_readfirstlane_b32 s20, v8
	s_cmp_lg_u64 s[20:21], 0
	s_cselect_b64 s[20:21], -1, 0
	s_or_b64 s[76:77], vcc, s[20:21]
	s_and_b64 s[76:77], exec, s[76:77]
	s_or_b64 s[72:73], s[76:77], s[72:73]
	s_andn2_b64 s[8:9], s[8:9], exec
	s_and_b64 s[20:21], s[20:21], exec
	s_or_b64 s[8:9], s[8:9], s[20:21]
	s_barrier
	s_andn2_b64 exec, exec, s[72:73]
	s_cbranch_execz .LBB43_220
.LBB43_215:                             ;   Parent Loop BB43_6 Depth=1
                                        ; =>  This Inner Loop Header: Depth=2
	v_cmp_gt_u32_e32 vcc, s60, v31
	s_waitcnt vmcnt(0)
	v_pk_mov_b32 v[4:5], 0, 0
	s_and_saveexec_b64 s[76:77], vcc
	s_cbranch_execz .LBB43_217
; %bb.216:                              ;   in Loop: Header=BB43_215 Depth=2
	v_lshlrev_b64 v[4:5], 3, v[20:21]
	v_mov_b32_e32 v3, s74
	v_add_co_u32_e64 v4, s[20:21], s33, v4
	v_addc_co_u32_e64 v5, s[20:21], v3, v5, s[20:21]
	global_load_dwordx2 v[4:5], v[4:5], off
.LBB43_217:                             ;   in Loop: Header=BB43_215 Depth=2
	s_or_b64 exec, exec, s[76:77]
	s_and_saveexec_b64 s[20:21], vcc
	s_cbranch_execz .LBB43_214
; %bb.218:                              ;   in Loop: Header=BB43_215 Depth=2
	s_waitcnt vmcnt(0)
	v_xor_b32_e32 v3, 0x80000000, v5
	v_and_b32_e32 v9, v3, v15
	v_and_b32_e32 v8, v4, v14
	v_cmp_eq_u64_e32 vcc, v[8:9], v[12:13]
	s_and_b64 exec, exec, vcc
	s_cbranch_execz .LBB43_214
; %bb.219:                              ;   in Loop: Header=BB43_215 Depth=2
	v_mov_b32_e32 v3, v21
	ds_write_b128 v21, v[2:5] offset:3072
	s_branch .LBB43_214
.LBB43_220:                             ;   in Loop: Header=BB43_6 Depth=1
	s_or_b64 exec, exec, s[72:73]
	s_and_b64 s[72:73], s[8:9], exec
.LBB43_221:                             ;   in Loop: Header=BB43_6 Depth=1
	s_or_b64 exec, exec, s[16:17]
	s_mov_b64 s[76:77], -1
	s_mov_b64 s[16:17], 0
	s_mov_b64 s[20:21], 0
.LBB43_222:                             ;   in Loop: Header=BB43_6 Depth=1
	s_orn2_b64 s[8:9], s[72:73], exec
.LBB43_223:                             ;   in Loop: Header=BB43_6 Depth=1
	s_or_b64 exec, exec, s[78:79]
	s_mov_b64 s[72:73], 0
                                        ; implicit-def: $vgpr3
                                        ; implicit-def: $vgpr4
	s_and_saveexec_b64 s[78:79], s[8:9]
	v_readlane_b32 vcc_lo, v58, 51
	v_readlane_b32 vcc_hi, v58, 52
	s_cbranch_execz .LBB43_235
; %bb.224:                              ;   in Loop: Header=BB43_6 Depth=1
	v_readlane_b32 s8, v58, 53
	v_readlane_b32 s9, v58, 54
	s_xor_b64 s[72:73], s[8:9], -1
	v_mov_b32_e32 v3, 1
	s_waitcnt vmcnt(0)
	v_mov_b32_e32 v4, 1
	s_and_saveexec_b64 s[8:9], s[72:73]
	s_cbranch_execz .LBB43_234
; %bb.225:                              ;   in Loop: Header=BB43_6 Depth=1
	v_cmp_ge_u32_e32 vcc, s63, v30
                                        ; implicit-def: $sgpr72
                                        ; kill: killed $sgpr72
	s_and_saveexec_b64 s[72:73], vcc
	s_xor_b64 s[72:73], exec, s[72:73]
	s_cbranch_execz .LBB43_231
; %bb.226:                              ;   in Loop: Header=BB43_6 Depth=1
	ds_read_b32 v3, v21 offset:4096
	s_waitcnt lgkmcnt(0)
	v_cmp_ne_u32_e32 vcc, 0, v3
	s_cbranch_vccnz .LBB43_230
; %bb.227:                              ;   in Loop: Header=BB43_6 Depth=1
	v_writelane_b32 v58, s72, 57
	v_writelane_b32 v58, s73, 58
	s_mov_b64 s[72:73], exec
	v_writelane_b32 v58, s72, 59
	v_writelane_b32 v58, s73, 60
	v_readlane_b32 vcc_lo, v58, 4
	v_readlane_b32 s72, v58, 59
	v_readlane_b32 vcc_hi, v58, 5
	v_readlane_b32 s73, v58, 60
	s_and_b64 vcc, s[72:73], vcc
	s_mov_b64 exec, vcc
	s_cbranch_execz .LBB43_229
; %bb.228:                              ;   in Loop: Header=BB43_6 Depth=1
	v_mov_b32_e32 v3, s63
	ds_write_b32 v21, v3 offset:4100
.LBB43_229:                             ;   in Loop: Header=BB43_6 Depth=1
	v_readlane_b32 vcc_lo, v58, 59
	v_readlane_b32 vcc_hi, v58, 60
	s_or_b64 exec, exec, vcc
	v_readlane_b32 s72, v58, 57
	v_readlane_b32 s73, v58, 58
	s_waitcnt lgkmcnt(0)
	s_barrier
.LBB43_230:                             ;   in Loop: Header=BB43_6 Depth=1
	v_or_b32_e32 v13, s23, v13
	v_or_b32_e32 v12, s22, v12
	;; [unrolled: 1-line block ×4, first 2 shown]
	s_mov_b32 vcc_lo, 8
	v_writelane_b32 v58, vcc_lo, 61
.LBB43_231:                             ;   in Loop: Header=BB43_6 Depth=1
	s_or_saveexec_b64 s[72:73], s[72:73]
	v_readlane_b32 vcc_lo, v58, 61
	v_mov_b32_e32 v3, vcc_lo
	s_xor_b64 exec, exec, s[72:73]
; %bb.232:                              ;   in Loop: Header=BB43_6 Depth=1
	v_subrev_u32_e32 v30, s63, v30
	v_mov_b32_e32 v3, 8
; %bb.233:                              ;   in Loop: Header=BB43_6 Depth=1
	s_or_b64 exec, exec, s[72:73]
	v_readlane_b32 vcc_lo, v58, 51
	v_mov_b32_e32 v4, v30
	v_readlane_b32 vcc_hi, v58, 52
.LBB43_234:                             ;   in Loop: Header=BB43_6 Depth=1
	s_or_b64 exec, exec, s[8:9]
	s_mov_b64 s[72:73], exec
.LBB43_235:                             ;   in Loop: Header=BB43_6 Depth=1
	s_or_b64 exec, exec, s[78:79]
	s_orn2_b64 s[8:9], s[72:73], exec
	s_waitcnt vmcnt(0)
	v_mov_b32_e32 v30, v4
.LBB43_236:                             ;   in Loop: Header=BB43_6 Depth=1
	s_or_b64 exec, exec, s[58:59]
	s_andn2_b64 s[50:51], s[50:51], exec
	s_and_b64 s[16:17], s[16:17], exec
	s_or_b64 s[50:51], s[50:51], s[16:17]
	s_andn2_b64 s[16:17], s[52:53], exec
	s_and_b64 s[52:53], s[76:77], exec
	s_or_b64 s[52:53], s[16:17], s[52:53]
	s_andn2_b64 s[16:17], vcc, exec
	s_and_b64 s[20:21], s[20:21], exec
	s_or_b64 vcc, s[16:17], s[20:21]
	s_and_b64 s[8:9], s[8:9], exec
	v_mov_b32_e32 v31, v30
.LBB43_237:                             ;   in Loop: Header=BB43_6 Depth=1
	s_or_b64 exec, exec, s[56:57]
	s_and_b64 s[50:51], s[50:51], exec
	s_and_b64 s[20:21], s[52:53], exec
	s_and_b64 s[16:17], vcc, exec
	s_orn2_b64 s[8:9], s[8:9], exec
.LBB43_238:                             ;   in Loop: Header=BB43_6 Depth=1
	s_or_b64 exec, exec, s[48:49]
	s_andn2_b64 s[44:45], s[44:45], exec
	s_and_b64 s[20:21], s[20:21], exec
	s_andn2_b64 s[40:41], s[40:41], exec
	s_and_b64 s[48:49], s[50:51], exec
	s_or_b64 s[44:45], s[44:45], s[20:21]
	s_andn2_b64 s[20:21], s[42:43], exec
	s_and_b64 s[16:17], s[16:17], exec
	s_or_b64 s[40:41], s[40:41], s[48:49]
	s_or_b64 s[42:43], s[20:21], s[16:17]
	s_and_b64 s[8:9], s[8:9], exec
	v_mov_b32_e32 v30, v31
.LBB43_239:                             ;   in Loop: Header=BB43_6 Depth=1
	s_or_b64 exec, exec, s[46:47]
	s_and_b64 s[46:47], s[40:41], exec
	s_and_b64 s[40:41], s[44:45], exec
	;; [unrolled: 1-line block ×3, first 2 shown]
	s_orn2_b64 s[42:43], s[8:9], exec
.LBB43_240:                             ;   in Loop: Header=BB43_6 Depth=1
	s_or_b64 exec, exec, s[28:29]
	s_mov_b64 s[8:9], 0
	s_mov_b64 s[20:21], 0
	s_and_saveexec_b64 s[28:29], s[42:43]
	s_xor_b64 s[28:29], exec, s[28:29]
; %bb.241:                              ;   in Loop: Header=BB43_6 Depth=1
	v_cmp_eq_u32_e32 vcc, 8, v3
	v_cmp_ne_u32_e64 s[20:21], 8, v3
	s_andn2_b64 s[46:47], s[46:47], exec
	s_andn2_b64 s[40:41], s[40:41], exec
	;; [unrolled: 1-line block ×3, first 2 shown]
	s_and_b64 s[20:21], s[20:21], exec
	s_and_b64 s[8:9], vcc, exec
; %bb.242:                              ;   in Loop: Header=BB43_6 Depth=1
	s_or_b64 exec, exec, s[28:29]
	s_andn2_b64 s[26:27], s[26:27], exec
	s_and_b64 s[28:29], s[46:47], exec
	s_or_b64 s[26:27], s[26:27], s[28:29]
	s_andn2_b64 s[28:29], s[34:35], exec
	s_and_b64 s[34:35], s[40:41], exec
	s_or_b64 s[34:35], s[28:29], s[34:35]
	;; [unrolled: 3-line block ×3, first 2 shown]
	s_and_b64 s[20:21], s[20:21], exec
	s_and_b64 s[28:29], s[8:9], exec
.LBB43_243:                             ;   in Loop: Header=BB43_6 Depth=1
	s_or_b64 exec, exec, s[38:39]
	s_and_b64 vcc, exec, s[36:37]
	s_cbranch_vccz .LBB43_93
.LBB43_244:                             ;   in Loop: Header=BB43_6 Depth=1
	s_cmp_eq_u32 s63, 1
	s_cselect_b64 s[8:9], -1, 0
	s_and_b64 s[34:35], s[8:9], s[18:19]
	s_mov_b64 s[8:9], -1
                                        ; implicit-def: $sgpr36_sgpr37
                                        ; implicit-def: $sgpr38_sgpr39
                                        ; implicit-def: $sgpr26_sgpr27
	s_and_saveexec_b64 s[30:31], s[34:35]
	s_cbranch_execz .LBB43_270
; %bb.245:                              ;   in Loop: Header=BB43_6 Depth=1
	ds_read_b32 v3, v21 offset:4096
	s_waitcnt lgkmcnt(0)
	s_barrier
	v_readfirstlane_b32 s36, v3
	s_mov_b64 s[8:9], exec
	v_readlane_b32 s16, v58, 28
	v_readlane_b32 s17, v58, 29
	s_and_b64 s[16:17], s[8:9], s[16:17]
	s_mov_b64 exec, s[16:17]
	s_cbranch_execz .LBB43_247
; %bb.246:                              ;   in Loop: Header=BB43_6 Depth=1
	v_mov_b32_e32 v20, v21
	ds_write_b64 v37, v[20:21]
.LBB43_247:                             ;   in Loop: Header=BB43_6 Depth=1
	s_or_b64 exec, exec, s[8:9]
	v_or_b32_e32 v29, s23, v29
	v_or_b32_e32 v28, s22, v28
	;; [unrolled: 1-line block ×4, first 2 shown]
	s_cmp_eq_u32 s36, 0
	s_waitcnt lgkmcnt(0)
	s_barrier
	s_cbranch_scc1 .LBB43_256
; %bb.248:                              ;   in Loop: Header=BB43_6 Depth=1
	v_readlane_b32 s8, v58, 21
	s_add_i32 s8, s36, s8
	v_readlane_b32 s9, v58, 43
	s_mul_hi_u32 s9, s8, s9
	s_mul_i32 s9, s9, s75
	s_sub_i32 s9, s8, s9
	s_sub_i32 s16, s9, s75
	s_cmp_ge_u32 s9, s75
	s_cselect_b32 s9, s16, s9
	s_sub_i32 s16, s9, s75
	s_cmp_ge_u32 s9, s75
	s_cselect_b32 s9, s16, s9
	s_sub_i32 s37, s8, s9
	v_cmp_gt_u32_e32 vcc, s37, v0
	s_mov_b64 s[18:19], 0
                                        ; implicit-def: $vgpr6_vgpr7
	s_and_saveexec_b64 s[8:9], vcc
	s_cbranch_execz .LBB43_258
; %bb.249:                              ;   in Loop: Header=BB43_6 Depth=1
	v_mov_b32_e32 v8, v36
	v_mov_b32_e32 v9, v0
                                        ; implicit-def: $sgpr16_sgpr17
	s_branch .LBB43_251
.LBB43_250:                             ;   in Loop: Header=BB43_251 Depth=2
	s_or_b64 exec, exec, s[26:27]
	s_waitcnt lgkmcnt(0)
	s_barrier
	ds_read_b128 v[4:7], v21 offset:3072
	v_add_u32_e32 v9, s75, v9
	v_cmp_le_u32_e32 vcc, s37, v9
	v_add_u32_e32 v8, s4, v8
	s_waitcnt lgkmcnt(0)
	v_readfirstlane_b32 s27, v5
	v_readfirstlane_b32 s26, v4
	s_cmp_lg_u64 s[26:27], 0
	s_cselect_b64 s[26:27], -1, 0
	s_or_b64 s[38:39], vcc, s[26:27]
	s_and_b64 s[38:39], exec, s[38:39]
	s_or_b64 s[18:19], s[38:39], s[18:19]
	s_andn2_b64 s[16:17], s[16:17], exec
	s_and_b64 s[26:27], s[26:27], exec
	s_or_b64 s[16:17], s[16:17], s[26:27]
	s_barrier
	s_andn2_b64 exec, exec, s[18:19]
	s_cbranch_execz .LBB43_257
.LBB43_251:                             ;   Parent Loop BB43_6 Depth=1
                                        ; =>  This Inner Loop Header: Depth=2
	v_cmp_gt_u32_e32 vcc, s36, v9
	s_waitcnt vmcnt(0)
	v_pk_mov_b32 v[4:5], 0, 0
	s_and_saveexec_b64 s[26:27], vcc
	s_cbranch_execz .LBB43_253
; %bb.252:                              ;   in Loop: Header=BB43_251 Depth=2
	ds_read_b64 v[4:5], v8
.LBB43_253:                             ;   in Loop: Header=BB43_251 Depth=2
	s_or_b64 exec, exec, s[26:27]
	s_and_saveexec_b64 s[26:27], vcc
	s_cbranch_execz .LBB43_250
; %bb.254:                              ;   in Loop: Header=BB43_251 Depth=2
	s_waitcnt lgkmcnt(0)
	v_xor_b32_e32 v3, 0x80000000, v5
	v_and_b32_e32 v7, v3, v27
	v_and_b32_e32 v6, v4, v26
	v_cmp_eq_u64_e32 vcc, v[6:7], v[28:29]
	s_and_b64 exec, exec, vcc
	s_cbranch_execz .LBB43_250
; %bb.255:                              ;   in Loop: Header=BB43_251 Depth=2
	v_mov_b32_e32 v3, v21
	ds_write_b128 v21, v[2:5] offset:3072
	s_branch .LBB43_250
.LBB43_256:                             ;   in Loop: Header=BB43_6 Depth=1
	s_mov_b64 s[36:37], -1
	s_mov_b64 s[18:19], 0
                                        ; implicit-def: $sgpr38_sgpr39
                                        ; implicit-def: $vgpr6_vgpr7
	s_mov_b64 s[26:27], s[36:37]
	s_cbranch_execnz .LBB43_259
	s_branch .LBB43_269
.LBB43_257:                             ;   in Loop: Header=BB43_6 Depth=1
	s_or_b64 exec, exec, s[18:19]
	s_and_b64 s[18:19], s[16:17], exec
.LBB43_258:                             ;   in Loop: Header=BB43_6 Depth=1
	s_or_b64 exec, exec, s[8:9]
	s_mov_b64 s[36:37], 0
	s_mov_b64 s[38:39], -1
	s_mov_b64 s[26:27], s[36:37]
	s_branch .LBB43_269
.LBB43_259:                             ;   in Loop: Header=BB43_6 Depth=1
	s_mov_b64 s[18:19], 0
                                        ; implicit-def: $vgpr6_vgpr7
	s_mov_b64 s[16:17], exec
	v_readlane_b32 s8, v58, 44
	v_readlane_b32 s9, v58, 45
	s_and_b64 s[8:9], s[16:17], s[8:9]
	s_mov_b64 exec, s[8:9]
	s_cbranch_execz .LBB43_268
; %bb.260:                              ;   in Loop: Header=BB43_6 Depth=1
	s_mov_b64 s[26:27], 0
	v_mov_b32_e32 v20, v22
	v_mov_b32_e32 v8, v0
                                        ; implicit-def: $sgpr8_sgpr9
	s_branch .LBB43_262
.LBB43_261:                             ;   in Loop: Header=BB43_262 Depth=2
	s_or_b64 exec, exec, s[18:19]
	s_waitcnt lgkmcnt(0)
	s_barrier
	s_waitcnt vmcnt(0)
	ds_read_b128 v[4:7], v21 offset:3072
	v_add_u32_e32 v8, s75, v8
	v_cmp_le_u32_e32 vcc, s12, v8
	v_add_u32_e32 v20, s68, v20
	s_waitcnt lgkmcnt(0)
	v_readfirstlane_b32 s19, v5
	v_readfirstlane_b32 s18, v4
	s_cmp_lg_u64 s[18:19], 0
	s_cselect_b64 s[18:19], -1, 0
	s_or_b64 s[36:37], vcc, s[18:19]
	s_and_b64 s[36:37], exec, s[36:37]
	s_or_b64 s[26:27], s[36:37], s[26:27]
	s_andn2_b64 s[8:9], s[8:9], exec
	s_and_b64 s[18:19], s[18:19], exec
	s_or_b64 s[8:9], s[8:9], s[18:19]
	s_barrier
	s_andn2_b64 exec, exec, s[26:27]
	s_cbranch_execz .LBB43_267
.LBB43_262:                             ;   Parent Loop BB43_6 Depth=1
                                        ; =>  This Inner Loop Header: Depth=2
	v_cmp_gt_u32_e32 vcc, s60, v8
	s_waitcnt vmcnt(0)
	v_pk_mov_b32 v[4:5], 0, 0
	s_and_saveexec_b64 s[36:37], vcc
	s_cbranch_execz .LBB43_264
; %bb.263:                              ;   in Loop: Header=BB43_262 Depth=2
	v_lshlrev_b64 v[4:5], 3, v[20:21]
	v_mov_b32_e32 v3, s74
	v_add_co_u32_e64 v4, s[18:19], s33, v4
	v_addc_co_u32_e64 v5, s[18:19], v3, v5, s[18:19]
	global_load_dwordx2 v[4:5], v[4:5], off
.LBB43_264:                             ;   in Loop: Header=BB43_262 Depth=2
	s_or_b64 exec, exec, s[36:37]
	s_and_saveexec_b64 s[18:19], vcc
	s_cbranch_execz .LBB43_261
; %bb.265:                              ;   in Loop: Header=BB43_262 Depth=2
	s_waitcnt vmcnt(0)
	v_xor_b32_e32 v3, 0x80000000, v5
	v_and_b32_e32 v7, v3, v27
	v_and_b32_e32 v6, v4, v26
	v_cmp_eq_u64_e32 vcc, v[6:7], v[28:29]
	s_and_b64 exec, exec, vcc
	s_cbranch_execz .LBB43_261
; %bb.266:                              ;   in Loop: Header=BB43_262 Depth=2
	v_mov_b32_e32 v3, v21
	ds_write_b128 v21, v[2:5] offset:3072
	s_branch .LBB43_261
.LBB43_267:                             ;   in Loop: Header=BB43_6 Depth=1
	s_or_b64 exec, exec, s[26:27]
	s_and_b64 s[18:19], s[8:9], exec
.LBB43_268:                             ;   in Loop: Header=BB43_6 Depth=1
	s_or_b64 exec, exec, s[16:17]
	s_mov_b64 s[38:39], 0
	s_mov_b64 s[36:37], -1
	s_mov_b64 s[26:27], 0
.LBB43_269:                             ;   in Loop: Header=BB43_6 Depth=1
	s_orn2_b64 s[8:9], s[18:19], exec
.LBB43_270:                             ;   in Loop: Header=BB43_6 Depth=1
	s_or_b64 exec, exec, s[30:31]
                                        ; implicit-def: $vgpr3
                                        ; implicit-def: $vgpr30
                                        ; implicit-def: $vgpr12_vgpr13
                                        ; implicit-def: $vgpr14_vgpr15
                                        ; implicit-def: $vgpr10_vgpr11
	s_and_saveexec_b64 s[30:31], s[8:9]
	s_cbranch_execz .LBB43_405
; %bb.271:                              ;   in Loop: Header=BB43_6 Depth=1
	s_xor_b64 s[18:19], s[34:35], -1
	s_mov_b64 s[8:9], 0
	v_mov_b32_e32 v30, 1
	v_mov_b32_e32 v3, 1
	s_and_saveexec_b64 s[16:17], s[18:19]
	s_cbranch_execz .LBB43_281
; %bb.272:                              ;   in Loop: Header=BB43_6 Depth=1
	v_cmp_ge_u32_e32 vcc, s63, v47
                                        ; implicit-def: $sgpr34
                                        ; implicit-def: $sgpr8_sgpr9
	s_and_saveexec_b64 s[18:19], vcc
	s_xor_b64 s[18:19], exec, s[18:19]
	s_cbranch_execz .LBB43_278
; %bb.273:                              ;   in Loop: Header=BB43_6 Depth=1
	ds_read_b32 v3, v21 offset:4096
	s_waitcnt lgkmcnt(0)
	v_cmp_ne_u32_e32 vcc, 0, v3
	s_cbranch_vccnz .LBB43_277
; %bb.274:                              ;   in Loop: Header=BB43_6 Depth=1
	s_mov_b64 s[8:9], exec
	v_readlane_b32 s34, v58, 4
	v_readlane_b32 s35, v58, 5
	s_and_b64 s[34:35], s[8:9], s[34:35]
	s_mov_b64 exec, s[34:35]
	s_cbranch_execz .LBB43_276
; %bb.275:                              ;   in Loop: Header=BB43_6 Depth=1
	v_mov_b32_e32 v3, s63
	ds_write_b32 v21, v3 offset:4100
.LBB43_276:                             ;   in Loop: Header=BB43_6 Depth=1
	s_or_b64 exec, exec, s[8:9]
	s_waitcnt lgkmcnt(0)
	s_barrier
.LBB43_277:                             ;   in Loop: Header=BB43_6 Depth=1
	v_or_b32_e32 v29, s23, v29
	v_or_b32_e32 v28, s22, v28
	v_or_b32_e32 v27, s23, v27
	v_or_b32_e32 v26, s22, v26
	s_mov_b64 s[8:9], 0
	s_mov_b32 s34, 5
.LBB43_278:                             ;   in Loop: Header=BB43_6 Depth=1
	s_or_saveexec_b64 s[18:19], s[18:19]
	v_mov_b32_e32 v3, s34
	s_xor_b64 exec, exec, s[18:19]
; %bb.279:                              ;   in Loop: Header=BB43_6 Depth=1
	v_subrev_u32_e32 v47, s63, v47
	v_mov_b32_e32 v3, 0
	s_or_b64 s[8:9], s[8:9], exec
; %bb.280:                              ;   in Loop: Header=BB43_6 Depth=1
	s_or_b64 exec, exec, s[18:19]
	s_and_b64 s[8:9], s[8:9], exec
	v_mov_b32_e32 v30, v47
.LBB43_281:                             ;   in Loop: Header=BB43_6 Depth=1
	s_or_b64 exec, exec, s[16:17]
	s_mov_b64 s[42:43], -1
                                        ; implicit-def: $sgpr16_sgpr17
                                        ; implicit-def: $sgpr40_sgpr41
                                        ; implicit-def: $sgpr46_sgpr47
	s_and_saveexec_b64 s[18:19], s[8:9]
	s_xor_b64 s[34:35], exec, s[18:19]
	s_cbranch_execz .LBB43_402
; %bb.282:                              ;   in Loop: Header=BB43_6 Depth=1
	s_cmp_eq_u32 s62, 1
	s_cselect_b64 s[8:9], -1, 0
	v_cmp_eq_u32_e32 vcc, 1, v30
	s_and_b64 s[48:49], s[8:9], vcc
	s_mov_b64 s[16:17], -1
                                        ; implicit-def: $sgpr40_sgpr41
                                        ; implicit-def: $sgpr42_sgpr43
                                        ; implicit-def: $sgpr44_sgpr45
	s_and_saveexec_b64 s[46:47], s[48:49]
	s_cbranch_execz .LBB43_308
; %bb.283:                              ;   in Loop: Header=BB43_6 Depth=1
	ds_read_b32 v3, v21 offset:4096
	s_waitcnt lgkmcnt(0)
	s_barrier
	v_readfirstlane_b32 s42, v3
	s_mov_b64 s[8:9], exec
	v_readlane_b32 s16, v58, 28
	v_readlane_b32 s17, v58, 29
	s_and_b64 s[16:17], s[8:9], s[16:17]
	s_mov_b64 exec, s[16:17]
	s_cbranch_execz .LBB43_285
; %bb.284:                              ;   in Loop: Header=BB43_6 Depth=1
	v_mov_b32_e32 v20, v21
	ds_write_b64 v37, v[20:21]
.LBB43_285:                             ;   in Loop: Header=BB43_6 Depth=1
	s_or_b64 exec, exec, s[8:9]
	s_lshl_b64 s[8:9], 2, s55
	v_and_b32_e32 v3, s25, v29
	s_waitcnt vmcnt(0)
	v_and_b32_e32 v4, s24, v28
	v_or_b32_e32 v29, s9, v3
	v_or_b32_e32 v28, s8, v4
	;; [unrolled: 1-line block ×4, first 2 shown]
	s_cmp_eq_u32 s42, 0
	s_waitcnt lgkmcnt(0)
	s_barrier
	s_cbranch_scc1 .LBB43_294
; %bb.286:                              ;   in Loop: Header=BB43_6 Depth=1
	v_readlane_b32 s8, v58, 21
	s_add_i32 s8, s42, s8
	v_readlane_b32 s9, v58, 43
	s_mul_hi_u32 s9, s8, s9
	s_mul_i32 s9, s9, s75
	s_sub_i32 s9, s8, s9
	s_sub_i32 s16, s9, s75
	s_cmp_ge_u32 s9, s75
	s_cselect_b32 s9, s16, s9
	s_sub_i32 s16, s9, s75
	s_cmp_ge_u32 s9, s75
	s_cselect_b32 s9, s16, s9
	s_sub_i32 s43, s8, s9
	v_cmp_gt_u32_e32 vcc, s43, v0
	s_mov_b64 s[18:19], 0
                                        ; implicit-def: $vgpr6_vgpr7
	s_and_saveexec_b64 s[8:9], vcc
	s_cbranch_execz .LBB43_296
; %bb.287:                              ;   in Loop: Header=BB43_6 Depth=1
	v_mov_b32_e32 v8, v36
	v_mov_b32_e32 v9, v0
                                        ; implicit-def: $sgpr16_sgpr17
	s_branch .LBB43_289
.LBB43_288:                             ;   in Loop: Header=BB43_289 Depth=2
	s_or_b64 exec, exec, s[40:41]
	s_waitcnt lgkmcnt(0)
	s_barrier
	ds_read_b128 v[4:7], v21 offset:3072
	v_add_u32_e32 v9, s75, v9
	v_cmp_le_u32_e32 vcc, s43, v9
	v_add_u32_e32 v8, s4, v8
	s_waitcnt lgkmcnt(0)
	v_readfirstlane_b32 s41, v5
	v_readfirstlane_b32 s40, v4
	s_cmp_lg_u64 s[40:41], 0
	s_cselect_b64 s[40:41], -1, 0
	s_or_b64 s[44:45], vcc, s[40:41]
	s_and_b64 s[44:45], exec, s[44:45]
	s_or_b64 s[18:19], s[44:45], s[18:19]
	s_andn2_b64 s[16:17], s[16:17], exec
	s_and_b64 s[40:41], s[40:41], exec
	s_or_b64 s[16:17], s[16:17], s[40:41]
	s_barrier
	s_andn2_b64 exec, exec, s[18:19]
	s_cbranch_execz .LBB43_295
.LBB43_289:                             ;   Parent Loop BB43_6 Depth=1
                                        ; =>  This Inner Loop Header: Depth=2
	v_cmp_gt_u32_e32 vcc, s42, v9
	v_pk_mov_b32 v[4:5], 0, 0
	s_and_saveexec_b64 s[40:41], vcc
	s_cbranch_execz .LBB43_291
; %bb.290:                              ;   in Loop: Header=BB43_289 Depth=2
	ds_read_b64 v[4:5], v8
.LBB43_291:                             ;   in Loop: Header=BB43_289 Depth=2
	s_or_b64 exec, exec, s[40:41]
	s_and_saveexec_b64 s[40:41], vcc
	s_cbranch_execz .LBB43_288
; %bb.292:                              ;   in Loop: Header=BB43_289 Depth=2
	s_waitcnt lgkmcnt(0)
	v_xor_b32_e32 v3, 0x80000000, v5
	v_and_b32_e32 v7, v3, v27
	v_and_b32_e32 v6, v4, v26
	v_cmp_eq_u64_e32 vcc, v[6:7], v[28:29]
	s_and_b64 exec, exec, vcc
	s_cbranch_execz .LBB43_288
; %bb.293:                              ;   in Loop: Header=BB43_289 Depth=2
	v_mov_b32_e32 v3, v21
	ds_write_b128 v21, v[2:5] offset:3072
	s_branch .LBB43_288
.LBB43_294:                             ;   in Loop: Header=BB43_6 Depth=1
	s_mov_b64 s[40:41], -1
	s_mov_b64 s[18:19], 0
                                        ; implicit-def: $sgpr42_sgpr43
                                        ; implicit-def: $vgpr6_vgpr7
	s_mov_b64 s[44:45], s[40:41]
	s_cbranch_execnz .LBB43_297
	s_branch .LBB43_307
.LBB43_295:                             ;   in Loop: Header=BB43_6 Depth=1
	s_or_b64 exec, exec, s[18:19]
	s_and_b64 s[18:19], s[16:17], exec
.LBB43_296:                             ;   in Loop: Header=BB43_6 Depth=1
	s_or_b64 exec, exec, s[8:9]
	s_mov_b64 s[40:41], 0
	s_mov_b64 s[42:43], -1
	s_mov_b64 s[44:45], s[40:41]
	s_branch .LBB43_307
.LBB43_297:                             ;   in Loop: Header=BB43_6 Depth=1
	s_mov_b64 s[18:19], 0
                                        ; implicit-def: $vgpr6_vgpr7
	s_mov_b64 s[16:17], exec
	v_readlane_b32 s8, v58, 44
	v_readlane_b32 s9, v58, 45
	s_and_b64 s[8:9], s[16:17], s[8:9]
	s_mov_b64 exec, s[8:9]
	s_cbranch_execz .LBB43_306
; %bb.298:                              ;   in Loop: Header=BB43_6 Depth=1
	s_mov_b64 s[40:41], 0
	v_mov_b32_e32 v20, v22
	v_mov_b32_e32 v8, v0
                                        ; implicit-def: $sgpr8_sgpr9
	s_branch .LBB43_300
.LBB43_299:                             ;   in Loop: Header=BB43_300 Depth=2
	s_or_b64 exec, exec, s[18:19]
	s_waitcnt lgkmcnt(0)
	s_barrier
	s_waitcnt vmcnt(0)
	ds_read_b128 v[4:7], v21 offset:3072
	v_add_u32_e32 v8, s75, v8
	v_cmp_le_u32_e32 vcc, s12, v8
	v_add_u32_e32 v20, s68, v20
	s_waitcnt lgkmcnt(0)
	v_readfirstlane_b32 s19, v5
	v_readfirstlane_b32 s18, v4
	s_cmp_lg_u64 s[18:19], 0
	s_cselect_b64 s[18:19], -1, 0
	s_or_b64 s[42:43], vcc, s[18:19]
	s_and_b64 s[42:43], exec, s[42:43]
	s_or_b64 s[40:41], s[42:43], s[40:41]
	s_andn2_b64 s[8:9], s[8:9], exec
	s_and_b64 s[18:19], s[18:19], exec
	s_or_b64 s[8:9], s[8:9], s[18:19]
	s_barrier
	s_andn2_b64 exec, exec, s[40:41]
	s_cbranch_execz .LBB43_305
.LBB43_300:                             ;   Parent Loop BB43_6 Depth=1
                                        ; =>  This Inner Loop Header: Depth=2
	v_cmp_gt_u32_e32 vcc, s60, v8
	v_pk_mov_b32 v[4:5], 0, 0
	s_and_saveexec_b64 s[42:43], vcc
	s_cbranch_execz .LBB43_302
; %bb.301:                              ;   in Loop: Header=BB43_300 Depth=2
	v_lshlrev_b64 v[4:5], 3, v[20:21]
	v_mov_b32_e32 v3, s74
	v_add_co_u32_e64 v4, s[18:19], s33, v4
	v_addc_co_u32_e64 v5, s[18:19], v3, v5, s[18:19]
	global_load_dwordx2 v[4:5], v[4:5], off
.LBB43_302:                             ;   in Loop: Header=BB43_300 Depth=2
	s_or_b64 exec, exec, s[42:43]
	s_and_saveexec_b64 s[18:19], vcc
	s_cbranch_execz .LBB43_299
; %bb.303:                              ;   in Loop: Header=BB43_300 Depth=2
	s_waitcnt vmcnt(0)
	v_xor_b32_e32 v3, 0x80000000, v5
	v_and_b32_e32 v7, v3, v27
	v_and_b32_e32 v6, v4, v26
	v_cmp_eq_u64_e32 vcc, v[6:7], v[28:29]
	s_and_b64 exec, exec, vcc
	s_cbranch_execz .LBB43_299
; %bb.304:                              ;   in Loop: Header=BB43_300 Depth=2
	v_mov_b32_e32 v3, v21
	ds_write_b128 v21, v[2:5] offset:3072
	s_branch .LBB43_299
.LBB43_305:                             ;   in Loop: Header=BB43_6 Depth=1
	s_or_b64 exec, exec, s[40:41]
	s_and_b64 s[18:19], s[8:9], exec
.LBB43_306:                             ;   in Loop: Header=BB43_6 Depth=1
	s_or_b64 exec, exec, s[16:17]
	s_mov_b64 s[42:43], 0
	s_mov_b64 s[40:41], -1
	s_mov_b64 s[44:45], 0
.LBB43_307:                             ;   in Loop: Header=BB43_6 Depth=1
	s_orn2_b64 s[16:17], s[18:19], exec
.LBB43_308:                             ;   in Loop: Header=BB43_6 Depth=1
	s_or_b64 exec, exec, s[46:47]
	s_mov_b64 s[8:9], 0
                                        ; implicit-def: $vgpr3
	s_and_saveexec_b64 s[46:47], s[16:17]
	s_cbranch_execz .LBB43_401
; %bb.309:                              ;   in Loop: Header=BB43_6 Depth=1
	s_xor_b64 s[8:9], s[48:49], -1
	s_mov_b64 s[52:53], 0
	v_mov_b32_e32 v8, 1
	v_mov_b32_e32 v3, 1
	s_and_saveexec_b64 s[16:17], s[8:9]
	s_cbranch_execz .LBB43_319
; %bb.310:                              ;   in Loop: Header=BB43_6 Depth=1
	v_cmp_ge_u32_e32 vcc, s62, v30
                                        ; implicit-def: $sgpr48
                                        ; implicit-def: $sgpr8_sgpr9
	s_and_saveexec_b64 s[18:19], vcc
	s_xor_b64 s[18:19], exec, s[18:19]
	s_cbranch_execz .LBB43_316
; %bb.311:                              ;   in Loop: Header=BB43_6 Depth=1
	ds_read_b32 v3, v21 offset:4096
	s_waitcnt lgkmcnt(0)
	v_cmp_ne_u32_e32 vcc, 0, v3
	s_cbranch_vccnz .LBB43_315
; %bb.312:                              ;   in Loop: Header=BB43_6 Depth=1
	s_mov_b64 s[8:9], exec
	v_readlane_b32 s48, v58, 4
	v_readlane_b32 s49, v58, 5
	s_and_b64 s[48:49], s[8:9], s[48:49]
	s_mov_b64 exec, s[48:49]
	s_cbranch_execz .LBB43_314
; %bb.313:                              ;   in Loop: Header=BB43_6 Depth=1
	v_mov_b32_e32 v3, s62
	ds_write_b32 v21, v3 offset:4100
.LBB43_314:                             ;   in Loop: Header=BB43_6 Depth=1
	s_or_b64 exec, exec, s[8:9]
	s_waitcnt lgkmcnt(0)
	s_barrier
.LBB43_315:                             ;   in Loop: Header=BB43_6 Depth=1
	s_lshl_b64 s[8:9], 2, s55
	v_and_b32_e32 v3, s25, v29
	s_waitcnt vmcnt(0)
	v_and_b32_e32 v4, s24, v28
	v_or_b32_e32 v29, s9, v3
	v_or_b32_e32 v28, s8, v4
	;; [unrolled: 1-line block ×4, first 2 shown]
	s_mov_b64 s[8:9], 0
	s_mov_b32 s48, 5
.LBB43_316:                             ;   in Loop: Header=BB43_6 Depth=1
	s_or_saveexec_b64 s[18:19], s[18:19]
	v_mov_b32_e32 v3, s48
	s_xor_b64 exec, exec, s[18:19]
; %bb.317:                              ;   in Loop: Header=BB43_6 Depth=1
	v_subrev_u32_e32 v30, s62, v30
	v_mov_b32_e32 v3, 0
	s_or_b64 s[8:9], s[8:9], exec
; %bb.318:                              ;   in Loop: Header=BB43_6 Depth=1
	s_or_b64 exec, exec, s[18:19]
	s_and_b64 s[52:53], s[8:9], exec
	v_mov_b32_e32 v8, v30
.LBB43_319:                             ;   in Loop: Header=BB43_6 Depth=1
	s_or_b64 exec, exec, s[16:17]
	s_mov_b64 s[8:9], -1
                                        ; implicit-def: $sgpr16_sgpr17
                                        ; implicit-def: $sgpr18_sgpr19
                                        ; implicit-def: $sgpr50_sgpr51
	s_and_saveexec_b64 s[48:49], s[52:53]
	s_cbranch_execz .LBB43_400
; %bb.320:                              ;   in Loop: Header=BB43_6 Depth=1
	s_cmp_eq_u32 s54, 1
	s_cselect_b64 s[8:9], -1, 0
	v_cmp_eq_u32_e32 vcc, 1, v8
	s_and_b64 s[58:59], s[8:9], vcc
	s_mov_b64 s[16:17], -1
                                        ; implicit-def: $sgpr50_sgpr51
                                        ; implicit-def: $sgpr62_sgpr63
                                        ; implicit-def: $sgpr52_sgpr53
	s_and_saveexec_b64 s[56:57], s[58:59]
	s_cbranch_execz .LBB43_346
; %bb.321:                              ;   in Loop: Header=BB43_6 Depth=1
	ds_read_b32 v3, v21 offset:4096
	s_waitcnt lgkmcnt(0)
	s_barrier
	v_readfirstlane_b32 s52, v3
	s_mov_b64 s[8:9], exec
	v_readlane_b32 s16, v58, 28
	v_readlane_b32 s17, v58, 29
	s_and_b64 s[16:17], s[8:9], s[16:17]
	s_mov_b64 exec, s[16:17]
	s_cbranch_execz .LBB43_323
; %bb.322:                              ;   in Loop: Header=BB43_6 Depth=1
	v_mov_b32_e32 v20, v21
	ds_write_b64 v37, v[20:21]
.LBB43_323:                             ;   in Loop: Header=BB43_6 Depth=1
	s_or_b64 exec, exec, s[8:9]
	s_lshl_b64 s[8:9], 1, s55
	v_and_b32_e32 v3, s25, v29
	s_waitcnt vmcnt(0)
	v_and_b32_e32 v4, s24, v28
	v_or_b32_e32 v29, s9, v3
	v_or_b32_e32 v28, s8, v4
	;; [unrolled: 1-line block ×4, first 2 shown]
	s_cmp_eq_u32 s52, 0
	s_waitcnt lgkmcnt(0)
	s_barrier
	s_cbranch_scc1 .LBB43_332
; %bb.324:                              ;   in Loop: Header=BB43_6 Depth=1
	v_readlane_b32 s8, v58, 21
	s_add_i32 s8, s52, s8
	v_readlane_b32 s9, v58, 43
	s_mul_hi_u32 s9, s8, s9
	s_mul_i32 s9, s9, s75
	s_sub_i32 s9, s8, s9
	s_sub_i32 s16, s9, s75
	s_cmp_ge_u32 s9, s75
	s_cselect_b32 s9, s16, s9
	s_sub_i32 s16, s9, s75
	s_cmp_ge_u32 s9, s75
	s_cselect_b32 s9, s16, s9
	s_sub_i32 s53, s8, s9
	v_cmp_gt_u32_e32 vcc, s53, v0
	s_mov_b64 s[18:19], 0
                                        ; implicit-def: $vgpr6_vgpr7
	s_and_saveexec_b64 s[8:9], vcc
	s_cbranch_execz .LBB43_334
; %bb.325:                              ;   in Loop: Header=BB43_6 Depth=1
	v_mov_b32_e32 v9, v36
	v_mov_b32_e32 v10, v0
                                        ; implicit-def: $sgpr16_sgpr17
	s_branch .LBB43_327
.LBB43_326:                             ;   in Loop: Header=BB43_327 Depth=2
	s_or_b64 exec, exec, s[50:51]
	s_waitcnt lgkmcnt(0)
	s_barrier
	ds_read_b128 v[4:7], v21 offset:3072
	v_add_u32_e32 v10, s75, v10
	v_cmp_le_u32_e32 vcc, s53, v10
	v_add_u32_e32 v9, s4, v9
	s_waitcnt lgkmcnt(0)
	v_readfirstlane_b32 s51, v5
	v_readfirstlane_b32 s50, v4
	s_cmp_lg_u64 s[50:51], 0
	s_cselect_b64 s[50:51], -1, 0
	s_or_b64 s[62:63], vcc, s[50:51]
	s_and_b64 s[62:63], exec, s[62:63]
	s_or_b64 s[18:19], s[62:63], s[18:19]
	s_andn2_b64 s[16:17], s[16:17], exec
	s_and_b64 s[50:51], s[50:51], exec
	s_or_b64 s[16:17], s[16:17], s[50:51]
	s_barrier
	s_andn2_b64 exec, exec, s[18:19]
	s_cbranch_execz .LBB43_333
.LBB43_327:                             ;   Parent Loop BB43_6 Depth=1
                                        ; =>  This Inner Loop Header: Depth=2
	v_cmp_gt_u32_e32 vcc, s52, v10
	v_pk_mov_b32 v[4:5], 0, 0
	s_and_saveexec_b64 s[50:51], vcc
	s_cbranch_execz .LBB43_329
; %bb.328:                              ;   in Loop: Header=BB43_327 Depth=2
	ds_read_b64 v[4:5], v9
.LBB43_329:                             ;   in Loop: Header=BB43_327 Depth=2
	s_or_b64 exec, exec, s[50:51]
	s_and_saveexec_b64 s[50:51], vcc
	s_cbranch_execz .LBB43_326
; %bb.330:                              ;   in Loop: Header=BB43_327 Depth=2
	s_waitcnt lgkmcnt(0)
	v_xor_b32_e32 v3, 0x80000000, v5
	v_and_b32_e32 v7, v3, v27
	v_and_b32_e32 v6, v4, v26
	v_cmp_eq_u64_e32 vcc, v[6:7], v[28:29]
	s_and_b64 exec, exec, vcc
	s_cbranch_execz .LBB43_326
; %bb.331:                              ;   in Loop: Header=BB43_327 Depth=2
	v_mov_b32_e32 v3, v21
	ds_write_b128 v21, v[2:5] offset:3072
	s_branch .LBB43_326
.LBB43_332:                             ;   in Loop: Header=BB43_6 Depth=1
	s_mov_b64 s[50:51], -1
	s_mov_b64 s[18:19], 0
                                        ; implicit-def: $sgpr62_sgpr63
                                        ; implicit-def: $vgpr6_vgpr7
	s_mov_b64 s[52:53], s[50:51]
	s_cbranch_execnz .LBB43_335
	s_branch .LBB43_345
.LBB43_333:                             ;   in Loop: Header=BB43_6 Depth=1
	s_or_b64 exec, exec, s[18:19]
	s_and_b64 s[18:19], s[16:17], exec
.LBB43_334:                             ;   in Loop: Header=BB43_6 Depth=1
	s_or_b64 exec, exec, s[8:9]
	s_mov_b64 s[50:51], 0
	s_mov_b64 s[62:63], -1
	s_mov_b64 s[52:53], s[50:51]
	s_branch .LBB43_345
.LBB43_335:                             ;   in Loop: Header=BB43_6 Depth=1
	s_mov_b64 s[18:19], 0
                                        ; implicit-def: $vgpr6_vgpr7
	s_mov_b64 s[16:17], exec
	v_readlane_b32 s8, v58, 44
	v_readlane_b32 s9, v58, 45
	s_and_b64 s[8:9], s[16:17], s[8:9]
	s_mov_b64 exec, s[8:9]
	s_cbranch_execz .LBB43_344
; %bb.336:                              ;   in Loop: Header=BB43_6 Depth=1
	s_mov_b64 s[50:51], 0
	v_mov_b32_e32 v20, v22
	v_mov_b32_e32 v9, v0
                                        ; implicit-def: $sgpr8_sgpr9
	s_branch .LBB43_338
.LBB43_337:                             ;   in Loop: Header=BB43_338 Depth=2
	s_or_b64 exec, exec, s[18:19]
	s_waitcnt lgkmcnt(0)
	s_barrier
	s_waitcnt vmcnt(0)
	ds_read_b128 v[4:7], v21 offset:3072
	v_add_u32_e32 v9, s75, v9
	v_cmp_le_u32_e32 vcc, s12, v9
	v_add_u32_e32 v20, s68, v20
	s_waitcnt lgkmcnt(0)
	v_readfirstlane_b32 s19, v5
	v_readfirstlane_b32 s18, v4
	s_cmp_lg_u64 s[18:19], 0
	s_cselect_b64 s[18:19], -1, 0
	s_or_b64 s[52:53], vcc, s[18:19]
	s_and_b64 s[52:53], exec, s[52:53]
	s_or_b64 s[50:51], s[52:53], s[50:51]
	s_andn2_b64 s[8:9], s[8:9], exec
	s_and_b64 s[18:19], s[18:19], exec
	s_or_b64 s[8:9], s[8:9], s[18:19]
	s_barrier
	s_andn2_b64 exec, exec, s[50:51]
	s_cbranch_execz .LBB43_343
.LBB43_338:                             ;   Parent Loop BB43_6 Depth=1
                                        ; =>  This Inner Loop Header: Depth=2
	v_cmp_gt_u32_e32 vcc, s60, v9
	v_pk_mov_b32 v[4:5], 0, 0
	s_and_saveexec_b64 s[52:53], vcc
	s_cbranch_execz .LBB43_340
; %bb.339:                              ;   in Loop: Header=BB43_338 Depth=2
	v_lshlrev_b64 v[4:5], 3, v[20:21]
	v_mov_b32_e32 v3, s74
	v_add_co_u32_e64 v4, s[18:19], s33, v4
	v_addc_co_u32_e64 v5, s[18:19], v3, v5, s[18:19]
	global_load_dwordx2 v[4:5], v[4:5], off
.LBB43_340:                             ;   in Loop: Header=BB43_338 Depth=2
	s_or_b64 exec, exec, s[52:53]
	s_and_saveexec_b64 s[18:19], vcc
	s_cbranch_execz .LBB43_337
; %bb.341:                              ;   in Loop: Header=BB43_338 Depth=2
	s_waitcnt vmcnt(0)
	v_xor_b32_e32 v3, 0x80000000, v5
	v_and_b32_e32 v7, v3, v27
	v_and_b32_e32 v6, v4, v26
	v_cmp_eq_u64_e32 vcc, v[6:7], v[28:29]
	s_and_b64 exec, exec, vcc
	s_cbranch_execz .LBB43_337
; %bb.342:                              ;   in Loop: Header=BB43_338 Depth=2
	v_mov_b32_e32 v3, v21
	ds_write_b128 v21, v[2:5] offset:3072
	s_branch .LBB43_337
.LBB43_343:                             ;   in Loop: Header=BB43_6 Depth=1
	s_or_b64 exec, exec, s[50:51]
	s_and_b64 s[18:19], s[8:9], exec
.LBB43_344:                             ;   in Loop: Header=BB43_6 Depth=1
	s_or_b64 exec, exec, s[16:17]
	s_mov_b64 s[62:63], 0
	s_mov_b64 s[50:51], -1
	s_mov_b64 s[52:53], 0
.LBB43_345:                             ;   in Loop: Header=BB43_6 Depth=1
	s_orn2_b64 s[16:17], s[18:19], exec
.LBB43_346:                             ;   in Loop: Header=BB43_6 Depth=1
	s_or_b64 exec, exec, s[56:57]
	s_mov_b64 s[8:9], 0
                                        ; implicit-def: $vgpr3
	s_and_saveexec_b64 s[56:57], s[16:17]
	s_cbranch_execz .LBB43_399
; %bb.347:                              ;   in Loop: Header=BB43_6 Depth=1
	s_xor_b64 s[8:9], s[58:59], -1
	s_mov_b64 s[72:73], 0
	v_mov_b32_e32 v9, 1
	v_mov_b32_e32 v3, 1
	s_and_saveexec_b64 s[16:17], s[8:9]
	s_cbranch_execz .LBB43_357
; %bb.348:                              ;   in Loop: Header=BB43_6 Depth=1
	s_mov_b64 s[76:77], s[62:63]
	v_cmp_ge_u32_e32 vcc, s54, v8
                                        ; implicit-def: $sgpr58
                                        ; implicit-def: $sgpr8_sgpr9
	s_and_saveexec_b64 s[18:19], vcc
	s_xor_b64 s[18:19], exec, s[18:19]
	s_cbranch_execz .LBB43_354
; %bb.349:                              ;   in Loop: Header=BB43_6 Depth=1
	ds_read_b32 v3, v21 offset:4096
	s_waitcnt lgkmcnt(0)
	v_cmp_ne_u32_e32 vcc, 0, v3
	s_cbranch_vccnz .LBB43_353
; %bb.350:                              ;   in Loop: Header=BB43_6 Depth=1
	s_mov_b64 s[8:9], exec
	v_readlane_b32 s58, v58, 4
	v_readlane_b32 s59, v58, 5
	s_and_b64 s[58:59], s[8:9], s[58:59]
	s_mov_b64 exec, s[58:59]
	s_cbranch_execz .LBB43_352
; %bb.351:                              ;   in Loop: Header=BB43_6 Depth=1
	v_mov_b32_e32 v3, s54
	ds_write_b32 v21, v3 offset:4100
.LBB43_352:                             ;   in Loop: Header=BB43_6 Depth=1
	s_or_b64 exec, exec, s[8:9]
	s_waitcnt lgkmcnt(0)
	s_barrier
.LBB43_353:                             ;   in Loop: Header=BB43_6 Depth=1
	s_lshl_b64 s[8:9], 1, s55
	v_and_b32_e32 v3, s25, v29
	s_waitcnt vmcnt(0)
	v_and_b32_e32 v4, s24, v28
	v_or_b32_e32 v29, s9, v3
	v_or_b32_e32 v28, s8, v4
	;; [unrolled: 1-line block ×4, first 2 shown]
	s_mov_b64 s[8:9], 0
	s_mov_b32 s58, 5
.LBB43_354:                             ;   in Loop: Header=BB43_6 Depth=1
	s_or_saveexec_b64 s[18:19], s[18:19]
	v_mov_b32_e32 v3, s58
	s_xor_b64 exec, exec, s[18:19]
; %bb.355:                              ;   in Loop: Header=BB43_6 Depth=1
	v_subrev_u32_e32 v8, s54, v8
	v_mov_b32_e32 v3, 0
	s_or_b64 s[8:9], s[8:9], exec
; %bb.356:                              ;   in Loop: Header=BB43_6 Depth=1
	s_or_b64 exec, exec, s[18:19]
	s_and_b64 s[72:73], s[8:9], exec
	v_mov_b32_e32 v9, v8
	s_mov_b64 s[62:63], s[76:77]
.LBB43_357:                             ;   in Loop: Header=BB43_6 Depth=1
	s_or_b64 exec, exec, s[16:17]
	s_mov_b64 s[8:9], -1
                                        ; implicit-def: $sgpr16_sgpr17
                                        ; implicit-def: $sgpr18_sgpr19
                                        ; implicit-def: $sgpr76_sgpr77
	s_and_saveexec_b64 s[58:59], s[72:73]
	s_cbranch_execz .LBB43_398
; %bb.358:                              ;   in Loop: Header=BB43_6 Depth=1
	s_cmp_eq_u32 s11, 1
	s_cselect_b64 s[8:9], -1, 0
	v_cmp_eq_u32_e32 vcc, 1, v9
	v_writelane_b32 v58, s62, 47
	s_and_b64 s[54:55], s[8:9], vcc
	s_mov_b64 s[8:9], -1
	v_writelane_b32 v58, s63, 48
                                        ; implicit-def: $sgpr16_sgpr17
                                        ; implicit-def: $sgpr18_sgpr19
                                        ; implicit-def: $sgpr76_sgpr77
	s_mov_b64 s[78:79], exec
	v_writelane_b32 v58, s54, 49
	v_writelane_b32 v58, s55, 50
	s_and_b64 s[54:55], s[78:79], s[54:55]
	s_mov_b64 exec, s[54:55]
	s_cbranch_execz .LBB43_385
; %bb.359:                              ;   in Loop: Header=BB43_6 Depth=1
	ds_read_b32 v3, v21 offset:4096
	s_waitcnt lgkmcnt(0)
	s_barrier
	v_readfirstlane_b32 s54, v3
	s_mov_b64 s[8:9], exec
	v_readlane_b32 s16, v58, 28
	v_readlane_b32 s17, v58, 29
	s_and_b64 s[16:17], s[8:9], s[16:17]
	s_mov_b64 exec, s[16:17]
	s_cbranch_execz .LBB43_361
; %bb.360:                              ;   in Loop: Header=BB43_6 Depth=1
	v_mov_b32_e32 v20, v21
	ds_write_b64 v37, v[20:21]
.LBB43_361:                             ;   in Loop: Header=BB43_6 Depth=1
	s_or_b64 exec, exec, s[8:9]
	v_and_b32_e32 v29, s25, v29
	v_and_b32_e32 v28, s24, v28
	v_or_b32_e32 v27, s23, v27
	v_or_b32_e32 v26, s22, v26
	s_cmp_eq_u32 s54, 0
	s_waitcnt lgkmcnt(0)
	s_barrier
	s_cbranch_scc1 .LBB43_370
; %bb.362:                              ;   in Loop: Header=BB43_6 Depth=1
	v_readlane_b32 s8, v58, 21
	s_add_i32 s8, s54, s8
	v_readlane_b32 s9, v58, 43
	s_mul_hi_u32 s9, s8, s9
	s_mul_i32 s9, s9, s75
	s_sub_i32 s9, s8, s9
	s_sub_i32 s16, s9, s75
	s_cmp_ge_u32 s9, s75
	s_cselect_b32 s9, s16, s9
	s_sub_i32 s16, s9, s75
	s_cmp_ge_u32 s9, s75
	s_cselect_b32 s9, s16, s9
	s_sub_i32 s55, s8, s9
	v_cmp_gt_u32_e32 vcc, s55, v0
	s_mov_b64 s[72:73], 0
                                        ; implicit-def: $vgpr6_vgpr7
	s_and_saveexec_b64 s[8:9], vcc
	s_cbranch_execz .LBB43_372
; %bb.363:                              ;   in Loop: Header=BB43_6 Depth=1
	s_mov_b64 s[18:19], 0
	v_mov_b32_e32 v8, v36
	v_mov_b32_e32 v10, v0
                                        ; implicit-def: $sgpr16_sgpr17
	s_branch .LBB43_365
.LBB43_364:                             ;   in Loop: Header=BB43_365 Depth=2
	s_or_b64 exec, exec, s[72:73]
	s_waitcnt lgkmcnt(0)
	s_barrier
	ds_read_b128 v[4:7], v21 offset:3072
	v_add_u32_e32 v10, s75, v10
	v_cmp_le_u32_e32 vcc, s55, v10
	v_add_u32_e32 v8, s4, v8
	s_waitcnt lgkmcnt(0)
	v_readfirstlane_b32 s63, v5
	v_readfirstlane_b32 s62, v4
	s_cmp_lg_u64 s[62:63], 0
	s_cselect_b64 s[62:63], -1, 0
	s_or_b64 s[72:73], vcc, s[62:63]
	s_and_b64 s[72:73], exec, s[72:73]
	s_or_b64 s[18:19], s[72:73], s[18:19]
	s_andn2_b64 s[16:17], s[16:17], exec
	s_and_b64 s[62:63], s[62:63], exec
	s_or_b64 s[16:17], s[16:17], s[62:63]
	s_barrier
	s_andn2_b64 exec, exec, s[18:19]
	s_cbranch_execz .LBB43_371
.LBB43_365:                             ;   Parent Loop BB43_6 Depth=1
                                        ; =>  This Inner Loop Header: Depth=2
	v_cmp_gt_u32_e32 vcc, s54, v10
	s_waitcnt vmcnt(0)
	v_pk_mov_b32 v[4:5], 0, 0
	s_and_saveexec_b64 s[72:73], vcc
	s_cbranch_execz .LBB43_367
; %bb.366:                              ;   in Loop: Header=BB43_365 Depth=2
	ds_read_b64 v[4:5], v8
.LBB43_367:                             ;   in Loop: Header=BB43_365 Depth=2
	s_or_b64 exec, exec, s[72:73]
	s_and_saveexec_b64 s[72:73], vcc
	s_cbranch_execz .LBB43_364
; %bb.368:                              ;   in Loop: Header=BB43_365 Depth=2
	s_waitcnt lgkmcnt(0)
	v_xor_b32_e32 v3, 0x80000000, v5
	v_and_b32_e32 v7, v3, v27
	v_and_b32_e32 v6, v4, v26
	v_cmp_eq_u64_e32 vcc, v[6:7], v[28:29]
	s_and_b64 exec, exec, vcc
	s_cbranch_execz .LBB43_364
; %bb.369:                              ;   in Loop: Header=BB43_365 Depth=2
	v_mov_b32_e32 v3, v21
	ds_write_b128 v21, v[2:5] offset:3072
	s_branch .LBB43_364
.LBB43_370:                             ;   in Loop: Header=BB43_6 Depth=1
	s_mov_b64 s[16:17], -1
	s_mov_b64 s[72:73], 0
                                        ; implicit-def: $sgpr18_sgpr19
                                        ; implicit-def: $vgpr6_vgpr7
	s_branch .LBB43_373
.LBB43_371:                             ;   in Loop: Header=BB43_6 Depth=1
	s_or_b64 exec, exec, s[18:19]
	s_and_b64 s[72:73], s[16:17], exec
.LBB43_372:                             ;   in Loop: Header=BB43_6 Depth=1
	s_or_b64 exec, exec, s[8:9]
	s_mov_b64 s[16:17], 0
	s_mov_b64 s[18:19], -1
.LBB43_373:                             ;   in Loop: Header=BB43_6 Depth=1
	s_and_b64 vcc, exec, s[16:17]
	s_mov_b64 s[76:77], s[16:17]
	s_cbranch_vccz .LBB43_384
; %bb.374:                              ;   in Loop: Header=BB43_6 Depth=1
	s_mov_b64 s[72:73], 0
                                        ; implicit-def: $vgpr6_vgpr7
	s_mov_b64 s[16:17], exec
	v_readlane_b32 s8, v58, 44
	v_readlane_b32 s9, v58, 45
	s_and_b64 s[8:9], s[16:17], s[8:9]
	s_mov_b64 exec, s[8:9]
	s_cbranch_execz .LBB43_383
; %bb.375:                              ;   in Loop: Header=BB43_6 Depth=1
	v_mov_b32_e32 v20, v22
	v_mov_b32_e32 v8, v0
                                        ; implicit-def: $sgpr8_sgpr9
	s_branch .LBB43_377
.LBB43_376:                             ;   in Loop: Header=BB43_377 Depth=2
	s_or_b64 exec, exec, s[18:19]
	s_waitcnt lgkmcnt(0)
	s_barrier
	s_waitcnt vmcnt(0)
	ds_read_b128 v[4:7], v21 offset:3072
	v_add_u32_e32 v8, s75, v8
	v_cmp_le_u32_e32 vcc, s12, v8
	v_add_u32_e32 v20, s68, v20
	s_waitcnt lgkmcnt(0)
	v_readfirstlane_b32 s19, v5
	v_readfirstlane_b32 s18, v4
	s_cmp_lg_u64 s[18:19], 0
	s_cselect_b64 s[18:19], -1, 0
	s_or_b64 s[54:55], vcc, s[18:19]
	s_and_b64 s[54:55], exec, s[54:55]
	s_or_b64 s[72:73], s[54:55], s[72:73]
	s_andn2_b64 s[8:9], s[8:9], exec
	s_and_b64 s[18:19], s[18:19], exec
	s_or_b64 s[8:9], s[8:9], s[18:19]
	s_barrier
	s_andn2_b64 exec, exec, s[72:73]
	s_cbranch_execz .LBB43_382
.LBB43_377:                             ;   Parent Loop BB43_6 Depth=1
                                        ; =>  This Inner Loop Header: Depth=2
	v_cmp_gt_u32_e32 vcc, s60, v8
	s_waitcnt vmcnt(0)
	v_pk_mov_b32 v[4:5], 0, 0
	s_and_saveexec_b64 s[76:77], vcc
	s_cbranch_execz .LBB43_379
; %bb.378:                              ;   in Loop: Header=BB43_377 Depth=2
	v_lshlrev_b64 v[4:5], 3, v[20:21]
	v_mov_b32_e32 v3, s74
	v_add_co_u32_e64 v4, s[18:19], s33, v4
	v_addc_co_u32_e64 v5, s[18:19], v3, v5, s[18:19]
	global_load_dwordx2 v[4:5], v[4:5], off
.LBB43_379:                             ;   in Loop: Header=BB43_377 Depth=2
	s_or_b64 exec, exec, s[76:77]
	s_and_saveexec_b64 s[18:19], vcc
	s_cbranch_execz .LBB43_376
; %bb.380:                              ;   in Loop: Header=BB43_377 Depth=2
	s_waitcnt vmcnt(0)
	v_xor_b32_e32 v3, 0x80000000, v5
	v_and_b32_e32 v7, v3, v27
	v_and_b32_e32 v6, v4, v26
	v_cmp_eq_u64_e32 vcc, v[6:7], v[28:29]
	s_and_b64 exec, exec, vcc
	s_cbranch_execz .LBB43_376
; %bb.381:                              ;   in Loop: Header=BB43_377 Depth=2
	v_mov_b32_e32 v3, v21
	ds_write_b128 v21, v[2:5] offset:3072
	s_branch .LBB43_376
.LBB43_382:                             ;   in Loop: Header=BB43_6 Depth=1
	s_or_b64 exec, exec, s[72:73]
	s_and_b64 s[72:73], s[8:9], exec
.LBB43_383:                             ;   in Loop: Header=BB43_6 Depth=1
	s_or_b64 exec, exec, s[16:17]
	s_mov_b64 s[18:19], 0
	s_mov_b64 s[16:17], -1
	s_mov_b64 s[76:77], 0
.LBB43_384:                             ;   in Loop: Header=BB43_6 Depth=1
	s_orn2_b64 s[8:9], s[72:73], exec
.LBB43_385:                             ;   in Loop: Header=BB43_6 Depth=1
	s_or_b64 exec, exec, s[78:79]
	s_mov_b64 s[72:73], 0
                                        ; implicit-def: $vgpr3
                                        ; implicit-def: $vgpr4
	s_and_saveexec_b64 s[78:79], s[8:9]
	v_readlane_b32 s62, v58, 47
	v_readlane_b32 s63, v58, 48
	s_cbranch_execz .LBB43_397
; %bb.386:                              ;   in Loop: Header=BB43_6 Depth=1
	v_readlane_b32 s8, v58, 49
	v_readlane_b32 s9, v58, 50
	s_xor_b64 s[54:55], s[8:9], -1
	v_mov_b32_e32 v3, 1
	s_waitcnt vmcnt(0)
	v_mov_b32_e32 v4, 1
	s_and_saveexec_b64 s[8:9], s[54:55]
	s_cbranch_execz .LBB43_396
; %bb.387:                              ;   in Loop: Header=BB43_6 Depth=1
	v_cmp_ge_u32_e32 vcc, s11, v9
                                        ; implicit-def: $sgpr54
	s_and_saveexec_b64 s[62:63], vcc
	s_xor_b64 s[72:73], exec, s[62:63]
	s_cbranch_execz .LBB43_393
; %bb.388:                              ;   in Loop: Header=BB43_6 Depth=1
	ds_read_b32 v3, v21 offset:4096
	s_waitcnt lgkmcnt(0)
	v_cmp_ne_u32_e32 vcc, 0, v3
	s_cbranch_vccnz .LBB43_392
; %bb.389:                              ;   in Loop: Header=BB43_6 Depth=1
	s_mov_b64 vcc, exec
	v_readlane_b32 s54, v58, 4
	v_readlane_b32 s55, v58, 5
	s_and_b64 s[54:55], vcc, s[54:55]
	s_mov_b64 exec, s[54:55]
	s_cbranch_execz .LBB43_391
; %bb.390:                              ;   in Loop: Header=BB43_6 Depth=1
	v_mov_b32_e32 v3, s11
	ds_write_b32 v21, v3 offset:4100
.LBB43_391:                             ;   in Loop: Header=BB43_6 Depth=1
	s_or_b64 exec, exec, vcc
	s_waitcnt lgkmcnt(0)
	s_barrier
.LBB43_392:                             ;   in Loop: Header=BB43_6 Depth=1
	v_and_b32_e32 v29, s25, v29
	v_and_b32_e32 v28, s24, v28
	v_or_b32_e32 v27, s23, v27
	v_or_b32_e32 v26, s22, v26
	s_mov_b32 s54, 5
.LBB43_393:                             ;   in Loop: Header=BB43_6 Depth=1
	s_or_saveexec_b64 s[22:23], s[72:73]
	v_mov_b32_e32 v3, s54
	s_xor_b64 exec, exec, s[22:23]
; %bb.394:                              ;   in Loop: Header=BB43_6 Depth=1
	v_subrev_u32_e32 v9, s11, v9
	v_mov_b32_e32 v3, 5
; %bb.395:                              ;   in Loop: Header=BB43_6 Depth=1
	s_or_b64 exec, exec, s[22:23]
	v_readlane_b32 s62, v58, 47
	v_mov_b32_e32 v4, v9
	v_readlane_b32 s63, v58, 48
.LBB43_396:                             ;   in Loop: Header=BB43_6 Depth=1
	s_or_b64 exec, exec, s[8:9]
	s_mov_b64 s[72:73], exec
.LBB43_397:                             ;   in Loop: Header=BB43_6 Depth=1
	s_or_b64 exec, exec, s[78:79]
	s_orn2_b64 s[8:9], s[72:73], exec
	s_waitcnt vmcnt(0)
	v_mov_b32_e32 v9, v4
.LBB43_398:                             ;   in Loop: Header=BB43_6 Depth=1
	s_or_b64 exec, exec, s[58:59]
	s_andn2_b64 s[22:23], s[50:51], exec
	s_and_b64 s[16:17], s[16:17], exec
	s_or_b64 s[50:51], s[22:23], s[16:17]
	s_andn2_b64 s[16:17], s[62:63], exec
	s_and_b64 s[18:19], s[18:19], exec
	s_or_b64 s[62:63], s[16:17], s[18:19]
	;; [unrolled: 3-line block ×3, first 2 shown]
	s_and_b64 s[8:9], s[8:9], exec
	v_mov_b32_e32 v8, v9
.LBB43_399:                             ;   in Loop: Header=BB43_6 Depth=1
	s_or_b64 exec, exec, s[56:57]
	s_and_b64 s[50:51], s[50:51], exec
	s_and_b64 s[18:19], s[62:63], exec
	;; [unrolled: 1-line block ×3, first 2 shown]
	s_orn2_b64 s[8:9], s[8:9], exec
.LBB43_400:                             ;   in Loop: Header=BB43_6 Depth=1
	s_or_b64 exec, exec, s[48:49]
	s_andn2_b64 s[22:23], s[40:41], exec
	s_and_b64 s[24:25], s[50:51], exec
	s_or_b64 s[40:41], s[22:23], s[24:25]
	s_andn2_b64 s[22:23], s[42:43], exec
	s_and_b64 s[18:19], s[18:19], exec
	s_or_b64 s[42:43], s[22:23], s[18:19]
	;; [unrolled: 3-line block ×3, first 2 shown]
	s_and_b64 s[8:9], s[8:9], exec
	v_mov_b32_e32 v30, v8
.LBB43_401:                             ;   in Loop: Header=BB43_6 Depth=1
	s_or_b64 exec, exec, s[46:47]
	s_and_b64 s[46:47], s[40:41], exec
	s_and_b64 s[40:41], s[42:43], exec
	;; [unrolled: 1-line block ×3, first 2 shown]
	s_orn2_b64 s[42:43], s[8:9], exec
.LBB43_402:                             ;   in Loop: Header=BB43_6 Depth=1
	s_or_b64 exec, exec, s[34:35]
	s_mov_b64 s[8:9], s[28:29]
	s_mov_b64 s[18:19], s[20:21]
	s_and_saveexec_b64 s[22:23], s[42:43]
; %bb.403:                              ;   in Loop: Header=BB43_6 Depth=1
	v_cmp_ne_u32_e64 s[18:19], 5, v3
	v_cmp_eq_u32_e32 vcc, 5, v3
	s_andn2_b64 s[8:9], s[20:21], exec
	s_and_b64 s[18:19], s[18:19], exec
	s_or_b64 s[18:19], s[8:9], s[18:19]
	s_andn2_b64 s[8:9], s[28:29], exec
	s_and_b64 s[24:25], vcc, exec
	s_andn2_b64 s[46:47], s[46:47], exec
	s_andn2_b64 s[40:41], s[40:41], exec
	;; [unrolled: 1-line block ×3, first 2 shown]
	s_or_b64 s[8:9], s[8:9], s[24:25]
; %bb.404:                              ;   in Loop: Header=BB43_6 Depth=1
	s_or_b64 exec, exec, s[22:23]
	s_andn2_b64 s[22:23], s[36:37], exec
	s_and_b64 s[24:25], s[46:47], exec
	s_or_b64 s[36:37], s[22:23], s[24:25]
	s_andn2_b64 s[22:23], s[38:39], exec
	s_and_b64 s[24:25], s[40:41], exec
	s_or_b64 s[38:39], s[22:23], s[24:25]
	;; [unrolled: 3-line block ×5, first 2 shown]
	s_waitcnt vmcnt(0)
	v_pk_mov_b32 v[12:13], v[28:29], v[28:29] op_sel:[0,1]
	v_pk_mov_b32 v[14:15], v[26:27], v[26:27] op_sel:[0,1]
	;; [unrolled: 1-line block ×3, first 2 shown]
.LBB43_405:                             ;   in Loop: Header=BB43_6 Depth=1
	s_or_b64 exec, exec, s[30:31]
	s_mov_b64 s[34:35], s[26:27]
	s_mov_b64 s[30:31], s[26:27]
	s_and_saveexec_b64 s[8:9], s[28:29]
.LBB43_406:                             ;   in Loop: Header=BB43_6 Depth=1
	v_mov_b32_e32 v3, 0
	s_andn2_b64 s[26:27], s[26:27], exec
	s_andn2_b64 s[36:37], s[36:37], exec
	;; [unrolled: 1-line block ×5, first 2 shown]
	s_or_b64 s[20:21], s[20:21], exec
.LBB43_407:                             ;   in Loop: Header=BB43_6 Depth=1
	s_or_b64 exec, exec, s[8:9]
	s_andn2_b64 s[8:9], s[84:85], exec
	s_and_b64 s[18:19], s[26:27], exec
	s_or_b64 s[84:85], s[8:9], s[18:19]
	s_andn2_b64 s[8:9], s[82:83], exec
	s_and_b64 s[18:19], s[36:37], exec
	s_or_b64 s[82:83], s[8:9], s[18:19]
	;; [unrolled: 3-line block ×4, first 2 shown]
	s_andn2_b64 s[8:9], s[66:67], exec
	s_and_b64 s[18:19], s[30:31], exec
	s_mov_b64 s[16:17], -1
	s_or_b64 s[66:67], s[8:9], s[18:19]
                                        ; implicit-def: $vgpr26_vgpr27
                                        ; implicit-def: $vgpr28_vgpr29
                                        ; implicit-def: $vgpr47
                                        ; implicit-def: $vgpr6_vgpr7
	s_and_saveexec_b64 s[8:9], s[20:21]
	s_xor_b64 s[8:9], exec, s[8:9]
	s_cbranch_execz .LBB43_5
; %bb.408:                              ;   in Loop: Header=BB43_6 Depth=1
	v_cmp_eq_u32_e32 vcc, 0, v3
	s_mov_b64 s[18:19], -1
	s_and_saveexec_b64 s[20:21], vcc
	s_cbranch_execz .LBB43_4
; %bb.409:                              ;   in Loop: Header=BB43_6 Depth=1
	s_xor_b32 s10, s10, 1
	s_add_i32 s11, s5, -2
	s_cmp_eq_u32 s5, 0
	s_cselect_b64 s[16:17], -1, 0
	s_xor_b64 s[18:19], exec, -1
	s_orn2_b64 s[16:17], s[16:17], exec
	s_mov_b32 s5, s11
	s_branch .LBB43_4
.LBB43_410:
	s_or_b64 exec, exec, s[86:87]
	s_xor_b64 s[8:9], s[64:65], -1
	s_xor_b64 s[18:19], s[94:95], -1
	;; [unrolled: 1-line block ×5, first 2 shown]
	s_mov_b64 s[12:13], 0
	s_and_saveexec_b64 s[6:7], s[4:5]
	s_xor_b64 s[10:11], exec, s[6:7]
	s_cbranch_execnz .LBB43_415
; %bb.411:
	s_andn2_saveexec_b64 s[0:1], s[10:11]
	s_cbranch_execnz .LBB43_434
.LBB43_412:
	s_or_b64 exec, exec, s[0:1]
	s_and_saveexec_b64 s[0:1], s[12:13]
.LBB43_413:
	; divergent unreachable
.LBB43_414:
	s_endpgm
.LBB43_415:
	s_mov_b64 s[14:15], 0
	s_and_saveexec_b64 s[4:5], s[16:17]
	s_xor_b64 s[12:13], exec, s[4:5]
	s_cbranch_execz .LBB43_432
; %bb.416:
	s_mov_b64 s[16:17], 0
	s_and_saveexec_b64 s[4:5], s[18:19]
	s_xor_b64 s[14:15], exec, s[4:5]
	s_cbranch_execz .LBB43_430
; %bb.417:
	;; [unrolled: 5-line block ×3, first 2 shown]
	s_and_saveexec_b64 s[4:5], s[2:3]
	s_xor_b64 s[2:3], exec, s[4:5]
	s_cbranch_execz .LBB43_420
; %bb.419:
	s_waitcnt vmcnt(0)
	v_xor_b32_e32 v13, 0x80000000, v13
	v_pk_mov_b32 v[10:11], v[12:13], v[12:13] op_sel:[0,1]
.LBB43_420:
	s_or_b64 exec, exec, s[2:3]
	s_mov_b64 s[2:3], exec
	v_readlane_b32 s4, v58, 4
	v_readlane_b32 s5, v58, 5
	v_readlane_b32 s30, v58, 13
	s_and_b64 s[4:5], s[2:3], s[4:5]
	v_readlane_b32 s31, v58, 14
	v_readlane_b32 s20, v58, 46
	s_mov_b64 exec, s[4:5]
	s_cbranch_execz .LBB43_422
; %bb.421:
	v_mov_b32_e32 v1, 0
	ds_write_b32 v1, v1 offset:4108
.LBB43_422:
	s_or_b64 exec, exec, s[2:3]
	v_pk_mov_b32 v[8:9], 0, 0
	s_waitcnt lgkmcnt(0)
	s_barrier
	s_mov_b64 s[2:3], exec
	v_readlane_b32 s4, v58, 26
	v_readlane_b32 s5, v58, 27
	s_and_b64 s[4:5], s[2:3], s[4:5]
	s_mov_b64 exec, s[4:5]
	s_cbranch_execz .LBB43_424
; %bb.423:
	global_load_dwordx2 v[8:9], v[18:19], off
.LBB43_424:
	s_or_b64 exec, exec, s[2:3]
	v_readlane_b32 s3, v58, 10
	v_readlane_b32 s2, v58, 9
	;; [unrolled: 1-line block ×3, first 2 shown]
	s_add_i32 s40, s60, 63
	s_mul_i32 s2, s2, s3
	s_mul_i32 s4, s4, s3
	s_mov_b32 s3, 0
	s_andn2_b32 s40, s40, 63
	s_lshl_b64 s[6:7], s[2:3], 3
	v_readlane_b32 s8, v58, 2
	v_readlane_b32 s9, v58, 3
	s_add_u32 s41, s8, s6
	s_mov_b32 s5, s3
	s_addc_u32 s42, s9, s7
	s_lshl_b64 s[2:3], s[4:5], 3
	v_readlane_b32 s4, v58, 0
	v_readlane_b32 s5, v58, 1
	s_add_u32 s43, s4, s2
	s_addc_u32 s44, s5, s3
	v_readlane_b32 s2, v58, 7
	v_readlane_b32 s3, v58, 8
	s_load_dword s45, s[2:3], 0x1c8
	s_load_dword s46, s[2:3], 0x2a8
	v_add_u32_e32 v1, s75, v0
	v_cmp_gt_u32_e32 vcc, s40, v0
	s_mov_b64 s[18:19], -1
	s_mov_b64 s[2:3], 0
	v_mul_lo_u32 v2, s20, v1
	s_mov_b64 s[4:5], 0
	s_and_saveexec_b64 s[8:9], vcc
	s_cbranch_execnz .LBB43_435
; %bb.425:
	s_or_b64 exec, exec, s[8:9]
	s_and_saveexec_b64 s[8:9], s[18:19]
	s_cbranch_execnz .LBB43_450
.LBB43_426:
	s_or_b64 exec, exec, s[8:9]
	s_and_saveexec_b64 s[0:1], s[4:5]
	s_xor_b64 s[0:1], exec, s[0:1]
	s_cbranch_execnz .LBB43_472
.LBB43_427:
	s_or_b64 exec, exec, s[0:1]
	s_and_b64 s[18:19], s[2:3], exec
.LBB43_428:
	s_andn2_saveexec_b64 s[0:1], s[16:17]
	s_cbranch_execnz .LBB43_475
.LBB43_429:
	s_or_b64 exec, exec, s[0:1]
	s_and_b64 s[16:17], s[18:19], exec
.LBB43_430:
	s_andn2_saveexec_b64 s[0:1], s[14:15]
	s_cbranch_execnz .LBB43_474
.LBB43_431:
	s_or_b64 exec, exec, s[0:1]
	s_and_b64 s[14:15], s[16:17], exec
.LBB43_432:
	s_andn2_saveexec_b64 s[0:1], s[12:13]
	s_cbranch_execnz .LBB43_473
.LBB43_433:
	s_or_b64 exec, exec, s[0:1]
	s_and_b64 s[12:13], s[14:15], exec
	s_andn2_saveexec_b64 s[0:1], s[10:11]
	s_cbranch_execz .LBB43_412
.LBB43_434:
	s_or_b64 s[12:13], s[12:13], exec
	s_trap 2
	s_or_b64 exec, exec, s[0:1]
	s_and_saveexec_b64 s[0:1], s[12:13]
	s_cbranch_execnz .LBB43_413
	s_branch .LBB43_414
.LBB43_435:
	s_waitcnt vmcnt(0)
	v_xor_b32_e32 v5, 0x80000000, v11
	v_mov_b32_e32 v4, v10
	v_mul_lo_u32 v6, s20, v1
	s_mov_b64 s[18:19], 0
	v_mov_b32_e32 v7, 0
	v_mov_b32_e32 v14, v0
                                        ; implicit-def: $sgpr20_sgpr21
                                        ; implicit-def: $vgpr3
	s_branch .LBB43_437
.LBB43_436:                             ;   in Loop: Header=BB43_437 Depth=1
	s_or_b64 exec, exec, s[22:23]
	s_xor_b64 s[6:7], s[26:27], -1
	s_and_b64 s[4:5], exec, s[4:5]
	s_or_b64 s[18:19], s[4:5], s[18:19]
	s_andn2_b64 s[4:5], s[20:21], exec
	s_and_b64 s[6:7], s[6:7], exec
	s_or_b64 s[20:21], s[4:5], s[6:7]
	s_waitcnt vmcnt(0)
	v_pk_mov_b32 v[8:9], v[12:13], v[12:13] op_sel:[0,1]
	v_mov_b32_e32 v14, v1
	s_andn2_b64 exec, exec, s[18:19]
	s_cbranch_execz .LBB43_449
.LBB43_437:                             ; =>This Inner Loop Header: Depth=1
	v_add_u32_e32 v1, s75, v14
	v_cmp_gt_u32_e32 vcc, s60, v1
	v_pk_mov_b32 v[12:13], 0, 0
	s_and_saveexec_b64 s[4:5], vcc
	s_cbranch_execz .LBB43_439
; %bb.438:                              ;   in Loop: Header=BB43_437 Depth=1
	v_lshlrev_b64 v[12:13], 3, v[6:7]
	v_mov_b32_e32 v15, s74
	v_add_co_u32_e32 v12, vcc, s33, v12
	v_addc_co_u32_e32 v13, vcc, v15, v13, vcc
	global_load_dwordx2 v[12:13], v[12:13], off
.LBB43_439:                             ;   in Loop: Header=BB43_437 Depth=1
	s_or_b64 exec, exec, s[4:5]
	v_xor_b32_e32 v21, 0x80000000, v9
	v_mov_b32_e32 v20, v8
	v_cmp_gt_u64_e64 s[4:5], v[20:21], v[4:5]
	v_cndmask_b32_e64 v15, 0, 1, s[4:5]
	v_cmp_lt_u64_e64 s[4:5], v[20:21], v[4:5]
	v_cndmask_b32_e64 v20, 0, 1, s[4:5]
	v_cndmask_b32_e64 v15, v20, v15, s[30:31]
	v_and_b32_e32 v15, 1, v15
	v_cmp_gt_u32_e32 vcc, s60, v14
	v_cmp_eq_u32_e64 s[4:5], 1, v15
	s_and_b64 s[24:25], vcc, s[4:5]
	v_cndmask_b32_e64 v15, 0, 1, s[24:25]
	v_cmp_ne_u32_e32 vcc, 0, v15
	s_cmp_lg_u64 vcc, 0
	s_cselect_b64 s[4:5], -1, 0
	s_and_b64 s[4:5], s[0:1], s[4:5]
	s_and_saveexec_b64 s[22:23], s[4:5]
	s_cbranch_execz .LBB43_443
; %bb.440:                              ;   in Loop: Header=BB43_437 Depth=1
	s_mov_b64 s[28:29], exec
	s_waitcnt lgkmcnt(0)
	v_mbcnt_lo_u32_b32 v3, s28, 0
	v_mbcnt_hi_u32_b32 v3, s29, v3
	s_bcnt1_i32_b64 s6, vcc
	v_cmp_eq_u32_e64 s[4:5], 0, v3
                                        ; implicit-def: $vgpr15
	s_and_saveexec_b64 s[26:27], s[4:5]
	s_cbranch_execz .LBB43_442
; %bb.441:                              ;   in Loop: Header=BB43_437 Depth=1
	s_bcnt1_i32_b64 s4, s[28:29]
	s_mul_i32 s4, s6, s4
	v_mov_b32_e32 v15, s4
	ds_add_rtn_u32 v15, v7, v15 offset:4108
.LBB43_442:                             ;   in Loop: Header=BB43_437 Depth=1
	s_or_b64 exec, exec, s[26:27]
	s_waitcnt lgkmcnt(0)
	v_readfirstlane_b32 s4, v15
	v_mov_b32_e32 v15, s4
	v_mad_u32_u24 v3, s6, v3, v15
.LBB43_443:                             ;   in Loop: Header=BB43_437 Depth=1
	s_or_b64 exec, exec, s[22:23]
	s_waitcnt lgkmcnt(0)
	ds_bpermute_b32 v3, v23, v3
	s_mov_b64 s[4:5], -1
	s_mov_b64 s[28:29], -1
                                        ; implicit-def: $sgpr26_sgpr27
	s_and_saveexec_b64 s[22:23], s[24:25]
	s_cbranch_execz .LBB43_447
; %bb.444:                              ;   in Loop: Header=BB43_437 Depth=1
	v_and_b32_e32 v20, vcc_lo, v16
	v_and_b32_e32 v15, vcc_hi, v17
	v_bcnt_u32_b32 v20, v20, 0
	v_bcnt_u32_b32 v15, v15, v20
	s_waitcnt lgkmcnt(0)
	v_add_u32_e32 v15, v3, v15
	v_cmp_gt_u32_e32 vcc, s61, v15
	s_mov_b64 s[24:25], 0
	s_and_saveexec_b64 s[26:27], vcc
	s_cbranch_execz .LBB43_446
; %bb.445:                              ;   in Loop: Header=BB43_437 Depth=1
	v_mul_lo_u32 v20, v15, s45
	v_mov_b32_e32 v21, v7
	v_lshlrev_b64 v[20:21], 3, v[20:21]
	v_mul_lo_u32 v24, v15, s46
	v_mov_b32_e32 v15, s42
	v_add_co_u32_e32 v20, vcc, s41, v20
	v_addc_co_u32_e32 v21, vcc, v15, v21, vcc
	v_mov_b32_e32 v25, v7
	global_store_dwordx2 v[20:21], v[8:9], off
	v_lshlrev_b64 v[8:9], 3, v[24:25]
	v_mov_b32_e32 v20, s44
	v_add_co_u32_e32 v8, vcc, s43, v8
	s_mov_b64 s[24:25], exec
	v_mov_b32_e32 v15, v7
	v_addc_co_u32_e32 v9, vcc, v20, v9, vcc
	global_store_dwordx2 v[8:9], v[14:15], off
.LBB43_446:                             ;   in Loop: Header=BB43_437 Depth=1
	s_or_b64 exec, exec, s[26:27]
	s_mov_b64 s[26:27], -1
	s_orn2_b64 s[28:29], s[24:25], exec
.LBB43_447:                             ;   in Loop: Header=BB43_437 Depth=1
	s_or_b64 exec, exec, s[22:23]
	s_and_saveexec_b64 s[22:23], s[28:29]
	s_cbranch_execz .LBB43_436
; %bb.448:                              ;   in Loop: Header=BB43_437 Depth=1
	v_cmp_le_u32_e32 vcc, s40, v1
	v_add_u32_e32 v6, s68, v6
	s_andn2_b64 s[26:27], s[26:27], exec
	s_orn2_b64 s[4:5], vcc, exec
	s_branch .LBB43_436
.LBB43_449:
	s_or_b64 exec, exec, s[18:19]
	s_mov_b64 s[4:5], exec
	s_orn2_b64 s[18:19], s[20:21], exec
	s_or_b64 exec, exec, s[8:9]
	s_and_saveexec_b64 s[8:9], s[18:19]
	s_cbranch_execz .LBB43_426
.LBB43_450:
	s_waitcnt vmcnt(0)
	v_pk_mov_b32 v[4:5], 0, 0
	s_waitcnt lgkmcnt(0)
	s_barrier
	s_mov_b64 s[2:3], exec
	v_readlane_b32 s6, v58, 26
	v_readlane_b32 s7, v58, 27
	s_and_b64 s[6:7], s[2:3], s[6:7]
	s_mov_b64 exec, s[6:7]
	s_cbranch_execz .LBB43_452
; %bb.451:
	global_load_dwordx2 v[4:5], v[18:19], off
.LBB43_452:
	s_or_b64 exec, exec, s[2:3]
	s_mov_b64 s[6:7], 0
	v_mov_b32_e32 v3, 0
                                        ; implicit-def: $sgpr18_sgpr19
                                        ; implicit-def: $sgpr20_sgpr21
                                        ; implicit-def: $sgpr22_sgpr23
                                        ; implicit-def: $vgpr8
	s_branch .LBB43_455
.LBB43_453:                             ;   in Loop: Header=BB43_455 Depth=1
	s_or_b64 exec, exec, s[28:29]
	s_andn2_b64 s[22:23], s[22:23], exec
	s_and_b64 s[26:27], s[34:35], exec
	s_andn2_b64 s[20:21], s[20:21], exec
	s_and_b64 s[2:3], s[2:3], exec
	s_or_b64 s[22:23], s[22:23], s[26:27]
	s_or_b64 s[20:21], s[20:21], s[2:3]
	v_mov_b32_e32 v0, v9
.LBB43_454:                             ;   in Loop: Header=BB43_455 Depth=1
	s_or_b64 exec, exec, s[24:25]
	s_xor_b64 s[2:3], s[22:23], -1
	s_and_b64 s[24:25], exec, s[20:21]
	s_or_b64 s[6:7], s[24:25], s[6:7]
	s_andn2_b64 s[18:19], s[18:19], exec
	s_and_b64 s[2:3], s[2:3], exec
	s_or_b64 s[18:19], s[18:19], s[2:3]
	s_andn2_b64 exec, exec, s[6:7]
	s_cbranch_execz .LBB43_470
.LBB43_455:                             ; =>This Inner Loop Header: Depth=1
	v_cmp_gt_u32_e32 vcc, s40, v0
	s_or_b64 s[22:23], s[22:23], exec
	s_or_b64 s[20:21], s[20:21], exec
	s_and_saveexec_b64 s[24:25], vcc
	s_cbranch_execz .LBB43_454
; %bb.456:                              ;   in Loop: Header=BB43_455 Depth=1
	v_add_u32_e32 v9, s75, v0
	v_cmp_gt_u32_e32 vcc, s60, v9
	v_pk_mov_b32 v[6:7], 0, 0
	s_and_saveexec_b64 s[2:3], vcc
	s_cbranch_execz .LBB43_458
; %bb.457:                              ;   in Loop: Header=BB43_455 Depth=1
	v_lshlrev_b64 v[6:7], 3, v[2:3]
	v_mov_b32_e32 v1, s74
	v_add_co_u32_e32 v6, vcc, s33, v6
	v_addc_co_u32_e32 v7, vcc, v1, v7, vcc
	global_load_dwordx2 v[6:7], v[6:7], off
.LBB43_458:                             ;   in Loop: Header=BB43_455 Depth=1
	s_or_b64 exec, exec, s[2:3]
	v_cmp_gt_u32_e32 vcc, s60, v0
	s_waitcnt vmcnt(0)
	v_cmp_eq_u64_e64 s[2:3], v[4:5], v[10:11]
	s_and_b64 s[28:29], vcc, s[2:3]
	v_cndmask_b32_e64 v1, 0, 1, s[28:29]
	v_cmp_ne_u32_e32 vcc, 0, v1
	s_cmp_lg_u64 vcc, 0
	s_cselect_b64 s[2:3], -1, 0
	s_and_b64 s[2:3], s[0:1], s[2:3]
	s_and_saveexec_b64 s[26:27], s[2:3]
	s_cbranch_execz .LBB43_462
; %bb.459:                              ;   in Loop: Header=BB43_455 Depth=1
	s_mov_b64 s[34:35], exec
	v_mbcnt_lo_u32_b32 v1, s34, 0
	v_mbcnt_hi_u32_b32 v1, s35, v1
	s_bcnt1_i32_b64 s36, vcc
	v_cmp_eq_u32_e64 s[2:3], 0, v1
                                        ; implicit-def: $vgpr8
	s_and_saveexec_b64 s[30:31], s[2:3]
	s_cbranch_execz .LBB43_461
; %bb.460:                              ;   in Loop: Header=BB43_455 Depth=1
	s_bcnt1_i32_b64 s2, s[34:35]
	s_mul_i32 s2, s36, s2
	v_mov_b32_e32 v8, s2
	ds_add_rtn_u32 v8, v3, v8 offset:4108
.LBB43_461:                             ;   in Loop: Header=BB43_455 Depth=1
	s_or_b64 exec, exec, s[30:31]
	s_waitcnt lgkmcnt(0)
	v_readfirstlane_b32 s2, v8
	v_mov_b32_e32 v8, s2
	v_mad_u32_u24 v8, s36, v1, v8
.LBB43_462:                             ;   in Loop: Header=BB43_455 Depth=1
	s_or_b64 exec, exec, s[26:27]
	ds_bpermute_b32 v8, v23, v8
	s_cmp_eq_u64 vcc, 0
	s_cselect_b64 s[26:27], -1, 0
	s_mov_b64 s[30:31], -1
	s_mov_b64 s[34:35], -1
	s_waitcnt lgkmcnt(0)
	v_cmp_gt_u32_e64 s[2:3], s61, v8
	s_or_b64 s[26:27], s[26:27], s[2:3]
	v_cndmask_b32_e64 v5, v5, v7, s[26:27]
	s_and_b64 s[36:37], s[28:29], s[26:27]
	v_cndmask_b32_e64 v4, v4, v6, s[26:27]
	s_mov_b64 s[2:3], -1
	s_and_saveexec_b64 s[28:29], s[36:37]
	s_cbranch_execz .LBB43_468
; %bb.463:                              ;   in Loop: Header=BB43_455 Depth=1
	v_and_b32_e32 v4, vcc_lo, v16
	v_and_b32_e32 v1, vcc_hi, v17
	v_bcnt_u32_b32 v4, v4, 0
	v_bcnt_u32_b32 v1, v1, v4
	v_sub_u32_e32 v4, s61, v8
	v_cmp_le_u32_e64 s[30:31], v4, v1
	v_cmp_gt_u32_e32 vcc, v4, v1
	s_mov_b64 s[36:37], -1
	s_and_saveexec_b64 s[34:35], vcc
	s_cbranch_execz .LBB43_467
; %bb.464:                              ;   in Loop: Header=BB43_455 Depth=1
	v_add_u32_e32 v1, v8, v1
	v_cmp_gt_u32_e32 vcc, s61, v1
	s_mov_b64 s[38:39], s[30:31]
	s_and_saveexec_b64 s[36:37], vcc
	s_cbranch_execz .LBB43_466
; %bb.465:                              ;   in Loop: Header=BB43_455 Depth=1
	v_mul_lo_u32 v4, v1, s45
	v_mov_b32_e32 v5, v3
	v_lshlrev_b64 v[4:5], 3, v[4:5]
	v_mul_lo_u32 v12, v1, s46
	v_mov_b32_e32 v1, s42
	v_add_co_u32_e32 v4, vcc, s41, v4
	v_addc_co_u32_e32 v5, vcc, v1, v5, vcc
	v_mov_b32_e32 v13, v3
	global_store_dwordx2 v[4:5], v[10:11], off
	v_lshlrev_b64 v[4:5], 3, v[12:13]
	v_mov_b32_e32 v12, s44
	v_add_co_u32_e32 v4, vcc, s43, v4
	v_mov_b32_e32 v1, v3
	v_addc_co_u32_e32 v5, vcc, v12, v5, vcc
	s_or_b64 s[38:39], s[30:31], exec
	global_store_dwordx2 v[4:5], v[0:1], off
.LBB43_466:                             ;   in Loop: Header=BB43_455 Depth=1
	s_or_b64 exec, exec, s[36:37]
	s_andn2_b64 s[30:31], s[30:31], exec
	s_and_b64 s[38:39], s[38:39], exec
	s_xor_b64 s[36:37], exec, -1
	s_or_b64 s[30:31], s[30:31], s[38:39]
.LBB43_467:                             ;   in Loop: Header=BB43_455 Depth=1
	s_or_b64 exec, exec, s[34:35]
	s_orn2_b64 s[34:35], s[36:37], exec
	s_or_b64 s[26:27], s[26:27], exec
	s_orn2_b64 s[30:31], s[30:31], exec
	v_pk_mov_b32 v[4:5], v[6:7], v[6:7] op_sel:[0,1]
.LBB43_468:                             ;   in Loop: Header=BB43_455 Depth=1
	s_or_b64 exec, exec, s[28:29]
	s_and_saveexec_b64 s[28:29], s[30:31]
	s_cbranch_execz .LBB43_453
; %bb.469:                              ;   in Loop: Header=BB43_455 Depth=1
	s_xor_b64 s[2:3], s[26:27], -1
	v_add_u32_e32 v2, s68, v2
	s_or_b64 s[34:35], s[34:35], exec
	s_orn2_b64 s[2:3], s[2:3], exec
	s_branch .LBB43_453
.LBB43_470:
	s_or_b64 exec, exec, s[6:7]
	s_mov_b64 s[0:1], 0
	s_and_saveexec_b64 s[2:3], s[18:19]
	s_xor_b64 s[2:3], exec, s[2:3]
	s_cbranch_execnz .LBB43_476
.LBB43_471:
	s_or_b64 exec, exec, s[2:3]
	s_and_b64 s[2:3], s[0:1], exec
	s_andn2_b64 s[4:5], s[4:5], exec
	s_or_b64 exec, exec, s[8:9]
	s_and_saveexec_b64 s[0:1], s[4:5]
	s_xor_b64 s[0:1], exec, s[0:1]
	s_cbranch_execz .LBB43_427
.LBB43_472:
	s_or_b64 s[2:3], s[2:3], exec
	s_trap 2
	s_branch .LBB43_427
.LBB43_473:
	s_or_b64 s[14:15], s[14:15], exec
	s_trap 2
	s_branch .LBB43_433
.LBB43_474:
	s_or_b64 s[16:17], s[16:17], exec
	s_trap 2
	s_branch .LBB43_431
.LBB43_475:
	s_trap 2
	s_or_b64 s[18:19], s[18:19], exec
	s_branch .LBB43_429
.LBB43_476:
	s_mov_b64 s[0:1], exec
	s_trap 2
	s_branch .LBB43_471
	.section	.rodata,"a",@progbits
	.p2align	6, 0x0
	.amdhsa_kernel _ZN2at6native6sbtopk10gatherTopKIljLi1ELb0EEEvNS_4cuda6detail10TensorInfoIKT_T0_EES8_S8_bS8_S8_NS5_IS6_S8_EES8_NS5_IlS8_EES8_PS6_
		.amdhsa_group_segment_fixed_size 4112
		.amdhsa_private_segment_fixed_size 0
		.amdhsa_kernarg_size 952
		.amdhsa_user_sgpr_count 6
		.amdhsa_user_sgpr_private_segment_buffer 1
		.amdhsa_user_sgpr_dispatch_ptr 0
		.amdhsa_user_sgpr_queue_ptr 0
		.amdhsa_user_sgpr_kernarg_segment_ptr 1
		.amdhsa_user_sgpr_dispatch_id 0
		.amdhsa_user_sgpr_flat_scratch_init 0
		.amdhsa_user_sgpr_kernarg_preload_length 0
		.amdhsa_user_sgpr_kernarg_preload_offset 0
		.amdhsa_user_sgpr_private_segment_size 0
		.amdhsa_uses_dynamic_stack 0
		.amdhsa_system_sgpr_private_segment_wavefront_offset 0
		.amdhsa_system_sgpr_workgroup_id_x 1
		.amdhsa_system_sgpr_workgroup_id_y 1
		.amdhsa_system_sgpr_workgroup_id_z 1
		.amdhsa_system_sgpr_workgroup_info 0
		.amdhsa_system_vgpr_workitem_id 0
		.amdhsa_next_free_vgpr 59
		.amdhsa_next_free_sgpr 96
		.amdhsa_accum_offset 60
		.amdhsa_reserve_vcc 1
		.amdhsa_reserve_flat_scratch 0
		.amdhsa_float_round_mode_32 0
		.amdhsa_float_round_mode_16_64 0
		.amdhsa_float_denorm_mode_32 3
		.amdhsa_float_denorm_mode_16_64 3
		.amdhsa_dx10_clamp 1
		.amdhsa_ieee_mode 1
		.amdhsa_fp16_overflow 0
		.amdhsa_tg_split 0
		.amdhsa_exception_fp_ieee_invalid_op 0
		.amdhsa_exception_fp_denorm_src 0
		.amdhsa_exception_fp_ieee_div_zero 0
		.amdhsa_exception_fp_ieee_overflow 0
		.amdhsa_exception_fp_ieee_underflow 0
		.amdhsa_exception_fp_ieee_inexact 0
		.amdhsa_exception_int_div_zero 0
	.end_amdhsa_kernel
	.section	.text._ZN2at6native6sbtopk10gatherTopKIljLi1ELb0EEEvNS_4cuda6detail10TensorInfoIKT_T0_EES8_S8_bS8_S8_NS5_IS6_S8_EES8_NS5_IlS8_EES8_PS6_,"axG",@progbits,_ZN2at6native6sbtopk10gatherTopKIljLi1ELb0EEEvNS_4cuda6detail10TensorInfoIKT_T0_EES8_S8_bS8_S8_NS5_IS6_S8_EES8_NS5_IlS8_EES8_PS6_,comdat
.Lfunc_end43:
	.size	_ZN2at6native6sbtopk10gatherTopKIljLi1ELb0EEEvNS_4cuda6detail10TensorInfoIKT_T0_EES8_S8_bS8_S8_NS5_IS6_S8_EES8_NS5_IlS8_EES8_PS6_, .Lfunc_end43-_ZN2at6native6sbtopk10gatherTopKIljLi1ELb0EEEvNS_4cuda6detail10TensorInfoIKT_T0_EES8_S8_bS8_S8_NS5_IS6_S8_EES8_NS5_IlS8_EES8_PS6_
                                        ; -- End function
	.section	.AMDGPU.csdata,"",@progbits
; Kernel info:
; codeLenInByte = 16440
; NumSgprs: 100
; NumVgprs: 59
; NumAgprs: 0
; TotalNumVgprs: 59
; ScratchSize: 0
; MemoryBound: 0
; FloatMode: 240
; IeeeMode: 1
; LDSByteSize: 4112 bytes/workgroup (compile time only)
; SGPRBlocks: 12
; VGPRBlocks: 7
; NumSGPRsForWavesPerEU: 100
; NumVGPRsForWavesPerEU: 59
; AccumOffset: 60
; Occupancy: 8
; WaveLimiterHint : 1
; COMPUTE_PGM_RSRC2:SCRATCH_EN: 0
; COMPUTE_PGM_RSRC2:USER_SGPR: 6
; COMPUTE_PGM_RSRC2:TRAP_HANDLER: 0
; COMPUTE_PGM_RSRC2:TGID_X_EN: 1
; COMPUTE_PGM_RSRC2:TGID_Y_EN: 1
; COMPUTE_PGM_RSRC2:TGID_Z_EN: 1
; COMPUTE_PGM_RSRC2:TIDIG_COMP_CNT: 0
; COMPUTE_PGM_RSRC3_GFX90A:ACCUM_OFFSET: 14
; COMPUTE_PGM_RSRC3_GFX90A:TG_SPLIT: 0
	.section	.text._ZN2at6native6mbtopk23computeBlockDigitCountsIljmLi2EEEvNS_4cuda6detail10TensorInfoIKT_T0_EEjPjjS8_iijT1_PSB_Ps,"axG",@progbits,_ZN2at6native6mbtopk23computeBlockDigitCountsIljmLi2EEEvNS_4cuda6detail10TensorInfoIKT_T0_EEjPjjS8_iijT1_PSB_Ps,comdat
	.protected	_ZN2at6native6mbtopk23computeBlockDigitCountsIljmLi2EEEvNS_4cuda6detail10TensorInfoIKT_T0_EEjPjjS8_iijT1_PSB_Ps ; -- Begin function _ZN2at6native6mbtopk23computeBlockDigitCountsIljmLi2EEEvNS_4cuda6detail10TensorInfoIKT_T0_EEjPjjS8_iijT1_PSB_Ps
	.globl	_ZN2at6native6mbtopk23computeBlockDigitCountsIljmLi2EEEvNS_4cuda6detail10TensorInfoIKT_T0_EEjPjjS8_iijT1_PSB_Ps
	.p2align	8
	.type	_ZN2at6native6mbtopk23computeBlockDigitCountsIljmLi2EEEvNS_4cuda6detail10TensorInfoIKT_T0_EEjPjjS8_iijT1_PSB_Ps,@function
_ZN2at6native6mbtopk23computeBlockDigitCountsIljmLi2EEEvNS_4cuda6detail10TensorInfoIKT_T0_EEjPjjS8_iijT1_PSB_Ps: ; @_ZN2at6native6mbtopk23computeBlockDigitCountsIljmLi2EEEvNS_4cuda6detail10TensorInfoIKT_T0_EEjPjjS8_iijT1_PSB_Ps
; %bb.0:
	s_load_dword s20, s[4:5], 0xf8
	s_load_dwordx4 s[12:15], s[4:5], 0xe8
	s_load_dwordx2 s[0:1], s[4:5], 0x118
	s_waitcnt lgkmcnt(0)
	v_cvt_f32_u32_e32 v1, s20
	s_sub_i32 s2, 0, s20
	s_mul_i32 s1, s1, s8
	s_add_i32 s1, s1, s7
	v_rcp_iflag_f32_e32 v1, v1
	s_mul_i32 s18, s1, s0
	s_add_i32 s18, s18, s6
	v_mul_f32_e32 v1, 0x4f7ffffe, v1
	v_cvt_u32_f32_e32 v1, v1
	v_readfirstlane_b32 s0, v1
	s_mul_i32 s2, s2, s0
	s_mul_hi_u32 s1, s0, s2
	s_add_i32 s0, s0, s1
	s_mul_hi_u32 s0, s18, s0
	s_mul_i32 s1, s0, s20
	s_sub_i32 s1, s18, s1
	s_add_i32 s2, s0, 1
	s_sub_i32 s3, s1, s20
	s_cmp_ge_u32 s1, s20
	s_cselect_b32 s0, s2, s0
	s_cselect_b32 s1, s3, s1
	s_add_i32 s2, s0, 1
	s_cmp_ge_u32 s1, s20
	s_cselect_b32 s0, s2, s0
	s_cmp_ge_u32 s0, s12
	s_mov_b32 s1, 0
	s_cbranch_scc1 .LBB44_29
; %bb.1:
	s_load_dword s21, s[4:5], 0xc
	s_load_dwordx4 s[8:11], s[4:5], 0x100
	s_load_dwordx2 s[2:3], s[4:5], 0x110
	s_lshl_b64 s[6:7], s[0:1], 3
	s_movk_i32 s1, 0x100
	s_waitcnt lgkmcnt(0)
	v_cvt_f32_u32_e32 v1, s21
	s_add_u32 s16, s10, s6
	v_cmp_gt_u32_e32 vcc, s1, v0
	s_addc_u32 s17, s11, s7
	v_rcp_iflag_f32_e32 v1, v1
	v_mul_f32_e32 v1, 0x4f7ffffe, v1
	v_cvt_u32_f32_e32 v1, v1
	v_readfirstlane_b32 s1, v1
	v_lshlrev_b32_e32 v1, 2, v0
	s_and_saveexec_b64 s[6:7], vcc
	s_cbranch_execz .LBB44_3
; %bb.2:
	v_mov_b32_e32 v2, 0
	ds_write_b32 v1, v2
.LBB44_3:
	s_or_b64 exec, exec, s[6:7]
	s_load_dword s12, s[4:5], 0xd8
	s_mul_i32 s6, s0, s20
	s_sub_i32 s6, s18, s6
	s_add_i32 s7, s6, 1
	s_mul_i32 s6, s15, s6
	s_lshl_b32 s19, s6, 8
	s_waitcnt lgkmcnt(0)
	s_sub_i32 s6, s12, s19
	s_add_u32 s6, s6, 0xff
	s_addc_u32 s10, 0, 0
	v_mov_b32_e32 v2, s6
	v_alignbit_b32 v2, s10, v2, 8
	s_cmp_lt_u32 s7, s20
	v_readfirstlane_b32 s6, v2
	s_cselect_b32 s20, s15, s6
	s_cmp_lt_i32 s20, 1
	s_mov_b32 s11, 0
	s_barrier
	s_cbranch_scc1 .LBB44_25
; %bb.4:
	s_sub_i32 s6, 0, s21
	s_mul_i32 s6, s6, s1
	s_mul_hi_u32 s6, s1, s6
	s_add_i32 s1, s1, s6
	s_mul_hi_u32 s1, s0, s1
	s_load_dwordx2 s[22:23], s[4:5], 0x6c
	s_load_dwordx2 s[24:25], s[4:5], 0x0
	;; [unrolled: 1-line block ×3, first 2 shown]
	s_mul_i32 s4, s1, s21
	s_sub_i32 s4, s0, s4
	s_add_i32 s5, s1, 1
	s_sub_i32 s10, s4, s21
	s_cmp_ge_u32 s4, s21
	s_cselect_b32 s1, s5, s1
	s_cselect_b32 s4, s10, s4
	s_add_i32 s5, s1, 1
	s_cmp_ge_u32 s4, s21
	s_cselect_b32 s1, s5, s1
	s_mul_i32 s4, s1, s21
	s_sub_i32 s0, s0, s4
	s_waitcnt lgkmcnt(0)
	s_mul_i32 s0, s0, s23
	s_mul_i32 s1, s1, s22
	s_add_i32 s10, s1, s0
	s_lshl_b64 s[0:1], s[10:11], 3
	s_add_u32 s10, s24, s0
	s_addc_u32 s15, s25, s1
	s_and_b32 s14, s14, 0xff
	s_cmp_lt_u32 s20, 4
	s_cbranch_scc1 .LBB44_19
; %bb.5:
	v_add_u32_e32 v2, s19, v0
	v_add_u32_e32 v3, 0x200, v2
	;; [unrolled: 1-line block ×3, first 2 shown]
	v_mul_lo_u32 v8, s13, v3
	v_add_u32_e32 v3, 0x100, v2
	s_and_b32 s11, s20, 0x7ffffffc
	v_mul_lo_u32 v7, s13, v6
	s_lshl_b32 s16, s13, 10
	v_mul_lo_u32 v9, s13, v3
	v_mul_lo_u32 v10, s13, v2
	s_mov_b32 s17, 0
	v_mov_b32_e32 v3, 0
	v_mov_b32_e32 v11, 1
	;; [unrolled: 1-line block ×3, first 2 shown]
	s_mov_b32 s21, 0
	s_branch .LBB44_7
.LBB44_6:                               ;   in Loop: Header=BB44_7 Depth=1
	s_or_b64 exec, exec, s[4:5]
	s_add_i32 s21, s21, 4
	s_add_i32 s17, s17, s16
	s_cmp_eq_u32 s11, s21
	v_add_u32_e32 v6, 0x400, v6
	s_cbranch_scc1 .LBB44_19
.LBB44_7:                               ; =>This Inner Loop Header: Depth=1
	v_add_u32_e32 v2, 0xfffffd00, v6
	v_cmp_gt_u32_e64 s[0:1], s12, v2
	s_and_saveexec_b64 s[4:5], s[0:1]
	s_cbranch_execz .LBB44_10
; %bb.8:                                ;   in Loop: Header=BB44_7 Depth=1
	v_add_u32_e32 v2, s17, v10
	v_lshlrev_b64 v[4:5], 3, v[2:3]
	v_mov_b32_e32 v2, s15
	v_add_co_u32_e64 v4, s[0:1], s10, v4
	v_addc_co_u32_e64 v5, s[0:1], v2, v5, s[0:1]
	global_load_dwordx2 v[4:5], v[4:5], off
	s_waitcnt vmcnt(0)
	v_xor_b32_e32 v5, 0x80000000, v5
	v_xor_b32_e32 v2, s6, v4
	;; [unrolled: 1-line block ×3, first 2 shown]
	v_and_b32_e32 v15, s9, v13
	v_and_b32_e32 v14, s8, v2
	v_cmp_eq_u64_e64 s[0:1], 0, v[14:15]
	s_and_b64 exec, exec, s[0:1]
	s_cbranch_execz .LBB44_10
; %bb.9:                                ;   in Loop: Header=BB44_7 Depth=1
	v_lshrrev_b64 v[4:5], s14, v[4:5]
	v_lshlrev_b32_sdwa v2, v12, v4 dst_sel:DWORD dst_unused:UNUSED_PAD src0_sel:DWORD src1_sel:BYTE_0
	ds_add_u32 v2, v11
.LBB44_10:                              ;   in Loop: Header=BB44_7 Depth=1
	s_or_b64 exec, exec, s[4:5]
	v_add_u32_e32 v2, 0xfffffe00, v6
	v_cmp_gt_u32_e64 s[0:1], s12, v2
	s_and_saveexec_b64 s[4:5], s[0:1]
	s_cbranch_execz .LBB44_13
; %bb.11:                               ;   in Loop: Header=BB44_7 Depth=1
	v_add_u32_e32 v2, s17, v9
	v_lshlrev_b64 v[4:5], 3, v[2:3]
	v_mov_b32_e32 v2, s15
	v_add_co_u32_e64 v4, s[0:1], s10, v4
	v_addc_co_u32_e64 v5, s[0:1], v2, v5, s[0:1]
	global_load_dwordx2 v[4:5], v[4:5], off
	s_waitcnt vmcnt(0)
	v_xor_b32_e32 v5, 0x80000000, v5
	v_xor_b32_e32 v2, s6, v4
	;; [unrolled: 1-line block ×3, first 2 shown]
	v_and_b32_e32 v15, s9, v13
	v_and_b32_e32 v14, s8, v2
	v_cmp_eq_u64_e64 s[0:1], 0, v[14:15]
	s_and_b64 exec, exec, s[0:1]
	s_cbranch_execz .LBB44_13
; %bb.12:                               ;   in Loop: Header=BB44_7 Depth=1
	v_lshrrev_b64 v[4:5], s14, v[4:5]
	v_lshlrev_b32_sdwa v2, v12, v4 dst_sel:DWORD dst_unused:UNUSED_PAD src0_sel:DWORD src1_sel:BYTE_0
	ds_add_u32 v2, v11
.LBB44_13:                              ;   in Loop: Header=BB44_7 Depth=1
	s_or_b64 exec, exec, s[4:5]
	v_add_u32_e32 v2, 0xffffff00, v6
	v_cmp_gt_u32_e64 s[0:1], s12, v2
	s_and_saveexec_b64 s[4:5], s[0:1]
	s_cbranch_execz .LBB44_16
; %bb.14:                               ;   in Loop: Header=BB44_7 Depth=1
	v_add_u32_e32 v2, s17, v8
	v_lshlrev_b64 v[4:5], 3, v[2:3]
	v_mov_b32_e32 v2, s15
	v_add_co_u32_e64 v4, s[0:1], s10, v4
	v_addc_co_u32_e64 v5, s[0:1], v2, v5, s[0:1]
	global_load_dwordx2 v[4:5], v[4:5], off
	s_waitcnt vmcnt(0)
	v_xor_b32_e32 v5, 0x80000000, v5
	v_xor_b32_e32 v2, s6, v4
	;; [unrolled: 1-line block ×3, first 2 shown]
	v_and_b32_e32 v15, s9, v13
	v_and_b32_e32 v14, s8, v2
	v_cmp_eq_u64_e64 s[0:1], 0, v[14:15]
	s_and_b64 exec, exec, s[0:1]
	s_cbranch_execz .LBB44_16
; %bb.15:                               ;   in Loop: Header=BB44_7 Depth=1
	v_lshrrev_b64 v[4:5], s14, v[4:5]
	v_lshlrev_b32_sdwa v2, v12, v4 dst_sel:DWORD dst_unused:UNUSED_PAD src0_sel:DWORD src1_sel:BYTE_0
	ds_add_u32 v2, v11
.LBB44_16:                              ;   in Loop: Header=BB44_7 Depth=1
	s_or_b64 exec, exec, s[4:5]
	v_cmp_gt_u32_e64 s[0:1], s12, v6
	s_and_saveexec_b64 s[4:5], s[0:1]
	s_cbranch_execz .LBB44_6
; %bb.17:                               ;   in Loop: Header=BB44_7 Depth=1
	v_add_u32_e32 v2, s17, v7
	v_lshlrev_b64 v[4:5], 3, v[2:3]
	v_mov_b32_e32 v2, s15
	v_add_co_u32_e64 v4, s[0:1], s10, v4
	v_addc_co_u32_e64 v5, s[0:1], v2, v5, s[0:1]
	global_load_dwordx2 v[4:5], v[4:5], off
	s_waitcnt vmcnt(0)
	v_xor_b32_e32 v5, 0x80000000, v5
	v_xor_b32_e32 v2, s6, v4
	;; [unrolled: 1-line block ×3, first 2 shown]
	v_and_b32_e32 v15, s9, v13
	v_and_b32_e32 v14, s8, v2
	v_cmp_eq_u64_e64 s[0:1], 0, v[14:15]
	s_and_b64 exec, exec, s[0:1]
	s_cbranch_execz .LBB44_6
; %bb.18:                               ;   in Loop: Header=BB44_7 Depth=1
	v_lshrrev_b64 v[4:5], s14, v[4:5]
	v_lshlrev_b32_sdwa v2, v12, v4 dst_sel:DWORD dst_unused:UNUSED_PAD src0_sel:DWORD src1_sel:BYTE_0
	ds_add_u32 v2, v11
	s_branch .LBB44_6
.LBB44_19:
	s_and_b32 s16, s20, 3
	s_cmp_eq_u32 s16, 0
	s_cbranch_scc1 .LBB44_25
; %bb.20:
	s_lshl_b32 s0, s11, 8
	s_add_i32 s0, s0, s19
	v_add_u32_e32 v6, s0, v0
	v_mul_lo_u32 v2, s13, v6
	s_lshl_b32 s11, s13, 8
	v_mov_b32_e32 v3, 0
	v_mov_b32_e32 v7, 1
	;; [unrolled: 1-line block ×3, first 2 shown]
	s_branch .LBB44_22
.LBB44_21:                              ;   in Loop: Header=BB44_22 Depth=1
	s_or_b64 exec, exec, s[4:5]
	s_add_i32 s16, s16, -1
	v_add_u32_e32 v2, s11, v2
	s_cmp_lg_u32 s16, 0
	v_add_u32_e32 v6, 0x100, v6
	s_cbranch_scc0 .LBB44_25
.LBB44_22:                              ; =>This Inner Loop Header: Depth=1
	v_cmp_gt_u32_e64 s[0:1], s12, v6
	s_and_saveexec_b64 s[4:5], s[0:1]
	s_cbranch_execz .LBB44_21
; %bb.23:                               ;   in Loop: Header=BB44_22 Depth=1
	v_lshlrev_b64 v[4:5], 3, v[2:3]
	v_mov_b32_e32 v9, s15
	v_add_co_u32_e64 v4, s[0:1], s10, v4
	v_addc_co_u32_e64 v5, s[0:1], v9, v5, s[0:1]
	global_load_dwordx2 v[4:5], v[4:5], off
	s_waitcnt vmcnt(0)
	v_xor_b32_e32 v5, 0x80000000, v5
	v_xor_b32_e32 v9, s6, v4
	;; [unrolled: 1-line block ×3, first 2 shown]
	v_and_b32_e32 v11, s9, v10
	v_and_b32_e32 v10, s8, v9
	v_cmp_eq_u64_e64 s[0:1], 0, v[10:11]
	s_and_b64 exec, exec, s[0:1]
	s_cbranch_execz .LBB44_21
; %bb.24:                               ;   in Loop: Header=BB44_22 Depth=1
	v_lshrrev_b64 v[4:5], s14, v[4:5]
	v_lshlrev_b32_sdwa v4, v8, v4 dst_sel:DWORD dst_unused:UNUSED_PAD src0_sel:DWORD src1_sel:BYTE_0
	ds_add_u32 v4, v7
	s_branch .LBB44_21
.LBB44_25:
	v_mov_b32_e32 v2, 0
	s_waitcnt lgkmcnt(0)
	s_barrier
	s_and_saveexec_b64 s[0:1], vcc
	s_cbranch_execz .LBB44_27
; %bb.26:
	ds_read_b32 v2, v1
.LBB44_27:
	s_or_b64 exec, exec, s[0:1]
	s_and_saveexec_b64 s[0:1], vcc
	s_cbranch_execz .LBB44_29
; %bb.28:
	v_lshl_or_b32 v0, s18, 8, v0
	v_mov_b32_e32 v1, 0
	v_lshlrev_b64 v[0:1], 1, v[0:1]
	v_mov_b32_e32 v3, s3
	v_add_co_u32_e32 v0, vcc, s2, v0
	v_addc_co_u32_e32 v1, vcc, v3, v1, vcc
	s_waitcnt lgkmcnt(0)
	global_store_short v[0:1], v2, off
.LBB44_29:
	s_endpgm
	.section	.rodata,"a",@progbits
	.p2align	6, 0x0
	.amdhsa_kernel _ZN2at6native6mbtopk23computeBlockDigitCountsIljmLi2EEEvNS_4cuda6detail10TensorInfoIKT_T0_EEjPjjS8_iijT1_PSB_Ps
		.amdhsa_group_segment_fixed_size 1024
		.amdhsa_private_segment_fixed_size 0
		.amdhsa_kernarg_size 536
		.amdhsa_user_sgpr_count 6
		.amdhsa_user_sgpr_private_segment_buffer 1
		.amdhsa_user_sgpr_dispatch_ptr 0
		.amdhsa_user_sgpr_queue_ptr 0
		.amdhsa_user_sgpr_kernarg_segment_ptr 1
		.amdhsa_user_sgpr_dispatch_id 0
		.amdhsa_user_sgpr_flat_scratch_init 0
		.amdhsa_user_sgpr_kernarg_preload_length 0
		.amdhsa_user_sgpr_kernarg_preload_offset 0
		.amdhsa_user_sgpr_private_segment_size 0
		.amdhsa_uses_dynamic_stack 0
		.amdhsa_system_sgpr_private_segment_wavefront_offset 0
		.amdhsa_system_sgpr_workgroup_id_x 1
		.amdhsa_system_sgpr_workgroup_id_y 1
		.amdhsa_system_sgpr_workgroup_id_z 1
		.amdhsa_system_sgpr_workgroup_info 0
		.amdhsa_system_vgpr_workitem_id 0
		.amdhsa_next_free_vgpr 16
		.amdhsa_next_free_sgpr 26
		.amdhsa_accum_offset 16
		.amdhsa_reserve_vcc 1
		.amdhsa_reserve_flat_scratch 0
		.amdhsa_float_round_mode_32 0
		.amdhsa_float_round_mode_16_64 0
		.amdhsa_float_denorm_mode_32 3
		.amdhsa_float_denorm_mode_16_64 3
		.amdhsa_dx10_clamp 1
		.amdhsa_ieee_mode 1
		.amdhsa_fp16_overflow 0
		.amdhsa_tg_split 0
		.amdhsa_exception_fp_ieee_invalid_op 0
		.amdhsa_exception_fp_denorm_src 0
		.amdhsa_exception_fp_ieee_div_zero 0
		.amdhsa_exception_fp_ieee_overflow 0
		.amdhsa_exception_fp_ieee_underflow 0
		.amdhsa_exception_fp_ieee_inexact 0
		.amdhsa_exception_int_div_zero 0
	.end_amdhsa_kernel
	.section	.text._ZN2at6native6mbtopk23computeBlockDigitCountsIljmLi2EEEvNS_4cuda6detail10TensorInfoIKT_T0_EEjPjjS8_iijT1_PSB_Ps,"axG",@progbits,_ZN2at6native6mbtopk23computeBlockDigitCountsIljmLi2EEEvNS_4cuda6detail10TensorInfoIKT_T0_EEjPjjS8_iijT1_PSB_Ps,comdat
.Lfunc_end44:
	.size	_ZN2at6native6mbtopk23computeBlockDigitCountsIljmLi2EEEvNS_4cuda6detail10TensorInfoIKT_T0_EEjPjjS8_iijT1_PSB_Ps, .Lfunc_end44-_ZN2at6native6mbtopk23computeBlockDigitCountsIljmLi2EEEvNS_4cuda6detail10TensorInfoIKT_T0_EEjPjjS8_iijT1_PSB_Ps
                                        ; -- End function
	.section	.AMDGPU.csdata,"",@progbits
; Kernel info:
; codeLenInByte = 1416
; NumSgprs: 30
; NumVgprs: 16
; NumAgprs: 0
; TotalNumVgprs: 16
; ScratchSize: 0
; MemoryBound: 0
; FloatMode: 240
; IeeeMode: 1
; LDSByteSize: 1024 bytes/workgroup (compile time only)
; SGPRBlocks: 3
; VGPRBlocks: 1
; NumSGPRsForWavesPerEU: 30
; NumVGPRsForWavesPerEU: 16
; AccumOffset: 16
; Occupancy: 8
; WaveLimiterHint : 1
; COMPUTE_PGM_RSRC2:SCRATCH_EN: 0
; COMPUTE_PGM_RSRC2:USER_SGPR: 6
; COMPUTE_PGM_RSRC2:TRAP_HANDLER: 0
; COMPUTE_PGM_RSRC2:TGID_X_EN: 1
; COMPUTE_PGM_RSRC2:TGID_Y_EN: 1
; COMPUTE_PGM_RSRC2:TGID_Z_EN: 1
; COMPUTE_PGM_RSRC2:TIDIG_COMP_CNT: 0
; COMPUTE_PGM_RSRC3_GFX90A:ACCUM_OFFSET: 3
; COMPUTE_PGM_RSRC3_GFX90A:TG_SPLIT: 0
	.section	.text._ZN2at6native6mbtopk10gatherTopKIljLi2EEEvNS_4cuda6detail10TensorInfoIKT_T0_EES8_S8_bjS8_NS5_IS6_S8_EES8_NS5_IlS8_EES8_jjPS6_PjSD_j,"axG",@progbits,_ZN2at6native6mbtopk10gatherTopKIljLi2EEEvNS_4cuda6detail10TensorInfoIKT_T0_EES8_S8_bjS8_NS5_IS6_S8_EES8_NS5_IlS8_EES8_jjPS6_PjSD_j,comdat
	.protected	_ZN2at6native6mbtopk10gatherTopKIljLi2EEEvNS_4cuda6detail10TensorInfoIKT_T0_EES8_S8_bjS8_NS5_IS6_S8_EES8_NS5_IlS8_EES8_jjPS6_PjSD_j ; -- Begin function _ZN2at6native6mbtopk10gatherTopKIljLi2EEEvNS_4cuda6detail10TensorInfoIKT_T0_EES8_S8_bjS8_NS5_IS6_S8_EES8_NS5_IlS8_EES8_jjPS6_PjSD_j
	.globl	_ZN2at6native6mbtopk10gatherTopKIljLi2EEEvNS_4cuda6detail10TensorInfoIKT_T0_EES8_S8_bjS8_NS5_IS6_S8_EES8_NS5_IlS8_EES8_jjPS6_PjSD_j
	.p2align	8
	.type	_ZN2at6native6mbtopk10gatherTopKIljLi2EEEvNS_4cuda6detail10TensorInfoIKT_T0_EES8_S8_bjS8_NS5_IS6_S8_EES8_NS5_IlS8_EES8_jjPS6_PjSD_j,@function
_ZN2at6native6mbtopk10gatherTopKIljLi2EEEvNS_4cuda6detail10TensorInfoIKT_T0_EES8_S8_bjS8_NS5_IS6_S8_EES8_NS5_IlS8_EES8_jjPS6_PjSD_j: ; @_ZN2at6native6mbtopk10gatherTopKIljLi2EEEvNS_4cuda6detail10TensorInfoIKT_T0_EES8_S8_bjS8_NS5_IS6_S8_EES8_NS5_IlS8_EES8_jjPS6_PjSD_j
; %bb.0:
	s_load_dwordx2 s[0:1], s[4:5], 0x2d8
	s_load_dword s2, s[4:5], 0x2d0
	s_waitcnt lgkmcnt(0)
	s_mul_i32 s1, s1, s8
	s_add_i32 s1, s1, s7
	s_mul_i32 s0, s1, s0
	s_add_i32 s0, s0, s6
	s_cmp_ge_u32 s0, s2
	s_cbranch_scc1 .LBB45_40
; %bb.1:
	s_load_dwordx8 s[8:15], s[4:5], 0x2a8
	s_load_dwordx2 s[22:23], s[4:5], 0x23c
	s_load_dword s33, s[4:5], 0x1dc
	s_load_dwordx2 s[6:7], s[4:5], 0x1d0
	s_load_dwordx2 s[30:31], s[4:5], 0x15c
	s_load_dword s42, s[4:5], 0xfc
	s_load_dwordx2 s[26:27], s[4:5], 0x0
	s_load_dwordx2 s[24:25], s[4:5], 0xf0
	;; [unrolled: 1-line block ×3, first 2 shown]
	s_load_dword s43, s[4:5], 0xc
	s_mov_b32 s29, 0
	s_waitcnt lgkmcnt(0)
	v_cvt_f32_u32_e32 v1, s10
	s_sub_i32 s1, 0, s10
	v_cvt_f32_u32_e32 v2, s43
	v_rcp_iflag_f32_e32 v1, v1
	v_mul_f32_e32 v1, 0x4f7ffffe, v1
	v_cvt_u32_f32_e32 v1, v1
	v_readfirstlane_b32 s2, v1
	s_mul_i32 s1, s1, s2
	s_mul_hi_u32 s1, s2, s1
	s_add_i32 s2, s2, s1
	v_rcp_iflag_f32_e32 v1, v2
	s_mul_hi_u32 s1, s0, s2
	s_mul_i32 s2, s1, s10
	s_sub_i32 s2, s0, s2
	s_add_i32 s3, s1, 1
	s_sub_i32 s11, s2, s10
	v_mul_f32_e32 v1, 0x4f7ffffe, v1
	s_cmp_ge_u32 s2, s10
	v_cvt_u32_f32_e32 v1, v1
	v_cvt_f32_u32_e32 v2, s42
	s_cselect_b32 s1, s3, s1
	s_cselect_b32 s2, s11, s2
	s_add_i32 s3, s1, 1
	s_cmp_ge_u32 s2, s10
	s_cselect_b32 s28, s3, s1
	v_readfirstlane_b32 s1, v1
	v_rcp_iflag_f32_e32 v1, v2
	v_cvt_f32_u32_e32 v2, s33
	s_mul_i32 s16, s28, s10
	s_sub_i32 s11, s0, s16
	v_mul_f32_e32 v1, 0x4f7ffffe, v1
	s_sub_i32 s0, 0, s43
	v_cvt_u32_f32_e32 v1, v1
	v_rcp_iflag_f32_e32 v2, v2
	s_mul_i32 s0, s0, s1
	s_mul_hi_u32 s0, s1, s0
	s_add_i32 s1, s1, s0
	s_mul_hi_u32 s45, s28, s1
	v_readfirstlane_b32 s1, v1
	v_mul_f32_e32 v1, 0x4f7ffffe, v2
	v_cvt_u32_f32_e32 v1, v1
	s_sub_i32 s0, 0, s42
	s_mul_i32 s0, s0, s1
	s_mul_hi_u32 s0, s1, s0
	s_add_i32 s2, s1, s0
	s_sub_i32 s0, 0, s33
	v_readfirstlane_b32 s1, v1
	s_mul_i32 s0, s0, s1
	s_mul_hi_u32 s0, s1, s0
	s_add_i32 s3, s1, s0
	s_lshl_b64 s[0:1], s[28:29], 3
	s_add_u32 s0, s12, s0
	s_addc_u32 s1, s13, s1
	s_load_dwordx2 s[20:21], s[0:1], 0x0
	s_mul_hi_u32 s46, s28, s2
	s_mul_hi_u32 s44, s28, s3
	v_cmp_ne_u32_e64 s[0:1], 0, v0
	v_cmp_eq_u32_e64 s[2:3], 0, v0
	s_and_saveexec_b64 s[12:13], s[2:3]
	s_cbranch_execz .LBB45_17
; %bb.2:
	s_load_dwordx2 s[36:37], s[4:5], 0x2c8
	s_mov_b32 s17, s29
	s_lshl_b64 s[38:39], s[16:17], 2
	s_add_u32 s16, s14, s38
	s_addc_u32 s17, s15, s39
	s_waitcnt lgkmcnt(0)
	s_add_u32 s18, s36, s38
	s_addc_u32 s19, s37, s39
	s_cmp_lt_u32 s10, 4
	s_cbranch_scc1 .LBB45_14
; %bb.3:
	s_mov_b32 s47, s29
	s_mov_b32 s48, s29
	;; [unrolled: 1-line block ×3, first 2 shown]
.LBB45_4:                               ; =>This Inner Loop Header: Depth=1
	s_add_u32 s16, s14, s38
	s_addc_u32 s17, s15, s39
	s_load_dwordx4 s[16:19], s[16:17], 0x0
	s_add_u32 s40, s36, s38
	s_addc_u32 s41, s37, s39
	s_cmp_ge_u32 s49, s11
	s_cbranch_scc0 .LBB45_11
; %bb.5:                                ;   in Loop: Header=BB45_4 Depth=1
	s_add_i32 s50, s49, 1
	s_cmp_ge_u32 s50, s11
	s_cbranch_scc0 .LBB45_12
.LBB45_6:                               ;   in Loop: Header=BB45_4 Depth=1
	s_add_i32 s50, s50, 1
	s_cmp_ge_u32 s50, s11
	s_cbranch_scc0 .LBB45_13
.LBB45_7:                               ;   in Loop: Header=BB45_4 Depth=1
	s_add_i32 s50, s50, 1
	s_cmp_ge_u32 s50, s11
	s_cbranch_scc1 .LBB45_9
.LBB45_8:                               ;   in Loop: Header=BB45_4 Depth=1
	s_load_dword s40, s[40:41], 0xc
	s_waitcnt lgkmcnt(0)
	s_add_i32 s29, s29, s19
	s_add_i32 s47, s40, s47
.LBB45_9:                               ;   in Loop: Header=BB45_4 Depth=1
	s_waitcnt lgkmcnt(0)
	s_add_i32 s16, s16, s48
	s_add_i32 s16, s16, s17
	;; [unrolled: 1-line block ×4, first 2 shown]
	s_add_u32 s14, s14, 16
	s_addc_u32 s15, s15, 0
	s_add_u32 s36, s36, 16
	s_addc_u32 s37, s37, 0
	s_add_i32 s41, s50, 4
	s_add_u32 s18, s36, s38
	s_addc_u32 s19, s37, s39
	s_add_u32 s16, s14, s38
	s_addc_u32 s17, s15, s39
	s_add_i32 s40, s50, 1
	s_cmp_ge_u32 s41, s10
	s_cbranch_scc1 .LBB45_15
; %bb.10:                               ;   in Loop: Header=BB45_4 Depth=1
	s_mov_b32 s49, s40
	s_branch .LBB45_4
.LBB45_11:                              ;   in Loop: Header=BB45_4 Depth=1
	s_load_dword s50, s[40:41], 0x0
	s_waitcnt lgkmcnt(0)
	s_add_i32 s29, s16, s29
	s_add_i32 s47, s50, s47
	s_add_i32 s50, s49, 1
	s_cmp_ge_u32 s50, s11
	s_cbranch_scc1 .LBB45_6
.LBB45_12:                              ;   in Loop: Header=BB45_4 Depth=1
	s_load_dword s51, s[40:41], 0x4
	s_waitcnt lgkmcnt(0)
	s_add_i32 s29, s29, s17
	s_add_i32 s47, s51, s47
	;; [unrolled: 1-line block ×3, first 2 shown]
	s_cmp_ge_u32 s50, s11
	s_cbranch_scc1 .LBB45_7
.LBB45_13:                              ;   in Loop: Header=BB45_4 Depth=1
	s_load_dword s51, s[40:41], 0x8
	s_waitcnt lgkmcnt(0)
	s_add_i32 s29, s29, s18
	s_add_i32 s47, s51, s47
	s_add_i32 s50, s50, 1
	s_cmp_ge_u32 s50, s11
	s_cbranch_scc0 .LBB45_8
	s_branch .LBB45_9
.LBB45_14:
	s_mov_b32 s47, 0
	s_mov_b32 s48, 0
	;; [unrolled: 1-line block ×3, first 2 shown]
	s_cmp_ge_u32 s14, s10
	s_cbranch_scc0 .LBB45_38
	s_branch .LBB45_16
.LBB45_15:
	s_add_i32 s14, s49, 4
	s_cmp_ge_u32 s14, s10
	s_cbranch_scc0 .LBB45_38
.LBB45_16:
	v_mov_b32_e32 v2, s47
	v_mov_b32_e32 v3, s48
	;; [unrolled: 1-line block ×4, first 2 shown]
	ds_write_b96 v1, v[2:4] offset:1056
.LBB45_17:
	s_or_b64 exec, exec, s[12:13]
	s_load_dwordx4 s[12:15], s[4:5], 0xd8
	s_waitcnt lgkmcnt(0)
	s_mul_i32 s15, s9, s11
	s_lshl_b32 s15, s15, 8
	s_add_i32 s16, s11, 1
	s_mov_b32 s11, 0
	s_sub_i32 s17, s12, s15
	s_add_u32 s17, s17, 0xff
	s_addc_u32 s18, 0, 0
	v_mov_b32_e32 v1, s17
	v_alignbit_b32 v1, s18, v1, 8
	s_cmp_lt_u32 s16, s10
	v_readfirstlane_b32 s10, v1
	s_cselect_b32 s9, s9, s10
	s_cmp_eq_u32 s9, 0
	s_barrier
	s_cbranch_scc1 .LBB45_40
; %bb.18:
	s_mul_i32 s10, s45, s43
	s_sub_i32 s10, s28, s10
	s_add_i32 s16, s45, 1
	s_sub_i32 s17, s10, s43
	s_cmp_ge_u32 s10, s43
	s_cselect_b32 s16, s16, s45
	s_cselect_b32 s10, s17, s10
	s_add_i32 s17, s16, 1
	s_cmp_ge_u32 s10, s43
	s_cselect_b32 s10, s17, s16
	s_mul_i32 s16, s10, s43
	s_sub_i32 s16, s28, s16
	s_mul_i32 s16, s16, s35
	s_mul_i32 s10, s10, s34
	s_add_i32 s10, s10, s16
	s_mul_i32 s16, s46, s42
	s_sub_i32 s16, s28, s16
	s_add_i32 s17, s46, 1
	s_sub_i32 s18, s16, s42
	s_cmp_ge_u32 s16, s42
	s_cselect_b32 s17, s17, s46
	s_cselect_b32 s16, s18, s16
	s_add_i32 s18, s17, 1
	s_cmp_ge_u32 s16, s42
	s_cselect_b32 s16, s18, s17
	s_mul_i32 s17, s16, s42
	s_sub_i32 s17, s28, s17
	s_mul_i32 s17, s17, s31
	s_mul_i32 s16, s16, s30
	s_add_i32 s18, s16, s17
	s_mul_i32 s16, s44, s33
	s_sub_i32 s16, s28, s16
	s_add_i32 s17, s44, 1
	s_sub_i32 s19, s16, s33
	s_cmp_ge_u32 s16, s33
	s_cselect_b32 s17, s17, s44
	s_cselect_b32 s16, s19, s16
	s_add_i32 s19, s17, 1
	s_cmp_ge_u32 s16, s33
	s_cselect_b32 s16, s19, s17
	s_mul_i32 s17, s16, s33
	s_sub_i32 s17, s28, s17
	s_mul_i32 s17, s17, s23
	s_mul_i32 s16, s16, s22
	v_mov_b32_e32 v1, 0
	s_add_i32 s22, s16, s17
	s_lshl_b64 s[16:17], s[10:11], 3
	ds_read_b96 v[2:4], v1 offset:1056
	s_add_u32 s16, s26, s16
	s_mov_b32 s19, s11
	s_addc_u32 s17, s27, s17
	s_lshl_b64 s[18:19], s[18:19], 3
	s_add_u32 s18, s24, s18
	s_mov_b32 s23, s11
	s_addc_u32 s19, s25, s19
	s_lshl_b64 s[10:11], s[22:23], 3
	s_add_u32 s22, s6, s10
	s_waitcnt lgkmcnt(0)
	v_add_u32_e32 v5, v2, v3
	v_lshrrev_b32_e32 v2, 5, v0
	s_addc_u32 s23, s7, s11
	s_xor_b32 s11, s21, 0x80000000
	v_add_lshl_u32 v8, v2, v0, 2
	v_lshlrev_b32_e32 v2, 2, v0
	v_lshrrev_b32_e32 v3, 3, v0
	s_bitcmp1_b32 s14, 0
	s_load_dword s14, s[4:5], 0xe8
	s_load_dword s24, s[4:5], 0x1c8
	v_add_lshl_u32 v9, v3, v2, 2
	v_add_u32_e32 v2, -1, v0
	v_lshrrev_b32_e32 v3, 5, v2
	v_add_lshl_u32 v10, v3, v2, 2
	v_mbcnt_lo_u32_b32 v3, -1, 0
	v_add_u32_e32 v2, s15, v0
	v_mbcnt_hi_u32_b32 v11, -1, v3
	s_mov_b32 s10, s20
	s_cselect_b64 s[6:7], -1, 0
	v_cmp_gt_u32_e64 s[4:5], 64, v0
	s_waitcnt lgkmcnt(0)
	v_mul_lo_u32 v0, s14, v2
	s_lshl_b32 s25, s14, 8
	v_and_b32_e32 v12, 15, v11
	v_bfe_i32 v13, v11, 4, 1
	v_add_u32_e32 v14, -1, v11
	v_and_b32_e32 v15, 64, v11
                                        ; implicit-def: $vgpr6_vgpr7
	s_branch .LBB45_21
.LBB45_19:                              ;   in Loop: Header=BB45_21 Depth=1
	s_or_b64 exec, exec, s[14:15]
	v_add_u32_e32 v5, v18, v5
.LBB45_20:                              ;   in Loop: Header=BB45_21 Depth=1
	s_add_i32 s9, s9, -1
	v_add_u32_e32 v4, v17, v4
	v_add_u32_e32 v0, s25, v0
	s_cmp_lg_u32 s9, 0
	v_add_u32_e32 v2, 0x100, v2
	s_cbranch_scc0 .LBB45_40
.LBB45_21:                              ; =>This Inner Loop Header: Depth=1
	v_cmp_gt_u32_e32 vcc, s12, v2
	v_mov_b32_e32 v3, 0
	v_mov_b32_e32 v16, 0
	s_and_saveexec_b64 s[14:15], vcc
	s_cbranch_execz .LBB45_23
; %bb.22:                               ;   in Loop: Header=BB45_21 Depth=1
	v_lshlrev_b64 v[6:7], 3, v[0:1]
	v_mov_b32_e32 v3, s17
	v_add_co_u32_e32 v6, vcc, s16, v6
	v_addc_co_u32_e32 v7, vcc, v3, v7, vcc
	global_load_dwordx2 v[6:7], v[6:7], off
	s_waitcnt vmcnt(0)
	v_xor_b32_e32 v17, 0x80000000, v7
	v_mov_b32_e32 v16, v6
	v_cmp_lt_u64_e32 vcc, s[10:11], v[16:17]
	v_cndmask_b32_e64 v3, 0, 1, vcc
	v_cmp_gt_u64_e32 vcc, s[10:11], v[16:17]
	v_cndmask_b32_e64 v16, 0, 1, vcc
	v_cndmask_b32_e64 v3, v16, v3, s[6:7]
	v_cmp_eq_u64_e32 vcc, s[20:21], v[6:7]
	v_and_b32_e32 v3, 1, v3
	v_cndmask_b32_e64 v16, 0, 1, vcc
.LBB45_23:                              ;   in Loop: Header=BB45_21 Depth=1
	s_or_b64 exec, exec, s[14:15]
	ds_write_b32 v8, v3
	s_waitcnt lgkmcnt(0)
	s_barrier
	s_and_saveexec_b64 s[14:15], s[4:5]
	s_cbranch_execz .LBB45_25
; %bb.24:                               ;   in Loop: Header=BB45_21 Depth=1
	ds_read2_b32 v[18:19], v9 offset1:1
	ds_read2_b32 v[20:21], v9 offset0:2 offset1:3
	v_cmp_ne_u32_e32 vcc, 0, v12
	; wave barrier
	s_waitcnt lgkmcnt(1)
	v_add_u32_e32 v17, v19, v18
	s_waitcnt lgkmcnt(0)
	v_add3_u32 v17, v17, v20, v21
	s_nop 1
	v_mov_b32_dpp v19, v17 row_shr:1 row_mask:0xf bank_mask:0xf
	v_cndmask_b32_e32 v19, 0, v19, vcc
	v_add_u32_e32 v17, v19, v17
	v_cmp_lt_u32_e32 vcc, 1, v12
	s_nop 0
	v_mov_b32_dpp v19, v17 row_shr:2 row_mask:0xf bank_mask:0xf
	v_cndmask_b32_e32 v19, 0, v19, vcc
	v_add_u32_e32 v17, v17, v19
	v_cmp_lt_u32_e32 vcc, 3, v12
	;; [unrolled: 5-line block ×4, first 2 shown]
	s_nop 0
	v_mov_b32_dpp v19, v17 row_bcast:15 row_mask:0xf bank_mask:0xf
	v_and_b32_e32 v19, v13, v19
	v_add_u32_e32 v17, v17, v19
	s_nop 1
	v_mov_b32_dpp v19, v17 row_bcast:31 row_mask:0xf bank_mask:0xf
	v_cndmask_b32_e32 v19, 0, v19, vcc
	v_cmp_lt_i32_e32 vcc, v14, v15
	v_add_u32_e32 v17, v17, v19
	v_cndmask_b32_e32 v19, v14, v11, vcc
	v_lshlrev_b32_e32 v19, 2, v19
	ds_bpermute_b32 v17, v19, v17
	s_waitcnt lgkmcnt(0)
	v_add_u32_e32 v17, v17, v18
	v_cndmask_b32_e64 v17, v17, v3, s[2:3]
	ds_write_b32 v9, v17
	; wave barrier
	ds_read2_b32 v[18:19], v9 offset0:1 offset1:2
	ds_read_b32 v20, v9 offset:12
	s_waitcnt lgkmcnt(1)
	v_add_u32_e32 v17, v18, v17
	v_add_u32_e32 v18, v19, v17
	ds_write2_b32 v9, v17, v18 offset0:1 offset1:2
	s_waitcnt lgkmcnt(1)
	v_add_u32_e32 v17, v20, v18
	ds_write_b32 v9, v17 offset:12
.LBB45_25:                              ;   in Loop: Header=BB45_21 Depth=1
	s_or_b64 exec, exec, s[14:15]
	v_mov_b32_e32 v18, 0
	s_waitcnt lgkmcnt(0)
	s_barrier
	s_and_saveexec_b64 s[14:15], s[0:1]
	s_cbranch_execz .LBB45_27
; %bb.26:                               ;   in Loop: Header=BB45_21 Depth=1
	ds_read_b32 v18, v10
.LBB45_27:                              ;   in Loop: Header=BB45_21 Depth=1
	s_or_b64 exec, exec, s[14:15]
	ds_read_b32 v17, v1 offset:1048
	v_cmp_ne_u32_e32 vcc, 0, v3
	s_waitcnt lgkmcnt(0)
	s_barrier
	s_and_saveexec_b64 s[14:15], vcc
	s_cbranch_execz .LBB45_29
; %bb.28:                               ;   in Loop: Header=BB45_21 Depth=1
	v_add_u32_e32 v20, v18, v4
	v_mul_lo_u32 v18, v20, s24
	v_mov_b32_e32 v19, v1
	v_lshlrev_b64 v[18:19], 3, v[18:19]
	v_mov_b32_e32 v3, s19
	v_add_co_u32_e32 v18, vcc, s18, v18
	v_addc_co_u32_e32 v19, vcc, v3, v19, vcc
	global_store_dwordx2 v[18:19], v[6:7], off
	v_mul_lo_u32 v18, v20, s8
	v_mov_b32_e32 v19, v1
	v_lshlrev_b64 v[18:19], 3, v[18:19]
	v_mov_b32_e32 v20, s23
	v_add_co_u32_e32 v18, vcc, s22, v18
	v_mov_b32_e32 v3, v1
	v_addc_co_u32_e32 v19, vcc, v20, v19, vcc
	global_store_dwordx2 v[18:19], v[2:3], off
.LBB45_29:                              ;   in Loop: Header=BB45_21 Depth=1
	s_or_b64 exec, exec, s[14:15]
	v_cmp_le_u32_e32 vcc, s13, v5
	s_cbranch_vccnz .LBB45_20
; %bb.30:                               ;   in Loop: Header=BB45_21 Depth=1
	ds_write_b32 v8, v16
	s_waitcnt lgkmcnt(0)
	s_barrier
	s_and_saveexec_b64 s[14:15], s[4:5]
	s_cbranch_execz .LBB45_32
; %bb.31:                               ;   in Loop: Header=BB45_21 Depth=1
	ds_read2_b32 v[18:19], v9 offset1:1
	ds_read2_b32 v[20:21], v9 offset0:2 offset1:3
	v_cmp_ne_u32_e32 vcc, 0, v12
	; wave barrier
	s_waitcnt lgkmcnt(1)
	v_add_u32_e32 v3, v19, v18
	s_waitcnt lgkmcnt(0)
	v_add3_u32 v3, v3, v20, v21
	s_nop 1
	v_mov_b32_dpp v19, v3 row_shr:1 row_mask:0xf bank_mask:0xf
	v_cndmask_b32_e32 v19, 0, v19, vcc
	v_add_u32_e32 v3, v19, v3
	v_cmp_lt_u32_e32 vcc, 1, v12
	s_nop 0
	v_mov_b32_dpp v19, v3 row_shr:2 row_mask:0xf bank_mask:0xf
	v_cndmask_b32_e32 v19, 0, v19, vcc
	v_add_u32_e32 v3, v3, v19
	v_cmp_lt_u32_e32 vcc, 3, v12
	;; [unrolled: 5-line block ×4, first 2 shown]
	s_nop 0
	v_mov_b32_dpp v19, v3 row_bcast:15 row_mask:0xf bank_mask:0xf
	v_and_b32_e32 v19, v13, v19
	v_add_u32_e32 v3, v3, v19
	s_nop 1
	v_mov_b32_dpp v19, v3 row_bcast:31 row_mask:0xf bank_mask:0xf
	v_cndmask_b32_e32 v19, 0, v19, vcc
	v_cmp_lt_i32_e32 vcc, v14, v15
	v_add_u32_e32 v3, v3, v19
	v_cndmask_b32_e32 v19, v14, v11, vcc
	v_lshlrev_b32_e32 v19, 2, v19
	ds_bpermute_b32 v3, v19, v3
	s_waitcnt lgkmcnt(0)
	v_add_u32_e32 v3, v3, v18
	v_cndmask_b32_e64 v3, v3, v16, s[2:3]
	ds_write_b32 v9, v3
	; wave barrier
	ds_read2_b32 v[18:19], v9 offset0:1 offset1:2
	ds_read_b32 v20, v9 offset:12
	s_waitcnt lgkmcnt(1)
	v_add_u32_e32 v3, v18, v3
	v_add_u32_e32 v18, v19, v3
	ds_write2_b32 v9, v3, v18 offset0:1 offset1:2
	s_waitcnt lgkmcnt(1)
	v_add_u32_e32 v3, v20, v18
	ds_write_b32 v9, v3 offset:12
.LBB45_32:                              ;   in Loop: Header=BB45_21 Depth=1
	s_or_b64 exec, exec, s[14:15]
	v_mov_b32_e32 v3, 0
	s_waitcnt lgkmcnt(0)
	s_barrier
	s_and_saveexec_b64 s[14:15], s[0:1]
	s_cbranch_execz .LBB45_34
; %bb.33:                               ;   in Loop: Header=BB45_21 Depth=1
	ds_read_b32 v3, v10
.LBB45_34:                              ;   in Loop: Header=BB45_21 Depth=1
	s_or_b64 exec, exec, s[14:15]
	ds_read_b32 v18, v1 offset:1048
	v_cmp_ne_u32_e32 vcc, 0, v16
	s_waitcnt lgkmcnt(0)
	s_barrier
	s_and_saveexec_b64 s[14:15], vcc
	s_cbranch_execz .LBB45_19
; %bb.35:                               ;   in Loop: Header=BB45_21 Depth=1
	v_add_u32_e32 v16, v3, v5
	v_cmp_gt_u32_e32 vcc, s13, v16
	s_and_b64 exec, exec, vcc
	s_cbranch_execz .LBB45_19
; %bb.36:                               ;   in Loop: Header=BB45_21 Depth=1
	v_mul_lo_u32 v20, v16, s24
	v_mov_b32_e32 v21, v1
	v_lshlrev_b64 v[20:21], 3, v[20:21]
	v_mov_b32_e32 v3, s19
	v_add_co_u32_e32 v20, vcc, s18, v20
	v_addc_co_u32_e32 v21, vcc, v3, v21, vcc
	global_store_dwordx2 v[20:21], v[6:7], off
	v_mul_lo_u32 v20, v16, s8
	v_mov_b32_e32 v21, v1
	v_lshlrev_b64 v[20:21], 3, v[20:21]
	v_mov_b32_e32 v16, s23
	v_add_co_u32_e32 v20, vcc, s22, v20
	v_mov_b32_e32 v3, v1
	v_addc_co_u32_e32 v21, vcc, v16, v21, vcc
	global_store_dwordx2 v[20:21], v[2:3], off
	s_branch .LBB45_19
.LBB45_37:                              ;   in Loop: Header=BB45_38 Depth=1
	s_add_u32 s16, s16, 4
	s_addc_u32 s17, s17, 0
	s_waitcnt lgkmcnt(0)
	s_add_i32 s48, s15, s48
	s_add_u32 s18, s18, 4
	s_addc_u32 s19, s19, 0
	s_add_i32 s14, s14, 1
	s_cmp_lt_u32 s14, s10
	s_cbranch_scc0 .LBB45_16
.LBB45_38:                              ; =>This Inner Loop Header: Depth=1
	s_load_dword s15, s[16:17], 0x0
	s_cmp_ge_u32 s14, s11
	s_cbranch_scc1 .LBB45_37
; %bb.39:                               ;   in Loop: Header=BB45_38 Depth=1
	s_load_dword s36, s[18:19], 0x0
	s_waitcnt lgkmcnt(0)
	s_add_i32 s29, s15, s29
	s_add_i32 s47, s36, s47
	s_branch .LBB45_37
.LBB45_40:
	s_endpgm
	.section	.rodata,"a",@progbits
	.p2align	6, 0x0
	.amdhsa_kernel _ZN2at6native6mbtopk10gatherTopKIljLi2EEEvNS_4cuda6detail10TensorInfoIKT_T0_EES8_S8_bjS8_NS5_IS6_S8_EES8_NS5_IlS8_EES8_jjPS6_PjSD_j
		.amdhsa_group_segment_fixed_size 1068
		.amdhsa_private_segment_fixed_size 0
		.amdhsa_kernarg_size 984
		.amdhsa_user_sgpr_count 6
		.amdhsa_user_sgpr_private_segment_buffer 1
		.amdhsa_user_sgpr_dispatch_ptr 0
		.amdhsa_user_sgpr_queue_ptr 0
		.amdhsa_user_sgpr_kernarg_segment_ptr 1
		.amdhsa_user_sgpr_dispatch_id 0
		.amdhsa_user_sgpr_flat_scratch_init 0
		.amdhsa_user_sgpr_kernarg_preload_length 0
		.amdhsa_user_sgpr_kernarg_preload_offset 0
		.amdhsa_user_sgpr_private_segment_size 0
		.amdhsa_uses_dynamic_stack 0
		.amdhsa_system_sgpr_private_segment_wavefront_offset 0
		.amdhsa_system_sgpr_workgroup_id_x 1
		.amdhsa_system_sgpr_workgroup_id_y 1
		.amdhsa_system_sgpr_workgroup_id_z 1
		.amdhsa_system_sgpr_workgroup_info 0
		.amdhsa_system_vgpr_workitem_id 0
		.amdhsa_next_free_vgpr 22
		.amdhsa_next_free_sgpr 52
		.amdhsa_accum_offset 24
		.amdhsa_reserve_vcc 1
		.amdhsa_reserve_flat_scratch 0
		.amdhsa_float_round_mode_32 0
		.amdhsa_float_round_mode_16_64 0
		.amdhsa_float_denorm_mode_32 3
		.amdhsa_float_denorm_mode_16_64 3
		.amdhsa_dx10_clamp 1
		.amdhsa_ieee_mode 1
		.amdhsa_fp16_overflow 0
		.amdhsa_tg_split 0
		.amdhsa_exception_fp_ieee_invalid_op 0
		.amdhsa_exception_fp_denorm_src 0
		.amdhsa_exception_fp_ieee_div_zero 0
		.amdhsa_exception_fp_ieee_overflow 0
		.amdhsa_exception_fp_ieee_underflow 0
		.amdhsa_exception_fp_ieee_inexact 0
		.amdhsa_exception_int_div_zero 0
	.end_amdhsa_kernel
	.section	.text._ZN2at6native6mbtopk10gatherTopKIljLi2EEEvNS_4cuda6detail10TensorInfoIKT_T0_EES8_S8_bjS8_NS5_IS6_S8_EES8_NS5_IlS8_EES8_jjPS6_PjSD_j,"axG",@progbits,_ZN2at6native6mbtopk10gatherTopKIljLi2EEEvNS_4cuda6detail10TensorInfoIKT_T0_EES8_S8_bjS8_NS5_IS6_S8_EES8_NS5_IlS8_EES8_jjPS6_PjSD_j,comdat
.Lfunc_end45:
	.size	_ZN2at6native6mbtopk10gatherTopKIljLi2EEEvNS_4cuda6detail10TensorInfoIKT_T0_EES8_S8_bjS8_NS5_IS6_S8_EES8_NS5_IlS8_EES8_jjPS6_PjSD_j, .Lfunc_end45-_ZN2at6native6mbtopk10gatherTopKIljLi2EEEvNS_4cuda6detail10TensorInfoIKT_T0_EES8_S8_bjS8_NS5_IS6_S8_EES8_NS5_IlS8_EES8_jjPS6_PjSD_j
                                        ; -- End function
	.section	.AMDGPU.csdata,"",@progbits
; Kernel info:
; codeLenInByte = 2412
; NumSgprs: 56
; NumVgprs: 22
; NumAgprs: 0
; TotalNumVgprs: 22
; ScratchSize: 0
; MemoryBound: 0
; FloatMode: 240
; IeeeMode: 1
; LDSByteSize: 1068 bytes/workgroup (compile time only)
; SGPRBlocks: 6
; VGPRBlocks: 2
; NumSGPRsForWavesPerEU: 56
; NumVGPRsForWavesPerEU: 22
; AccumOffset: 24
; Occupancy: 8
; WaveLimiterHint : 1
; COMPUTE_PGM_RSRC2:SCRATCH_EN: 0
; COMPUTE_PGM_RSRC2:USER_SGPR: 6
; COMPUTE_PGM_RSRC2:TRAP_HANDLER: 0
; COMPUTE_PGM_RSRC2:TGID_X_EN: 1
; COMPUTE_PGM_RSRC2:TGID_Y_EN: 1
; COMPUTE_PGM_RSRC2:TGID_Z_EN: 1
; COMPUTE_PGM_RSRC2:TIDIG_COMP_CNT: 0
; COMPUTE_PGM_RSRC3_GFX90A:ACCUM_OFFSET: 5
; COMPUTE_PGM_RSRC3_GFX90A:TG_SPLIT: 0
	.section	.text._ZN2at6native6sbtopk10gatherTopKIljLi2ELb0EEEvNS_4cuda6detail10TensorInfoIKT_T0_EES8_S8_bS8_S8_NS5_IS6_S8_EES8_NS5_IlS8_EES8_PS6_,"axG",@progbits,_ZN2at6native6sbtopk10gatherTopKIljLi2ELb0EEEvNS_4cuda6detail10TensorInfoIKT_T0_EES8_S8_bS8_S8_NS5_IS6_S8_EES8_NS5_IlS8_EES8_PS6_,comdat
	.protected	_ZN2at6native6sbtopk10gatherTopKIljLi2ELb0EEEvNS_4cuda6detail10TensorInfoIKT_T0_EES8_S8_bS8_S8_NS5_IS6_S8_EES8_NS5_IlS8_EES8_PS6_ ; -- Begin function _ZN2at6native6sbtopk10gatherTopKIljLi2ELb0EEEvNS_4cuda6detail10TensorInfoIKT_T0_EES8_S8_bS8_S8_NS5_IS6_S8_EES8_NS5_IlS8_EES8_PS6_
	.globl	_ZN2at6native6sbtopk10gatherTopKIljLi2ELb0EEEvNS_4cuda6detail10TensorInfoIKT_T0_EES8_S8_bS8_S8_NS5_IS6_S8_EES8_NS5_IlS8_EES8_PS6_
	.p2align	8
	.type	_ZN2at6native6sbtopk10gatherTopKIljLi2ELb0EEEvNS_4cuda6detail10TensorInfoIKT_T0_EES8_S8_bS8_S8_NS5_IS6_S8_EES8_NS5_IlS8_EES8_PS6_,@function
_ZN2at6native6sbtopk10gatherTopKIljLi2ELb0EEEvNS_4cuda6detail10TensorInfoIKT_T0_EES8_S8_bS8_S8_NS5_IS6_S8_EES8_NS5_IlS8_EES8_PS6_: ; @_ZN2at6native6sbtopk10gatherTopKIljLi2ELb0EEEvNS_4cuda6detail10TensorInfoIKT_T0_EES8_S8_bS8_S8_NS5_IS6_S8_EES8_NS5_IlS8_EES8_PS6_
; %bb.0:
	s_load_dwordx2 s[10:11], s[4:5], 0x2b8
	s_load_dwordx4 s[60:63], s[4:5], 0xd8
	s_add_u32 s2, s4, 0x2b8
	s_addc_u32 s3, s5, 0
	s_waitcnt lgkmcnt(0)
	s_mul_i32 s0, s11, s8
	s_add_i32 s0, s0, s7
	s_mul_i32 s0, s0, s10
	s_add_i32 s18, s0, s6
	s_cmp_ge_u32 s18, s63
	s_cbranch_scc1 .LBB46_414
; %bb.1:
	s_load_dwordx2 s[12:13], s[4:5], 0x1d0
                                        ; implicit-def: $vgpr59 : SGPR spill to VGPR lane
	s_load_dword s16, s[4:5], 0xc
	s_load_dword s17, s[4:5], 0xe8
	s_load_dwordx2 s[8:9], s[4:5], 0x6c
	s_load_dwordx2 s[0:1], s[4:5], 0x0
	s_mov_b32 s20, 0
	s_waitcnt lgkmcnt(0)
	v_cvt_f32_u32_e32 v1, s16
	v_cmp_eq_u32_e64 s[14:15], 0, v0
	v_writelane_b32 v59, s12, 0
	v_writelane_b32 v59, s13, 1
	s_load_dwordx2 s[12:13], s[4:5], 0x15c
	s_load_dword s11, s[4:5], 0xfc
	v_rcp_iflag_f32_e32 v1, v1
	s_waitcnt lgkmcnt(0)
	v_writelane_b32 v59, s12, 2
	v_writelane_b32 v59, s13, 3
	s_load_dwordx2 s[12:13], s[4:5], 0x23c
	v_cvt_f32_u32_e32 v2, s11
	v_mul_f32_e32 v1, 0x4f7ffffe, v1
	v_cvt_u32_f32_e32 v1, v1
	s_waitcnt lgkmcnt(0)
	v_writelane_b32 v59, s12, 4
	v_writelane_b32 v59, s13, 5
	s_load_dword s12, s[4:5], 0x1dc
	v_rcp_iflag_f32_e32 v2, v2
	v_writelane_b32 v59, s4, 6
	v_writelane_b32 v59, s5, 7
	s_load_dwordx2 s[4:5], s[4:5], 0xf0
	v_readfirstlane_b32 s7, v1
	v_mul_f32_e32 v1, 0x4f7ffffe, v2
	s_waitcnt lgkmcnt(0)
	v_cvt_f32_u32_e32 v2, s12
	v_cvt_u32_f32_e32 v1, v1
	v_writelane_b32 v59, s4, 8
	v_writelane_b32 v59, s5, 9
	s_sub_i32 s5, 0, s16
	v_rcp_iflag_f32_e32 v2, v2
	s_mul_i32 s5, s5, s7
	s_mul_hi_u32 s5, s7, s5
	s_add_i32 s7, s7, s5
	s_mul_hi_u32 s5, s18, s7
	v_writelane_b32 v59, s11, 10
	s_sub_i32 s7, 0, s11
	v_readfirstlane_b32 s11, v1
	v_mul_f32_e32 v1, 0x4f7ffffe, v2
	v_cvt_u32_f32_e32 v1, v1
	s_mul_i32 s7, s7, s11
	s_mul_hi_u32 s7, s11, s7
	s_add_i32 s11, s11, s7
	s_mul_hi_u32 s4, s18, s11
	s_sub_i32 s7, 0, s12
	v_readfirstlane_b32 s11, v1
	s_mul_i32 s7, s7, s11
	s_mul_hi_u32 s7, s11, s7
	v_writelane_b32 v59, s4, 11
	s_add_i32 s11, s11, s7
	v_writelane_b32 v59, s12, 12
	s_mul_hi_u32 s4, s18, s11
	v_writelane_b32 v59, s4, 13
	s_mov_b64 s[12:13], exec
	v_writelane_b32 v59, s14, 14
	v_writelane_b32 v59, s15, 15
	s_and_b64 s[14:15], s[12:13], s[14:15]
	s_mov_b64 exec, s[14:15]
	s_cbranch_execz .LBB46_3
; %bb.2:
	v_mov_b32_e32 v2, 0
	v_mov_b32_e32 v3, s60
	;; [unrolled: 1-line block ×3, first 2 shown]
	ds_write_b96 v2, v[2:4] offset:4096
.LBB46_3:
	s_or_b64 exec, exec, s[12:13]
	s_mul_i32 s7, s5, s16
	s_sub_i32 s7, s18, s7
	s_add_i32 s11, s5, 1
	s_sub_i32 s12, s7, s16
	s_cmp_ge_u32 s7, s16
	s_cselect_b32 s5, s11, s5
	s_cselect_b32 s7, s12, s7
	s_add_i32 s11, s5, 1
	s_cmp_ge_u32 s7, s16
	s_cselect_b32 s5, s11, s5
	s_mul_i32 s4, s5, s16
	s_sub_i32 s4, s18, s4
	s_mul_i32 s4, s4, s9
	s_mul_i32 s5, s5, s8
	s_add_i32 s4, s5, s4
	s_mov_b32 s5, s20
	s_lshl_b64 s[4:5], s[4:5], 3
	s_add_u32 s33, s0, s4
	v_writelane_b32 v59, s18, 16
	s_mov_b32 s8, 0
	s_addc_u32 s78, s1, s5
	v_writelane_b32 v59, s8, 17
	s_waitcnt lgkmcnt(0)
	s_barrier
	s_load_dword s0, s[2:3], 0xc
	s_bitcmp1_b32 s62, 0
	v_writelane_b32 v59, s9, 18
	s_cselect_b64 s[4:5], -1, 0
	v_writelane_b32 v59, s4, 19
	v_writelane_b32 v59, s5, 20
	s_xor_b64 s[4:5], s[4:5], -1
	v_mbcnt_lo_u32_b32 v1, -1, 0
	v_writelane_b32 v59, s4, 21
	v_mbcnt_hi_u32_b32 v1, -1, v1
	v_writelane_b32 v59, s5, 22
	s_waitcnt lgkmcnt(0)
	s_and_b32 s79, s0, 0xffff
	s_bfe_u32 s5, s0, 0xa0006
	v_cmp_gt_u32_e32 vcc, 64, v0
	v_cmp_gt_i32_e64 s[0:1], 4, v1
	s_lshl_b32 s73, s79, 2
	s_and_b64 s[74:75], vcc, s[0:1]
	s_cmpk_gt_u32 s60, 0x180
	s_cselect_b64 s[0:1], -1, 0
	v_writelane_b32 v59, s0, 23
	s_cmp_gt_u32 s79, 63
	v_writelane_b32 v59, s1, 24
	s_cselect_b64 s[0:1], -1, 0
	v_writelane_b32 v59, s0, 25
	v_writelane_b32 v59, s1, 26
	s_add_i32 s0, s79, -1
	s_add_i32 s4, s0, s60
	s_cmp_lt_u32 s6, s10
	v_writelane_b32 v59, s0, 27
	s_cselect_b32 s0, 12, 18
	s_add_u32 s0, s2, s0
	s_addc_u32 s1, s3, 0
	v_writelane_b32 v59, s0, 28
	s_add_i32 s2, s5, -2
	v_writelane_b32 v59, s1, 29
	s_lshr_b32 s0, s2, 1
	s_add_i32 s3, s0, 1
	s_cmpk_gt_u32 s79, 0x7f
	v_mov_b32_e32 v21, 0
	s_cselect_b64 s[0:1], -1, 0
	v_writelane_b32 v59, s0, 30
	v_mul_lo_u32 v22, v0, s17
	v_mov_b32_e32 v23, v21
	v_writelane_b32 v59, s1, 31
	v_cmp_gt_u32_e64 s[6:7], s60, v0
	v_lshlrev_b64 v[2:3], 3, v[22:23]
	v_writelane_b32 v59, s6, 32
	v_mov_b32_e32 v4, s78
	v_add_co_u32_e32 v18, vcc, s33, v2
	v_lshrrev_b32_e32 v2, 4, v0
	v_writelane_b32 v59, s7, 33
	v_addc_co_u32_e32 v19, vcc, v4, v3, vcc
	v_and_b32_e32 v35, 60, v2
	v_cmp_gt_u32_e64 s[6:7], 2, v0
	v_lshlrev_b64 v[2:3], v1, -1
	v_writelane_b32 v59, s6, 34
	v_not_b32_e32 v16, v2
	v_cvt_f32_u32_e32 v2, s73
	v_writelane_b32 v59, s7, 35
	s_and_b32 s6, s5, 0x3fe
	s_and_b32 s7, s3, 7
	s_cmp_gt_u32 s2, 13
	s_cselect_b64 s[8:9], -1, 0
	v_writelane_b32 v59, s8, 36
	v_rcp_iflag_f32_e32 v2, v2
	v_writelane_b32 v59, s9, 37
	s_and_b32 s2, s3, -8
	v_writelane_b32 v59, s2, 38
	s_cmp_lg_u32 s7, 0
	v_writelane_b32 v59, s7, 39
	s_cselect_b64 s[2:3], -1, 0
	v_writelane_b32 v59, s2, 40
	v_mul_f32_e32 v2, 0x4f7ffffe, v2
	v_writelane_b32 v59, s3, 41
	v_cvt_u32_f32_e32 v2, v2
	v_writelane_b32 v59, s5, 42
	s_cmp_lg_u32 s6, s5
	v_writelane_b32 v59, s6, 43
	s_cselect_b64 s[2:3], -1, 0
	v_writelane_b32 v59, s2, 44
	v_writelane_b32 v59, s3, 45
	s_sub_i32 s2, 0, s73
	v_readfirstlane_b32 s3, v2
	v_cvt_f32_u32_e32 v2, s79
	s_mul_i32 s2, s2, s3
	s_mul_hi_u32 s2, s3, s2
	s_add_i32 s2, s3, s2
	v_writelane_b32 v59, s2, 46
	s_mul_hi_u32 s2, s60, s2
	v_rcp_iflag_f32_e32 v5, v2
	s_mul_i32 s2, s2, s73
	s_sub_i32 s2, s60, s2
	s_sub_i32 s3, s2, s73
	s_cmp_ge_u32 s2, s73
	v_mul_f32_e32 v5, 0x4f7ffffe, v5
	s_cselect_b32 s2, s3, s2
	v_cvt_u32_f32_e32 v5, v5
	s_sub_i32 s3, s2, s73
	s_cmp_ge_u32 s2, s73
	s_cselect_b32 s2, s3, s2
	v_lshlrev_b32_e32 v34, 2, v0
	s_sub_i32 s13, s60, s2
	s_sub_i32 s3, 0, s79
	v_readfirstlane_b32 s5, v5
	v_cmp_gt_u32_e64 s[6:7], s13, v34
	s_mul_i32 s3, s3, s5
	v_writelane_b32 v59, s6, 47
	s_mul_hi_u32 s3, s5, s3
	v_writelane_b32 v59, s7, 48
	s_add_i32 s3, s5, s3
	v_writelane_b32 v59, s3, 49
	s_mul_hi_u32 s3, s4, s3
	s_mul_i32 s3, s3, s79
	s_sub_i32 s3, s4, s3
	s_sub_i32 s5, s3, s79
	v_add_u32_e32 v38, s13, v0
	s_cmp_ge_u32 s3, s79
	v_mul_lo_u32 v20, v38, s17
	s_cselect_b32 s3, s5, s3
	v_not_b32_e32 v17, v3
	v_lshlrev_b64 v[2:3], 3, v[20:21]
	s_sub_i32 s5, s3, s79
	v_add_co_u32_e32 v24, vcc, s33, v2
	s_cmp_ge_u32 s3, s79
	v_mul_lo_u32 v2, s17, v34
	s_cselect_b32 s3, s5, s3
	v_add_u32_e32 v39, s17, v2
	v_or_b32_e32 v2, 2, v34
	s_sub_i32 s6, s4, s3
	v_mul_lo_u32 v40, s17, v2
	v_or_b32_e32 v2, 3, v34
	s_add_i32 s3, s79, s60
	v_mov_b32_e32 v6, s78
	v_cmp_gt_u32_e64 s[4:5], s6, v0
	v_mul_lo_u32 v41, s17, v2
	v_add_u32_e32 v2, s3, v0
	v_lshlrev_b32_e32 v36, 3, v0
	v_lshlrev_b32_e32 v4, 2, v1
	v_addc_co_u32_e32 v25, vcc, v6, v3, vcc
	v_writelane_b32 v59, s4, 50
	s_mul_i32 s72, s17, s79
	v_subrev_u32_e32 v2, s2, v2
	v_pk_mov_b32 v[6:7], 0, 0
	v_cmp_eq_u32_e64 s[0:1], 0, v1
	v_add_u32_e32 v37, 0xc00, v36
	v_and_b32_e32 v23, 0x100, v4
	v_cmp_gt_u32_e64 s[14:15], s60, v38
	v_writelane_b32 v59, s5, 51
	s_lshl_b32 s7, s72, 2
	v_lshlrev_b32_e32 v42, 2, v22
	v_mul_lo_u32 v43, s17, v2
	v_lshlrev_b32_e32 v44, 5, v0
	s_lshl_b32 s12, s79, 5
	s_lshl_b32 s4, s79, 3
	v_or_b32_e32 v45, 0xc00, v4
	s_mov_b32 s5, 62
	s_mov_b64 s[90:91], 0
	v_mov_b32_e32 v47, s61
	v_mov_b32_e32 v2, 1
	;; [unrolled: 1-line block ×3, first 2 shown]
	v_pk_mov_b32 v[28:29], v[6:7], v[6:7] op_sel:[0,1]
	v_pk_mov_b32 v[26:27], v[6:7], v[6:7] op_sel:[0,1]
	s_mov_b32 s10, 0
	v_writelane_b32 v59, s17, 52
                                        ; implicit-def: $sgpr92_sgpr93
                                        ; implicit-def: $sgpr94_sgpr95
                                        ; implicit-def: $sgpr66_sgpr67
                                        ; implicit-def: $sgpr68_sgpr69
                                        ; implicit-def: $sgpr64_sgpr65
                                        ; implicit-def: $sgpr70_sgpr71
                                        ; implicit-def: $sgpr2_sgpr3
                                        ; implicit-def: $sgpr84_sgpr85
                                        ; implicit-def: $sgpr86_sgpr87
                                        ; implicit-def: $sgpr88_sgpr89
	s_branch .LBB46_6
.LBB46_4:                               ;   in Loop: Header=BB46_6 Depth=1
	s_or_b64 exec, exec, s[20:21]
	s_andn2_b64 s[20:21], s[88:89], exec
	s_and_b64 s[18:19], s[18:19], exec
	s_or_b64 s[88:89], s[20:21], s[18:19]
	s_andn2_b64 s[86:87], s[86:87], exec
	s_andn2_b64 s[84:85], s[84:85], exec
	;; [unrolled: 1-line block ×4, first 2 shown]
	s_orn2_b64 s[16:17], s[16:17], exec
	v_pk_mov_b32 v[26:27], v[14:15], v[14:15] op_sel:[0,1]
	s_waitcnt vmcnt(0)
	v_pk_mov_b32 v[28:29], v[12:13], v[12:13] op_sel:[0,1]
	v_mov_b32_e32 v47, v30
	v_pk_mov_b32 v[6:7], v[10:11], v[10:11] op_sel:[0,1]
.LBB46_5:                               ;   in Loop: Header=BB46_6 Depth=1
	s_or_b64 exec, exec, s[8:9]
	s_and_b64 s[8:9], exec, s[16:17]
	s_or_b64 s[90:91], s[8:9], s[90:91]
	s_andn2_b64 s[8:9], s[64:65], exec
	s_and_b64 s[16:17], s[88:89], exec
	s_or_b64 s[64:65], s[8:9], s[16:17]
	s_andn2_b64 s[8:9], s[68:69], exec
	s_and_b64 s[16:17], s[86:87], exec
	;; [unrolled: 3-line block ×5, first 2 shown]
	s_or_b64 s[92:93], s[8:9], s[16:17]
	s_andn2_b64 exec, exec, s[90:91]
	s_cbranch_execz .LBB46_410
.LBB46_6:                               ; =>This Loop Header: Depth=1
                                        ;     Child Loop BB46_14 Depth 2
                                        ;     Child Loop BB46_32 Depth 2
	;; [unrolled: 1-line block ×25, first 2 shown]
	s_waitcnt vmcnt(0)
	ds_read_b64 v[4:5], v21 offset:4096
	s_waitcnt lgkmcnt(0)
	v_readfirstlane_b32 s11, v4
	s_cmp_lg_u32 s11, 0
	s_cbranch_scc1 .LBB46_39
; %bb.7:                                ;   in Loop: Header=BB46_6 Depth=1
	v_readlane_b32 s8, v59, 23
	v_readlane_b32 s9, v59, 24
	s_and_b64 vcc, exec, s[8:9]
	s_cbranch_vccz .LBB46_22
; %bb.8:                                ;   in Loop: Header=BB46_6 Depth=1
	s_movk_i32 s8, 0x181
	v_cmp_gt_u32_e32 vcc, s8, v5
	s_mov_b64 s[16:17], 0
	s_mov_b64 s[8:9], 0
	s_cbranch_vccz .LBB46_23
; %bb.9:                                ;   in Loop: Header=BB46_6 Depth=1
	v_pk_mov_b32 v[4:5], 0, 0
	s_mov_b64 s[8:9], exec
	v_readlane_b32 s18, v59, 32
	v_readlane_b32 s19, v59, 33
	s_and_b64 s[18:19], s[8:9], s[18:19]
	s_mov_b64 exec, s[18:19]
	s_cbranch_execz .LBB46_11
; %bb.10:                               ;   in Loop: Header=BB46_6 Depth=1
	global_load_dwordx2 v[4:5], v[18:19], off
.LBB46_11:                              ;   in Loop: Header=BB46_6 Depth=1
	s_or_b64 exec, exec, s[8:9]
	s_mov_b64 s[22:23], exec
	v_readlane_b32 s8, v59, 32
	v_readlane_b32 s9, v59, 33
	s_and_b64 s[8:9], s[22:23], s[8:9]
	s_mov_b64 exec, s[8:9]
	s_cbranch_execz .LBB46_24
; %bb.12:                               ;   in Loop: Header=BB46_6 Depth=1
	v_readlane_b32 s8, v59, 28
	v_readlane_b32 s9, v59, 29
	s_mov_b64 s[24:25], 0
	v_mov_b32_e32 v11, v0
	s_nop 2
	global_load_ushort v3, v21, s[8:9]
	v_readlane_b32 s8, v59, 52
	s_waitcnt vmcnt(0)
	v_add_u32_e32 v8, v0, v3
	v_mul_lo_u32 v10, s8, v3
	v_mul_lo_u32 v20, s8, v8
	s_branch .LBB46_14
.LBB46_13:                              ;   in Loop: Header=BB46_14 Depth=2
	s_or_b64 exec, exec, s[8:9]
	v_add_u32_e32 v20, v20, v10
	s_waitcnt vmcnt(0)
	v_pk_mov_b32 v[4:5], v[8:9], v[8:9] op_sel:[0,1]
	s_andn2_b64 exec, exec, s[24:25]
	s_cbranch_execz .LBB46_24
.LBB46_14:                              ;   Parent Loop BB46_6 Depth=1
                                        ; =>  This Inner Loop Header: Depth=2
	v_add_u32_e32 v11, v11, v3
	v_cmp_gt_u32_e64 s[18:19], s60, v11
	v_cmp_le_u32_e32 vcc, s60, v11
	v_pk_mov_b32 v[8:9], 0, 0
	s_and_saveexec_b64 s[8:9], s[18:19]
	s_cbranch_execz .LBB46_16
; %bb.15:                               ;   in Loop: Header=BB46_14 Depth=2
	v_lshlrev_b64 v[8:9], 3, v[20:21]
	s_waitcnt lgkmcnt(0)
	v_mov_b32_e32 v12, s78
	v_add_co_u32_e64 v8, s[18:19], s33, v8
	v_addc_co_u32_e64 v9, s[18:19], v12, v9, s[18:19]
	global_load_dwordx2 v[8:9], v[8:9], off
.LBB46_16:                              ;   in Loop: Header=BB46_14 Depth=2
	s_or_b64 exec, exec, s[8:9]
	s_waitcnt lgkmcnt(0)
	v_xor_b32_e32 v12, 0x80000000, v5
	v_and_b32_e32 v13, v12, v27
	v_and_b32_e32 v12, v4, v26
	v_cmp_eq_u64_e64 s[18:19], v[12:13], v[28:29]
	s_cmp_lg_u64 s[18:19], 0
	s_cselect_b64 s[8:9], -1, 0
	s_and_b64 s[20:21], s[0:1], s[8:9]
	v_mov_b32_e32 v12, 0
	s_and_saveexec_b64 s[8:9], s[20:21]
	s_cbranch_execz .LBB46_20
; %bb.17:                               ;   in Loop: Header=BB46_14 Depth=2
	s_mov_b64 s[28:29], exec
	v_mbcnt_lo_u32_b32 v12, s28, 0
	v_mbcnt_hi_u32_b32 v12, s29, v12
	s_bcnt1_i32_b64 s11, s[18:19]
	v_cmp_eq_u32_e64 s[20:21], 0, v12
                                        ; implicit-def: $vgpr13
	s_and_saveexec_b64 s[26:27], s[20:21]
	s_cbranch_execz .LBB46_19
; %bb.18:                               ;   in Loop: Header=BB46_14 Depth=2
	s_bcnt1_i32_b64 s20, s[28:29]
	s_mul_i32 s20, s11, s20
	v_mov_b32_e32 v13, s20
	ds_add_rtn_u32 v13, v21, v13 offset:4104
.LBB46_19:                              ;   in Loop: Header=BB46_14 Depth=2
	s_or_b64 exec, exec, s[26:27]
	s_waitcnt lgkmcnt(0)
	v_readfirstlane_b32 s20, v13
	v_mov_b32_e32 v13, s20
	v_mad_u32_u24 v12, s11, v12, v13
.LBB46_20:                              ;   in Loop: Header=BB46_14 Depth=2
	s_or_b64 exec, exec, s[8:9]
	ds_bpermute_b32 v12, v23, v12
	s_and_b64 s[8:9], exec, vcc
	s_or_b64 s[24:25], s[8:9], s[24:25]
	s_and_saveexec_b64 s[8:9], s[18:19]
	s_cbranch_execz .LBB46_13
; %bb.21:                               ;   in Loop: Header=BB46_14 Depth=2
	v_and_b32_e32 v14, s18, v16
	v_and_b32_e32 v13, s19, v17
	v_bcnt_u32_b32 v14, v14, 0
	v_bcnt_u32_b32 v13, v13, v14
	v_lshlrev_b32_e32 v13, 3, v13
	s_waitcnt lgkmcnt(0)
	v_lshl_add_u32 v12, v12, 3, v13
	ds_write_b64 v12, v[4:5]
	s_branch .LBB46_13
.LBB46_22:                              ;   in Loop: Header=BB46_6 Depth=1
	s_mov_b64 s[8:9], 0
                                        ; implicit-def: $sgpr11
	s_cbranch_execnz .LBB46_27
	s_branch .LBB46_37
.LBB46_23:                              ;   in Loop: Header=BB46_6 Depth=1
	s_mov_b32 s11, 0
	s_and_b64 vcc, exec, s[16:17]
	s_cbranch_vccnz .LBB46_27
	s_branch .LBB46_37
.LBB46_24:                              ;   in Loop: Header=BB46_6 Depth=1
	s_or_b64 exec, exec, s[22:23]
	s_waitcnt lgkmcnt(0)
	s_barrier
	s_mov_b64 s[8:9], exec
	v_readlane_b32 s18, v59, 14
	v_readlane_b32 s19, v59, 15
	s_and_b64 s[18:19], s[8:9], s[18:19]
	s_mov_b64 exec, s[18:19]
	s_cbranch_execz .LBB46_26
; %bb.25:                               ;   in Loop: Header=BB46_6 Depth=1
	ds_read_b32 v3, v21 offset:4104
	s_waitcnt lgkmcnt(0)
	ds_write_b32 v21, v3 offset:4096
.LBB46_26:                              ;   in Loop: Header=BB46_6 Depth=1
	s_or_b64 exec, exec, s[8:9]
	s_waitcnt lgkmcnt(0)
	s_barrier
	s_mov_b64 s[8:9], -1
	s_mov_b32 s11, 0
	s_and_b64 vcc, exec, s[16:17]
	s_cbranch_vccz .LBB46_37
.LBB46_27:                              ;   in Loop: Header=BB46_6 Depth=1
	s_waitcnt vmcnt(0)
	v_pk_mov_b32 v[4:5], 0, 0
	s_mov_b64 s[8:9], exec
	v_readlane_b32 s16, v59, 32
	v_readlane_b32 s17, v59, 33
	s_and_b64 s[16:17], s[8:9], s[16:17]
	s_mov_b64 exec, s[16:17]
	s_cbranch_execz .LBB46_29
; %bb.28:                               ;   in Loop: Header=BB46_6 Depth=1
	global_load_dwordx2 v[4:5], v[18:19], off
.LBB46_29:                              ;   in Loop: Header=BB46_6 Depth=1
	s_or_b64 exec, exec, s[8:9]
	s_mov_b64 s[8:9], exec
	v_readlane_b32 s16, v59, 32
	v_readlane_b32 s17, v59, 33
	s_and_b64 s[16:17], s[8:9], s[16:17]
	s_mov_b64 exec, s[16:17]
	s_cbranch_execz .LBB46_34
; %bb.30:                               ;   in Loop: Header=BB46_6 Depth=1
	v_readlane_b32 s16, v59, 28
	v_readlane_b32 s17, v59, 29
	;; [unrolled: 1-line block ×3, first 2 shown]
	v_mov_b32_e32 v10, v36
	v_mov_b32_e32 v13, v0
	s_nop 1
	global_load_ushort v3, v21, s[16:17]
	s_mov_b64 s[16:17], 0
	s_waitcnt vmcnt(0)
	v_add_u32_e32 v8, v0, v3
	v_lshlrev_b32_e32 v11, 3, v3
	v_mul_lo_u32 v12, s11, v3
	v_mul_lo_u32 v20, s11, v8
	s_branch .LBB46_32
.LBB46_31:                              ;   in Loop: Header=BB46_32 Depth=2
	s_or_b64 exec, exec, s[20:21]
	s_and_b64 s[18:19], exec, vcc
	s_or_b64 s[16:17], s[18:19], s[16:17]
	ds_write_b64 v10, v[4:5]
	v_add_u32_e32 v10, v10, v11
	v_add_u32_e32 v20, v20, v12
	s_waitcnt vmcnt(0)
	v_pk_mov_b32 v[4:5], v[8:9], v[8:9] op_sel:[0,1]
	s_andn2_b64 exec, exec, s[16:17]
	s_cbranch_execz .LBB46_34
.LBB46_32:                              ;   Parent Loop BB46_6 Depth=1
                                        ; =>  This Inner Loop Header: Depth=2
	v_add_u32_e32 v13, v13, v3
	v_cmp_gt_u32_e64 s[18:19], s60, v13
	v_cmp_le_u32_e32 vcc, s60, v13
	v_pk_mov_b32 v[8:9], 0, 0
	s_and_saveexec_b64 s[20:21], s[18:19]
	s_cbranch_execz .LBB46_31
; %bb.33:                               ;   in Loop: Header=BB46_32 Depth=2
	v_lshlrev_b64 v[8:9], 3, v[20:21]
	v_mov_b32_e32 v14, s78
	v_add_co_u32_e64 v8, s[18:19], s33, v8
	v_addc_co_u32_e64 v9, s[18:19], v14, v9, s[18:19]
	global_load_dwordx2 v[8:9], v[8:9], off
	s_branch .LBB46_31
.LBB46_34:                              ;   in Loop: Header=BB46_6 Depth=1
	s_or_b64 exec, exec, s[8:9]
	s_waitcnt lgkmcnt(0)
	s_barrier
	s_mov_b64 s[8:9], exec
	v_readlane_b32 s16, v59, 14
	v_readlane_b32 s17, v59, 15
	s_and_b64 s[16:17], s[8:9], s[16:17]
	s_mov_b64 exec, s[16:17]
	s_cbranch_execz .LBB46_36
; %bb.35:                               ;   in Loop: Header=BB46_6 Depth=1
	v_mov_b32_e32 v3, s60
	ds_write_b32 v21, v3 offset:4096
.LBB46_36:                              ;   in Loop: Header=BB46_6 Depth=1
	s_or_b64 exec, exec, s[8:9]
	s_mov_b64 s[8:9], -1
	s_waitcnt lgkmcnt(0)
	s_barrier
                                        ; implicit-def: $sgpr11
.LBB46_37:                              ;   in Loop: Header=BB46_6 Depth=1
	s_and_b64 vcc, exec, s[8:9]
	s_cbranch_vccz .LBB46_39
; %bb.38:                               ;   in Loop: Header=BB46_6 Depth=1
	ds_read_b32 v3, v21 offset:4096
	s_waitcnt lgkmcnt(0)
	v_readfirstlane_b32 s11, v3
.LBB46_39:                              ;   in Loop: Header=BB46_6 Depth=1
	s_cmp_lt_i32 s11, 1
	s_cbranch_scc0 .LBB46_51
; %bb.40:                               ;   in Loop: Header=BB46_6 Depth=1
	v_mov_b32_e32 v8, 0
	s_mov_b32 s8, 0
	v_mov_b32_e32 v9, 0
	v_mov_b32_e32 v10, v8
	;; [unrolled: 1-line block ×3, first 2 shown]
	s_mov_b64 s[48:49], exec
	v_readlane_b32 s16, v59, 47
	v_readlane_b32 s17, v59, 48
	s_and_b64 s[16:17], s[48:49], s[16:17]
	s_mov_b64 exec, s[16:17]
	s_cbranch_execz .LBB46_44
; %bb.41:                               ;   in Loop: Header=BB46_6 Depth=1
	s_and_b32 s9, s5, 0xfe
	s_mov_b64 s[50:51], 0
	s_mov_b32 s16, 0
	s_mov_b32 s17, 0
	;; [unrolled: 1-line block ×4, first 2 shown]
	v_mov_b32_e32 v3, v34
.LBB46_42:                              ;   Parent Loop BB46_6 Depth=1
                                        ; =>  This Inner Loop Header: Depth=2
	v_add_u32_e32 v20, s8, v42
	v_lshlrev_b64 v[12:13], 3, v[20:21]
	s_waitcnt vmcnt(0)
	v_mov_b32_e32 v4, s78
	v_add_u32_e32 v20, s8, v39
	v_add_co_u32_e64 v12, s[18:19], s33, v12
	v_lshlrev_b64 v[14:15], 3, v[20:21]
	v_addc_co_u32_e64 v13, s[18:19], v4, v13, s[18:19]
	v_add_u32_e32 v20, s8, v40
	v_add_co_u32_e64 v14, s[18:19], s33, v14
	v_lshlrev_b64 v[30:31], 3, v[20:21]
	v_addc_co_u32_e64 v15, s[18:19], v4, v15, s[18:19]
	global_load_dwordx2 v[12:13], v[12:13], off
	v_add_u32_e32 v20, s8, v41
	global_load_dwordx2 v[14:15], v[14:15], off
	v_add_co_u32_e64 v30, s[18:19], s33, v30
	v_lshlrev_b64 v[32:33], 3, v[20:21]
	v_addc_co_u32_e64 v31, s[18:19], v4, v31, s[18:19]
	global_load_dwordx2 v[30:31], v[30:31], off
	v_add_co_u32_e64 v32, s[18:19], s33, v32
	v_addc_co_u32_e64 v33, s[18:19], v4, v33, s[18:19]
	global_load_dwordx2 v[32:33], v[32:33], off
	v_mov_b32_e32 v11, v21
	v_mov_b32_e32 v9, v21
	;; [unrolled: 1-line block ×3, first 2 shown]
	v_add_u32_e32 v3, s73, v3
	v_cmp_le_u32_e32 vcc, s13, v3
	s_add_i32 s8, s8, s7
	s_waitcnt vmcnt(3)
	v_xor_b32_e32 v13, 0x80000000, v13
	v_and_b32_e32 v48, v12, v26
	v_and_b32_e32 v49, v13, v27
	v_lshrrev_b64 v[12:13], s9, v[12:13]
	s_waitcnt vmcnt(2)
	v_xor_b32_e32 v15, 0x80000000, v15
	v_and_b32_e32 v20, 3, v12
	v_cmp_eq_u64_e64 s[18:19], v[48:49], v[28:29]
	v_lshrrev_b64 v[12:13], s9, v[14:15]
	v_cmp_eq_u64_e64 s[22:23], 0, v[20:21]
	s_waitcnt vmcnt(1)
	v_xor_b32_e32 v31, 0x80000000, v31
	v_and_b32_e32 v10, 3, v12
	v_cmp_eq_u64_e64 s[24:25], 1, v[20:21]
	s_and_b64 s[22:23], s[18:19], s[22:23]
	v_and_b32_e32 v50, v14, v26
	v_and_b32_e32 v51, v15, v27
	s_waitcnt vmcnt(0)
	v_xor_b32_e32 v33, 0x80000000, v33
	v_lshrrev_b64 v[12:13], s9, v[30:31]
	v_cmp_eq_u64_e64 s[26:27], 2, v[20:21]
	v_cmp_eq_u64_e64 s[34:35], 0, v[10:11]
	;; [unrolled: 1-line block ×5, first 2 shown]
	v_cndmask_b32_e64 v10, 0, 1, s[22:23]
	s_and_b64 s[22:23], s[18:19], s[24:25]
	v_and_b32_e32 v48, v30, v26
	v_cmp_eq_u64_e64 s[20:21], v[50:51], v[28:29]
	v_and_b32_e32 v49, v31, v27
	v_cmp_eq_u64_e64 s[28:29], 3, v[20:21]
	v_and_b32_e32 v8, 3, v12
	v_lshrrev_b64 v[12:13], s9, v[32:33]
	v_cndmask_b32_e64 v11, 0, 1, s[22:23]
	s_and_b64 s[22:23], s[18:19], s[26:27]
	v_cmp_eq_u64_e64 s[30:31], v[48:49], v[28:29]
	v_cndmask_b32_e64 v13, 0, 1, s[22:23]
	s_and_b64 s[18:19], s[18:19], s[28:29]
	v_cmp_eq_u64_e64 s[22:23], 0, v[8:9]
	v_cmp_eq_u64_e64 s[24:25], 1, v[8:9]
	s_and_b64 s[36:37], s[20:21], s[36:37]
	s_and_b64 s[38:39], s[20:21], s[38:39]
	v_and_b32_e32 v14, v32, v26
	v_and_b32_e32 v15, v33, v27
	v_cndmask_b32_e64 v20, 0, 1, s[18:19]
	v_and_b32_e32 v4, 3, v12
	v_cmp_eq_u64_e64 s[26:27], 2, v[8:9]
	v_cmp_eq_u64_e64 s[28:29], 3, v[8:9]
	v_cmp_ne_u32_e64 s[42:43], 0, v10
	s_and_b64 s[34:35], s[20:21], s[34:35]
	v_cndmask_b32_e64 v9, 0, 1, s[36:37]
	v_cndmask_b32_e64 v10, 0, 1, s[38:39]
	s_and_b64 s[20:21], s[20:21], s[40:41]
	s_and_b64 s[22:23], s[30:31], s[22:23]
	;; [unrolled: 1-line block ×3, first 2 shown]
	v_cmp_eq_u64_e64 s[18:19], v[14:15], v[28:29]
	v_cndmask_b32_e64 v8, 0, 1, s[34:35]
	v_cmp_ne_u32_e64 s[34:35], 0, v11
	v_cmp_ne_u32_e64 s[36:37], 0, v13
	v_cmp_ne_u32_e64 s[38:39], 0, v20
	v_cndmask_b32_e64 v11, 0, 1, s[20:21]
	v_cmp_eq_u64_e64 s[20:21], 0, v[4:5]
	v_cmp_eq_u64_e64 s[40:41], 1, v[4:5]
	;; [unrolled: 1-line block ×4, first 2 shown]
	v_cndmask_b32_e64 v4, 0, 1, s[22:23]
	v_cmp_ne_u32_e64 s[22:23], 0, v9
	v_cndmask_b32_e64 v5, 0, 1, s[24:25]
	v_cmp_ne_u32_e64 s[24:25], 0, v10
	s_and_b64 s[26:27], s[30:31], s[26:27]
	s_and_b64 s[28:29], s[30:31], s[28:29]
	s_bcnt1_i32_b64 s54, s[42:43]
	v_cmp_ne_u32_e64 s[42:43], 0, v8
	s_bcnt1_i32_b64 s34, s[34:35]
	s_bcnt1_i32_b64 s35, s[36:37]
	v_cndmask_b32_e64 v8, 0, 1, s[26:27]
	s_bcnt1_i32_b64 s36, s[38:39]
	v_cmp_ne_u32_e64 s[26:27], 0, v11
	v_cndmask_b32_e64 v9, 0, 1, s[28:29]
	s_and_b64 s[20:21], s[18:19], s[20:21]
	s_bcnt1_i32_b64 s37, s[22:23]
	s_and_b64 s[22:23], s[18:19], s[40:41]
	s_bcnt1_i32_b64 s38, s[24:25]
	s_and_b64 s[24:25], s[18:19], s[44:45]
	s_and_b64 s[18:19], s[18:19], s[46:47]
	s_bcnt1_i32_b64 s30, s[42:43]
	v_cmp_ne_u32_e64 s[28:29], 0, v4
	v_cndmask_b32_e64 v4, 0, 1, s[20:21]
	s_add_i32 s31, s53, s54
	v_cmp_ne_u32_e64 s[20:21], 0, v5
	v_cndmask_b32_e64 v5, 0, 1, s[22:23]
	s_add_i32 s34, s52, s34
	;; [unrolled: 3-line block ×3, first 2 shown]
	s_bcnt1_i32_b64 s26, s[26:27]
	v_cmp_ne_u32_e64 s[24:25], 0, v9
	v_cndmask_b32_e64 v9, 0, 1, s[18:19]
	s_add_i32 s16, s16, s36
	s_bcnt1_i32_b64 s27, s[28:29]
	v_cmp_ne_u32_e64 s[18:19], 0, v4
	s_add_i32 s28, s31, s30
	s_bcnt1_i32_b64 s29, s[20:21]
	v_cmp_ne_u32_e64 s[20:21], 0, v5
	;; [unrolled: 3-line block ×4, first 2 shown]
	s_add_i32 s16, s16, s26
	s_bcnt1_i32_b64 s18, s[18:19]
	s_add_i32 s19, s28, s27
	s_bcnt1_i32_b64 s20, s[20:21]
	;; [unrolled: 2-line block ×4, first 2 shown]
	s_add_i32 s16, s16, s34
	s_add_i32 s53, s19, s18
	s_add_i32 s52, s21, s20
	s_add_i32 s17, s17, s22
	s_add_i32 s16, s16, s23
	s_or_b64 s[50:51], vcc, s[50:51]
	v_mov_b32_e32 v8, s53
	v_mov_b32_e32 v9, s52
	;; [unrolled: 1-line block ×4, first 2 shown]
	s_andn2_b64 exec, exec, s[50:51]
	s_cbranch_execnz .LBB46_42
; %bb.43:                               ;   in Loop: Header=BB46_6 Depth=1
	s_or_b64 exec, exec, s[50:51]
.LBB46_44:                              ;   in Loop: Header=BB46_6 Depth=1
	s_or_b64 exec, exec, s[48:49]
	v_pk_mov_b32 v[12:13], 0, 0
	s_and_saveexec_b64 s[8:9], s[14:15]
	s_cbranch_execz .LBB46_46
; %bb.45:                               ;   in Loop: Header=BB46_6 Depth=1
	global_load_dwordx2 v[12:13], v[24:25], off
.LBB46_46:                              ;   in Loop: Header=BB46_6 Depth=1
	s_or_b64 exec, exec, s[8:9]
	s_mov_b64 s[16:17], 0
	s_mov_b64 s[80:81], 0
	s_and_saveexec_b64 s[20:21], s[14:15]
	s_cbranch_execz .LBB46_53
; %bb.47:                               ;   in Loop: Header=BB46_6 Depth=1
	s_and_b32 s24, s5, 0xfe
	s_mov_b64 s[8:9], 0
	s_waitcnt vmcnt(0)
	v_mov_b32_e32 v4, v43
	v_mov_b32_e32 v3, v38
	s_branch .LBB46_49
.LBB46_48:                              ;   in Loop: Header=BB46_49 Depth=2
	s_or_b64 exec, exec, s[22:23]
	v_xor_b32_e32 v13, 0x80000000, v13
	v_and_b32_e32 v31, v13, v27
	v_and_b32_e32 v30, v12, v26
	v_lshrrev_b64 v[12:13], s24, v[12:13]
	s_and_b64 s[18:19], exec, vcc
	v_and_b32_e32 v20, 3, v12
	s_or_b64 s[8:9], s[18:19], s[8:9]
	v_cmp_eq_u64_e32 vcc, v[30:31], v[28:29]
	v_cmp_eq_u64_e64 s[18:19], 0, v[20:21]
	s_and_b64 s[18:19], vcc, s[18:19]
	v_cndmask_b32_e64 v5, 0, 1, s[18:19]
	v_cmp_ne_u32_e64 s[18:19], 0, v5
	s_bcnt1_i32_b64 s18, s[18:19]
	v_add_u32_e32 v8, s18, v8
	v_cmp_eq_u64_e64 s[18:19], 1, v[20:21]
	s_and_b64 s[18:19], vcc, s[18:19]
	v_cndmask_b32_e64 v5, 0, 1, s[18:19]
	v_cmp_ne_u32_e64 s[18:19], 0, v5
	s_bcnt1_i32_b64 s18, s[18:19]
	v_add_u32_e32 v9, s18, v9
	;; [unrolled: 6-line block ×3, first 2 shown]
	v_cmp_eq_u64_e64 s[18:19], 3, v[20:21]
	s_and_b64 s[18:19], vcc, s[18:19]
	v_cndmask_b32_e64 v5, 0, 1, s[18:19]
	v_cmp_ne_u32_e32 vcc, 0, v5
	s_bcnt1_i32_b64 s18, vcc
	v_add_u32_e32 v11, s18, v11
	v_add_u32_e32 v4, s72, v4
	s_waitcnt vmcnt(0)
	v_pk_mov_b32 v[12:13], v[14:15], v[14:15] op_sel:[0,1]
	s_andn2_b64 exec, exec, s[8:9]
	s_cbranch_execz .LBB46_52
.LBB46_49:                              ;   Parent Loop BB46_6 Depth=1
                                        ; =>  This Inner Loop Header: Depth=2
	v_add_u32_e32 v3, s79, v3
	v_cmp_gt_u32_e64 s[18:19], s60, v3
	v_cmp_le_u32_e32 vcc, s60, v3
	v_pk_mov_b32 v[14:15], 0, 0
	s_and_saveexec_b64 s[22:23], s[18:19]
	s_cbranch_execz .LBB46_48
; %bb.50:                               ;   in Loop: Header=BB46_49 Depth=2
	v_mov_b32_e32 v5, v21
	v_lshlrev_b64 v[14:15], 3, v[4:5]
	v_mov_b32_e32 v5, s78
	v_add_co_u32_e64 v14, s[18:19], s33, v14
	v_addc_co_u32_e64 v15, s[18:19], v5, v15, s[18:19]
	global_load_dwordx2 v[14:15], v[14:15], off
	s_branch .LBB46_48
.LBB46_51:                              ;   in Loop: Header=BB46_6 Depth=1
	s_mov_b64 s[80:81], 0
                                        ; implicit-def: $vgpr11
	s_cbranch_execnz .LBB46_54
	s_branch .LBB46_63
.LBB46_52:                              ;   in Loop: Header=BB46_6 Depth=1
	s_or_b64 exec, exec, s[8:9]
	s_mov_b64 s[80:81], exec
.LBB46_53:                              ;   in Loop: Header=BB46_6 Depth=1
	s_or_b64 exec, exec, s[20:21]
	s_and_b64 vcc, exec, s[16:17]
	s_cbranch_vccz .LBB46_63
.LBB46_54:                              ;   in Loop: Header=BB46_6 Depth=1
	v_readlane_b32 s8, v59, 46
	s_mul_hi_u32 s8, s11, s8
	s_mul_i32 s8, s8, s73
	s_sub_i32 s8, s11, s8
	s_sub_i32 s9, s8, s73
	s_cmp_ge_u32 s8, s73
	s_cselect_b32 s8, s9, s8
	s_sub_i32 s9, s8, s73
	s_cmp_ge_u32 s8, s73
	s_cselect_b32 s8, s9, s8
	s_sub_i32 s8, s11, s8
	v_cmp_gt_u32_e32 vcc, s8, v34
	s_mov_b32 s9, 0
	v_mov_b32_e32 v8, 0
	v_mov_b32_e32 v9, 0
	;; [unrolled: 1-line block ×4, first 2 shown]
	s_and_saveexec_b64 s[82:83], vcc
	s_cbranch_execz .LBB46_58
; %bb.55:                               ;   in Loop: Header=BB46_6 Depth=1
	s_and_b32 s62, s5, 0xfe
	s_mov_b64 s[16:17], 0
	v_mov_b32_e32 v3, v44
	s_mov_b32 s63, 0
	s_mov_b32 s76, 0
	;; [unrolled: 1-line block ×3, first 2 shown]
	v_mov_b32_e32 v48, v34
.LBB46_56:                              ;   Parent Loop BB46_6 Depth=1
                                        ; =>  This Inner Loop Header: Depth=2
	s_waitcnt vmcnt(0)
	ds_read_b128 v[12:15], v3
	ds_read_b128 v[8:11], v3 offset:16
	v_mov_b32_e32 v5, v21
	v_mov_b32_e32 v31, v21
	;; [unrolled: 1-line block ×3, first 2 shown]
	s_waitcnt lgkmcnt(1)
	v_xor_b32_e32 v13, 0x80000000, v13
	v_xor_b32_e32 v15, 0x80000000, v15
	v_and_b32_e32 v50, v12, v26
	v_and_b32_e32 v51, v13, v27
	v_lshrrev_b64 v[12:13], s62, v[12:13]
	s_waitcnt lgkmcnt(0)
	v_xor_b32_e32 v9, 0x80000000, v9
	v_and_b32_e32 v52, v14, v26
	v_and_b32_e32 v53, v15, v27
	v_lshrrev_b64 v[14:15], s62, v[14:15]
	v_and_b32_e32 v20, 3, v12
	v_xor_b32_e32 v11, 0x80000000, v11
	v_and_b32_e32 v54, v8, v26
	v_and_b32_e32 v55, v9, v27
	v_lshrrev_b64 v[8:9], s62, v[8:9]
	v_cmp_eq_u64_e64 s[18:19], v[50:51], v[28:29]
	v_and_b32_e32 v4, 3, v14
	v_cmp_eq_u64_e64 s[26:27], 0, v[20:21]
	v_and_b32_e32 v56, v10, v26
	v_and_b32_e32 v57, v11, v27
	v_lshrrev_b64 v[10:11], s62, v[10:11]
	v_cmp_eq_u64_e64 s[20:21], v[52:53], v[28:29]
	v_and_b32_e32 v30, 3, v8
	v_cmp_eq_u64_e64 s[28:29], 0, v[4:5]
	s_and_b64 s[26:27], s[18:19], s[26:27]
	v_cmp_eq_u64_e64 s[22:23], v[54:55], v[28:29]
	v_and_b32_e32 v32, 3, v10
	v_cmp_eq_u64_e64 s[30:31], 0, v[30:31]
	v_cmp_eq_u64_e64 s[38:39], 1, v[4:5]
	;; [unrolled: 1-line block ×4, first 2 shown]
	v_cndmask_b32_e64 v4, 0, 1, s[26:27]
	s_and_b64 s[26:27], s[20:21], s[28:29]
	v_cmp_eq_u64_e64 s[24:25], v[56:57], v[28:29]
	v_cmp_eq_u64_e64 s[34:35], 0, v[32:33]
	v_cndmask_b32_e64 v5, 0, 1, s[26:27]
	s_and_b64 s[26:27], s[22:23], s[30:31]
	v_cmp_eq_u64_e64 s[36:37], 1, v[20:21]
	v_cndmask_b32_e64 v8, 0, 1, s[26:27]
	s_and_b64 s[26:27], s[24:25], s[34:35]
	v_cndmask_b32_e64 v9, 0, 1, s[26:27]
	s_and_b64 s[26:27], s[18:19], s[36:37]
	v_cmp_eq_u64_e64 s[40:41], 1, v[30:31]
	v_cndmask_b32_e64 v10, 0, 1, s[26:27]
	s_and_b64 s[26:27], s[20:21], s[38:39]
	v_cmp_eq_u64_e64 s[42:43], 1, v[32:33]
	;; [unrolled: 3-line block ×3, first 2 shown]
	v_cmp_eq_u64_e64 s[52:53], 3, v[20:21]
	v_cndmask_b32_e64 v12, 0, 1, s[26:27]
	s_and_b64 s[26:27], s[24:25], s[42:43]
	v_cndmask_b32_e64 v13, 0, 1, s[26:27]
	s_and_b64 s[26:27], s[18:19], s[44:45]
	s_and_b64 s[18:19], s[18:19], s[52:53]
	v_cmp_eq_u64_e64 s[48:49], 2, v[30:31]
	v_cmp_eq_u64_e64 s[56:57], 3, v[30:31]
	v_cndmask_b32_e64 v14, 0, 1, s[26:27]
	s_and_b64 s[26:27], s[20:21], s[46:47]
	v_cndmask_b32_e64 v31, 0, 1, s[18:19]
	s_and_b64 s[18:19], s[20:21], s[54:55]
	v_cmp_eq_u64_e64 s[50:51], 2, v[32:33]
	v_cmp_eq_u64_e64 s[58:59], 3, v[32:33]
	v_cndmask_b32_e64 v15, 0, 1, s[26:27]
	s_and_b64 s[26:27], s[22:23], s[48:49]
	v_cndmask_b32_e64 v32, 0, 1, s[18:19]
	s_and_b64 s[18:19], s[22:23], s[56:57]
	;; [unrolled: 2-line block ×4, first 2 shown]
	v_cndmask_b32_e64 v30, 0, 1, s[26:27]
	v_cndmask_b32_e64 v49, 0, 1, s[18:19]
	v_cmp_ne_u32_e64 s[18:19], 0, v4
	v_cmp_ne_u32_e64 s[20:21], 0, v5
	;; [unrolled: 1-line block ×11, first 2 shown]
	s_bcnt1_i32_b64 s18, s[18:19]
	s_bcnt1_i32_b64 s19, s[20:21]
	s_bcnt1_i32_b64 s20, s[22:23]
	s_bcnt1_i32_b64 s21, s[24:25]
	s_bcnt1_i32_b64 s22, s[26:27]
	s_bcnt1_i32_b64 s24, s[30:31]
	s_bcnt1_i32_b64 s26, s[36:37]
	s_bcnt1_i32_b64 s30, s[44:45]
	v_cmp_ne_u32_e64 s[34:35], 0, v13
	v_cmp_ne_u32_e64 s[40:41], 0, v20
	;; [unrolled: 1-line block ×3, first 2 shown]
	s_bcnt1_i32_b64 s23, s[28:29]
	s_bcnt1_i32_b64 s27, s[38:39]
	;; [unrolled: 1-line block ×3, first 2 shown]
	s_add_i32 s18, s77, s18
	s_add_i32 s22, s76, s22
	;; [unrolled: 1-line block ×4, first 2 shown]
	v_cmp_ne_u32_e64 s[42:43], 0, v30
	v_cmp_ne_u32_e64 s[50:51], 0, v49
	s_bcnt1_i32_b64 s25, s[34:35]
	s_bcnt1_i32_b64 s28, s[40:41]
	;; [unrolled: 1-line block ×3, first 2 shown]
	s_add_i32 s18, s18, s19
	s_add_i32 s19, s22, s23
	;; [unrolled: 1-line block ×4, first 2 shown]
	v_add_u32_e32 v48, s73, v48
	s_bcnt1_i32_b64 s29, s[42:43]
	s_bcnt1_i32_b64 s35, s[50:51]
	s_add_i32 s18, s18, s20
	s_add_i32 s19, s19, s24
	;; [unrolled: 1-line block ×4, first 2 shown]
	v_cmp_le_u32_e32 vcc, s8, v48
	s_add_i32 s77, s18, s21
	s_add_i32 s76, s19, s25
	;; [unrolled: 1-line block ×4, first 2 shown]
	v_add_u32_e32 v3, s12, v3
	s_or_b64 s[16:17], vcc, s[16:17]
	v_mov_b32_e32 v8, s77
	v_mov_b32_e32 v9, s76
	;; [unrolled: 1-line block ×4, first 2 shown]
	s_andn2_b64 exec, exec, s[16:17]
	s_cbranch_execnz .LBB46_56
; %bb.57:                               ;   in Loop: Header=BB46_6 Depth=1
	s_or_b64 exec, exec, s[16:17]
.LBB46_58:                              ;   in Loop: Header=BB46_6 Depth=1
	s_or_b64 exec, exec, s[82:83]
	v_add_u32_e32 v3, s8, v0
	v_cmp_gt_u32_e32 vcc, s11, v3
	s_and_saveexec_b64 s[16:17], vcc
	s_cbranch_execz .LBB46_62
; %bb.59:                               ;   in Loop: Header=BB46_6 Depth=1
	s_and_b32 s8, s5, 0xfe
	s_waitcnt vmcnt(0)
	v_lshlrev_b32_e32 v4, 3, v3
	s_mov_b64 s[28:29], 0
.LBB46_60:                              ;   Parent Loop BB46_6 Depth=1
                                        ; =>  This Inner Loop Header: Depth=2
	ds_read_b64 v[12:13], v4
	v_add_u32_e32 v3, s79, v3
	v_cmp_le_u32_e32 vcc, s11, v3
	v_add_u32_e32 v4, s4, v4
	s_waitcnt lgkmcnt(0)
	v_xor_b32_e32 v13, 0x80000000, v13
	v_and_b32_e32 v14, v12, v26
	v_and_b32_e32 v15, v13, v27
	v_lshrrev_b64 v[12:13], s8, v[12:13]
	v_and_b32_e32 v20, 3, v12
	v_cmp_eq_u64_e64 s[18:19], v[14:15], v[28:29]
	v_cmp_eq_u64_e64 s[20:21], 0, v[20:21]
	;; [unrolled: 1-line block ×3, first 2 shown]
	s_and_b64 s[20:21], s[18:19], s[20:21]
	v_cmp_eq_u64_e64 s[24:25], 2, v[20:21]
	v_cmp_eq_u64_e64 s[26:27], 3, v[20:21]
	v_cndmask_b32_e64 v5, 0, 1, s[20:21]
	s_and_b64 s[20:21], s[18:19], s[22:23]
	v_cndmask_b32_e64 v12, 0, 1, s[20:21]
	s_and_b64 s[20:21], s[18:19], s[24:25]
	s_and_b64 s[18:19], s[18:19], s[26:27]
	v_cndmask_b32_e64 v13, 0, 1, s[20:21]
	v_cndmask_b32_e64 v14, 0, 1, s[18:19]
	v_cmp_ne_u32_e64 s[18:19], 0, v5
	v_cmp_ne_u32_e64 s[20:21], 0, v12
	;; [unrolled: 1-line block ×4, first 2 shown]
	s_bcnt1_i32_b64 s9, s[18:19]
	s_bcnt1_i32_b64 s18, s[20:21]
	;; [unrolled: 1-line block ×4, first 2 shown]
	v_add_u32_e32 v8, s9, v8
	v_add_u32_e32 v9, s18, v9
	;; [unrolled: 1-line block ×3, first 2 shown]
	s_or_b64 s[28:29], vcc, s[28:29]
	v_add_u32_e32 v11, s20, v11
	s_andn2_b64 exec, exec, s[28:29]
	s_cbranch_execnz .LBB46_60
; %bb.61:                               ;   in Loop: Header=BB46_6 Depth=1
	s_or_b64 exec, exec, s[28:29]
	s_or_b64 s[80:81], s[80:81], exec
.LBB46_62:                              ;   in Loop: Header=BB46_6 Depth=1
	s_or_b64 exec, exec, s[16:17]
.LBB46_63:                              ;   in Loop: Header=BB46_6 Depth=1
	s_and_saveexec_b64 s[8:9], s[80:81]
	s_or_b64 exec, exec, s[8:9]
	s_lshl_b32 s11, s10, 6
	s_and_saveexec_b64 s[8:9], s[0:1]
	s_cbranch_execz .LBB46_65
; %bb.64:                               ;   in Loop: Header=BB46_6 Depth=1
	v_or_b32_e32 v3, s11, v35
	v_lshlrev_b32_e32 v3, 2, v3
	ds_write_b128 v3, v[8:11] offset:3072
.LBB46_65:                              ;   in Loop: Header=BB46_6 Depth=1
	s_or_b64 exec, exec, s[8:9]
	s_waitcnt lgkmcnt(0)
	s_barrier
	s_and_saveexec_b64 s[16:17], s[74:75]
	s_cbranch_execz .LBB46_79
; %bb.66:                               ;   in Loop: Header=BB46_6 Depth=1
	v_readlane_b32 s8, v59, 25
	v_readlane_b32 s9, v59, 26
	v_add_u32_e32 v3, s11, v1
	s_andn2_b64 vcc, exec, s[8:9]
	s_waitcnt vmcnt(0)
	v_mov_b32_e32 v4, 0
	s_cbranch_vccnz .LBB46_78
; %bb.67:                               ;   in Loop: Header=BB46_6 Depth=1
	v_readlane_b32 s8, v59, 30
	v_readlane_b32 s9, v59, 31
	s_mov_b32 s18, 0
	s_and_b64 vcc, exec, s[8:9]
	v_mov_b32_e32 v4, 0
	s_cbranch_vccz .LBB46_71
; %bb.68:                               ;   in Loop: Header=BB46_6 Depth=1
	v_readlane_b32 s8, v59, 36
	v_readlane_b32 s18, v59, 17
	;; [unrolled: 1-line block ×3, first 2 shown]
	v_lshl_add_u32 v8, v3, 2, v46
	v_readlane_b32 s19, v59, 18
	s_andn2_b64 vcc, exec, s[8:9]
	s_cbranch_vccnz .LBB46_72
; %bb.69:                               ;   in Loop: Header=BB46_6 Depth=1
	v_writelane_b32 v59, s18, 17
	v_writelane_b32 v59, s19, 18
	s_mov_b32 s19, 1
	s_mov_b32 s18, 0
	v_mov_b32_e32 v4, 0
	v_readlane_b32 s8, v59, 38
	v_mov_b32_e32 v5, 0
.LBB46_70:                              ;   Parent Loop BB46_6 Depth=1
                                        ; =>  This Inner Loop Header: Depth=2
	v_lshl_add_u32 v9, s18, 4, v8
	v_lshl_add_u32 v20, s19, 4, v8
	ds_read2_b32 v[10:11], v9 offset1:8
	ds_read2_b32 v[12:13], v20 offset1:8
	ds_read2_b32 v[14:15], v9 offset0:16 offset1:24
	ds_read2_b32 v[30:31], v20 offset0:16 offset1:24
	;; [unrolled: 1-line block ×6, first 2 shown]
	s_waitcnt lgkmcnt(7)
	v_add3_u32 v4, v10, v4, v11
	s_waitcnt lgkmcnt(6)
	v_add3_u32 v5, v12, v5, v13
	s_waitcnt lgkmcnt(4)
	v_add3_u32 v5, v30, v5, v31
	v_add3_u32 v4, v14, v4, v15
	s_add_i32 s19, s19, 16
	s_add_i32 s18, s18, 16
	s_add_i32 s8, s8, -8
	s_waitcnt lgkmcnt(3)
	v_add3_u32 v4, v32, v4, v33
	s_waitcnt lgkmcnt(2)
	v_add3_u32 v5, v48, v5, v49
	s_cmp_lg_u32 s8, 0
	s_waitcnt lgkmcnt(0)
	v_add3_u32 v5, v52, v5, v53
	v_add3_u32 v4, v50, v4, v51
	s_cbranch_scc1 .LBB46_70
	s_branch .LBB46_73
.LBB46_71:                              ;   in Loop: Header=BB46_6 Depth=1
	s_cbranch_execnz .LBB46_76
	s_branch .LBB46_78
.LBB46_72:                              ;   in Loop: Header=BB46_6 Depth=1
	s_mov_b32 s8, s18
	s_mov_b32 s19, s18
	v_writelane_b32 v59, s8, 17
	v_pk_mov_b32 v[4:5], s[18:19], s[18:19] op_sel:[0,1]
	s_mov_b32 s19, 1
	v_writelane_b32 v59, s9, 18
.LBB46_73:                              ;   in Loop: Header=BB46_6 Depth=1
	v_readlane_b32 s8, v59, 40
	v_readlane_b32 s9, v59, 41
	s_andn2_b64 vcc, exec, s[8:9]
	v_readlane_b32 s8, v59, 39
	s_cbranch_vccnz .LBB46_75
.LBB46_74:                              ;   Parent Loop BB46_6 Depth=1
                                        ; =>  This Inner Loop Header: Depth=2
	v_lshl_add_u32 v9, s18, 4, v8
	v_lshl_add_u32 v10, s19, 4, v8
	ds_read_b32 v10, v10
	ds_read_b32 v9, v9
	s_add_i32 s19, s19, 2
	s_add_i32 s18, s18, 2
	s_add_i32 s8, s8, -1
	s_cmp_lg_u32 s8, 0
	s_waitcnt lgkmcnt(1)
	v_add_u32_e32 v5, v10, v5
	s_waitcnt lgkmcnt(0)
	v_add_u32_e32 v4, v9, v4
	s_cbranch_scc1 .LBB46_74
.LBB46_75:                              ;   in Loop: Header=BB46_6 Depth=1
	v_readlane_b32 s8, v59, 44
	v_add_u32_e32 v4, v4, v5
	v_readlane_b32 s18, v59, 43
	v_readlane_b32 s9, v59, 45
	s_and_b64 vcc, exec, s[8:9]
	s_cbranch_vccz .LBB46_78
.LBB46_76:                              ;   in Loop: Header=BB46_6 Depth=1
	s_lshl_b32 s8, s10, 8
	s_lshl_b32 s9, s18, 4
	s_add_i32 s8, s8, s9
	v_add_u32_e32 v5, s8, v45
	v_readlane_b32 s8, v59, 42
	s_sub_i32 s8, s8, s18
.LBB46_77:                              ;   Parent Loop BB46_6 Depth=1
                                        ; =>  This Inner Loop Header: Depth=2
	ds_read_b32 v8, v5
	s_add_i32 s8, s8, -1
	v_add_u32_e32 v5, 16, v5
	s_cmp_eq_u32 s8, 0
	s_waitcnt lgkmcnt(0)
	v_add_u32_e32 v4, v8, v4
	s_cbranch_scc0 .LBB46_77
.LBB46_78:                              ;   in Loop: Header=BB46_6 Depth=1
	v_lshlrev_b32_e32 v3, 2, v3
	ds_write_b32 v3, v4 offset:3072
.LBB46_79:                              ;   in Loop: Header=BB46_6 Depth=1
	s_or_b64 exec, exec, s[16:17]
	s_lshl_b32 s8, s11, 2
	v_mov_b32_e32 v3, s8
	s_waitcnt lgkmcnt(0)
	s_barrier
	ds_read_b128 v[8:11], v3 offset:3072
	s_and_b32 s55, s5, 0xfe
	v_readlane_b32 s8, v59, 21
	s_lshl_b64 s[22:23], 3, s55
	v_readlane_b32 s9, v59, 22
	s_waitcnt lgkmcnt(0)
	v_readfirstlane_b32 s11, v8
	v_readfirstlane_b32 s54, v9
	;; [unrolled: 1-line block ×4, first 2 shown]
	s_not_b64 s[24:25], s[22:23]
	s_andn2_b64 vcc, exec, s[8:9]
	v_cmp_eq_u32_e64 s[18:19], 1, v47
	s_cbranch_vccnz .LBB46_92
; %bb.80:                               ;   in Loop: Header=BB46_6 Depth=1
	s_cmp_eq_u32 s11, 1
	s_cselect_b64 s[8:9], -1, 0
	s_and_b64 s[40:41], s[8:9], s[18:19]
	s_mov_b64 s[8:9], -1
	s_waitcnt vmcnt(0)
	v_pk_mov_b32 v[12:13], v[28:29], v[28:29] op_sel:[0,1]
	v_pk_mov_b32 v[14:15], v[26:27], v[26:27] op_sel:[0,1]
	;; [unrolled: 1-line block ×3, first 2 shown]
                                        ; implicit-def: $sgpr26_sgpr27
                                        ; implicit-def: $sgpr34_sgpr35
                                        ; implicit-def: $sgpr30_sgpr31
	s_and_saveexec_b64 s[28:29], s[40:41]
	s_cbranch_execz .LBB46_108
; %bb.81:                               ;   in Loop: Header=BB46_6 Depth=1
	ds_read_b32 v3, v21 offset:4096
	s_waitcnt lgkmcnt(0)
	s_barrier
	v_readfirstlane_b32 s30, v3
	s_mov_b64 s[8:9], exec
	v_readlane_b32 s16, v59, 34
	v_readlane_b32 s17, v59, 35
	s_and_b64 s[16:17], s[8:9], s[16:17]
	s_mov_b64 exec, s[16:17]
	s_cbranch_execz .LBB46_83
; %bb.82:                               ;   in Loop: Header=BB46_6 Depth=1
	v_mov_b32_e32 v20, v21
	ds_write_b64 v37, v[20:21]
.LBB46_83:                              ;   in Loop: Header=BB46_6 Depth=1
	s_or_b64 exec, exec, s[8:9]
	v_and_b32_e32 v13, s25, v29
	v_and_b32_e32 v12, s24, v28
	v_or_b32_e32 v15, s23, v27
	v_or_b32_e32 v14, s22, v26
	s_cmp_eq_u32 s30, 0
	s_waitcnt lgkmcnt(0)
	s_barrier
	s_cbranch_scc1 .LBB46_94
; %bb.84:                               ;   in Loop: Header=BB46_6 Depth=1
	v_readlane_b32 s8, v59, 27
	s_add_i32 s8, s30, s8
	v_readlane_b32 s9, v59, 49
	s_mul_hi_u32 s9, s8, s9
	s_mul_i32 s9, s9, s79
	s_sub_i32 s9, s8, s9
	s_sub_i32 s16, s9, s79
	s_cmp_ge_u32 s9, s79
	s_cselect_b32 s9, s16, s9
	s_sub_i32 s16, s9, s79
	s_cmp_ge_u32 s9, s79
	s_cselect_b32 s9, s16, s9
	s_sub_i32 s31, s8, s9
	v_cmp_gt_u32_e32 vcc, s31, v0
	s_mov_b64 s[20:21], 0
                                        ; implicit-def: $vgpr10_vgpr11
	s_and_saveexec_b64 s[8:9], vcc
	s_cbranch_execz .LBB46_96
; %bb.85:                               ;   in Loop: Header=BB46_6 Depth=1
	v_mov_b32_e32 v20, v36
	v_mov_b32_e32 v30, v0
                                        ; implicit-def: $sgpr16_sgpr17
	s_branch .LBB46_87
.LBB46_86:                              ;   in Loop: Header=BB46_87 Depth=2
	s_or_b64 exec, exec, s[26:27]
	s_waitcnt lgkmcnt(0)
	s_barrier
	ds_read_b128 v[8:11], v21 offset:3072
	v_add_u32_e32 v30, s79, v30
	v_cmp_le_u32_e32 vcc, s31, v30
	v_add_u32_e32 v20, s4, v20
	s_waitcnt lgkmcnt(0)
	v_readfirstlane_b32 s27, v9
	v_readfirstlane_b32 s26, v8
	s_cmp_lg_u64 s[26:27], 0
	s_cselect_b64 s[26:27], -1, 0
	s_or_b64 s[34:35], vcc, s[26:27]
	s_and_b64 s[34:35], exec, s[34:35]
	s_or_b64 s[20:21], s[34:35], s[20:21]
	s_andn2_b64 s[16:17], s[16:17], exec
	s_and_b64 s[26:27], s[26:27], exec
	s_or_b64 s[16:17], s[16:17], s[26:27]
	s_barrier
	s_andn2_b64 exec, exec, s[20:21]
	s_cbranch_execz .LBB46_95
.LBB46_87:                              ;   Parent Loop BB46_6 Depth=1
                                        ; =>  This Inner Loop Header: Depth=2
	v_cmp_gt_u32_e32 vcc, s30, v30
	v_pk_mov_b32 v[4:5], 0, 0
	s_and_saveexec_b64 s[26:27], vcc
	s_cbranch_execz .LBB46_89
; %bb.88:                               ;   in Loop: Header=BB46_87 Depth=2
	ds_read_b64 v[4:5], v20
.LBB46_89:                              ;   in Loop: Header=BB46_87 Depth=2
	s_or_b64 exec, exec, s[26:27]
	s_and_saveexec_b64 s[26:27], vcc
	s_cbranch_execz .LBB46_86
; %bb.90:                               ;   in Loop: Header=BB46_87 Depth=2
	s_waitcnt lgkmcnt(0)
	v_xor_b32_e32 v3, 0x80000000, v5
	v_and_b32_e32 v9, v3, v15
	v_and_b32_e32 v8, v4, v14
	v_cmp_eq_u64_e32 vcc, v[8:9], v[12:13]
	s_and_b64 exec, exec, vcc
	s_cbranch_execz .LBB46_86
; %bb.91:                               ;   in Loop: Header=BB46_87 Depth=2
	v_mov_b32_e32 v3, v21
	ds_write_b128 v21, v[2:5] offset:3072
	s_branch .LBB46_86
.LBB46_92:                              ;   in Loop: Header=BB46_6 Depth=1
	s_mov_b64 s[28:29], 0
	s_mov_b64 s[20:21], 0
                                        ; implicit-def: $sgpr30_sgpr31
                                        ; implicit-def: $sgpr34_sgpr35
                                        ; implicit-def: $sgpr26_sgpr27
                                        ; implicit-def: $vgpr3
                                        ; implicit-def: $vgpr30
                                        ; implicit-def: $vgpr12_vgpr13
                                        ; implicit-def: $vgpr14_vgpr15
                                        ; implicit-def: $vgpr10_vgpr11
	s_cbranch_execnz .LBB46_244
.LBB46_93:                              ;   in Loop: Header=BB46_6 Depth=1
	s_mov_b64 s[36:37], s[26:27]
	s_mov_b64 s[38:39], s[26:27]
	s_and_saveexec_b64 s[8:9], s[28:29]
	s_cbranch_execnz .LBB46_406
	s_branch .LBB46_407
.LBB46_94:                              ;   in Loop: Header=BB46_6 Depth=1
	s_mov_b64 s[26:27], -1
	s_mov_b64 s[20:21], 0
                                        ; implicit-def: $sgpr30_sgpr31
                                        ; implicit-def: $vgpr10_vgpr11
	s_mov_b64 s[34:35], s[26:27]
	s_cbranch_execnz .LBB46_97
	s_branch .LBB46_107
.LBB46_95:                              ;   in Loop: Header=BB46_6 Depth=1
	s_or_b64 exec, exec, s[20:21]
	s_and_b64 s[20:21], s[16:17], exec
.LBB46_96:                              ;   in Loop: Header=BB46_6 Depth=1
	s_or_b64 exec, exec, s[8:9]
	s_mov_b64 s[30:31], -1
	s_mov_b64 s[26:27], 0
	s_mov_b64 s[34:35], s[26:27]
	s_branch .LBB46_107
.LBB46_97:                              ;   in Loop: Header=BB46_6 Depth=1
	s_mov_b64 s[20:21], 0
                                        ; implicit-def: $vgpr10_vgpr11
	s_mov_b64 s[16:17], exec
	v_readlane_b32 s8, v59, 50
	v_readlane_b32 s9, v59, 51
	s_and_b64 s[8:9], s[16:17], s[8:9]
	s_mov_b64 exec, s[8:9]
	s_cbranch_execz .LBB46_106
; %bb.98:                               ;   in Loop: Header=BB46_6 Depth=1
	s_mov_b64 s[26:27], 0
	v_mov_b32_e32 v20, v22
	v_mov_b32_e32 v30, v0
                                        ; implicit-def: $sgpr8_sgpr9
	s_branch .LBB46_100
.LBB46_99:                              ;   in Loop: Header=BB46_100 Depth=2
	s_or_b64 exec, exec, s[20:21]
	s_waitcnt lgkmcnt(0)
	s_barrier
	ds_read_b128 v[8:11], v21 offset:3072
	v_add_u32_e32 v30, s79, v30
	v_cmp_le_u32_e32 vcc, s6, v30
	v_add_u32_e32 v20, s72, v20
	s_waitcnt lgkmcnt(0)
	v_readfirstlane_b32 s21, v9
	v_readfirstlane_b32 s20, v8
	s_cmp_lg_u64 s[20:21], 0
	s_cselect_b64 s[20:21], -1, 0
	s_or_b64 s[30:31], vcc, s[20:21]
	s_and_b64 s[30:31], exec, s[30:31]
	s_or_b64 s[26:27], s[30:31], s[26:27]
	s_andn2_b64 s[8:9], s[8:9], exec
	s_and_b64 s[20:21], s[20:21], exec
	s_or_b64 s[8:9], s[8:9], s[20:21]
	s_barrier
	s_andn2_b64 exec, exec, s[26:27]
	s_cbranch_execz .LBB46_105
.LBB46_100:                             ;   Parent Loop BB46_6 Depth=1
                                        ; =>  This Inner Loop Header: Depth=2
	v_cmp_gt_u32_e32 vcc, s60, v30
	s_waitcnt vmcnt(0)
	v_pk_mov_b32 v[4:5], 0, 0
	s_and_saveexec_b64 s[30:31], vcc
	s_cbranch_execz .LBB46_102
; %bb.101:                              ;   in Loop: Header=BB46_100 Depth=2
	v_lshlrev_b64 v[4:5], 3, v[20:21]
	v_mov_b32_e32 v3, s78
	v_add_co_u32_e64 v4, s[20:21], s33, v4
	v_addc_co_u32_e64 v5, s[20:21], v3, v5, s[20:21]
	global_load_dwordx2 v[4:5], v[4:5], off
.LBB46_102:                             ;   in Loop: Header=BB46_100 Depth=2
	s_or_b64 exec, exec, s[30:31]
	s_and_saveexec_b64 s[20:21], vcc
	s_cbranch_execz .LBB46_99
; %bb.103:                              ;   in Loop: Header=BB46_100 Depth=2
	s_waitcnt vmcnt(0)
	v_xor_b32_e32 v3, 0x80000000, v5
	v_and_b32_e32 v9, v3, v15
	v_and_b32_e32 v8, v4, v14
	v_cmp_eq_u64_e32 vcc, v[8:9], v[12:13]
	s_and_b64 exec, exec, vcc
	s_cbranch_execz .LBB46_99
; %bb.104:                              ;   in Loop: Header=BB46_100 Depth=2
	v_mov_b32_e32 v3, v21
	ds_write_b128 v21, v[2:5] offset:3072
	s_branch .LBB46_99
.LBB46_105:                             ;   in Loop: Header=BB46_6 Depth=1
	s_or_b64 exec, exec, s[26:27]
	s_and_b64 s[20:21], s[8:9], exec
.LBB46_106:                             ;   in Loop: Header=BB46_6 Depth=1
	s_or_b64 exec, exec, s[16:17]
	s_mov_b64 s[34:35], -1
	s_mov_b64 s[26:27], 0
	s_mov_b64 s[30:31], 0
.LBB46_107:                             ;   in Loop: Header=BB46_6 Depth=1
	s_orn2_b64 s[8:9], s[20:21], exec
.LBB46_108:                             ;   in Loop: Header=BB46_6 Depth=1
	s_or_b64 exec, exec, s[28:29]
	s_mov_b64 s[36:37], 0
	s_mov_b64 s[28:29], 0
	s_mov_b64 s[20:21], 0
                                        ; implicit-def: $vgpr3
                                        ; implicit-def: $vgpr30
	s_and_saveexec_b64 s[38:39], s[8:9]
	s_cbranch_execz .LBB46_243
; %bb.109:                              ;   in Loop: Header=BB46_6 Depth=1
	s_xor_b64 s[20:21], s[40:41], -1
	s_mov_b64 s[8:9], 0
	v_mov_b32_e32 v30, 1
	v_mov_b32_e32 v3, 1
	s_and_saveexec_b64 s[16:17], s[20:21]
	s_cbranch_execz .LBB46_119
; %bb.110:                              ;   in Loop: Header=BB46_6 Depth=1
	v_cmp_ge_u32_e32 vcc, s11, v47
                                        ; implicit-def: $sgpr28
                                        ; implicit-def: $sgpr8_sgpr9
	s_and_saveexec_b64 s[20:21], vcc
	s_xor_b64 s[20:21], exec, s[20:21]
	s_cbranch_execz .LBB46_116
; %bb.111:                              ;   in Loop: Header=BB46_6 Depth=1
	ds_read_b32 v3, v21 offset:4096
	s_waitcnt lgkmcnt(0)
	v_cmp_ne_u32_e32 vcc, 0, v3
	s_cbranch_vccnz .LBB46_115
; %bb.112:                              ;   in Loop: Header=BB46_6 Depth=1
	s_mov_b64 s[8:9], exec
	v_readlane_b32 s28, v59, 14
	v_readlane_b32 s29, v59, 15
	s_and_b64 s[28:29], s[8:9], s[28:29]
	s_mov_b64 exec, s[28:29]
	s_cbranch_execz .LBB46_114
; %bb.113:                              ;   in Loop: Header=BB46_6 Depth=1
	v_mov_b32_e32 v3, s11
	ds_write_b32 v21, v3 offset:4100
.LBB46_114:                             ;   in Loop: Header=BB46_6 Depth=1
	s_or_b64 exec, exec, s[8:9]
	s_waitcnt lgkmcnt(0)
	s_barrier
.LBB46_115:                             ;   in Loop: Header=BB46_6 Depth=1
	v_and_b32_e32 v13, s25, v13
	v_and_b32_e32 v12, s24, v12
	v_or_b32_e32 v15, s23, v15
	v_or_b32_e32 v14, s22, v14
	s_mov_b64 s[8:9], 0
	s_mov_b32 s28, 8
.LBB46_116:                             ;   in Loop: Header=BB46_6 Depth=1
	s_or_saveexec_b64 s[20:21], s[20:21]
	v_mov_b32_e32 v3, s28
	v_mov_b32_e32 v30, v47
	s_xor_b64 exec, exec, s[20:21]
; %bb.117:                              ;   in Loop: Header=BB46_6 Depth=1
	v_subrev_u32_e32 v30, s11, v47
	v_mov_b32_e32 v3, 0
	s_or_b64 s[8:9], s[8:9], exec
; %bb.118:                              ;   in Loop: Header=BB46_6 Depth=1
	s_or_b64 exec, exec, s[20:21]
	s_and_b64 s[8:9], s[8:9], exec
.LBB46_119:                             ;   in Loop: Header=BB46_6 Depth=1
	s_or_b64 exec, exec, s[16:17]
	s_mov_b64 s[42:43], -1
                                        ; implicit-def: $sgpr16_sgpr17
                                        ; implicit-def: $sgpr40_sgpr41
                                        ; implicit-def: $sgpr46_sgpr47
	s_and_saveexec_b64 s[20:21], s[8:9]
	s_xor_b64 s[28:29], exec, s[20:21]
	s_cbranch_execz .LBB46_240
; %bb.120:                              ;   in Loop: Header=BB46_6 Depth=1
	s_cmp_eq_u32 s54, 1
	s_cselect_b64 s[8:9], -1, 0
	v_cmp_eq_u32_e32 vcc, 1, v30
	s_and_b64 s[48:49], s[8:9], vcc
	s_mov_b64 s[16:17], -1
                                        ; implicit-def: $sgpr40_sgpr41
                                        ; implicit-def: $sgpr44_sgpr45
                                        ; implicit-def: $sgpr42_sgpr43
	s_and_saveexec_b64 s[46:47], s[48:49]
	s_cbranch_execz .LBB46_146
; %bb.121:                              ;   in Loop: Header=BB46_6 Depth=1
	ds_read_b32 v3, v21 offset:4096
	s_waitcnt lgkmcnt(0)
	s_barrier
	v_readfirstlane_b32 s42, v3
	s_mov_b64 s[8:9], exec
	v_readlane_b32 s16, v59, 34
	v_readlane_b32 s17, v59, 35
	s_and_b64 s[16:17], s[8:9], s[16:17]
	s_mov_b64 exec, s[16:17]
	s_cbranch_execz .LBB46_123
; %bb.122:                              ;   in Loop: Header=BB46_6 Depth=1
	v_mov_b32_e32 v20, v21
	ds_write_b64 v37, v[20:21]
.LBB46_123:                             ;   in Loop: Header=BB46_6 Depth=1
	s_or_b64 exec, exec, s[8:9]
	s_lshl_b64 s[8:9], 1, s55
	v_and_b32_e32 v3, s25, v13
	s_waitcnt vmcnt(0)
	v_and_b32_e32 v4, s24, v12
	v_or_b32_e32 v13, s9, v3
	v_or_b32_e32 v12, s8, v4
	;; [unrolled: 1-line block ×4, first 2 shown]
	s_cmp_eq_u32 s42, 0
	s_waitcnt lgkmcnt(0)
	s_barrier
	s_cbranch_scc1 .LBB46_132
; %bb.124:                              ;   in Loop: Header=BB46_6 Depth=1
	v_readlane_b32 s8, v59, 27
	s_add_i32 s8, s42, s8
	v_readlane_b32 s9, v59, 49
	s_mul_hi_u32 s9, s8, s9
	s_mul_i32 s9, s9, s79
	s_sub_i32 s9, s8, s9
	s_sub_i32 s16, s9, s79
	s_cmp_ge_u32 s9, s79
	s_cselect_b32 s9, s16, s9
	s_sub_i32 s16, s9, s79
	s_cmp_ge_u32 s9, s79
	s_cselect_b32 s9, s16, s9
	s_sub_i32 s43, s8, s9
	v_cmp_gt_u32_e32 vcc, s43, v0
	s_mov_b64 s[20:21], 0
                                        ; implicit-def: $vgpr10_vgpr11
	s_and_saveexec_b64 s[8:9], vcc
	s_cbranch_execz .LBB46_134
; %bb.125:                              ;   in Loop: Header=BB46_6 Depth=1
	v_mov_b32_e32 v20, v36
	v_mov_b32_e32 v31, v0
                                        ; implicit-def: $sgpr16_sgpr17
	s_branch .LBB46_127
.LBB46_126:                             ;   in Loop: Header=BB46_127 Depth=2
	s_or_b64 exec, exec, s[40:41]
	s_waitcnt lgkmcnt(0)
	s_barrier
	ds_read_b128 v[8:11], v21 offset:3072
	v_add_u32_e32 v31, s79, v31
	v_cmp_le_u32_e32 vcc, s43, v31
	v_add_u32_e32 v20, s4, v20
	s_waitcnt lgkmcnt(0)
	v_readfirstlane_b32 s41, v9
	v_readfirstlane_b32 s40, v8
	s_cmp_lg_u64 s[40:41], 0
	s_cselect_b64 s[40:41], -1, 0
	s_or_b64 s[44:45], vcc, s[40:41]
	s_and_b64 s[44:45], exec, s[44:45]
	s_or_b64 s[20:21], s[44:45], s[20:21]
	s_andn2_b64 s[16:17], s[16:17], exec
	s_and_b64 s[40:41], s[40:41], exec
	s_or_b64 s[16:17], s[16:17], s[40:41]
	s_barrier
	s_andn2_b64 exec, exec, s[20:21]
	s_cbranch_execz .LBB46_133
.LBB46_127:                             ;   Parent Loop BB46_6 Depth=1
                                        ; =>  This Inner Loop Header: Depth=2
	v_cmp_gt_u32_e32 vcc, s42, v31
	v_pk_mov_b32 v[4:5], 0, 0
	s_and_saveexec_b64 s[40:41], vcc
	s_cbranch_execz .LBB46_129
; %bb.128:                              ;   in Loop: Header=BB46_127 Depth=2
	ds_read_b64 v[4:5], v20
.LBB46_129:                             ;   in Loop: Header=BB46_127 Depth=2
	s_or_b64 exec, exec, s[40:41]
	s_and_saveexec_b64 s[40:41], vcc
	s_cbranch_execz .LBB46_126
; %bb.130:                              ;   in Loop: Header=BB46_127 Depth=2
	s_waitcnt lgkmcnt(0)
	v_xor_b32_e32 v3, 0x80000000, v5
	v_and_b32_e32 v9, v3, v15
	v_and_b32_e32 v8, v4, v14
	v_cmp_eq_u64_e32 vcc, v[8:9], v[12:13]
	s_and_b64 exec, exec, vcc
	s_cbranch_execz .LBB46_126
; %bb.131:                              ;   in Loop: Header=BB46_127 Depth=2
	v_mov_b32_e32 v3, v21
	ds_write_b128 v21, v[2:5] offset:3072
	s_branch .LBB46_126
.LBB46_132:                             ;   in Loop: Header=BB46_6 Depth=1
	s_mov_b64 s[40:41], -1
	s_mov_b64 s[20:21], 0
                                        ; implicit-def: $sgpr42_sgpr43
                                        ; implicit-def: $vgpr10_vgpr11
	s_mov_b64 s[44:45], s[40:41]
	s_cbranch_execnz .LBB46_135
	s_branch .LBB46_145
.LBB46_133:                             ;   in Loop: Header=BB46_6 Depth=1
	s_or_b64 exec, exec, s[20:21]
	s_and_b64 s[20:21], s[16:17], exec
.LBB46_134:                             ;   in Loop: Header=BB46_6 Depth=1
	s_or_b64 exec, exec, s[8:9]
	s_mov_b64 s[42:43], -1
	s_mov_b64 s[40:41], 0
	s_mov_b64 s[44:45], s[40:41]
	s_branch .LBB46_145
.LBB46_135:                             ;   in Loop: Header=BB46_6 Depth=1
	s_mov_b64 s[20:21], 0
                                        ; implicit-def: $vgpr10_vgpr11
	s_mov_b64 s[16:17], exec
	v_readlane_b32 s8, v59, 50
	v_readlane_b32 s9, v59, 51
	s_and_b64 s[8:9], s[16:17], s[8:9]
	s_mov_b64 exec, s[8:9]
	s_cbranch_execz .LBB46_144
; %bb.136:                              ;   in Loop: Header=BB46_6 Depth=1
	s_mov_b64 s[40:41], 0
	v_mov_b32_e32 v20, v22
	v_mov_b32_e32 v31, v0
                                        ; implicit-def: $sgpr8_sgpr9
	s_branch .LBB46_138
.LBB46_137:                             ;   in Loop: Header=BB46_138 Depth=2
	s_or_b64 exec, exec, s[20:21]
	s_waitcnt lgkmcnt(0)
	s_barrier
	ds_read_b128 v[8:11], v21 offset:3072
	v_add_u32_e32 v31, s79, v31
	v_cmp_le_u32_e32 vcc, s6, v31
	v_add_u32_e32 v20, s72, v20
	s_waitcnt lgkmcnt(0)
	v_readfirstlane_b32 s21, v9
	v_readfirstlane_b32 s20, v8
	s_cmp_lg_u64 s[20:21], 0
	s_cselect_b64 s[20:21], -1, 0
	s_or_b64 s[42:43], vcc, s[20:21]
	s_and_b64 s[42:43], exec, s[42:43]
	s_or_b64 s[40:41], s[42:43], s[40:41]
	s_andn2_b64 s[8:9], s[8:9], exec
	s_and_b64 s[20:21], s[20:21], exec
	s_or_b64 s[8:9], s[8:9], s[20:21]
	s_barrier
	s_andn2_b64 exec, exec, s[40:41]
	s_cbranch_execz .LBB46_143
.LBB46_138:                             ;   Parent Loop BB46_6 Depth=1
                                        ; =>  This Inner Loop Header: Depth=2
	v_cmp_gt_u32_e32 vcc, s60, v31
	s_waitcnt vmcnt(0)
	v_pk_mov_b32 v[4:5], 0, 0
	s_and_saveexec_b64 s[42:43], vcc
	s_cbranch_execz .LBB46_140
; %bb.139:                              ;   in Loop: Header=BB46_138 Depth=2
	v_lshlrev_b64 v[4:5], 3, v[20:21]
	v_mov_b32_e32 v3, s78
	v_add_co_u32_e64 v4, s[20:21], s33, v4
	v_addc_co_u32_e64 v5, s[20:21], v3, v5, s[20:21]
	global_load_dwordx2 v[4:5], v[4:5], off
.LBB46_140:                             ;   in Loop: Header=BB46_138 Depth=2
	s_or_b64 exec, exec, s[42:43]
	s_and_saveexec_b64 s[20:21], vcc
	s_cbranch_execz .LBB46_137
; %bb.141:                              ;   in Loop: Header=BB46_138 Depth=2
	s_waitcnt vmcnt(0)
	v_xor_b32_e32 v3, 0x80000000, v5
	v_and_b32_e32 v9, v3, v15
	v_and_b32_e32 v8, v4, v14
	v_cmp_eq_u64_e32 vcc, v[8:9], v[12:13]
	s_and_b64 exec, exec, vcc
	s_cbranch_execz .LBB46_137
; %bb.142:                              ;   in Loop: Header=BB46_138 Depth=2
	v_mov_b32_e32 v3, v21
	ds_write_b128 v21, v[2:5] offset:3072
	s_branch .LBB46_137
.LBB46_143:                             ;   in Loop: Header=BB46_6 Depth=1
	s_or_b64 exec, exec, s[40:41]
	s_and_b64 s[20:21], s[8:9], exec
.LBB46_144:                             ;   in Loop: Header=BB46_6 Depth=1
	s_or_b64 exec, exec, s[16:17]
	s_mov_b64 s[44:45], -1
	s_mov_b64 s[40:41], 0
	s_mov_b64 s[42:43], 0
.LBB46_145:                             ;   in Loop: Header=BB46_6 Depth=1
	s_orn2_b64 s[16:17], s[20:21], exec
.LBB46_146:                             ;   in Loop: Header=BB46_6 Depth=1
	s_or_b64 exec, exec, s[46:47]
	s_mov_b64 s[8:9], 0
                                        ; implicit-def: $vgpr3
	s_and_saveexec_b64 s[46:47], s[16:17]
	s_cbranch_execz .LBB46_239
; %bb.147:                              ;   in Loop: Header=BB46_6 Depth=1
	s_xor_b64 s[8:9], s[48:49], -1
	s_mov_b64 s[52:53], 0
	v_mov_b32_e32 v31, 1
	v_mov_b32_e32 v3, 1
	s_and_saveexec_b64 s[16:17], s[8:9]
	s_cbranch_execz .LBB46_157
; %bb.148:                              ;   in Loop: Header=BB46_6 Depth=1
	v_cmp_ge_u32_e32 vcc, s54, v30
                                        ; implicit-def: $sgpr48
                                        ; implicit-def: $sgpr8_sgpr9
	s_and_saveexec_b64 s[20:21], vcc
	s_xor_b64 s[20:21], exec, s[20:21]
	s_cbranch_execz .LBB46_154
; %bb.149:                              ;   in Loop: Header=BB46_6 Depth=1
	ds_read_b32 v3, v21 offset:4096
	s_waitcnt lgkmcnt(0)
	v_cmp_ne_u32_e32 vcc, 0, v3
	s_cbranch_vccnz .LBB46_153
; %bb.150:                              ;   in Loop: Header=BB46_6 Depth=1
	s_mov_b64 s[8:9], exec
	v_readlane_b32 s48, v59, 14
	v_readlane_b32 s49, v59, 15
	s_and_b64 s[48:49], s[8:9], s[48:49]
	s_mov_b64 exec, s[48:49]
	s_cbranch_execz .LBB46_152
; %bb.151:                              ;   in Loop: Header=BB46_6 Depth=1
	v_mov_b32_e32 v3, s54
	ds_write_b32 v21, v3 offset:4100
.LBB46_152:                             ;   in Loop: Header=BB46_6 Depth=1
	s_or_b64 exec, exec, s[8:9]
	s_waitcnt lgkmcnt(0)
	s_barrier
.LBB46_153:                             ;   in Loop: Header=BB46_6 Depth=1
	s_lshl_b64 s[8:9], 1, s55
	v_and_b32_e32 v3, s25, v13
	s_waitcnt vmcnt(0)
	v_and_b32_e32 v4, s24, v12
	v_or_b32_e32 v13, s9, v3
	v_or_b32_e32 v12, s8, v4
	;; [unrolled: 1-line block ×4, first 2 shown]
	s_mov_b64 s[8:9], 0
	s_mov_b32 s48, 8
.LBB46_154:                             ;   in Loop: Header=BB46_6 Depth=1
	s_or_saveexec_b64 s[20:21], s[20:21]
	v_mov_b32_e32 v3, s48
	s_xor_b64 exec, exec, s[20:21]
; %bb.155:                              ;   in Loop: Header=BB46_6 Depth=1
	v_subrev_u32_e32 v30, s54, v30
	v_mov_b32_e32 v3, 0
	s_or_b64 s[8:9], s[8:9], exec
; %bb.156:                              ;   in Loop: Header=BB46_6 Depth=1
	s_or_b64 exec, exec, s[20:21]
	s_and_b64 s[52:53], s[8:9], exec
	v_mov_b32_e32 v31, v30
.LBB46_157:                             ;   in Loop: Header=BB46_6 Depth=1
	s_or_b64 exec, exec, s[16:17]
	s_mov_b64 s[8:9], -1
                                        ; implicit-def: $sgpr16_sgpr17
                                        ; implicit-def: $sgpr20_sgpr21
                                        ; implicit-def: $sgpr50_sgpr51
	s_and_saveexec_b64 s[48:49], s[52:53]
	s_cbranch_execz .LBB46_238
; %bb.158:                              ;   in Loop: Header=BB46_6 Depth=1
	s_cmp_eq_u32 s62, 1
	s_cselect_b64 s[8:9], -1, 0
	v_cmp_eq_u32_e32 vcc, 1, v31
	s_and_b64 s[58:59], s[8:9], vcc
	s_mov_b64 s[16:17], -1
                                        ; implicit-def: $sgpr50_sgpr51
                                        ; implicit-def: $sgpr52_sgpr53
                                        ; implicit-def: $vcc
	s_and_saveexec_b64 s[56:57], s[58:59]
	s_cbranch_execz .LBB46_184
; %bb.159:                              ;   in Loop: Header=BB46_6 Depth=1
	ds_read_b32 v3, v21 offset:4096
	s_waitcnt lgkmcnt(0)
	s_barrier
	v_readfirstlane_b32 s52, v3
	s_mov_b64 s[8:9], exec
	v_readlane_b32 s16, v59, 34
	v_readlane_b32 s17, v59, 35
	s_and_b64 s[16:17], s[8:9], s[16:17]
	s_mov_b64 exec, s[16:17]
	s_cbranch_execz .LBB46_161
; %bb.160:                              ;   in Loop: Header=BB46_6 Depth=1
	v_mov_b32_e32 v20, v21
	ds_write_b64 v37, v[20:21]
.LBB46_161:                             ;   in Loop: Header=BB46_6 Depth=1
	s_or_b64 exec, exec, s[8:9]
	s_lshl_b64 s[8:9], 2, s55
	v_and_b32_e32 v3, s25, v13
	s_waitcnt vmcnt(0)
	v_and_b32_e32 v4, s24, v12
	v_or_b32_e32 v13, s9, v3
	v_or_b32_e32 v12, s8, v4
	;; [unrolled: 1-line block ×4, first 2 shown]
	s_cmp_eq_u32 s52, 0
	s_waitcnt lgkmcnt(0)
	s_barrier
	s_cbranch_scc1 .LBB46_170
; %bb.162:                              ;   in Loop: Header=BB46_6 Depth=1
	v_readlane_b32 s8, v59, 27
	s_add_i32 s8, s52, s8
	v_readlane_b32 s9, v59, 49
	s_mul_hi_u32 s9, s8, s9
	s_mul_i32 s9, s9, s79
	s_sub_i32 s9, s8, s9
	s_sub_i32 s16, s9, s79
	s_cmp_ge_u32 s9, s79
	s_cselect_b32 s9, s16, s9
	s_sub_i32 s16, s9, s79
	s_cmp_ge_u32 s9, s79
	s_cselect_b32 s9, s16, s9
	s_sub_i32 s53, s8, s9
	v_cmp_gt_u32_e32 vcc, s53, v0
	s_mov_b64 s[20:21], 0
                                        ; implicit-def: $vgpr10_vgpr11
	s_and_saveexec_b64 s[8:9], vcc
	s_cbranch_execz .LBB46_172
; %bb.163:                              ;   in Loop: Header=BB46_6 Depth=1
	v_mov_b32_e32 v20, v36
	v_mov_b32_e32 v30, v0
                                        ; implicit-def: $sgpr16_sgpr17
	s_branch .LBB46_165
.LBB46_164:                             ;   in Loop: Header=BB46_165 Depth=2
	s_or_b64 exec, exec, s[50:51]
	s_waitcnt lgkmcnt(0)
	s_barrier
	ds_read_b128 v[8:11], v21 offset:3072
	v_add_u32_e32 v30, s79, v30
	v_cmp_le_u32_e32 vcc, s53, v30
	v_add_u32_e32 v20, s4, v20
	s_waitcnt lgkmcnt(0)
	v_readfirstlane_b32 s51, v9
	v_readfirstlane_b32 s50, v8
	s_cmp_lg_u64 s[50:51], 0
	s_cselect_b64 s[50:51], -1, 0
	s_or_b64 s[76:77], vcc, s[50:51]
	s_and_b64 s[76:77], exec, s[76:77]
	s_or_b64 s[20:21], s[76:77], s[20:21]
	s_andn2_b64 s[16:17], s[16:17], exec
	s_and_b64 s[50:51], s[50:51], exec
	s_or_b64 s[16:17], s[16:17], s[50:51]
	s_barrier
	s_andn2_b64 exec, exec, s[20:21]
	s_cbranch_execz .LBB46_171
.LBB46_165:                             ;   Parent Loop BB46_6 Depth=1
                                        ; =>  This Inner Loop Header: Depth=2
	v_cmp_gt_u32_e32 vcc, s52, v30
	v_pk_mov_b32 v[4:5], 0, 0
	s_and_saveexec_b64 s[50:51], vcc
	s_cbranch_execz .LBB46_167
; %bb.166:                              ;   in Loop: Header=BB46_165 Depth=2
	ds_read_b64 v[4:5], v20
.LBB46_167:                             ;   in Loop: Header=BB46_165 Depth=2
	s_or_b64 exec, exec, s[50:51]
	s_and_saveexec_b64 s[50:51], vcc
	s_cbranch_execz .LBB46_164
; %bb.168:                              ;   in Loop: Header=BB46_165 Depth=2
	s_waitcnt lgkmcnt(0)
	v_xor_b32_e32 v3, 0x80000000, v5
	v_and_b32_e32 v9, v3, v15
	v_and_b32_e32 v8, v4, v14
	v_cmp_eq_u64_e32 vcc, v[8:9], v[12:13]
	s_and_b64 exec, exec, vcc
	s_cbranch_execz .LBB46_164
; %bb.169:                              ;   in Loop: Header=BB46_165 Depth=2
	v_mov_b32_e32 v3, v21
	ds_write_b128 v21, v[2:5] offset:3072
	s_branch .LBB46_164
.LBB46_170:                             ;   in Loop: Header=BB46_6 Depth=1
	s_mov_b64 s[50:51], -1
	s_mov_b64 s[20:21], 0
                                        ; implicit-def: $sgpr8_sgpr9
                                        ; implicit-def: $vgpr10_vgpr11
	s_mov_b64 s[52:53], s[50:51]
	s_cbranch_execnz .LBB46_173
	s_branch .LBB46_183
.LBB46_171:                             ;   in Loop: Header=BB46_6 Depth=1
	s_or_b64 exec, exec, s[20:21]
	s_and_b64 s[20:21], s[16:17], exec
.LBB46_172:                             ;   in Loop: Header=BB46_6 Depth=1
	s_or_b64 exec, exec, s[8:9]
	s_mov_b64 s[8:9], -1
	s_mov_b64 s[50:51], 0
	s_mov_b64 s[52:53], s[50:51]
	s_branch .LBB46_183
.LBB46_173:                             ;   in Loop: Header=BB46_6 Depth=1
	s_mov_b64 s[20:21], 0
                                        ; implicit-def: $vgpr10_vgpr11
	s_mov_b64 s[16:17], exec
	v_readlane_b32 s8, v59, 50
	v_readlane_b32 s9, v59, 51
	s_and_b64 s[8:9], s[16:17], s[8:9]
	s_mov_b64 exec, s[8:9]
	s_cbranch_execz .LBB46_182
; %bb.174:                              ;   in Loop: Header=BB46_6 Depth=1
	s_mov_b64 s[50:51], 0
	v_mov_b32_e32 v20, v22
	v_mov_b32_e32 v30, v0
                                        ; implicit-def: $sgpr8_sgpr9
	s_branch .LBB46_176
.LBB46_175:                             ;   in Loop: Header=BB46_176 Depth=2
	s_or_b64 exec, exec, s[20:21]
	s_waitcnt lgkmcnt(0)
	s_barrier
	ds_read_b128 v[8:11], v21 offset:3072
	v_add_u32_e32 v30, s79, v30
	v_cmp_le_u32_e32 vcc, s6, v30
	v_add_u32_e32 v20, s72, v20
	s_waitcnt lgkmcnt(0)
	v_readfirstlane_b32 s21, v9
	v_readfirstlane_b32 s20, v8
	s_cmp_lg_u64 s[20:21], 0
	s_cselect_b64 s[20:21], -1, 0
	s_or_b64 s[52:53], vcc, s[20:21]
	s_and_b64 s[52:53], exec, s[52:53]
	s_or_b64 s[50:51], s[52:53], s[50:51]
	s_andn2_b64 s[8:9], s[8:9], exec
	s_and_b64 s[20:21], s[20:21], exec
	s_or_b64 s[8:9], s[8:9], s[20:21]
	s_barrier
	s_andn2_b64 exec, exec, s[50:51]
	s_cbranch_execz .LBB46_181
.LBB46_176:                             ;   Parent Loop BB46_6 Depth=1
                                        ; =>  This Inner Loop Header: Depth=2
	v_cmp_gt_u32_e32 vcc, s60, v30
	s_waitcnt vmcnt(0)
	v_pk_mov_b32 v[4:5], 0, 0
	s_and_saveexec_b64 s[52:53], vcc
	s_cbranch_execz .LBB46_178
; %bb.177:                              ;   in Loop: Header=BB46_176 Depth=2
	v_lshlrev_b64 v[4:5], 3, v[20:21]
	v_mov_b32_e32 v3, s78
	v_add_co_u32_e64 v4, s[20:21], s33, v4
	v_addc_co_u32_e64 v5, s[20:21], v3, v5, s[20:21]
	global_load_dwordx2 v[4:5], v[4:5], off
.LBB46_178:                             ;   in Loop: Header=BB46_176 Depth=2
	s_or_b64 exec, exec, s[52:53]
	s_and_saveexec_b64 s[20:21], vcc
	s_cbranch_execz .LBB46_175
; %bb.179:                              ;   in Loop: Header=BB46_176 Depth=2
	s_waitcnt vmcnt(0)
	v_xor_b32_e32 v3, 0x80000000, v5
	v_and_b32_e32 v9, v3, v15
	v_and_b32_e32 v8, v4, v14
	v_cmp_eq_u64_e32 vcc, v[8:9], v[12:13]
	s_and_b64 exec, exec, vcc
	s_cbranch_execz .LBB46_175
; %bb.180:                              ;   in Loop: Header=BB46_176 Depth=2
	v_mov_b32_e32 v3, v21
	ds_write_b128 v21, v[2:5] offset:3072
	s_branch .LBB46_175
.LBB46_181:                             ;   in Loop: Header=BB46_6 Depth=1
	s_or_b64 exec, exec, s[50:51]
	s_and_b64 s[20:21], s[8:9], exec
.LBB46_182:                             ;   in Loop: Header=BB46_6 Depth=1
	s_or_b64 exec, exec, s[16:17]
	s_mov_b64 s[52:53], -1
	s_mov_b64 s[50:51], 0
	s_mov_b64 s[8:9], 0
.LBB46_183:                             ;   in Loop: Header=BB46_6 Depth=1
	s_orn2_b64 s[16:17], s[20:21], exec
	s_mov_b64 vcc, s[8:9]
.LBB46_184:                             ;   in Loop: Header=BB46_6 Depth=1
	s_or_b64 exec, exec, s[56:57]
	s_mov_b64 s[8:9], 0
                                        ; implicit-def: $vgpr3
	s_and_saveexec_b64 s[56:57], s[16:17]
	s_cbranch_execz .LBB46_237
; %bb.185:                              ;   in Loop: Header=BB46_6 Depth=1
	s_xor_b64 s[8:9], s[58:59], -1
	s_mov_b64 s[76:77], 0
	v_mov_b32_e32 v30, 1
	v_mov_b32_e32 v3, 1
	s_and_saveexec_b64 s[16:17], s[8:9]
	s_cbranch_execz .LBB46_195
; %bb.186:                              ;   in Loop: Header=BB46_6 Depth=1
	s_mov_b64 s[80:81], vcc
	v_cmp_ge_u32_e32 vcc, s62, v31
                                        ; implicit-def: $sgpr58
                                        ; implicit-def: $sgpr8_sgpr9
	s_and_saveexec_b64 s[20:21], vcc
	s_xor_b64 s[20:21], exec, s[20:21]
	s_cbranch_execz .LBB46_192
; %bb.187:                              ;   in Loop: Header=BB46_6 Depth=1
	ds_read_b32 v3, v21 offset:4096
	s_waitcnt lgkmcnt(0)
	v_cmp_ne_u32_e32 vcc, 0, v3
	s_cbranch_vccnz .LBB46_191
; %bb.188:                              ;   in Loop: Header=BB46_6 Depth=1
	s_mov_b64 s[8:9], exec
	v_readlane_b32 s58, v59, 14
	v_readlane_b32 s59, v59, 15
	s_and_b64 s[58:59], s[8:9], s[58:59]
	s_mov_b64 exec, s[58:59]
	s_cbranch_execz .LBB46_190
; %bb.189:                              ;   in Loop: Header=BB46_6 Depth=1
	v_mov_b32_e32 v3, s62
	ds_write_b32 v21, v3 offset:4100
.LBB46_190:                             ;   in Loop: Header=BB46_6 Depth=1
	s_or_b64 exec, exec, s[8:9]
	s_waitcnt lgkmcnt(0)
	s_barrier
.LBB46_191:                             ;   in Loop: Header=BB46_6 Depth=1
	s_lshl_b64 s[8:9], 2, s55
	v_and_b32_e32 v3, s25, v13
	s_waitcnt vmcnt(0)
	v_and_b32_e32 v4, s24, v12
	v_or_b32_e32 v13, s9, v3
	v_or_b32_e32 v12, s8, v4
	;; [unrolled: 1-line block ×4, first 2 shown]
	s_mov_b64 s[8:9], 0
	s_mov_b32 s58, 8
.LBB46_192:                             ;   in Loop: Header=BB46_6 Depth=1
	s_or_saveexec_b64 s[20:21], s[20:21]
	v_mov_b32_e32 v3, s58
	s_xor_b64 exec, exec, s[20:21]
; %bb.193:                              ;   in Loop: Header=BB46_6 Depth=1
	v_subrev_u32_e32 v31, s62, v31
	v_mov_b32_e32 v3, 0
	s_or_b64 s[8:9], s[8:9], exec
; %bb.194:                              ;   in Loop: Header=BB46_6 Depth=1
	s_or_b64 exec, exec, s[20:21]
	s_and_b64 s[76:77], s[8:9], exec
	v_mov_b32_e32 v30, v31
	s_mov_b64 vcc, s[80:81]
.LBB46_195:                             ;   in Loop: Header=BB46_6 Depth=1
	s_or_b64 exec, exec, s[16:17]
	s_mov_b64 s[8:9], -1
                                        ; implicit-def: $sgpr16_sgpr17
                                        ; implicit-def: $sgpr80_sgpr81
                                        ; implicit-def: $sgpr20_sgpr21
	s_and_saveexec_b64 s[58:59], s[76:77]
	s_cbranch_execz .LBB46_236
; %bb.196:                              ;   in Loop: Header=BB46_6 Depth=1
	v_writelane_b32 v59, vcc_lo, 57
	s_cmp_eq_u32 s63, 1
	v_writelane_b32 v59, vcc_hi, 58
	s_cselect_b64 s[8:9], -1, 0
	v_cmp_eq_u32_e32 vcc, 1, v30
	s_and_b64 s[76:77], s[8:9], vcc
	s_mov_b64 s[8:9], -1
                                        ; implicit-def: $sgpr16_sgpr17
                                        ; implicit-def: $sgpr80_sgpr81
                                        ; implicit-def: $sgpr20_sgpr21
	s_mov_b64 s[82:83], exec
	v_writelane_b32 v59, s76, 59
	v_writelane_b32 v59, s77, 60
	s_and_b64 s[76:77], s[82:83], s[76:77]
	s_mov_b64 exec, s[76:77]
	s_cbranch_execz .LBB46_223
; %bb.197:                              ;   in Loop: Header=BB46_6 Depth=1
	ds_read_b32 v3, v21 offset:4096
	s_waitcnt lgkmcnt(0)
	s_barrier
	v_readfirstlane_b32 s80, v3
	s_mov_b64 s[8:9], exec
	v_readlane_b32 s16, v59, 34
	v_readlane_b32 s17, v59, 35
	s_and_b64 s[16:17], s[8:9], s[16:17]
	s_mov_b64 exec, s[16:17]
	s_cbranch_execz .LBB46_199
; %bb.198:                              ;   in Loop: Header=BB46_6 Depth=1
	v_mov_b32_e32 v20, v21
	ds_write_b64 v37, v[20:21]
.LBB46_199:                             ;   in Loop: Header=BB46_6 Depth=1
	s_or_b64 exec, exec, s[8:9]
	v_or_b32_e32 v13, s23, v13
	v_or_b32_e32 v12, s22, v12
	;; [unrolled: 1-line block ×4, first 2 shown]
	s_cmp_eq_u32 s80, 0
	s_waitcnt lgkmcnt(0)
	s_barrier
	s_cbranch_scc1 .LBB46_208
; %bb.200:                              ;   in Loop: Header=BB46_6 Depth=1
	v_readlane_b32 s8, v59, 27
	s_add_i32 s8, s80, s8
	v_readlane_b32 s9, v59, 49
	s_mul_hi_u32 s9, s8, s9
	s_mul_i32 s9, s9, s79
	s_sub_i32 s9, s8, s9
	s_sub_i32 s16, s9, s79
	s_cmp_ge_u32 s9, s79
	s_cselect_b32 s9, s16, s9
	s_sub_i32 s16, s9, s79
	s_cmp_ge_u32 s9, s79
	s_cselect_b32 s9, s16, s9
	s_sub_i32 s81, s8, s9
	s_mov_b64 s[76:77], 0
	v_cmp_gt_u32_e32 vcc, s81, v0
                                        ; implicit-def: $vgpr10_vgpr11
	s_mov_b64 s[8:9], exec
	v_writelane_b32 v59, s8, 61
	s_and_b64 s[16:17], s[8:9], vcc
	v_writelane_b32 v59, s9, 62
	s_mov_b64 exec, s[16:17]
	s_cbranch_execz .LBB46_210
; %bb.201:                              ;   in Loop: Header=BB46_6 Depth=1
	s_mov_b64 s[20:21], 0
	v_mov_b32_e32 v20, v36
	v_mov_b32_e32 v31, v0
                                        ; implicit-def: $sgpr16_sgpr17
	s_branch .LBB46_203
.LBB46_202:                             ;   in Loop: Header=BB46_203 Depth=2
	s_or_b64 exec, exec, s[76:77]
	s_waitcnt lgkmcnt(0)
	s_barrier
	ds_read_b128 v[8:11], v21 offset:3072
	v_add_u32_e32 v31, s79, v31
	v_cmp_le_u32_e32 vcc, s81, v31
	v_add_u32_e32 v20, s4, v20
	s_waitcnt lgkmcnt(0)
	v_readfirstlane_b32 s9, v9
	v_readfirstlane_b32 s8, v8
	s_cmp_lg_u64 s[8:9], 0
	s_cselect_b64 s[8:9], -1, 0
	s_or_b64 s[76:77], vcc, s[8:9]
	s_and_b64 s[76:77], exec, s[76:77]
	s_or_b64 s[20:21], s[76:77], s[20:21]
	s_andn2_b64 s[16:17], s[16:17], exec
	s_and_b64 s[8:9], s[8:9], exec
	s_or_b64 s[16:17], s[16:17], s[8:9]
	s_barrier
	s_andn2_b64 exec, exec, s[20:21]
	s_cbranch_execz .LBB46_209
.LBB46_203:                             ;   Parent Loop BB46_6 Depth=1
                                        ; =>  This Inner Loop Header: Depth=2
	v_cmp_gt_u32_e32 vcc, s80, v31
	s_waitcnt vmcnt(0)
	v_pk_mov_b32 v[4:5], 0, 0
	s_and_saveexec_b64 s[76:77], vcc
	s_cbranch_execz .LBB46_205
; %bb.204:                              ;   in Loop: Header=BB46_203 Depth=2
	ds_read_b64 v[4:5], v20
.LBB46_205:                             ;   in Loop: Header=BB46_203 Depth=2
	s_or_b64 exec, exec, s[76:77]
	s_and_saveexec_b64 s[76:77], vcc
	s_cbranch_execz .LBB46_202
; %bb.206:                              ;   in Loop: Header=BB46_203 Depth=2
	s_waitcnt lgkmcnt(0)
	v_xor_b32_e32 v3, 0x80000000, v5
	v_and_b32_e32 v9, v3, v15
	v_and_b32_e32 v8, v4, v14
	v_cmp_eq_u64_e32 vcc, v[8:9], v[12:13]
	s_and_b64 exec, exec, vcc
	s_cbranch_execz .LBB46_202
; %bb.207:                              ;   in Loop: Header=BB46_203 Depth=2
	v_mov_b32_e32 v3, v21
	ds_write_b128 v21, v[2:5] offset:3072
	s_branch .LBB46_202
.LBB46_208:                             ;   in Loop: Header=BB46_6 Depth=1
	s_mov_b64 s[16:17], -1
	s_mov_b64 s[76:77], 0
                                        ; implicit-def: $sgpr20_sgpr21
                                        ; implicit-def: $vgpr10_vgpr11
	s_branch .LBB46_211
.LBB46_209:                             ;   in Loop: Header=BB46_6 Depth=1
	s_or_b64 exec, exec, s[20:21]
	s_and_b64 s[76:77], s[16:17], exec
.LBB46_210:                             ;   in Loop: Header=BB46_6 Depth=1
	v_readlane_b32 s8, v59, 61
	v_readlane_b32 s9, v59, 62
	s_or_b64 exec, exec, s[8:9]
	s_mov_b64 s[20:21], -1
	s_mov_b64 s[16:17], 0
.LBB46_211:                             ;   in Loop: Header=BB46_6 Depth=1
	s_and_b64 vcc, exec, s[16:17]
	s_mov_b64 s[80:81], s[16:17]
	s_cbranch_vccz .LBB46_222
; %bb.212:                              ;   in Loop: Header=BB46_6 Depth=1
	s_mov_b64 s[76:77], 0
                                        ; implicit-def: $vgpr10_vgpr11
	s_mov_b64 s[16:17], exec
	v_readlane_b32 s8, v59, 50
	v_readlane_b32 s9, v59, 51
	s_and_b64 s[8:9], s[16:17], s[8:9]
	s_mov_b64 exec, s[8:9]
	s_cbranch_execz .LBB46_221
; %bb.213:                              ;   in Loop: Header=BB46_6 Depth=1
	v_mov_b32_e32 v20, v22
	v_mov_b32_e32 v31, v0
                                        ; implicit-def: $sgpr8_sgpr9
	s_branch .LBB46_215
.LBB46_214:                             ;   in Loop: Header=BB46_215 Depth=2
	s_or_b64 exec, exec, s[20:21]
	s_waitcnt lgkmcnt(0)
	s_barrier
	ds_read_b128 v[8:11], v21 offset:3072
	v_add_u32_e32 v31, s79, v31
	v_cmp_le_u32_e32 vcc, s6, v31
	v_add_u32_e32 v20, s72, v20
	s_waitcnt lgkmcnt(0)
	v_readfirstlane_b32 s21, v9
	v_readfirstlane_b32 s20, v8
	s_cmp_lg_u64 s[20:21], 0
	s_cselect_b64 s[20:21], -1, 0
	s_or_b64 s[80:81], vcc, s[20:21]
	s_and_b64 s[80:81], exec, s[80:81]
	s_or_b64 s[76:77], s[80:81], s[76:77]
	s_andn2_b64 s[8:9], s[8:9], exec
	s_and_b64 s[20:21], s[20:21], exec
	s_or_b64 s[8:9], s[8:9], s[20:21]
	s_barrier
	s_andn2_b64 exec, exec, s[76:77]
	s_cbranch_execz .LBB46_220
.LBB46_215:                             ;   Parent Loop BB46_6 Depth=1
                                        ; =>  This Inner Loop Header: Depth=2
	v_cmp_gt_u32_e32 vcc, s60, v31
	s_waitcnt vmcnt(0)
	v_pk_mov_b32 v[4:5], 0, 0
	s_and_saveexec_b64 s[80:81], vcc
	s_cbranch_execz .LBB46_217
; %bb.216:                              ;   in Loop: Header=BB46_215 Depth=2
	v_lshlrev_b64 v[4:5], 3, v[20:21]
	v_mov_b32_e32 v3, s78
	v_add_co_u32_e64 v4, s[20:21], s33, v4
	v_addc_co_u32_e64 v5, s[20:21], v3, v5, s[20:21]
	global_load_dwordx2 v[4:5], v[4:5], off
.LBB46_217:                             ;   in Loop: Header=BB46_215 Depth=2
	s_or_b64 exec, exec, s[80:81]
	s_and_saveexec_b64 s[20:21], vcc
	s_cbranch_execz .LBB46_214
; %bb.218:                              ;   in Loop: Header=BB46_215 Depth=2
	s_waitcnt vmcnt(0)
	v_xor_b32_e32 v3, 0x80000000, v5
	v_and_b32_e32 v9, v3, v15
	v_and_b32_e32 v8, v4, v14
	v_cmp_eq_u64_e32 vcc, v[8:9], v[12:13]
	s_and_b64 exec, exec, vcc
	s_cbranch_execz .LBB46_214
; %bb.219:                              ;   in Loop: Header=BB46_215 Depth=2
	v_mov_b32_e32 v3, v21
	ds_write_b128 v21, v[2:5] offset:3072
	s_branch .LBB46_214
.LBB46_220:                             ;   in Loop: Header=BB46_6 Depth=1
	s_or_b64 exec, exec, s[76:77]
	s_and_b64 s[76:77], s[8:9], exec
.LBB46_221:                             ;   in Loop: Header=BB46_6 Depth=1
	s_or_b64 exec, exec, s[16:17]
	s_mov_b64 s[80:81], -1
	s_mov_b64 s[16:17], 0
	s_mov_b64 s[20:21], 0
.LBB46_222:                             ;   in Loop: Header=BB46_6 Depth=1
	s_orn2_b64 s[8:9], s[76:77], exec
.LBB46_223:                             ;   in Loop: Header=BB46_6 Depth=1
	s_or_b64 exec, exec, s[82:83]
	s_mov_b64 s[76:77], 0
                                        ; implicit-def: $vgpr3
                                        ; implicit-def: $vgpr4
	s_and_saveexec_b64 s[82:83], s[8:9]
	v_readlane_b32 vcc_lo, v59, 57
	v_readlane_b32 vcc_hi, v59, 58
	s_cbranch_execz .LBB46_235
; %bb.224:                              ;   in Loop: Header=BB46_6 Depth=1
	v_readlane_b32 s8, v59, 59
	v_readlane_b32 s9, v59, 60
	s_xor_b64 s[76:77], s[8:9], -1
	v_mov_b32_e32 v3, 1
	s_waitcnt vmcnt(0)
	v_mov_b32_e32 v4, 1
	s_and_saveexec_b64 s[8:9], s[76:77]
	s_cbranch_execz .LBB46_234
; %bb.225:                              ;   in Loop: Header=BB46_6 Depth=1
	v_cmp_ge_u32_e32 vcc, s63, v30
                                        ; implicit-def: $sgpr76
                                        ; kill: killed $sgpr76
	s_and_saveexec_b64 s[76:77], vcc
	s_xor_b64 s[76:77], exec, s[76:77]
                                        ; implicit-def: $vgpr58 : SGPR spill to VGPR lane
	s_cbranch_execz .LBB46_231
; %bb.226:                              ;   in Loop: Header=BB46_6 Depth=1
	ds_read_b32 v3, v21 offset:4096
	s_waitcnt lgkmcnt(0)
	v_cmp_ne_u32_e32 vcc, 0, v3
	s_cbranch_vccnz .LBB46_230
; %bb.227:                              ;   in Loop: Header=BB46_6 Depth=1
	v_writelane_b32 v59, s76, 63
	v_writelane_b32 v58, s77, 0
	s_mov_b64 s[76:77], exec
	v_writelane_b32 v58, s76, 1
	v_writelane_b32 v58, s77, 2
	v_readlane_b32 vcc_lo, v59, 14
	v_readlane_b32 s76, v58, 1
	v_readlane_b32 vcc_hi, v59, 15
	v_readlane_b32 s77, v58, 2
	s_and_b64 vcc, s[76:77], vcc
	s_mov_b64 exec, vcc
	s_cbranch_execz .LBB46_229
; %bb.228:                              ;   in Loop: Header=BB46_6 Depth=1
	v_mov_b32_e32 v3, s63
	ds_write_b32 v21, v3 offset:4100
.LBB46_229:                             ;   in Loop: Header=BB46_6 Depth=1
	v_readlane_b32 vcc_lo, v58, 1
	v_readlane_b32 vcc_hi, v58, 2
	s_or_b64 exec, exec, vcc
	v_readlane_b32 s76, v59, 63
	v_readlane_b32 s77, v58, 0
	s_waitcnt lgkmcnt(0)
	s_barrier
.LBB46_230:                             ;   in Loop: Header=BB46_6 Depth=1
	v_or_b32_e32 v13, s23, v13
	v_or_b32_e32 v12, s22, v12
	;; [unrolled: 1-line block ×4, first 2 shown]
	s_mov_b32 vcc_lo, 8
	v_writelane_b32 v58, vcc_lo, 3
.LBB46_231:                             ;   in Loop: Header=BB46_6 Depth=1
	s_or_saveexec_b64 s[76:77], s[76:77]
	v_readlane_b32 vcc_lo, v58, 3
	v_mov_b32_e32 v3, vcc_lo
	s_xor_b64 exec, exec, s[76:77]
; %bb.232:                              ;   in Loop: Header=BB46_6 Depth=1
	v_subrev_u32_e32 v30, s63, v30
	v_mov_b32_e32 v3, 8
; %bb.233:                              ;   in Loop: Header=BB46_6 Depth=1
	s_or_b64 exec, exec, s[76:77]
	v_readlane_b32 vcc_lo, v59, 57
	v_mov_b32_e32 v4, v30
	v_readlane_b32 vcc_hi, v59, 58
.LBB46_234:                             ;   in Loop: Header=BB46_6 Depth=1
	s_or_b64 exec, exec, s[8:9]
	s_mov_b64 s[76:77], exec
.LBB46_235:                             ;   in Loop: Header=BB46_6 Depth=1
	s_or_b64 exec, exec, s[82:83]
	s_orn2_b64 s[8:9], s[76:77], exec
	s_waitcnt vmcnt(0)
	v_mov_b32_e32 v30, v4
.LBB46_236:                             ;   in Loop: Header=BB46_6 Depth=1
	s_or_b64 exec, exec, s[58:59]
	s_andn2_b64 s[50:51], s[50:51], exec
	s_and_b64 s[16:17], s[16:17], exec
	s_or_b64 s[50:51], s[50:51], s[16:17]
	s_andn2_b64 s[16:17], s[52:53], exec
	s_and_b64 s[52:53], s[80:81], exec
	s_or_b64 s[52:53], s[16:17], s[52:53]
	s_andn2_b64 s[16:17], vcc, exec
	s_and_b64 s[20:21], s[20:21], exec
	s_or_b64 vcc, s[16:17], s[20:21]
	s_and_b64 s[8:9], s[8:9], exec
	v_mov_b32_e32 v31, v30
.LBB46_237:                             ;   in Loop: Header=BB46_6 Depth=1
	s_or_b64 exec, exec, s[56:57]
	s_and_b64 s[50:51], s[50:51], exec
	s_and_b64 s[20:21], s[52:53], exec
	s_and_b64 s[16:17], vcc, exec
	s_orn2_b64 s[8:9], s[8:9], exec
.LBB46_238:                             ;   in Loop: Header=BB46_6 Depth=1
	s_or_b64 exec, exec, s[48:49]
	s_andn2_b64 s[44:45], s[44:45], exec
	s_and_b64 s[20:21], s[20:21], exec
	s_andn2_b64 s[40:41], s[40:41], exec
	s_and_b64 s[48:49], s[50:51], exec
	s_or_b64 s[44:45], s[44:45], s[20:21]
	s_andn2_b64 s[20:21], s[42:43], exec
	s_and_b64 s[16:17], s[16:17], exec
	s_or_b64 s[40:41], s[40:41], s[48:49]
	s_or_b64 s[42:43], s[20:21], s[16:17]
	s_and_b64 s[8:9], s[8:9], exec
	v_mov_b32_e32 v30, v31
.LBB46_239:                             ;   in Loop: Header=BB46_6 Depth=1
	s_or_b64 exec, exec, s[46:47]
	s_and_b64 s[46:47], s[40:41], exec
	s_and_b64 s[40:41], s[44:45], exec
	;; [unrolled: 1-line block ×3, first 2 shown]
	s_orn2_b64 s[42:43], s[8:9], exec
.LBB46_240:                             ;   in Loop: Header=BB46_6 Depth=1
	s_or_b64 exec, exec, s[28:29]
	s_mov_b64 s[8:9], 0
	s_mov_b64 s[20:21], 0
	s_and_saveexec_b64 s[28:29], s[42:43]
	s_xor_b64 s[28:29], exec, s[28:29]
; %bb.241:                              ;   in Loop: Header=BB46_6 Depth=1
	v_cmp_eq_u32_e32 vcc, 8, v3
	v_cmp_ne_u32_e64 s[20:21], 8, v3
	s_andn2_b64 s[46:47], s[46:47], exec
	s_andn2_b64 s[40:41], s[40:41], exec
	;; [unrolled: 1-line block ×3, first 2 shown]
	s_and_b64 s[20:21], s[20:21], exec
	s_and_b64 s[8:9], vcc, exec
; %bb.242:                              ;   in Loop: Header=BB46_6 Depth=1
	s_or_b64 exec, exec, s[28:29]
	s_andn2_b64 s[26:27], s[26:27], exec
	s_and_b64 s[28:29], s[46:47], exec
	s_or_b64 s[26:27], s[26:27], s[28:29]
	s_andn2_b64 s[28:29], s[34:35], exec
	s_and_b64 s[34:35], s[40:41], exec
	s_or_b64 s[34:35], s[28:29], s[34:35]
	;; [unrolled: 3-line block ×3, first 2 shown]
	s_and_b64 s[20:21], s[20:21], exec
	s_and_b64 s[28:29], s[8:9], exec
.LBB46_243:                             ;   in Loop: Header=BB46_6 Depth=1
	s_or_b64 exec, exec, s[38:39]
	s_and_b64 vcc, exec, s[36:37]
	s_cbranch_vccz .LBB46_93
.LBB46_244:                             ;   in Loop: Header=BB46_6 Depth=1
	s_cmp_eq_u32 s63, 1
	s_cselect_b64 s[8:9], -1, 0
	s_and_b64 s[34:35], s[8:9], s[18:19]
	s_mov_b64 s[8:9], -1
                                        ; implicit-def: $sgpr36_sgpr37
                                        ; implicit-def: $sgpr38_sgpr39
                                        ; implicit-def: $sgpr26_sgpr27
	s_and_saveexec_b64 s[30:31], s[34:35]
	s_cbranch_execz .LBB46_270
; %bb.245:                              ;   in Loop: Header=BB46_6 Depth=1
	ds_read_b32 v3, v21 offset:4096
	s_waitcnt lgkmcnt(0)
	s_barrier
	v_readfirstlane_b32 s36, v3
	s_mov_b64 s[8:9], exec
	v_readlane_b32 s16, v59, 34
	v_readlane_b32 s17, v59, 35
	s_and_b64 s[16:17], s[8:9], s[16:17]
	s_mov_b64 exec, s[16:17]
	s_cbranch_execz .LBB46_247
; %bb.246:                              ;   in Loop: Header=BB46_6 Depth=1
	v_mov_b32_e32 v20, v21
	ds_write_b64 v37, v[20:21]
.LBB46_247:                             ;   in Loop: Header=BB46_6 Depth=1
	s_or_b64 exec, exec, s[8:9]
	v_or_b32_e32 v29, s23, v29
	v_or_b32_e32 v28, s22, v28
	;; [unrolled: 1-line block ×4, first 2 shown]
	s_cmp_eq_u32 s36, 0
	s_waitcnt lgkmcnt(0)
	s_barrier
	s_cbranch_scc1 .LBB46_256
; %bb.248:                              ;   in Loop: Header=BB46_6 Depth=1
	v_readlane_b32 s8, v59, 27
	s_add_i32 s8, s36, s8
	v_readlane_b32 s9, v59, 49
	s_mul_hi_u32 s9, s8, s9
	s_mul_i32 s9, s9, s79
	s_sub_i32 s9, s8, s9
	s_sub_i32 s16, s9, s79
	s_cmp_ge_u32 s9, s79
	s_cselect_b32 s9, s16, s9
	s_sub_i32 s16, s9, s79
	s_cmp_ge_u32 s9, s79
	s_cselect_b32 s9, s16, s9
	s_sub_i32 s37, s8, s9
	v_cmp_gt_u32_e32 vcc, s37, v0
	s_mov_b64 s[18:19], 0
                                        ; implicit-def: $vgpr6_vgpr7
	s_and_saveexec_b64 s[8:9], vcc
	s_cbranch_execz .LBB46_258
; %bb.249:                              ;   in Loop: Header=BB46_6 Depth=1
	v_mov_b32_e32 v8, v36
	v_mov_b32_e32 v9, v0
                                        ; implicit-def: $sgpr16_sgpr17
	s_branch .LBB46_251
.LBB46_250:                             ;   in Loop: Header=BB46_251 Depth=2
	s_or_b64 exec, exec, s[26:27]
	s_waitcnt lgkmcnt(0)
	s_barrier
	ds_read_b128 v[4:7], v21 offset:3072
	v_add_u32_e32 v9, s79, v9
	v_cmp_le_u32_e32 vcc, s37, v9
	v_add_u32_e32 v8, s4, v8
	s_waitcnt lgkmcnt(0)
	v_readfirstlane_b32 s27, v5
	v_readfirstlane_b32 s26, v4
	s_cmp_lg_u64 s[26:27], 0
	s_cselect_b64 s[26:27], -1, 0
	s_or_b64 s[38:39], vcc, s[26:27]
	s_and_b64 s[38:39], exec, s[38:39]
	s_or_b64 s[18:19], s[38:39], s[18:19]
	s_andn2_b64 s[16:17], s[16:17], exec
	s_and_b64 s[26:27], s[26:27], exec
	s_or_b64 s[16:17], s[16:17], s[26:27]
	s_barrier
	s_andn2_b64 exec, exec, s[18:19]
	s_cbranch_execz .LBB46_257
.LBB46_251:                             ;   Parent Loop BB46_6 Depth=1
                                        ; =>  This Inner Loop Header: Depth=2
	v_cmp_gt_u32_e32 vcc, s36, v9
	s_waitcnt vmcnt(0)
	v_pk_mov_b32 v[4:5], 0, 0
	s_and_saveexec_b64 s[26:27], vcc
	s_cbranch_execz .LBB46_253
; %bb.252:                              ;   in Loop: Header=BB46_251 Depth=2
	ds_read_b64 v[4:5], v8
.LBB46_253:                             ;   in Loop: Header=BB46_251 Depth=2
	s_or_b64 exec, exec, s[26:27]
	s_and_saveexec_b64 s[26:27], vcc
	s_cbranch_execz .LBB46_250
; %bb.254:                              ;   in Loop: Header=BB46_251 Depth=2
	s_waitcnt lgkmcnt(0)
	v_xor_b32_e32 v3, 0x80000000, v5
	v_and_b32_e32 v7, v3, v27
	v_and_b32_e32 v6, v4, v26
	v_cmp_eq_u64_e32 vcc, v[6:7], v[28:29]
	s_and_b64 exec, exec, vcc
	s_cbranch_execz .LBB46_250
; %bb.255:                              ;   in Loop: Header=BB46_251 Depth=2
	v_mov_b32_e32 v3, v21
	ds_write_b128 v21, v[2:5] offset:3072
	s_branch .LBB46_250
.LBB46_256:                             ;   in Loop: Header=BB46_6 Depth=1
	s_mov_b64 s[36:37], -1
	s_mov_b64 s[18:19], 0
                                        ; implicit-def: $sgpr38_sgpr39
                                        ; implicit-def: $vgpr6_vgpr7
	s_mov_b64 s[26:27], s[36:37]
	s_cbranch_execnz .LBB46_259
	s_branch .LBB46_269
.LBB46_257:                             ;   in Loop: Header=BB46_6 Depth=1
	s_or_b64 exec, exec, s[18:19]
	s_and_b64 s[18:19], s[16:17], exec
.LBB46_258:                             ;   in Loop: Header=BB46_6 Depth=1
	s_or_b64 exec, exec, s[8:9]
	s_mov_b64 s[36:37], 0
	s_mov_b64 s[38:39], -1
	s_mov_b64 s[26:27], s[36:37]
	s_branch .LBB46_269
.LBB46_259:                             ;   in Loop: Header=BB46_6 Depth=1
	s_mov_b64 s[18:19], 0
                                        ; implicit-def: $vgpr6_vgpr7
	s_mov_b64 s[16:17], exec
	v_readlane_b32 s8, v59, 50
	v_readlane_b32 s9, v59, 51
	s_and_b64 s[8:9], s[16:17], s[8:9]
	s_mov_b64 exec, s[8:9]
	s_cbranch_execz .LBB46_268
; %bb.260:                              ;   in Loop: Header=BB46_6 Depth=1
	s_mov_b64 s[26:27], 0
	v_mov_b32_e32 v20, v22
	v_mov_b32_e32 v8, v0
                                        ; implicit-def: $sgpr8_sgpr9
	s_branch .LBB46_262
.LBB46_261:                             ;   in Loop: Header=BB46_262 Depth=2
	s_or_b64 exec, exec, s[18:19]
	s_waitcnt lgkmcnt(0)
	s_barrier
	s_waitcnt vmcnt(0)
	ds_read_b128 v[4:7], v21 offset:3072
	v_add_u32_e32 v8, s79, v8
	v_cmp_le_u32_e32 vcc, s6, v8
	v_add_u32_e32 v20, s72, v20
	s_waitcnt lgkmcnt(0)
	v_readfirstlane_b32 s19, v5
	v_readfirstlane_b32 s18, v4
	s_cmp_lg_u64 s[18:19], 0
	s_cselect_b64 s[18:19], -1, 0
	s_or_b64 s[36:37], vcc, s[18:19]
	s_and_b64 s[36:37], exec, s[36:37]
	s_or_b64 s[26:27], s[36:37], s[26:27]
	s_andn2_b64 s[8:9], s[8:9], exec
	s_and_b64 s[18:19], s[18:19], exec
	s_or_b64 s[8:9], s[8:9], s[18:19]
	s_barrier
	s_andn2_b64 exec, exec, s[26:27]
	s_cbranch_execz .LBB46_267
.LBB46_262:                             ;   Parent Loop BB46_6 Depth=1
                                        ; =>  This Inner Loop Header: Depth=2
	v_cmp_gt_u32_e32 vcc, s60, v8
	s_waitcnt vmcnt(0)
	v_pk_mov_b32 v[4:5], 0, 0
	s_and_saveexec_b64 s[36:37], vcc
	s_cbranch_execz .LBB46_264
; %bb.263:                              ;   in Loop: Header=BB46_262 Depth=2
	v_lshlrev_b64 v[4:5], 3, v[20:21]
	v_mov_b32_e32 v3, s78
	v_add_co_u32_e64 v4, s[18:19], s33, v4
	v_addc_co_u32_e64 v5, s[18:19], v3, v5, s[18:19]
	global_load_dwordx2 v[4:5], v[4:5], off
.LBB46_264:                             ;   in Loop: Header=BB46_262 Depth=2
	s_or_b64 exec, exec, s[36:37]
	s_and_saveexec_b64 s[18:19], vcc
	s_cbranch_execz .LBB46_261
; %bb.265:                              ;   in Loop: Header=BB46_262 Depth=2
	s_waitcnt vmcnt(0)
	v_xor_b32_e32 v3, 0x80000000, v5
	v_and_b32_e32 v7, v3, v27
	v_and_b32_e32 v6, v4, v26
	v_cmp_eq_u64_e32 vcc, v[6:7], v[28:29]
	s_and_b64 exec, exec, vcc
	s_cbranch_execz .LBB46_261
; %bb.266:                              ;   in Loop: Header=BB46_262 Depth=2
	v_mov_b32_e32 v3, v21
	ds_write_b128 v21, v[2:5] offset:3072
	s_branch .LBB46_261
.LBB46_267:                             ;   in Loop: Header=BB46_6 Depth=1
	s_or_b64 exec, exec, s[26:27]
	s_and_b64 s[18:19], s[8:9], exec
.LBB46_268:                             ;   in Loop: Header=BB46_6 Depth=1
	s_or_b64 exec, exec, s[16:17]
	s_mov_b64 s[38:39], 0
	s_mov_b64 s[36:37], -1
	s_mov_b64 s[26:27], 0
.LBB46_269:                             ;   in Loop: Header=BB46_6 Depth=1
	s_orn2_b64 s[8:9], s[18:19], exec
.LBB46_270:                             ;   in Loop: Header=BB46_6 Depth=1
	s_or_b64 exec, exec, s[30:31]
                                        ; implicit-def: $vgpr3
                                        ; implicit-def: $vgpr30
                                        ; implicit-def: $vgpr12_vgpr13
                                        ; implicit-def: $vgpr14_vgpr15
                                        ; implicit-def: $vgpr10_vgpr11
	s_and_saveexec_b64 s[30:31], s[8:9]
	s_cbranch_execz .LBB46_405
; %bb.271:                              ;   in Loop: Header=BB46_6 Depth=1
	s_xor_b64 s[18:19], s[34:35], -1
	s_mov_b64 s[8:9], 0
	v_mov_b32_e32 v30, 1
	v_mov_b32_e32 v3, 1
	s_and_saveexec_b64 s[16:17], s[18:19]
	s_cbranch_execz .LBB46_281
; %bb.272:                              ;   in Loop: Header=BB46_6 Depth=1
	v_cmp_ge_u32_e32 vcc, s63, v47
                                        ; implicit-def: $sgpr34
                                        ; implicit-def: $sgpr8_sgpr9
	s_and_saveexec_b64 s[18:19], vcc
	s_xor_b64 s[18:19], exec, s[18:19]
	s_cbranch_execz .LBB46_278
; %bb.273:                              ;   in Loop: Header=BB46_6 Depth=1
	ds_read_b32 v3, v21 offset:4096
	s_waitcnt lgkmcnt(0)
	v_cmp_ne_u32_e32 vcc, 0, v3
	s_cbranch_vccnz .LBB46_277
; %bb.274:                              ;   in Loop: Header=BB46_6 Depth=1
	s_mov_b64 s[8:9], exec
	v_readlane_b32 s34, v59, 14
	v_readlane_b32 s35, v59, 15
	s_and_b64 s[34:35], s[8:9], s[34:35]
	s_mov_b64 exec, s[34:35]
	s_cbranch_execz .LBB46_276
; %bb.275:                              ;   in Loop: Header=BB46_6 Depth=1
	v_mov_b32_e32 v3, s63
	ds_write_b32 v21, v3 offset:4100
.LBB46_276:                             ;   in Loop: Header=BB46_6 Depth=1
	s_or_b64 exec, exec, s[8:9]
	s_waitcnt lgkmcnt(0)
	s_barrier
.LBB46_277:                             ;   in Loop: Header=BB46_6 Depth=1
	v_or_b32_e32 v29, s23, v29
	v_or_b32_e32 v28, s22, v28
	;; [unrolled: 1-line block ×4, first 2 shown]
	s_mov_b64 s[8:9], 0
	s_mov_b32 s34, 5
.LBB46_278:                             ;   in Loop: Header=BB46_6 Depth=1
	s_or_saveexec_b64 s[18:19], s[18:19]
	v_mov_b32_e32 v3, s34
	s_xor_b64 exec, exec, s[18:19]
; %bb.279:                              ;   in Loop: Header=BB46_6 Depth=1
	v_subrev_u32_e32 v47, s63, v47
	v_mov_b32_e32 v3, 0
	s_or_b64 s[8:9], s[8:9], exec
; %bb.280:                              ;   in Loop: Header=BB46_6 Depth=1
	s_or_b64 exec, exec, s[18:19]
	s_and_b64 s[8:9], s[8:9], exec
	v_mov_b32_e32 v30, v47
.LBB46_281:                             ;   in Loop: Header=BB46_6 Depth=1
	s_or_b64 exec, exec, s[16:17]
	s_mov_b64 s[42:43], -1
                                        ; implicit-def: $sgpr16_sgpr17
                                        ; implicit-def: $sgpr40_sgpr41
                                        ; implicit-def: $sgpr46_sgpr47
	s_and_saveexec_b64 s[18:19], s[8:9]
	s_xor_b64 s[34:35], exec, s[18:19]
	s_cbranch_execz .LBB46_402
; %bb.282:                              ;   in Loop: Header=BB46_6 Depth=1
	s_cmp_eq_u32 s62, 1
	s_cselect_b64 s[8:9], -1, 0
	v_cmp_eq_u32_e32 vcc, 1, v30
	s_and_b64 s[48:49], s[8:9], vcc
	s_mov_b64 s[16:17], -1
                                        ; implicit-def: $sgpr40_sgpr41
                                        ; implicit-def: $sgpr42_sgpr43
                                        ; implicit-def: $sgpr44_sgpr45
	s_and_saveexec_b64 s[46:47], s[48:49]
	s_cbranch_execz .LBB46_308
; %bb.283:                              ;   in Loop: Header=BB46_6 Depth=1
	ds_read_b32 v3, v21 offset:4096
	s_waitcnt lgkmcnt(0)
	s_barrier
	v_readfirstlane_b32 s42, v3
	s_mov_b64 s[8:9], exec
	v_readlane_b32 s16, v59, 34
	v_readlane_b32 s17, v59, 35
	s_and_b64 s[16:17], s[8:9], s[16:17]
	s_mov_b64 exec, s[16:17]
	s_cbranch_execz .LBB46_285
; %bb.284:                              ;   in Loop: Header=BB46_6 Depth=1
	v_mov_b32_e32 v20, v21
	ds_write_b64 v37, v[20:21]
.LBB46_285:                             ;   in Loop: Header=BB46_6 Depth=1
	s_or_b64 exec, exec, s[8:9]
	s_lshl_b64 s[8:9], 2, s55
	v_and_b32_e32 v3, s25, v29
	s_waitcnt vmcnt(0)
	v_and_b32_e32 v4, s24, v28
	v_or_b32_e32 v29, s9, v3
	v_or_b32_e32 v28, s8, v4
	;; [unrolled: 1-line block ×4, first 2 shown]
	s_cmp_eq_u32 s42, 0
	s_waitcnt lgkmcnt(0)
	s_barrier
	s_cbranch_scc1 .LBB46_294
; %bb.286:                              ;   in Loop: Header=BB46_6 Depth=1
	v_readlane_b32 s8, v59, 27
	s_add_i32 s8, s42, s8
	v_readlane_b32 s9, v59, 49
	s_mul_hi_u32 s9, s8, s9
	s_mul_i32 s9, s9, s79
	s_sub_i32 s9, s8, s9
	s_sub_i32 s16, s9, s79
	s_cmp_ge_u32 s9, s79
	s_cselect_b32 s9, s16, s9
	s_sub_i32 s16, s9, s79
	s_cmp_ge_u32 s9, s79
	s_cselect_b32 s9, s16, s9
	s_sub_i32 s43, s8, s9
	v_cmp_gt_u32_e32 vcc, s43, v0
	s_mov_b64 s[18:19], 0
                                        ; implicit-def: $vgpr6_vgpr7
	s_and_saveexec_b64 s[8:9], vcc
	s_cbranch_execz .LBB46_296
; %bb.287:                              ;   in Loop: Header=BB46_6 Depth=1
	v_mov_b32_e32 v8, v36
	v_mov_b32_e32 v9, v0
                                        ; implicit-def: $sgpr16_sgpr17
	s_branch .LBB46_289
.LBB46_288:                             ;   in Loop: Header=BB46_289 Depth=2
	s_or_b64 exec, exec, s[40:41]
	s_waitcnt lgkmcnt(0)
	s_barrier
	ds_read_b128 v[4:7], v21 offset:3072
	v_add_u32_e32 v9, s79, v9
	v_cmp_le_u32_e32 vcc, s43, v9
	v_add_u32_e32 v8, s4, v8
	s_waitcnt lgkmcnt(0)
	v_readfirstlane_b32 s41, v5
	v_readfirstlane_b32 s40, v4
	s_cmp_lg_u64 s[40:41], 0
	s_cselect_b64 s[40:41], -1, 0
	s_or_b64 s[44:45], vcc, s[40:41]
	s_and_b64 s[44:45], exec, s[44:45]
	s_or_b64 s[18:19], s[44:45], s[18:19]
	s_andn2_b64 s[16:17], s[16:17], exec
	s_and_b64 s[40:41], s[40:41], exec
	s_or_b64 s[16:17], s[16:17], s[40:41]
	s_barrier
	s_andn2_b64 exec, exec, s[18:19]
	s_cbranch_execz .LBB46_295
.LBB46_289:                             ;   Parent Loop BB46_6 Depth=1
                                        ; =>  This Inner Loop Header: Depth=2
	v_cmp_gt_u32_e32 vcc, s42, v9
	v_pk_mov_b32 v[4:5], 0, 0
	s_and_saveexec_b64 s[40:41], vcc
	s_cbranch_execz .LBB46_291
; %bb.290:                              ;   in Loop: Header=BB46_289 Depth=2
	ds_read_b64 v[4:5], v8
.LBB46_291:                             ;   in Loop: Header=BB46_289 Depth=2
	s_or_b64 exec, exec, s[40:41]
	s_and_saveexec_b64 s[40:41], vcc
	s_cbranch_execz .LBB46_288
; %bb.292:                              ;   in Loop: Header=BB46_289 Depth=2
	s_waitcnt lgkmcnt(0)
	v_xor_b32_e32 v3, 0x80000000, v5
	v_and_b32_e32 v7, v3, v27
	v_and_b32_e32 v6, v4, v26
	v_cmp_eq_u64_e32 vcc, v[6:7], v[28:29]
	s_and_b64 exec, exec, vcc
	s_cbranch_execz .LBB46_288
; %bb.293:                              ;   in Loop: Header=BB46_289 Depth=2
	v_mov_b32_e32 v3, v21
	ds_write_b128 v21, v[2:5] offset:3072
	s_branch .LBB46_288
.LBB46_294:                             ;   in Loop: Header=BB46_6 Depth=1
	s_mov_b64 s[40:41], -1
	s_mov_b64 s[18:19], 0
                                        ; implicit-def: $sgpr42_sgpr43
                                        ; implicit-def: $vgpr6_vgpr7
	s_mov_b64 s[44:45], s[40:41]
	s_cbranch_execnz .LBB46_297
	s_branch .LBB46_307
.LBB46_295:                             ;   in Loop: Header=BB46_6 Depth=1
	s_or_b64 exec, exec, s[18:19]
	s_and_b64 s[18:19], s[16:17], exec
.LBB46_296:                             ;   in Loop: Header=BB46_6 Depth=1
	s_or_b64 exec, exec, s[8:9]
	s_mov_b64 s[40:41], 0
	s_mov_b64 s[42:43], -1
	s_mov_b64 s[44:45], s[40:41]
	s_branch .LBB46_307
.LBB46_297:                             ;   in Loop: Header=BB46_6 Depth=1
	s_mov_b64 s[18:19], 0
                                        ; implicit-def: $vgpr6_vgpr7
	s_mov_b64 s[16:17], exec
	v_readlane_b32 s8, v59, 50
	v_readlane_b32 s9, v59, 51
	s_and_b64 s[8:9], s[16:17], s[8:9]
	s_mov_b64 exec, s[8:9]
	s_cbranch_execz .LBB46_306
; %bb.298:                              ;   in Loop: Header=BB46_6 Depth=1
	s_mov_b64 s[40:41], 0
	v_mov_b32_e32 v20, v22
	v_mov_b32_e32 v8, v0
                                        ; implicit-def: $sgpr8_sgpr9
	s_branch .LBB46_300
.LBB46_299:                             ;   in Loop: Header=BB46_300 Depth=2
	s_or_b64 exec, exec, s[18:19]
	s_waitcnt lgkmcnt(0)
	s_barrier
	s_waitcnt vmcnt(0)
	ds_read_b128 v[4:7], v21 offset:3072
	v_add_u32_e32 v8, s79, v8
	v_cmp_le_u32_e32 vcc, s6, v8
	v_add_u32_e32 v20, s72, v20
	s_waitcnt lgkmcnt(0)
	v_readfirstlane_b32 s19, v5
	v_readfirstlane_b32 s18, v4
	s_cmp_lg_u64 s[18:19], 0
	s_cselect_b64 s[18:19], -1, 0
	s_or_b64 s[42:43], vcc, s[18:19]
	s_and_b64 s[42:43], exec, s[42:43]
	s_or_b64 s[40:41], s[42:43], s[40:41]
	s_andn2_b64 s[8:9], s[8:9], exec
	s_and_b64 s[18:19], s[18:19], exec
	s_or_b64 s[8:9], s[8:9], s[18:19]
	s_barrier
	s_andn2_b64 exec, exec, s[40:41]
	s_cbranch_execz .LBB46_305
.LBB46_300:                             ;   Parent Loop BB46_6 Depth=1
                                        ; =>  This Inner Loop Header: Depth=2
	v_cmp_gt_u32_e32 vcc, s60, v8
	v_pk_mov_b32 v[4:5], 0, 0
	s_and_saveexec_b64 s[42:43], vcc
	s_cbranch_execz .LBB46_302
; %bb.301:                              ;   in Loop: Header=BB46_300 Depth=2
	v_lshlrev_b64 v[4:5], 3, v[20:21]
	v_mov_b32_e32 v3, s78
	v_add_co_u32_e64 v4, s[18:19], s33, v4
	v_addc_co_u32_e64 v5, s[18:19], v3, v5, s[18:19]
	global_load_dwordx2 v[4:5], v[4:5], off
.LBB46_302:                             ;   in Loop: Header=BB46_300 Depth=2
	s_or_b64 exec, exec, s[42:43]
	s_and_saveexec_b64 s[18:19], vcc
	s_cbranch_execz .LBB46_299
; %bb.303:                              ;   in Loop: Header=BB46_300 Depth=2
	s_waitcnt vmcnt(0)
	v_xor_b32_e32 v3, 0x80000000, v5
	v_and_b32_e32 v7, v3, v27
	v_and_b32_e32 v6, v4, v26
	v_cmp_eq_u64_e32 vcc, v[6:7], v[28:29]
	s_and_b64 exec, exec, vcc
	s_cbranch_execz .LBB46_299
; %bb.304:                              ;   in Loop: Header=BB46_300 Depth=2
	v_mov_b32_e32 v3, v21
	ds_write_b128 v21, v[2:5] offset:3072
	s_branch .LBB46_299
.LBB46_305:                             ;   in Loop: Header=BB46_6 Depth=1
	s_or_b64 exec, exec, s[40:41]
	s_and_b64 s[18:19], s[8:9], exec
.LBB46_306:                             ;   in Loop: Header=BB46_6 Depth=1
	s_or_b64 exec, exec, s[16:17]
	s_mov_b64 s[42:43], 0
	s_mov_b64 s[40:41], -1
	s_mov_b64 s[44:45], 0
.LBB46_307:                             ;   in Loop: Header=BB46_6 Depth=1
	s_orn2_b64 s[16:17], s[18:19], exec
.LBB46_308:                             ;   in Loop: Header=BB46_6 Depth=1
	s_or_b64 exec, exec, s[46:47]
	s_mov_b64 s[8:9], 0
                                        ; implicit-def: $vgpr3
	s_and_saveexec_b64 s[46:47], s[16:17]
	s_cbranch_execz .LBB46_401
; %bb.309:                              ;   in Loop: Header=BB46_6 Depth=1
	s_xor_b64 s[8:9], s[48:49], -1
	s_mov_b64 s[52:53], 0
	v_mov_b32_e32 v8, 1
	v_mov_b32_e32 v3, 1
	s_and_saveexec_b64 s[16:17], s[8:9]
	s_cbranch_execz .LBB46_319
; %bb.310:                              ;   in Loop: Header=BB46_6 Depth=1
	v_cmp_ge_u32_e32 vcc, s62, v30
                                        ; implicit-def: $sgpr48
                                        ; implicit-def: $sgpr8_sgpr9
	s_and_saveexec_b64 s[18:19], vcc
	s_xor_b64 s[18:19], exec, s[18:19]
	s_cbranch_execz .LBB46_316
; %bb.311:                              ;   in Loop: Header=BB46_6 Depth=1
	ds_read_b32 v3, v21 offset:4096
	s_waitcnt lgkmcnt(0)
	v_cmp_ne_u32_e32 vcc, 0, v3
	s_cbranch_vccnz .LBB46_315
; %bb.312:                              ;   in Loop: Header=BB46_6 Depth=1
	s_mov_b64 s[8:9], exec
	v_readlane_b32 s48, v59, 14
	v_readlane_b32 s49, v59, 15
	s_and_b64 s[48:49], s[8:9], s[48:49]
	s_mov_b64 exec, s[48:49]
	s_cbranch_execz .LBB46_314
; %bb.313:                              ;   in Loop: Header=BB46_6 Depth=1
	v_mov_b32_e32 v3, s62
	ds_write_b32 v21, v3 offset:4100
.LBB46_314:                             ;   in Loop: Header=BB46_6 Depth=1
	s_or_b64 exec, exec, s[8:9]
	s_waitcnt lgkmcnt(0)
	s_barrier
.LBB46_315:                             ;   in Loop: Header=BB46_6 Depth=1
	s_lshl_b64 s[8:9], 2, s55
	v_and_b32_e32 v3, s25, v29
	s_waitcnt vmcnt(0)
	v_and_b32_e32 v4, s24, v28
	v_or_b32_e32 v29, s9, v3
	v_or_b32_e32 v28, s8, v4
	;; [unrolled: 1-line block ×4, first 2 shown]
	s_mov_b64 s[8:9], 0
	s_mov_b32 s48, 5
.LBB46_316:                             ;   in Loop: Header=BB46_6 Depth=1
	s_or_saveexec_b64 s[18:19], s[18:19]
	v_mov_b32_e32 v3, s48
	s_xor_b64 exec, exec, s[18:19]
; %bb.317:                              ;   in Loop: Header=BB46_6 Depth=1
	v_subrev_u32_e32 v30, s62, v30
	v_mov_b32_e32 v3, 0
	s_or_b64 s[8:9], s[8:9], exec
; %bb.318:                              ;   in Loop: Header=BB46_6 Depth=1
	s_or_b64 exec, exec, s[18:19]
	s_and_b64 s[52:53], s[8:9], exec
	v_mov_b32_e32 v8, v30
.LBB46_319:                             ;   in Loop: Header=BB46_6 Depth=1
	s_or_b64 exec, exec, s[16:17]
	s_mov_b64 s[8:9], -1
                                        ; implicit-def: $sgpr16_sgpr17
                                        ; implicit-def: $sgpr18_sgpr19
                                        ; implicit-def: $sgpr50_sgpr51
	s_and_saveexec_b64 s[48:49], s[52:53]
	s_cbranch_execz .LBB46_400
; %bb.320:                              ;   in Loop: Header=BB46_6 Depth=1
	s_cmp_eq_u32 s54, 1
	s_cselect_b64 s[8:9], -1, 0
	v_cmp_eq_u32_e32 vcc, 1, v8
	s_and_b64 s[58:59], s[8:9], vcc
	s_mov_b64 s[16:17], -1
                                        ; implicit-def: $sgpr50_sgpr51
                                        ; implicit-def: $sgpr62_sgpr63
                                        ; implicit-def: $sgpr52_sgpr53
	s_and_saveexec_b64 s[56:57], s[58:59]
	s_cbranch_execz .LBB46_346
; %bb.321:                              ;   in Loop: Header=BB46_6 Depth=1
	ds_read_b32 v3, v21 offset:4096
	s_waitcnt lgkmcnt(0)
	s_barrier
	v_readfirstlane_b32 s52, v3
	s_mov_b64 s[8:9], exec
	v_readlane_b32 s16, v59, 34
	v_readlane_b32 s17, v59, 35
	s_and_b64 s[16:17], s[8:9], s[16:17]
	s_mov_b64 exec, s[16:17]
	s_cbranch_execz .LBB46_323
; %bb.322:                              ;   in Loop: Header=BB46_6 Depth=1
	v_mov_b32_e32 v20, v21
	ds_write_b64 v37, v[20:21]
.LBB46_323:                             ;   in Loop: Header=BB46_6 Depth=1
	s_or_b64 exec, exec, s[8:9]
	s_lshl_b64 s[8:9], 1, s55
	v_and_b32_e32 v3, s25, v29
	s_waitcnt vmcnt(0)
	v_and_b32_e32 v4, s24, v28
	v_or_b32_e32 v29, s9, v3
	v_or_b32_e32 v28, s8, v4
	;; [unrolled: 1-line block ×4, first 2 shown]
	s_cmp_eq_u32 s52, 0
	s_waitcnt lgkmcnt(0)
	s_barrier
	s_cbranch_scc1 .LBB46_332
; %bb.324:                              ;   in Loop: Header=BB46_6 Depth=1
	v_readlane_b32 s8, v59, 27
	s_add_i32 s8, s52, s8
	v_readlane_b32 s9, v59, 49
	s_mul_hi_u32 s9, s8, s9
	s_mul_i32 s9, s9, s79
	s_sub_i32 s9, s8, s9
	s_sub_i32 s16, s9, s79
	s_cmp_ge_u32 s9, s79
	s_cselect_b32 s9, s16, s9
	s_sub_i32 s16, s9, s79
	s_cmp_ge_u32 s9, s79
	s_cselect_b32 s9, s16, s9
	s_sub_i32 s53, s8, s9
	v_cmp_gt_u32_e32 vcc, s53, v0
	s_mov_b64 s[18:19], 0
                                        ; implicit-def: $vgpr6_vgpr7
	s_and_saveexec_b64 s[8:9], vcc
	s_cbranch_execz .LBB46_334
; %bb.325:                              ;   in Loop: Header=BB46_6 Depth=1
	v_mov_b32_e32 v9, v36
	v_mov_b32_e32 v10, v0
                                        ; implicit-def: $sgpr16_sgpr17
	s_branch .LBB46_327
.LBB46_326:                             ;   in Loop: Header=BB46_327 Depth=2
	s_or_b64 exec, exec, s[50:51]
	s_waitcnt lgkmcnt(0)
	s_barrier
	ds_read_b128 v[4:7], v21 offset:3072
	v_add_u32_e32 v10, s79, v10
	v_cmp_le_u32_e32 vcc, s53, v10
	v_add_u32_e32 v9, s4, v9
	s_waitcnt lgkmcnt(0)
	v_readfirstlane_b32 s51, v5
	v_readfirstlane_b32 s50, v4
	s_cmp_lg_u64 s[50:51], 0
	s_cselect_b64 s[50:51], -1, 0
	s_or_b64 s[62:63], vcc, s[50:51]
	s_and_b64 s[62:63], exec, s[62:63]
	s_or_b64 s[18:19], s[62:63], s[18:19]
	s_andn2_b64 s[16:17], s[16:17], exec
	s_and_b64 s[50:51], s[50:51], exec
	s_or_b64 s[16:17], s[16:17], s[50:51]
	s_barrier
	s_andn2_b64 exec, exec, s[18:19]
	s_cbranch_execz .LBB46_333
.LBB46_327:                             ;   Parent Loop BB46_6 Depth=1
                                        ; =>  This Inner Loop Header: Depth=2
	v_cmp_gt_u32_e32 vcc, s52, v10
	v_pk_mov_b32 v[4:5], 0, 0
	s_and_saveexec_b64 s[50:51], vcc
	s_cbranch_execz .LBB46_329
; %bb.328:                              ;   in Loop: Header=BB46_327 Depth=2
	ds_read_b64 v[4:5], v9
.LBB46_329:                             ;   in Loop: Header=BB46_327 Depth=2
	s_or_b64 exec, exec, s[50:51]
	s_and_saveexec_b64 s[50:51], vcc
	s_cbranch_execz .LBB46_326
; %bb.330:                              ;   in Loop: Header=BB46_327 Depth=2
	s_waitcnt lgkmcnt(0)
	v_xor_b32_e32 v3, 0x80000000, v5
	v_and_b32_e32 v7, v3, v27
	v_and_b32_e32 v6, v4, v26
	v_cmp_eq_u64_e32 vcc, v[6:7], v[28:29]
	s_and_b64 exec, exec, vcc
	s_cbranch_execz .LBB46_326
; %bb.331:                              ;   in Loop: Header=BB46_327 Depth=2
	v_mov_b32_e32 v3, v21
	ds_write_b128 v21, v[2:5] offset:3072
	s_branch .LBB46_326
.LBB46_332:                             ;   in Loop: Header=BB46_6 Depth=1
	s_mov_b64 s[50:51], -1
	s_mov_b64 s[18:19], 0
                                        ; implicit-def: $sgpr62_sgpr63
                                        ; implicit-def: $vgpr6_vgpr7
	s_mov_b64 s[52:53], s[50:51]
	s_cbranch_execnz .LBB46_335
	s_branch .LBB46_345
.LBB46_333:                             ;   in Loop: Header=BB46_6 Depth=1
	s_or_b64 exec, exec, s[18:19]
	s_and_b64 s[18:19], s[16:17], exec
.LBB46_334:                             ;   in Loop: Header=BB46_6 Depth=1
	s_or_b64 exec, exec, s[8:9]
	s_mov_b64 s[50:51], 0
	s_mov_b64 s[62:63], -1
	s_mov_b64 s[52:53], s[50:51]
	s_branch .LBB46_345
.LBB46_335:                             ;   in Loop: Header=BB46_6 Depth=1
	s_mov_b64 s[18:19], 0
                                        ; implicit-def: $vgpr6_vgpr7
	s_mov_b64 s[16:17], exec
	v_readlane_b32 s8, v59, 50
	v_readlane_b32 s9, v59, 51
	s_and_b64 s[8:9], s[16:17], s[8:9]
	s_mov_b64 exec, s[8:9]
	s_cbranch_execz .LBB46_344
; %bb.336:                              ;   in Loop: Header=BB46_6 Depth=1
	s_mov_b64 s[50:51], 0
	v_mov_b32_e32 v20, v22
	v_mov_b32_e32 v9, v0
                                        ; implicit-def: $sgpr8_sgpr9
	s_branch .LBB46_338
.LBB46_337:                             ;   in Loop: Header=BB46_338 Depth=2
	s_or_b64 exec, exec, s[18:19]
	s_waitcnt lgkmcnt(0)
	s_barrier
	s_waitcnt vmcnt(0)
	ds_read_b128 v[4:7], v21 offset:3072
	v_add_u32_e32 v9, s79, v9
	v_cmp_le_u32_e32 vcc, s6, v9
	v_add_u32_e32 v20, s72, v20
	s_waitcnt lgkmcnt(0)
	v_readfirstlane_b32 s19, v5
	v_readfirstlane_b32 s18, v4
	s_cmp_lg_u64 s[18:19], 0
	s_cselect_b64 s[18:19], -1, 0
	s_or_b64 s[52:53], vcc, s[18:19]
	s_and_b64 s[52:53], exec, s[52:53]
	s_or_b64 s[50:51], s[52:53], s[50:51]
	s_andn2_b64 s[8:9], s[8:9], exec
	s_and_b64 s[18:19], s[18:19], exec
	s_or_b64 s[8:9], s[8:9], s[18:19]
	s_barrier
	s_andn2_b64 exec, exec, s[50:51]
	s_cbranch_execz .LBB46_343
.LBB46_338:                             ;   Parent Loop BB46_6 Depth=1
                                        ; =>  This Inner Loop Header: Depth=2
	v_cmp_gt_u32_e32 vcc, s60, v9
	v_pk_mov_b32 v[4:5], 0, 0
	s_and_saveexec_b64 s[52:53], vcc
	s_cbranch_execz .LBB46_340
; %bb.339:                              ;   in Loop: Header=BB46_338 Depth=2
	v_lshlrev_b64 v[4:5], 3, v[20:21]
	v_mov_b32_e32 v3, s78
	v_add_co_u32_e64 v4, s[18:19], s33, v4
	v_addc_co_u32_e64 v5, s[18:19], v3, v5, s[18:19]
	global_load_dwordx2 v[4:5], v[4:5], off
.LBB46_340:                             ;   in Loop: Header=BB46_338 Depth=2
	s_or_b64 exec, exec, s[52:53]
	s_and_saveexec_b64 s[18:19], vcc
	s_cbranch_execz .LBB46_337
; %bb.341:                              ;   in Loop: Header=BB46_338 Depth=2
	s_waitcnt vmcnt(0)
	v_xor_b32_e32 v3, 0x80000000, v5
	v_and_b32_e32 v7, v3, v27
	v_and_b32_e32 v6, v4, v26
	v_cmp_eq_u64_e32 vcc, v[6:7], v[28:29]
	s_and_b64 exec, exec, vcc
	s_cbranch_execz .LBB46_337
; %bb.342:                              ;   in Loop: Header=BB46_338 Depth=2
	v_mov_b32_e32 v3, v21
	ds_write_b128 v21, v[2:5] offset:3072
	s_branch .LBB46_337
.LBB46_343:                             ;   in Loop: Header=BB46_6 Depth=1
	s_or_b64 exec, exec, s[50:51]
	s_and_b64 s[18:19], s[8:9], exec
.LBB46_344:                             ;   in Loop: Header=BB46_6 Depth=1
	s_or_b64 exec, exec, s[16:17]
	s_mov_b64 s[62:63], 0
	s_mov_b64 s[50:51], -1
	s_mov_b64 s[52:53], 0
.LBB46_345:                             ;   in Loop: Header=BB46_6 Depth=1
	s_orn2_b64 s[16:17], s[18:19], exec
.LBB46_346:                             ;   in Loop: Header=BB46_6 Depth=1
	s_or_b64 exec, exec, s[56:57]
	s_mov_b64 s[8:9], 0
                                        ; implicit-def: $vgpr3
	s_and_saveexec_b64 s[56:57], s[16:17]
	s_cbranch_execz .LBB46_399
; %bb.347:                              ;   in Loop: Header=BB46_6 Depth=1
	s_xor_b64 s[8:9], s[58:59], -1
	s_mov_b64 s[76:77], 0
	v_mov_b32_e32 v9, 1
	v_mov_b32_e32 v3, 1
	s_and_saveexec_b64 s[16:17], s[8:9]
	s_cbranch_execz .LBB46_357
; %bb.348:                              ;   in Loop: Header=BB46_6 Depth=1
	s_mov_b64 s[80:81], s[62:63]
	v_cmp_ge_u32_e32 vcc, s54, v8
                                        ; implicit-def: $sgpr58
                                        ; implicit-def: $sgpr8_sgpr9
	s_and_saveexec_b64 s[18:19], vcc
	s_xor_b64 s[18:19], exec, s[18:19]
	s_cbranch_execz .LBB46_354
; %bb.349:                              ;   in Loop: Header=BB46_6 Depth=1
	ds_read_b32 v3, v21 offset:4096
	s_waitcnt lgkmcnt(0)
	v_cmp_ne_u32_e32 vcc, 0, v3
	s_cbranch_vccnz .LBB46_353
; %bb.350:                              ;   in Loop: Header=BB46_6 Depth=1
	s_mov_b64 s[8:9], exec
	v_readlane_b32 s58, v59, 14
	v_readlane_b32 s59, v59, 15
	s_and_b64 s[58:59], s[8:9], s[58:59]
	s_mov_b64 exec, s[58:59]
	s_cbranch_execz .LBB46_352
; %bb.351:                              ;   in Loop: Header=BB46_6 Depth=1
	v_mov_b32_e32 v3, s54
	ds_write_b32 v21, v3 offset:4100
.LBB46_352:                             ;   in Loop: Header=BB46_6 Depth=1
	s_or_b64 exec, exec, s[8:9]
	s_waitcnt lgkmcnt(0)
	s_barrier
.LBB46_353:                             ;   in Loop: Header=BB46_6 Depth=1
	s_lshl_b64 s[8:9], 1, s55
	v_and_b32_e32 v3, s25, v29
	s_waitcnt vmcnt(0)
	v_and_b32_e32 v4, s24, v28
	v_or_b32_e32 v29, s9, v3
	v_or_b32_e32 v28, s8, v4
	;; [unrolled: 1-line block ×4, first 2 shown]
	s_mov_b64 s[8:9], 0
	s_mov_b32 s58, 5
.LBB46_354:                             ;   in Loop: Header=BB46_6 Depth=1
	s_or_saveexec_b64 s[18:19], s[18:19]
	v_mov_b32_e32 v3, s58
	s_xor_b64 exec, exec, s[18:19]
; %bb.355:                              ;   in Loop: Header=BB46_6 Depth=1
	v_subrev_u32_e32 v8, s54, v8
	v_mov_b32_e32 v3, 0
	s_or_b64 s[8:9], s[8:9], exec
; %bb.356:                              ;   in Loop: Header=BB46_6 Depth=1
	s_or_b64 exec, exec, s[18:19]
	s_and_b64 s[76:77], s[8:9], exec
	v_mov_b32_e32 v9, v8
	s_mov_b64 s[62:63], s[80:81]
.LBB46_357:                             ;   in Loop: Header=BB46_6 Depth=1
	s_or_b64 exec, exec, s[16:17]
	s_mov_b64 s[8:9], -1
                                        ; implicit-def: $sgpr16_sgpr17
                                        ; implicit-def: $sgpr18_sgpr19
                                        ; implicit-def: $sgpr80_sgpr81
	s_and_saveexec_b64 s[58:59], s[76:77]
	s_cbranch_execz .LBB46_398
; %bb.358:                              ;   in Loop: Header=BB46_6 Depth=1
	s_cmp_eq_u32 s11, 1
	s_cselect_b64 s[8:9], -1, 0
	v_cmp_eq_u32_e32 vcc, 1, v9
	v_writelane_b32 v59, s62, 53
	s_and_b64 s[54:55], s[8:9], vcc
	s_mov_b64 s[8:9], -1
	v_writelane_b32 v59, s63, 54
                                        ; implicit-def: $sgpr16_sgpr17
                                        ; implicit-def: $sgpr18_sgpr19
                                        ; implicit-def: $sgpr80_sgpr81
	s_mov_b64 s[82:83], exec
	v_writelane_b32 v59, s54, 55
	v_writelane_b32 v59, s55, 56
	s_and_b64 s[54:55], s[82:83], s[54:55]
	s_mov_b64 exec, s[54:55]
	s_cbranch_execz .LBB46_385
; %bb.359:                              ;   in Loop: Header=BB46_6 Depth=1
	ds_read_b32 v3, v21 offset:4096
	s_waitcnt lgkmcnt(0)
	s_barrier
	v_readfirstlane_b32 s54, v3
	s_mov_b64 s[8:9], exec
	v_readlane_b32 s16, v59, 34
	v_readlane_b32 s17, v59, 35
	s_and_b64 s[16:17], s[8:9], s[16:17]
	s_mov_b64 exec, s[16:17]
	s_cbranch_execz .LBB46_361
; %bb.360:                              ;   in Loop: Header=BB46_6 Depth=1
	v_mov_b32_e32 v20, v21
	ds_write_b64 v37, v[20:21]
.LBB46_361:                             ;   in Loop: Header=BB46_6 Depth=1
	s_or_b64 exec, exec, s[8:9]
	v_and_b32_e32 v29, s25, v29
	v_and_b32_e32 v28, s24, v28
	v_or_b32_e32 v27, s23, v27
	v_or_b32_e32 v26, s22, v26
	s_cmp_eq_u32 s54, 0
	s_waitcnt lgkmcnt(0)
	s_barrier
	s_cbranch_scc1 .LBB46_370
; %bb.362:                              ;   in Loop: Header=BB46_6 Depth=1
	v_readlane_b32 s8, v59, 27
	s_add_i32 s8, s54, s8
	v_readlane_b32 s9, v59, 49
	s_mul_hi_u32 s9, s8, s9
	s_mul_i32 s9, s9, s79
	s_sub_i32 s9, s8, s9
	s_sub_i32 s16, s9, s79
	s_cmp_ge_u32 s9, s79
	s_cselect_b32 s9, s16, s9
	s_sub_i32 s16, s9, s79
	s_cmp_ge_u32 s9, s79
	s_cselect_b32 s9, s16, s9
	s_sub_i32 s55, s8, s9
	v_cmp_gt_u32_e32 vcc, s55, v0
	s_mov_b64 s[76:77], 0
                                        ; implicit-def: $vgpr6_vgpr7
	s_and_saveexec_b64 s[8:9], vcc
	s_cbranch_execz .LBB46_372
; %bb.363:                              ;   in Loop: Header=BB46_6 Depth=1
	s_mov_b64 s[18:19], 0
	v_mov_b32_e32 v8, v36
	v_mov_b32_e32 v10, v0
                                        ; implicit-def: $sgpr16_sgpr17
	s_branch .LBB46_365
.LBB46_364:                             ;   in Loop: Header=BB46_365 Depth=2
	s_or_b64 exec, exec, s[76:77]
	s_waitcnt lgkmcnt(0)
	s_barrier
	ds_read_b128 v[4:7], v21 offset:3072
	v_add_u32_e32 v10, s79, v10
	v_cmp_le_u32_e32 vcc, s55, v10
	v_add_u32_e32 v8, s4, v8
	s_waitcnt lgkmcnt(0)
	v_readfirstlane_b32 s63, v5
	v_readfirstlane_b32 s62, v4
	s_cmp_lg_u64 s[62:63], 0
	s_cselect_b64 s[62:63], -1, 0
	s_or_b64 s[76:77], vcc, s[62:63]
	s_and_b64 s[76:77], exec, s[76:77]
	s_or_b64 s[18:19], s[76:77], s[18:19]
	s_andn2_b64 s[16:17], s[16:17], exec
	s_and_b64 s[62:63], s[62:63], exec
	s_or_b64 s[16:17], s[16:17], s[62:63]
	s_barrier
	s_andn2_b64 exec, exec, s[18:19]
	s_cbranch_execz .LBB46_371
.LBB46_365:                             ;   Parent Loop BB46_6 Depth=1
                                        ; =>  This Inner Loop Header: Depth=2
	v_cmp_gt_u32_e32 vcc, s54, v10
	s_waitcnt vmcnt(0)
	v_pk_mov_b32 v[4:5], 0, 0
	s_and_saveexec_b64 s[76:77], vcc
	s_cbranch_execz .LBB46_367
; %bb.366:                              ;   in Loop: Header=BB46_365 Depth=2
	ds_read_b64 v[4:5], v8
.LBB46_367:                             ;   in Loop: Header=BB46_365 Depth=2
	s_or_b64 exec, exec, s[76:77]
	s_and_saveexec_b64 s[76:77], vcc
	s_cbranch_execz .LBB46_364
; %bb.368:                              ;   in Loop: Header=BB46_365 Depth=2
	s_waitcnt lgkmcnt(0)
	v_xor_b32_e32 v3, 0x80000000, v5
	v_and_b32_e32 v7, v3, v27
	v_and_b32_e32 v6, v4, v26
	v_cmp_eq_u64_e32 vcc, v[6:7], v[28:29]
	s_and_b64 exec, exec, vcc
	s_cbranch_execz .LBB46_364
; %bb.369:                              ;   in Loop: Header=BB46_365 Depth=2
	v_mov_b32_e32 v3, v21
	ds_write_b128 v21, v[2:5] offset:3072
	s_branch .LBB46_364
.LBB46_370:                             ;   in Loop: Header=BB46_6 Depth=1
	s_mov_b64 s[16:17], -1
	s_mov_b64 s[76:77], 0
                                        ; implicit-def: $sgpr18_sgpr19
                                        ; implicit-def: $vgpr6_vgpr7
	s_branch .LBB46_373
.LBB46_371:                             ;   in Loop: Header=BB46_6 Depth=1
	s_or_b64 exec, exec, s[18:19]
	s_and_b64 s[76:77], s[16:17], exec
.LBB46_372:                             ;   in Loop: Header=BB46_6 Depth=1
	s_or_b64 exec, exec, s[8:9]
	s_mov_b64 s[16:17], 0
	s_mov_b64 s[18:19], -1
.LBB46_373:                             ;   in Loop: Header=BB46_6 Depth=1
	s_and_b64 vcc, exec, s[16:17]
	s_mov_b64 s[80:81], s[16:17]
	s_cbranch_vccz .LBB46_384
; %bb.374:                              ;   in Loop: Header=BB46_6 Depth=1
	s_mov_b64 s[76:77], 0
                                        ; implicit-def: $vgpr6_vgpr7
	s_mov_b64 s[16:17], exec
	v_readlane_b32 s8, v59, 50
	v_readlane_b32 s9, v59, 51
	s_and_b64 s[8:9], s[16:17], s[8:9]
	s_mov_b64 exec, s[8:9]
	s_cbranch_execz .LBB46_383
; %bb.375:                              ;   in Loop: Header=BB46_6 Depth=1
	v_mov_b32_e32 v20, v22
	v_mov_b32_e32 v8, v0
                                        ; implicit-def: $sgpr8_sgpr9
	s_branch .LBB46_377
.LBB46_376:                             ;   in Loop: Header=BB46_377 Depth=2
	s_or_b64 exec, exec, s[18:19]
	s_waitcnt lgkmcnt(0)
	s_barrier
	s_waitcnt vmcnt(0)
	ds_read_b128 v[4:7], v21 offset:3072
	v_add_u32_e32 v8, s79, v8
	v_cmp_le_u32_e32 vcc, s6, v8
	v_add_u32_e32 v20, s72, v20
	s_waitcnt lgkmcnt(0)
	v_readfirstlane_b32 s19, v5
	v_readfirstlane_b32 s18, v4
	s_cmp_lg_u64 s[18:19], 0
	s_cselect_b64 s[18:19], -1, 0
	s_or_b64 s[54:55], vcc, s[18:19]
	s_and_b64 s[54:55], exec, s[54:55]
	s_or_b64 s[76:77], s[54:55], s[76:77]
	s_andn2_b64 s[8:9], s[8:9], exec
	s_and_b64 s[18:19], s[18:19], exec
	s_or_b64 s[8:9], s[8:9], s[18:19]
	s_barrier
	s_andn2_b64 exec, exec, s[76:77]
	s_cbranch_execz .LBB46_382
.LBB46_377:                             ;   Parent Loop BB46_6 Depth=1
                                        ; =>  This Inner Loop Header: Depth=2
	v_cmp_gt_u32_e32 vcc, s60, v8
	s_waitcnt vmcnt(0)
	v_pk_mov_b32 v[4:5], 0, 0
	s_and_saveexec_b64 s[80:81], vcc
	s_cbranch_execz .LBB46_379
; %bb.378:                              ;   in Loop: Header=BB46_377 Depth=2
	v_lshlrev_b64 v[4:5], 3, v[20:21]
	v_mov_b32_e32 v3, s78
	v_add_co_u32_e64 v4, s[18:19], s33, v4
	v_addc_co_u32_e64 v5, s[18:19], v3, v5, s[18:19]
	global_load_dwordx2 v[4:5], v[4:5], off
.LBB46_379:                             ;   in Loop: Header=BB46_377 Depth=2
	s_or_b64 exec, exec, s[80:81]
	s_and_saveexec_b64 s[18:19], vcc
	s_cbranch_execz .LBB46_376
; %bb.380:                              ;   in Loop: Header=BB46_377 Depth=2
	s_waitcnt vmcnt(0)
	v_xor_b32_e32 v3, 0x80000000, v5
	v_and_b32_e32 v7, v3, v27
	v_and_b32_e32 v6, v4, v26
	v_cmp_eq_u64_e32 vcc, v[6:7], v[28:29]
	s_and_b64 exec, exec, vcc
	s_cbranch_execz .LBB46_376
; %bb.381:                              ;   in Loop: Header=BB46_377 Depth=2
	v_mov_b32_e32 v3, v21
	ds_write_b128 v21, v[2:5] offset:3072
	s_branch .LBB46_376
.LBB46_382:                             ;   in Loop: Header=BB46_6 Depth=1
	s_or_b64 exec, exec, s[76:77]
	s_and_b64 s[76:77], s[8:9], exec
.LBB46_383:                             ;   in Loop: Header=BB46_6 Depth=1
	s_or_b64 exec, exec, s[16:17]
	s_mov_b64 s[18:19], 0
	s_mov_b64 s[16:17], -1
	s_mov_b64 s[80:81], 0
.LBB46_384:                             ;   in Loop: Header=BB46_6 Depth=1
	s_orn2_b64 s[8:9], s[76:77], exec
.LBB46_385:                             ;   in Loop: Header=BB46_6 Depth=1
	s_or_b64 exec, exec, s[82:83]
	s_mov_b64 s[76:77], 0
                                        ; implicit-def: $vgpr3
                                        ; implicit-def: $vgpr4
	s_and_saveexec_b64 s[82:83], s[8:9]
	v_readlane_b32 s62, v59, 53
	v_readlane_b32 s63, v59, 54
	s_cbranch_execz .LBB46_397
; %bb.386:                              ;   in Loop: Header=BB46_6 Depth=1
	v_readlane_b32 s8, v59, 55
	v_readlane_b32 s9, v59, 56
	s_xor_b64 s[54:55], s[8:9], -1
	v_mov_b32_e32 v3, 1
	s_waitcnt vmcnt(0)
	v_mov_b32_e32 v4, 1
	s_and_saveexec_b64 s[8:9], s[54:55]
	s_cbranch_execz .LBB46_396
; %bb.387:                              ;   in Loop: Header=BB46_6 Depth=1
	v_cmp_ge_u32_e32 vcc, s11, v9
                                        ; implicit-def: $sgpr54
	s_and_saveexec_b64 s[62:63], vcc
	s_xor_b64 s[76:77], exec, s[62:63]
	s_cbranch_execz .LBB46_393
; %bb.388:                              ;   in Loop: Header=BB46_6 Depth=1
	ds_read_b32 v3, v21 offset:4096
	s_waitcnt lgkmcnt(0)
	v_cmp_ne_u32_e32 vcc, 0, v3
	s_cbranch_vccnz .LBB46_392
; %bb.389:                              ;   in Loop: Header=BB46_6 Depth=1
	s_mov_b64 vcc, exec
	v_readlane_b32 s54, v59, 14
	v_readlane_b32 s55, v59, 15
	s_and_b64 s[54:55], vcc, s[54:55]
	s_mov_b64 exec, s[54:55]
	s_cbranch_execz .LBB46_391
; %bb.390:                              ;   in Loop: Header=BB46_6 Depth=1
	v_mov_b32_e32 v3, s11
	ds_write_b32 v21, v3 offset:4100
.LBB46_391:                             ;   in Loop: Header=BB46_6 Depth=1
	s_or_b64 exec, exec, vcc
	s_waitcnt lgkmcnt(0)
	s_barrier
.LBB46_392:                             ;   in Loop: Header=BB46_6 Depth=1
	v_and_b32_e32 v29, s25, v29
	v_and_b32_e32 v28, s24, v28
	v_or_b32_e32 v27, s23, v27
	v_or_b32_e32 v26, s22, v26
	s_mov_b32 s54, 5
.LBB46_393:                             ;   in Loop: Header=BB46_6 Depth=1
	s_or_saveexec_b64 s[22:23], s[76:77]
	v_mov_b32_e32 v3, s54
	s_xor_b64 exec, exec, s[22:23]
; %bb.394:                              ;   in Loop: Header=BB46_6 Depth=1
	v_subrev_u32_e32 v9, s11, v9
	v_mov_b32_e32 v3, 5
; %bb.395:                              ;   in Loop: Header=BB46_6 Depth=1
	s_or_b64 exec, exec, s[22:23]
	v_readlane_b32 s62, v59, 53
	v_mov_b32_e32 v4, v9
	v_readlane_b32 s63, v59, 54
.LBB46_396:                             ;   in Loop: Header=BB46_6 Depth=1
	s_or_b64 exec, exec, s[8:9]
	s_mov_b64 s[76:77], exec
.LBB46_397:                             ;   in Loop: Header=BB46_6 Depth=1
	s_or_b64 exec, exec, s[82:83]
	s_orn2_b64 s[8:9], s[76:77], exec
	s_waitcnt vmcnt(0)
	v_mov_b32_e32 v9, v4
.LBB46_398:                             ;   in Loop: Header=BB46_6 Depth=1
	s_or_b64 exec, exec, s[58:59]
	s_andn2_b64 s[22:23], s[50:51], exec
	s_and_b64 s[16:17], s[16:17], exec
	s_or_b64 s[50:51], s[22:23], s[16:17]
	s_andn2_b64 s[16:17], s[62:63], exec
	s_and_b64 s[18:19], s[18:19], exec
	s_or_b64 s[62:63], s[16:17], s[18:19]
	;; [unrolled: 3-line block ×3, first 2 shown]
	s_and_b64 s[8:9], s[8:9], exec
	v_mov_b32_e32 v8, v9
.LBB46_399:                             ;   in Loop: Header=BB46_6 Depth=1
	s_or_b64 exec, exec, s[56:57]
	s_and_b64 s[50:51], s[50:51], exec
	s_and_b64 s[18:19], s[62:63], exec
	;; [unrolled: 1-line block ×3, first 2 shown]
	s_orn2_b64 s[8:9], s[8:9], exec
.LBB46_400:                             ;   in Loop: Header=BB46_6 Depth=1
	s_or_b64 exec, exec, s[48:49]
	s_andn2_b64 s[22:23], s[40:41], exec
	s_and_b64 s[24:25], s[50:51], exec
	s_or_b64 s[40:41], s[22:23], s[24:25]
	s_andn2_b64 s[22:23], s[42:43], exec
	s_and_b64 s[18:19], s[18:19], exec
	s_or_b64 s[42:43], s[22:23], s[18:19]
	;; [unrolled: 3-line block ×3, first 2 shown]
	s_and_b64 s[8:9], s[8:9], exec
	v_mov_b32_e32 v30, v8
.LBB46_401:                             ;   in Loop: Header=BB46_6 Depth=1
	s_or_b64 exec, exec, s[46:47]
	s_and_b64 s[46:47], s[40:41], exec
	s_and_b64 s[40:41], s[42:43], exec
	s_and_b64 s[16:17], s[44:45], exec
	s_orn2_b64 s[42:43], s[8:9], exec
.LBB46_402:                             ;   in Loop: Header=BB46_6 Depth=1
	s_or_b64 exec, exec, s[34:35]
	s_mov_b64 s[8:9], s[28:29]
	s_mov_b64 s[18:19], s[20:21]
	s_and_saveexec_b64 s[22:23], s[42:43]
; %bb.403:                              ;   in Loop: Header=BB46_6 Depth=1
	v_cmp_ne_u32_e64 s[18:19], 5, v3
	v_cmp_eq_u32_e32 vcc, 5, v3
	s_andn2_b64 s[8:9], s[20:21], exec
	s_and_b64 s[18:19], s[18:19], exec
	s_or_b64 s[18:19], s[8:9], s[18:19]
	s_andn2_b64 s[8:9], s[28:29], exec
	s_and_b64 s[24:25], vcc, exec
	s_andn2_b64 s[46:47], s[46:47], exec
	s_andn2_b64 s[40:41], s[40:41], exec
	;; [unrolled: 1-line block ×3, first 2 shown]
	s_or_b64 s[8:9], s[8:9], s[24:25]
; %bb.404:                              ;   in Loop: Header=BB46_6 Depth=1
	s_or_b64 exec, exec, s[22:23]
	s_andn2_b64 s[22:23], s[36:37], exec
	s_and_b64 s[24:25], s[46:47], exec
	s_or_b64 s[36:37], s[22:23], s[24:25]
	s_andn2_b64 s[22:23], s[38:39], exec
	s_and_b64 s[24:25], s[40:41], exec
	s_or_b64 s[38:39], s[22:23], s[24:25]
	;; [unrolled: 3-line block ×5, first 2 shown]
	s_waitcnt vmcnt(0)
	v_pk_mov_b32 v[12:13], v[28:29], v[28:29] op_sel:[0,1]
	v_pk_mov_b32 v[14:15], v[26:27], v[26:27] op_sel:[0,1]
	;; [unrolled: 1-line block ×3, first 2 shown]
.LBB46_405:                             ;   in Loop: Header=BB46_6 Depth=1
	s_or_b64 exec, exec, s[30:31]
	s_mov_b64 s[34:35], s[26:27]
	s_mov_b64 s[30:31], s[26:27]
	s_and_saveexec_b64 s[8:9], s[28:29]
.LBB46_406:                             ;   in Loop: Header=BB46_6 Depth=1
	v_mov_b32_e32 v3, 0
	s_andn2_b64 s[26:27], s[26:27], exec
	s_andn2_b64 s[36:37], s[36:37], exec
	;; [unrolled: 1-line block ×5, first 2 shown]
	s_or_b64 s[20:21], s[20:21], exec
.LBB46_407:                             ;   in Loop: Header=BB46_6 Depth=1
	s_or_b64 exec, exec, s[8:9]
	s_andn2_b64 s[8:9], s[88:89], exec
	s_and_b64 s[18:19], s[26:27], exec
	s_or_b64 s[88:89], s[8:9], s[18:19]
	s_andn2_b64 s[8:9], s[86:87], exec
	s_and_b64 s[18:19], s[36:37], exec
	s_or_b64 s[86:87], s[8:9], s[18:19]
	s_andn2_b64 s[8:9], s[84:85], exec
	s_and_b64 s[18:19], s[38:39], exec
	s_or_b64 s[84:85], s[8:9], s[18:19]
	s_andn2_b64 s[2:3], s[2:3], exec
	s_and_b64 s[8:9], s[34:35], exec
	s_or_b64 s[2:3], s[2:3], s[8:9]
	s_andn2_b64 s[8:9], s[70:71], exec
	s_and_b64 s[18:19], s[30:31], exec
	s_mov_b64 s[16:17], -1
	s_or_b64 s[70:71], s[8:9], s[18:19]
                                        ; implicit-def: $vgpr26_vgpr27
                                        ; implicit-def: $vgpr28_vgpr29
                                        ; implicit-def: $vgpr47
                                        ; implicit-def: $vgpr6_vgpr7
	s_and_saveexec_b64 s[8:9], s[20:21]
	s_xor_b64 s[8:9], exec, s[8:9]
	s_cbranch_execz .LBB46_5
; %bb.408:                              ;   in Loop: Header=BB46_6 Depth=1
	v_cmp_eq_u32_e32 vcc, 0, v3
	s_mov_b64 s[18:19], -1
	s_and_saveexec_b64 s[20:21], vcc
	s_cbranch_execz .LBB46_4
; %bb.409:                              ;   in Loop: Header=BB46_6 Depth=1
	s_xor_b32 s10, s10, 1
	s_add_i32 s11, s5, -2
	s_cmp_eq_u32 s5, 0
	s_cselect_b64 s[16:17], -1, 0
	s_xor_b64 s[18:19], exec, -1
	s_orn2_b64 s[16:17], s[16:17], exec
	s_mov_b32 s5, s11
	s_branch .LBB46_4
.LBB46_410:
	s_or_b64 exec, exec, s[90:91]
	s_xor_b64 s[8:9], s[68:69], -1
	s_xor_b64 s[18:19], s[66:67], -1
	;; [unrolled: 1-line block ×5, first 2 shown]
	s_mov_b64 s[12:13], 0
	s_and_saveexec_b64 s[6:7], s[4:5]
	s_xor_b64 s[10:11], exec, s[6:7]
	s_cbranch_execnz .LBB46_415
; %bb.411:
	s_andn2_saveexec_b64 s[0:1], s[10:11]
	s_cbranch_execnz .LBB46_434
.LBB46_412:
	s_or_b64 exec, exec, s[0:1]
	s_and_saveexec_b64 s[0:1], s[12:13]
.LBB46_413:
	; divergent unreachable
.LBB46_414:
	s_endpgm
.LBB46_415:
	s_mov_b64 s[14:15], 0
	s_and_saveexec_b64 s[4:5], s[16:17]
	s_xor_b64 s[12:13], exec, s[4:5]
	s_cbranch_execz .LBB46_432
; %bb.416:
	s_mov_b64 s[16:17], 0
	s_and_saveexec_b64 s[4:5], s[18:19]
	s_xor_b64 s[14:15], exec, s[4:5]
	s_cbranch_execz .LBB46_430
; %bb.417:
	;; [unrolled: 5-line block ×3, first 2 shown]
	s_and_saveexec_b64 s[4:5], s[2:3]
	s_xor_b64 s[2:3], exec, s[4:5]
	s_cbranch_execz .LBB46_420
; %bb.419:
	s_waitcnt vmcnt(0)
	v_xor_b32_e32 v13, 0x80000000, v13
	v_pk_mov_b32 v[10:11], v[12:13], v[12:13] op_sel:[0,1]
.LBB46_420:
	s_or_b64 exec, exec, s[2:3]
	s_mov_b64 s[2:3], exec
	v_readlane_b32 s4, v59, 14
	v_readlane_b32 s5, v59, 15
	;; [unrolled: 1-line block ×3, first 2 shown]
	s_and_b64 s[4:5], s[2:3], s[4:5]
	v_readlane_b32 s31, v59, 20
	v_readlane_b32 s20, v59, 52
	s_mov_b64 exec, s[4:5]
	s_cbranch_execz .LBB46_422
; %bb.421:
	v_mov_b32_e32 v1, 0
	ds_write_b32 v1, v1 offset:4108
.LBB46_422:
	s_or_b64 exec, exec, s[2:3]
	s_waitcnt vmcnt(0)
	v_pk_mov_b32 v[4:5], 0, 0
	s_waitcnt lgkmcnt(0)
	s_barrier
	s_mov_b64 s[2:3], exec
	v_readlane_b32 s4, v59, 32
	v_readlane_b32 s5, v59, 33
	s_and_b64 s[4:5], s[2:3], s[4:5]
	s_mov_b64 exec, s[4:5]
	s_cbranch_execz .LBB46_424
; %bb.423:
	global_load_dwordx2 v[4:5], v[18:19], off
.LBB46_424:
	s_or_b64 exec, exec, s[2:3]
	v_readlane_b32 s5, v59, 10
	v_readlane_b32 s7, v59, 11
	s_mul_i32 s2, s7, s5
	v_readlane_b32 s6, v59, 16
	s_add_i32 s40, s60, 63
	s_sub_i32 s2, s6, s2
	s_andn2_b32 s40, s40, 63
	s_add_i32 s3, s7, 1
	s_sub_i32 s4, s2, s5
	s_cmp_ge_u32 s2, s5
	s_cselect_b32 s3, s3, s7
	s_cselect_b32 s2, s4, s2
	s_add_i32 s4, s3, 1
	s_cmp_ge_u32 s2, s5
	s_cselect_b32 s2, s4, s3
	s_mul_i32 s3, s2, s5
	v_readlane_b32 s4, v59, 2
	s_sub_i32 s3, s6, s3
	v_readlane_b32 s5, v59, 3
	s_mul_i32 s3, s3, s5
	s_mul_i32 s2, s2, s4
	v_readlane_b32 s7, v59, 12
	v_readlane_b32 s8, v59, 13
	s_add_i32 s2, s2, s3
	s_mul_i32 s3, s8, s7
	s_sub_i32 s3, s6, s3
	s_add_i32 s4, s8, 1
	s_sub_i32 s5, s3, s7
	s_cmp_ge_u32 s3, s7
	s_cselect_b32 s4, s4, s8
	s_cselect_b32 s3, s5, s3
	s_add_i32 s5, s4, 1
	s_cmp_ge_u32 s3, s7
	s_cselect_b32 s3, s5, s4
	s_mul_i32 s4, s3, s7
	s_sub_i32 s4, s6, s4
	v_readlane_b32 s6, v59, 4
	v_readlane_b32 s7, v59, 5
	s_mul_i32 s4, s4, s7
	s_mul_i32 s3, s3, s6
	s_add_i32 s4, s3, s4
	s_mov_b32 s3, 0
	s_lshl_b64 s[6:7], s[2:3], 3
	v_readlane_b32 s8, v59, 8
	v_readlane_b32 s9, v59, 9
	s_add_u32 s41, s8, s6
	s_mov_b32 s5, s3
	s_addc_u32 s42, s9, s7
	s_lshl_b64 s[2:3], s[4:5], 3
	v_readlane_b32 s4, v59, 0
	v_readlane_b32 s5, v59, 1
	s_add_u32 s43, s4, s2
	s_addc_u32 s44, s5, s3
	v_readlane_b32 s2, v59, 6
	v_readlane_b32 s3, v59, 7
	s_load_dword s45, s[2:3], 0x1c8
	s_load_dword s46, s[2:3], 0x2a8
	v_add_u32_e32 v1, s79, v0
	v_cmp_gt_u32_e32 vcc, s40, v0
	s_mov_b64 s[18:19], -1
	s_mov_b64 s[2:3], 0
	v_mul_lo_u32 v2, s20, v1
	s_mov_b64 s[4:5], 0
	s_and_saveexec_b64 s[8:9], vcc
	s_cbranch_execnz .LBB46_435
; %bb.425:
	s_or_b64 exec, exec, s[8:9]
	s_and_saveexec_b64 s[8:9], s[18:19]
	s_cbranch_execnz .LBB46_450
.LBB46_426:
	s_or_b64 exec, exec, s[8:9]
	s_and_saveexec_b64 s[0:1], s[4:5]
	s_xor_b64 s[0:1], exec, s[0:1]
	s_cbranch_execnz .LBB46_472
.LBB46_427:
	s_or_b64 exec, exec, s[0:1]
	s_and_b64 s[18:19], s[2:3], exec
.LBB46_428:
	s_andn2_saveexec_b64 s[0:1], s[16:17]
	s_cbranch_execnz .LBB46_475
.LBB46_429:
	s_or_b64 exec, exec, s[0:1]
	s_and_b64 s[16:17], s[18:19], exec
.LBB46_430:
	s_andn2_saveexec_b64 s[0:1], s[14:15]
	s_cbranch_execnz .LBB46_474
.LBB46_431:
	s_or_b64 exec, exec, s[0:1]
	s_and_b64 s[14:15], s[16:17], exec
.LBB46_432:
	s_andn2_saveexec_b64 s[0:1], s[12:13]
	s_cbranch_execnz .LBB46_473
.LBB46_433:
	s_or_b64 exec, exec, s[0:1]
	s_and_b64 s[12:13], s[14:15], exec
	s_andn2_saveexec_b64 s[0:1], s[10:11]
	s_cbranch_execz .LBB46_412
.LBB46_434:
	s_or_b64 s[12:13], s[12:13], exec
	s_trap 2
	s_or_b64 exec, exec, s[0:1]
	s_and_saveexec_b64 s[0:1], s[12:13]
	s_cbranch_execnz .LBB46_413
	s_branch .LBB46_414
.LBB46_435:
	v_xor_b32_e32 v7, 0x80000000, v11
	v_mov_b32_e32 v6, v10
	v_mul_lo_u32 v8, s20, v1
	s_mov_b64 s[18:19], 0
	v_mov_b32_e32 v9, 0
	v_mov_b32_e32 v14, v0
                                        ; implicit-def: $sgpr20_sgpr21
                                        ; implicit-def: $vgpr3
	s_branch .LBB46_437
.LBB46_436:                             ;   in Loop: Header=BB46_437 Depth=1
	s_or_b64 exec, exec, s[22:23]
	s_xor_b64 s[6:7], s[26:27], -1
	s_and_b64 s[4:5], exec, s[4:5]
	s_or_b64 s[18:19], s[4:5], s[18:19]
	s_andn2_b64 s[4:5], s[20:21], exec
	s_and_b64 s[6:7], s[6:7], exec
	s_or_b64 s[20:21], s[4:5], s[6:7]
	v_pk_mov_b32 v[4:5], v[12:13], v[12:13] op_sel:[0,1]
	v_mov_b32_e32 v14, v1
	s_andn2_b64 exec, exec, s[18:19]
	s_cbranch_execz .LBB46_449
.LBB46_437:                             ; =>This Inner Loop Header: Depth=1
	v_add_u32_e32 v1, s79, v14
	v_cmp_gt_u32_e32 vcc, s60, v1
	v_pk_mov_b32 v[12:13], 0, 0
	s_and_saveexec_b64 s[4:5], vcc
	s_cbranch_execz .LBB46_439
; %bb.438:                              ;   in Loop: Header=BB46_437 Depth=1
	v_lshlrev_b64 v[12:13], 3, v[8:9]
	v_mov_b32_e32 v15, s78
	v_add_co_u32_e32 v12, vcc, s33, v12
	v_addc_co_u32_e32 v13, vcc, v15, v13, vcc
	global_load_dwordx2 v[12:13], v[12:13], off
.LBB46_439:                             ;   in Loop: Header=BB46_437 Depth=1
	s_or_b64 exec, exec, s[4:5]
	s_waitcnt vmcnt(0)
	v_xor_b32_e32 v21, 0x80000000, v5
	v_mov_b32_e32 v20, v4
	v_cmp_gt_u64_e64 s[4:5], v[20:21], v[6:7]
	v_cndmask_b32_e64 v15, 0, 1, s[4:5]
	v_cmp_lt_u64_e64 s[4:5], v[20:21], v[6:7]
	v_cndmask_b32_e64 v20, 0, 1, s[4:5]
	v_cndmask_b32_e64 v15, v20, v15, s[30:31]
	v_and_b32_e32 v15, 1, v15
	v_cmp_gt_u32_e32 vcc, s60, v14
	v_cmp_eq_u32_e64 s[4:5], 1, v15
	s_and_b64 s[24:25], vcc, s[4:5]
	v_cndmask_b32_e64 v15, 0, 1, s[24:25]
	v_cmp_ne_u32_e32 vcc, 0, v15
	s_cmp_lg_u64 vcc, 0
	s_cselect_b64 s[4:5], -1, 0
	s_and_b64 s[4:5], s[0:1], s[4:5]
	s_and_saveexec_b64 s[22:23], s[4:5]
	s_cbranch_execz .LBB46_443
; %bb.440:                              ;   in Loop: Header=BB46_437 Depth=1
	s_mov_b64 s[28:29], exec
	s_waitcnt lgkmcnt(0)
	v_mbcnt_lo_u32_b32 v3, s28, 0
	v_mbcnt_hi_u32_b32 v3, s29, v3
	s_bcnt1_i32_b64 s6, vcc
	v_cmp_eq_u32_e64 s[4:5], 0, v3
                                        ; implicit-def: $vgpr15
	s_and_saveexec_b64 s[26:27], s[4:5]
	s_cbranch_execz .LBB46_442
; %bb.441:                              ;   in Loop: Header=BB46_437 Depth=1
	s_bcnt1_i32_b64 s4, s[28:29]
	s_mul_i32 s4, s6, s4
	v_mov_b32_e32 v15, s4
	ds_add_rtn_u32 v15, v9, v15 offset:4108
.LBB46_442:                             ;   in Loop: Header=BB46_437 Depth=1
	s_or_b64 exec, exec, s[26:27]
	s_waitcnt lgkmcnt(0)
	v_readfirstlane_b32 s4, v15
	v_mov_b32_e32 v15, s4
	v_mad_u32_u24 v3, s6, v3, v15
.LBB46_443:                             ;   in Loop: Header=BB46_437 Depth=1
	s_or_b64 exec, exec, s[22:23]
	s_waitcnt lgkmcnt(0)
	ds_bpermute_b32 v3, v23, v3
	s_mov_b64 s[4:5], -1
	s_mov_b64 s[28:29], -1
                                        ; implicit-def: $sgpr26_sgpr27
	s_and_saveexec_b64 s[22:23], s[24:25]
	s_cbranch_execz .LBB46_447
; %bb.444:                              ;   in Loop: Header=BB46_437 Depth=1
	v_and_b32_e32 v20, vcc_lo, v16
	v_and_b32_e32 v15, vcc_hi, v17
	v_bcnt_u32_b32 v20, v20, 0
	v_bcnt_u32_b32 v15, v15, v20
	s_waitcnt lgkmcnt(0)
	v_add_u32_e32 v15, v3, v15
	v_cmp_gt_u32_e32 vcc, s61, v15
	s_mov_b64 s[24:25], 0
	s_and_saveexec_b64 s[26:27], vcc
	s_cbranch_execz .LBB46_446
; %bb.445:                              ;   in Loop: Header=BB46_437 Depth=1
	v_mul_lo_u32 v20, v15, s45
	v_mov_b32_e32 v21, v9
	v_lshlrev_b64 v[20:21], 3, v[20:21]
	v_mul_lo_u32 v24, v15, s46
	v_mov_b32_e32 v15, s42
	v_add_co_u32_e32 v20, vcc, s41, v20
	v_addc_co_u32_e32 v21, vcc, v15, v21, vcc
	v_mov_b32_e32 v25, v9
	global_store_dwordx2 v[20:21], v[4:5], off
	v_lshlrev_b64 v[4:5], 3, v[24:25]
	v_mov_b32_e32 v20, s44
	v_add_co_u32_e32 v4, vcc, s43, v4
	s_mov_b64 s[24:25], exec
	v_mov_b32_e32 v15, v9
	v_addc_co_u32_e32 v5, vcc, v20, v5, vcc
	global_store_dwordx2 v[4:5], v[14:15], off
.LBB46_446:                             ;   in Loop: Header=BB46_437 Depth=1
	s_or_b64 exec, exec, s[26:27]
	s_mov_b64 s[26:27], -1
	s_orn2_b64 s[28:29], s[24:25], exec
.LBB46_447:                             ;   in Loop: Header=BB46_437 Depth=1
	s_or_b64 exec, exec, s[22:23]
	s_and_saveexec_b64 s[22:23], s[28:29]
	s_cbranch_execz .LBB46_436
; %bb.448:                              ;   in Loop: Header=BB46_437 Depth=1
	v_cmp_le_u32_e32 vcc, s40, v1
	v_add_u32_e32 v8, s72, v8
	s_andn2_b64 s[26:27], s[26:27], exec
	s_orn2_b64 s[4:5], vcc, exec
	s_branch .LBB46_436
.LBB46_449:
	s_or_b64 exec, exec, s[18:19]
	s_mov_b64 s[4:5], exec
	s_orn2_b64 s[18:19], s[20:21], exec
	s_or_b64 exec, exec, s[8:9]
	s_and_saveexec_b64 s[8:9], s[18:19]
	s_cbranch_execz .LBB46_426
.LBB46_450:
	s_waitcnt vmcnt(0)
	v_pk_mov_b32 v[4:5], 0, 0
	s_waitcnt lgkmcnt(0)
	s_barrier
	s_mov_b64 s[2:3], exec
	v_readlane_b32 s6, v59, 32
	v_readlane_b32 s7, v59, 33
	s_and_b64 s[6:7], s[2:3], s[6:7]
	s_mov_b64 exec, s[6:7]
	s_cbranch_execz .LBB46_452
; %bb.451:
	global_load_dwordx2 v[4:5], v[18:19], off
.LBB46_452:
	s_or_b64 exec, exec, s[2:3]
	s_mov_b64 s[6:7], 0
	v_mov_b32_e32 v3, 0
                                        ; implicit-def: $sgpr18_sgpr19
                                        ; implicit-def: $sgpr20_sgpr21
                                        ; implicit-def: $sgpr22_sgpr23
                                        ; implicit-def: $vgpr8
	s_branch .LBB46_455
.LBB46_453:                             ;   in Loop: Header=BB46_455 Depth=1
	s_or_b64 exec, exec, s[28:29]
	s_andn2_b64 s[22:23], s[22:23], exec
	s_and_b64 s[26:27], s[34:35], exec
	s_andn2_b64 s[20:21], s[20:21], exec
	s_and_b64 s[2:3], s[2:3], exec
	s_or_b64 s[22:23], s[22:23], s[26:27]
	s_or_b64 s[20:21], s[20:21], s[2:3]
	v_mov_b32_e32 v0, v9
.LBB46_454:                             ;   in Loop: Header=BB46_455 Depth=1
	s_or_b64 exec, exec, s[24:25]
	s_xor_b64 s[2:3], s[22:23], -1
	s_and_b64 s[24:25], exec, s[20:21]
	s_or_b64 s[6:7], s[24:25], s[6:7]
	s_andn2_b64 s[18:19], s[18:19], exec
	s_and_b64 s[2:3], s[2:3], exec
	s_or_b64 s[18:19], s[18:19], s[2:3]
	s_andn2_b64 exec, exec, s[6:7]
	s_cbranch_execz .LBB46_470
.LBB46_455:                             ; =>This Inner Loop Header: Depth=1
	v_cmp_gt_u32_e32 vcc, s40, v0
	s_or_b64 s[22:23], s[22:23], exec
	s_or_b64 s[20:21], s[20:21], exec
	s_and_saveexec_b64 s[24:25], vcc
	s_cbranch_execz .LBB46_454
; %bb.456:                              ;   in Loop: Header=BB46_455 Depth=1
	v_add_u32_e32 v9, s79, v0
	v_cmp_gt_u32_e32 vcc, s60, v9
	v_pk_mov_b32 v[6:7], 0, 0
	s_and_saveexec_b64 s[2:3], vcc
	s_cbranch_execz .LBB46_458
; %bb.457:                              ;   in Loop: Header=BB46_455 Depth=1
	v_lshlrev_b64 v[6:7], 3, v[2:3]
	v_mov_b32_e32 v1, s78
	v_add_co_u32_e32 v6, vcc, s33, v6
	v_addc_co_u32_e32 v7, vcc, v1, v7, vcc
	global_load_dwordx2 v[6:7], v[6:7], off
.LBB46_458:                             ;   in Loop: Header=BB46_455 Depth=1
	s_or_b64 exec, exec, s[2:3]
	v_cmp_gt_u32_e32 vcc, s60, v0
	s_waitcnt vmcnt(0)
	v_cmp_eq_u64_e64 s[2:3], v[4:5], v[10:11]
	s_and_b64 s[28:29], vcc, s[2:3]
	v_cndmask_b32_e64 v1, 0, 1, s[28:29]
	v_cmp_ne_u32_e32 vcc, 0, v1
	s_cmp_lg_u64 vcc, 0
	s_cselect_b64 s[2:3], -1, 0
	s_and_b64 s[2:3], s[0:1], s[2:3]
	s_and_saveexec_b64 s[26:27], s[2:3]
	s_cbranch_execz .LBB46_462
; %bb.459:                              ;   in Loop: Header=BB46_455 Depth=1
	s_mov_b64 s[34:35], exec
	v_mbcnt_lo_u32_b32 v1, s34, 0
	v_mbcnt_hi_u32_b32 v1, s35, v1
	s_bcnt1_i32_b64 s36, vcc
	v_cmp_eq_u32_e64 s[2:3], 0, v1
                                        ; implicit-def: $vgpr8
	s_and_saveexec_b64 s[30:31], s[2:3]
	s_cbranch_execz .LBB46_461
; %bb.460:                              ;   in Loop: Header=BB46_455 Depth=1
	s_bcnt1_i32_b64 s2, s[34:35]
	s_mul_i32 s2, s36, s2
	v_mov_b32_e32 v8, s2
	ds_add_rtn_u32 v8, v3, v8 offset:4108
.LBB46_461:                             ;   in Loop: Header=BB46_455 Depth=1
	s_or_b64 exec, exec, s[30:31]
	s_waitcnt lgkmcnt(0)
	v_readfirstlane_b32 s2, v8
	v_mov_b32_e32 v8, s2
	v_mad_u32_u24 v8, s36, v1, v8
.LBB46_462:                             ;   in Loop: Header=BB46_455 Depth=1
	s_or_b64 exec, exec, s[26:27]
	ds_bpermute_b32 v8, v23, v8
	s_cmp_eq_u64 vcc, 0
	s_cselect_b64 s[26:27], -1, 0
	s_mov_b64 s[30:31], -1
	s_mov_b64 s[34:35], -1
	s_waitcnt lgkmcnt(0)
	v_cmp_gt_u32_e64 s[2:3], s61, v8
	s_or_b64 s[26:27], s[26:27], s[2:3]
	v_cndmask_b32_e64 v5, v5, v7, s[26:27]
	s_and_b64 s[36:37], s[28:29], s[26:27]
	v_cndmask_b32_e64 v4, v4, v6, s[26:27]
	s_mov_b64 s[2:3], -1
	s_and_saveexec_b64 s[28:29], s[36:37]
	s_cbranch_execz .LBB46_468
; %bb.463:                              ;   in Loop: Header=BB46_455 Depth=1
	v_and_b32_e32 v4, vcc_lo, v16
	v_and_b32_e32 v1, vcc_hi, v17
	v_bcnt_u32_b32 v4, v4, 0
	v_bcnt_u32_b32 v1, v1, v4
	v_sub_u32_e32 v4, s61, v8
	v_cmp_le_u32_e64 s[30:31], v4, v1
	v_cmp_gt_u32_e32 vcc, v4, v1
	s_mov_b64 s[36:37], -1
	s_and_saveexec_b64 s[34:35], vcc
	s_cbranch_execz .LBB46_467
; %bb.464:                              ;   in Loop: Header=BB46_455 Depth=1
	v_add_u32_e32 v1, v8, v1
	v_cmp_gt_u32_e32 vcc, s61, v1
	s_mov_b64 s[38:39], s[30:31]
	s_and_saveexec_b64 s[36:37], vcc
	s_cbranch_execz .LBB46_466
; %bb.465:                              ;   in Loop: Header=BB46_455 Depth=1
	v_mul_lo_u32 v4, v1, s45
	v_mov_b32_e32 v5, v3
	v_lshlrev_b64 v[4:5], 3, v[4:5]
	v_mul_lo_u32 v12, v1, s46
	v_mov_b32_e32 v1, s42
	v_add_co_u32_e32 v4, vcc, s41, v4
	v_addc_co_u32_e32 v5, vcc, v1, v5, vcc
	v_mov_b32_e32 v13, v3
	global_store_dwordx2 v[4:5], v[10:11], off
	v_lshlrev_b64 v[4:5], 3, v[12:13]
	v_mov_b32_e32 v12, s44
	v_add_co_u32_e32 v4, vcc, s43, v4
	v_mov_b32_e32 v1, v3
	v_addc_co_u32_e32 v5, vcc, v12, v5, vcc
	s_or_b64 s[38:39], s[30:31], exec
	global_store_dwordx2 v[4:5], v[0:1], off
.LBB46_466:                             ;   in Loop: Header=BB46_455 Depth=1
	s_or_b64 exec, exec, s[36:37]
	s_andn2_b64 s[30:31], s[30:31], exec
	s_and_b64 s[38:39], s[38:39], exec
	s_xor_b64 s[36:37], exec, -1
	s_or_b64 s[30:31], s[30:31], s[38:39]
.LBB46_467:                             ;   in Loop: Header=BB46_455 Depth=1
	s_or_b64 exec, exec, s[34:35]
	s_orn2_b64 s[34:35], s[36:37], exec
	s_or_b64 s[26:27], s[26:27], exec
	s_orn2_b64 s[30:31], s[30:31], exec
	v_pk_mov_b32 v[4:5], v[6:7], v[6:7] op_sel:[0,1]
.LBB46_468:                             ;   in Loop: Header=BB46_455 Depth=1
	s_or_b64 exec, exec, s[28:29]
	s_and_saveexec_b64 s[28:29], s[30:31]
	s_cbranch_execz .LBB46_453
; %bb.469:                              ;   in Loop: Header=BB46_455 Depth=1
	s_xor_b64 s[2:3], s[26:27], -1
	v_add_u32_e32 v2, s72, v2
	s_or_b64 s[34:35], s[34:35], exec
	s_orn2_b64 s[2:3], s[2:3], exec
	s_branch .LBB46_453
.LBB46_470:
	s_or_b64 exec, exec, s[6:7]
	s_mov_b64 s[0:1], 0
	s_and_saveexec_b64 s[2:3], s[18:19]
	s_xor_b64 s[2:3], exec, s[2:3]
	s_cbranch_execnz .LBB46_476
.LBB46_471:
	s_or_b64 exec, exec, s[2:3]
	s_and_b64 s[2:3], s[0:1], exec
	s_andn2_b64 s[4:5], s[4:5], exec
	s_or_b64 exec, exec, s[8:9]
	s_and_saveexec_b64 s[0:1], s[4:5]
	s_xor_b64 s[0:1], exec, s[0:1]
	s_cbranch_execz .LBB46_427
.LBB46_472:
	s_or_b64 s[2:3], s[2:3], exec
	s_trap 2
	s_branch .LBB46_427
.LBB46_473:
	s_or_b64 s[14:15], s[14:15], exec
	s_trap 2
	s_branch .LBB46_433
.LBB46_474:
	s_or_b64 s[16:17], s[16:17], exec
	s_trap 2
	s_branch .LBB46_431
.LBB46_475:
	s_trap 2
	s_or_b64 s[18:19], s[18:19], exec
	s_branch .LBB46_429
.LBB46_476:
	s_mov_b64 s[0:1], exec
	s_trap 2
	s_branch .LBB46_471
	.section	.rodata,"a",@progbits
	.p2align	6, 0x0
	.amdhsa_kernel _ZN2at6native6sbtopk10gatherTopKIljLi2ELb0EEEvNS_4cuda6detail10TensorInfoIKT_T0_EES8_S8_bS8_S8_NS5_IS6_S8_EES8_NS5_IlS8_EES8_PS6_
		.amdhsa_group_segment_fixed_size 4112
		.amdhsa_private_segment_fixed_size 0
		.amdhsa_kernarg_size 952
		.amdhsa_user_sgpr_count 6
		.amdhsa_user_sgpr_private_segment_buffer 1
		.amdhsa_user_sgpr_dispatch_ptr 0
		.amdhsa_user_sgpr_queue_ptr 0
		.amdhsa_user_sgpr_kernarg_segment_ptr 1
		.amdhsa_user_sgpr_dispatch_id 0
		.amdhsa_user_sgpr_flat_scratch_init 0
		.amdhsa_user_sgpr_kernarg_preload_length 0
		.amdhsa_user_sgpr_kernarg_preload_offset 0
		.amdhsa_user_sgpr_private_segment_size 0
		.amdhsa_uses_dynamic_stack 0
		.amdhsa_system_sgpr_private_segment_wavefront_offset 0
		.amdhsa_system_sgpr_workgroup_id_x 1
		.amdhsa_system_sgpr_workgroup_id_y 1
		.amdhsa_system_sgpr_workgroup_id_z 1
		.amdhsa_system_sgpr_workgroup_info 0
		.amdhsa_system_vgpr_workitem_id 0
		.amdhsa_next_free_vgpr 60
		.amdhsa_next_free_sgpr 96
		.amdhsa_accum_offset 60
		.amdhsa_reserve_vcc 1
		.amdhsa_reserve_flat_scratch 0
		.amdhsa_float_round_mode_32 0
		.amdhsa_float_round_mode_16_64 0
		.amdhsa_float_denorm_mode_32 3
		.amdhsa_float_denorm_mode_16_64 3
		.amdhsa_dx10_clamp 1
		.amdhsa_ieee_mode 1
		.amdhsa_fp16_overflow 0
		.amdhsa_tg_split 0
		.amdhsa_exception_fp_ieee_invalid_op 0
		.amdhsa_exception_fp_denorm_src 0
		.amdhsa_exception_fp_ieee_div_zero 0
		.amdhsa_exception_fp_ieee_overflow 0
		.amdhsa_exception_fp_ieee_underflow 0
		.amdhsa_exception_fp_ieee_inexact 0
		.amdhsa_exception_int_div_zero 0
	.end_amdhsa_kernel
	.section	.text._ZN2at6native6sbtopk10gatherTopKIljLi2ELb0EEEvNS_4cuda6detail10TensorInfoIKT_T0_EES8_S8_bS8_S8_NS5_IS6_S8_EES8_NS5_IlS8_EES8_PS6_,"axG",@progbits,_ZN2at6native6sbtopk10gatherTopKIljLi2ELb0EEEvNS_4cuda6detail10TensorInfoIKT_T0_EES8_S8_bS8_S8_NS5_IS6_S8_EES8_NS5_IlS8_EES8_PS6_,comdat
.Lfunc_end46:
	.size	_ZN2at6native6sbtopk10gatherTopKIljLi2ELb0EEEvNS_4cuda6detail10TensorInfoIKT_T0_EES8_S8_bS8_S8_NS5_IS6_S8_EES8_NS5_IlS8_EES8_PS6_, .Lfunc_end46-_ZN2at6native6sbtopk10gatherTopKIljLi2ELb0EEEvNS_4cuda6detail10TensorInfoIKT_T0_EES8_S8_bS8_S8_NS5_IS6_S8_EES8_NS5_IlS8_EES8_PS6_
                                        ; -- End function
	.section	.AMDGPU.csdata,"",@progbits
; Kernel info:
; codeLenInByte = 16864
; NumSgprs: 100
; NumVgprs: 60
; NumAgprs: 0
; TotalNumVgprs: 60
; ScratchSize: 0
; MemoryBound: 0
; FloatMode: 240
; IeeeMode: 1
; LDSByteSize: 4112 bytes/workgroup (compile time only)
; SGPRBlocks: 12
; VGPRBlocks: 7
; NumSGPRsForWavesPerEU: 100
; NumVGPRsForWavesPerEU: 60
; AccumOffset: 60
; Occupancy: 8
; WaveLimiterHint : 1
; COMPUTE_PGM_RSRC2:SCRATCH_EN: 0
; COMPUTE_PGM_RSRC2:USER_SGPR: 6
; COMPUTE_PGM_RSRC2:TRAP_HANDLER: 0
; COMPUTE_PGM_RSRC2:TGID_X_EN: 1
; COMPUTE_PGM_RSRC2:TGID_Y_EN: 1
; COMPUTE_PGM_RSRC2:TGID_Z_EN: 1
; COMPUTE_PGM_RSRC2:TIDIG_COMP_CNT: 0
; COMPUTE_PGM_RSRC3_GFX90A:ACCUM_OFFSET: 14
; COMPUTE_PGM_RSRC3_GFX90A:TG_SPLIT: 0
	.section	.text._ZN2at6native6mbtopk23computeBlockDigitCountsIljmLi3EEEvNS_4cuda6detail10TensorInfoIKT_T0_EEjPjjS8_iijT1_PSB_Ps,"axG",@progbits,_ZN2at6native6mbtopk23computeBlockDigitCountsIljmLi3EEEvNS_4cuda6detail10TensorInfoIKT_T0_EEjPjjS8_iijT1_PSB_Ps,comdat
	.protected	_ZN2at6native6mbtopk23computeBlockDigitCountsIljmLi3EEEvNS_4cuda6detail10TensorInfoIKT_T0_EEjPjjS8_iijT1_PSB_Ps ; -- Begin function _ZN2at6native6mbtopk23computeBlockDigitCountsIljmLi3EEEvNS_4cuda6detail10TensorInfoIKT_T0_EEjPjjS8_iijT1_PSB_Ps
	.globl	_ZN2at6native6mbtopk23computeBlockDigitCountsIljmLi3EEEvNS_4cuda6detail10TensorInfoIKT_T0_EEjPjjS8_iijT1_PSB_Ps
	.p2align	8
	.type	_ZN2at6native6mbtopk23computeBlockDigitCountsIljmLi3EEEvNS_4cuda6detail10TensorInfoIKT_T0_EEjPjjS8_iijT1_PSB_Ps,@function
_ZN2at6native6mbtopk23computeBlockDigitCountsIljmLi3EEEvNS_4cuda6detail10TensorInfoIKT_T0_EEjPjjS8_iijT1_PSB_Ps: ; @_ZN2at6native6mbtopk23computeBlockDigitCountsIljmLi3EEEvNS_4cuda6detail10TensorInfoIKT_T0_EEjPjjS8_iijT1_PSB_Ps
; %bb.0:
	s_load_dword s21, s[4:5], 0xf8
	s_load_dwordx4 s[12:15], s[4:5], 0xe8
	s_load_dwordx2 s[0:1], s[4:5], 0x118
	s_mov_b32 s17, 0
	s_waitcnt lgkmcnt(0)
	v_cvt_f32_u32_e32 v1, s21
	s_sub_i32 s2, 0, s21
	s_mul_i32 s1, s1, s8
	s_add_i32 s1, s1, s7
	v_rcp_iflag_f32_e32 v1, v1
	s_mul_i32 s20, s1, s0
	s_add_i32 s20, s20, s6
	v_mul_f32_e32 v1, 0x4f7ffffe, v1
	v_cvt_u32_f32_e32 v1, v1
	v_readfirstlane_b32 s0, v1
	s_mul_i32 s2, s2, s0
	s_mul_hi_u32 s1, s0, s2
	s_add_i32 s0, s0, s1
	s_mul_hi_u32 s0, s20, s0
	s_mul_i32 s1, s0, s21
	s_sub_i32 s1, s20, s1
	s_add_i32 s2, s0, 1
	s_sub_i32 s3, s1, s21
	s_cmp_ge_u32 s1, s21
	s_cselect_b32 s0, s2, s0
	s_cselect_b32 s1, s3, s1
	s_add_i32 s2, s0, 1
	s_cmp_ge_u32 s1, s21
	s_cselect_b32 s16, s2, s0
	s_cmp_ge_u32 s16, s12
	s_cbranch_scc1 .LBB47_29
; %bb.1:
	s_load_dwordx2 s[0:1], s[4:5], 0xc
	s_load_dwordx4 s[8:11], s[4:5], 0x100
	s_load_dwordx2 s[2:3], s[4:5], 0x110
	s_lshl_b64 s[6:7], s[16:17], 3
	s_waitcnt lgkmcnt(0)
	s_add_u32 s18, s10, s6
	v_cvt_f32_u32_e32 v1, s1
	v_cvt_f32_u32_e32 v2, s0
	s_addc_u32 s19, s11, s7
	s_sub_i32 s6, 0, s1
	v_rcp_iflag_f32_e32 v1, v1
	v_rcp_iflag_f32_e32 v2, v2
	v_mul_f32_e32 v1, 0x4f7ffffe, v1
	v_cvt_u32_f32_e32 v1, v1
	v_mul_f32_e32 v2, 0x4f7ffffe, v2
	v_cvt_u32_f32_e32 v2, v2
	v_readfirstlane_b32 s7, v1
	s_mul_i32 s6, s6, s7
	s_mul_hi_u32 s6, s7, s6
	s_add_i32 s7, s7, s6
	s_mul_hi_u32 s6, s16, s7
	s_mul_i32 s7, s6, s1
	s_sub_i32 s7, s16, s7
	s_add_i32 s10, s6, 1
	s_sub_i32 s11, s7, s1
	s_cmp_ge_u32 s7, s1
	s_cselect_b32 s6, s10, s6
	s_cselect_b32 s7, s11, s7
	s_add_i32 s10, s6, 1
	s_cmp_ge_u32 s7, s1
	s_cselect_b32 s10, s10, s6
	s_movk_i32 s6, 0x100
	v_readfirstlane_b32 s22, v2
	v_cmp_gt_u32_e32 vcc, s6, v0
	v_lshlrev_b32_e32 v1, 2, v0
	s_and_saveexec_b64 s[6:7], vcc
	s_cbranch_execz .LBB47_3
; %bb.2:
	v_mov_b32_e32 v2, 0
	ds_write_b32 v1, v2
.LBB47_3:
	s_or_b64 exec, exec, s[6:7]
	s_load_dword s12, s[4:5], 0xd8
	s_mul_i32 s6, s16, s21
	s_sub_i32 s6, s20, s6
	s_add_i32 s7, s6, 1
	s_mul_i32 s6, s15, s6
	s_lshl_b32 s17, s6, 8
	s_waitcnt lgkmcnt(0)
	s_sub_i32 s6, s12, s17
	s_add_u32 s6, s6, 0xff
	s_addc_u32 s11, 0, 0
	v_mov_b32_e32 v2, s6
	v_alignbit_b32 v2, s11, v2, 8
	s_cmp_lt_u32 s7, s21
	v_readfirstlane_b32 s6, v2
	s_cselect_b32 s21, s15, s6
	s_cmp_lt_i32 s21, 1
	s_mov_b32 s11, 0
	s_barrier
	s_cbranch_scc1 .LBB47_25
; %bb.4:
	s_sub_i32 s6, 0, s0
	s_mul_i32 s6, s6, s22
	s_mul_hi_u32 s6, s22, s6
	s_add_i32 s15, s22, s6
	s_load_dwordx4 s[24:27], s[4:5], 0x6c
	s_load_dwordx2 s[22:23], s[4:5], 0x0
	s_load_dwordx2 s[6:7], s[18:19], 0x0
	s_mul_hi_u32 s4, s10, s15
	s_mul_i32 s5, s4, s0
	s_mul_i32 s1, s10, s1
	s_sub_i32 s5, s10, s5
	s_sub_i32 s1, s16, s1
	s_add_i32 s15, s4, 1
	s_sub_i32 s16, s5, s0
	s_cmp_ge_u32 s5, s0
	s_cselect_b32 s4, s15, s4
	s_cselect_b32 s5, s16, s5
	s_add_i32 s15, s4, 1
	s_cmp_ge_u32 s5, s0
	s_cselect_b32 s4, s15, s4
	s_mul_i32 s0, s4, s0
	s_sub_i32 s0, s10, s0
	s_waitcnt lgkmcnt(0)
	s_mul_i32 s1, s1, s26
	s_mul_i32 s0, s0, s25
	s_add_i32 s0, s0, s1
	s_mul_i32 s4, s4, s24
	s_add_i32 s10, s0, s4
	s_lshl_b64 s[0:1], s[10:11], 3
	s_add_u32 s10, s22, s0
	s_addc_u32 s15, s23, s1
	s_and_b32 s14, s14, 0xff
	s_cmp_lt_u32 s21, 4
	s_cbranch_scc1 .LBB47_19
; %bb.5:
	v_add_u32_e32 v2, s17, v0
	v_add_u32_e32 v3, 0x200, v2
	;; [unrolled: 1-line block ×3, first 2 shown]
	v_mul_lo_u32 v8, s13, v3
	v_add_u32_e32 v3, 0x100, v2
	s_and_b32 s11, s21, 0x7ffffffc
	v_mul_lo_u32 v7, s13, v6
	s_lshl_b32 s16, s13, 10
	v_mul_lo_u32 v9, s13, v3
	v_mul_lo_u32 v10, s13, v2
	s_mov_b32 s18, 0
	v_mov_b32_e32 v3, 0
	v_mov_b32_e32 v11, 1
	v_mov_b32_e32 v12, 2
	s_mov_b32 s19, 0
	s_branch .LBB47_7
.LBB47_6:                               ;   in Loop: Header=BB47_7 Depth=1
	s_or_b64 exec, exec, s[4:5]
	s_add_i32 s19, s19, 4
	s_add_i32 s18, s18, s16
	s_cmp_eq_u32 s11, s19
	v_add_u32_e32 v6, 0x400, v6
	s_cbranch_scc1 .LBB47_19
.LBB47_7:                               ; =>This Inner Loop Header: Depth=1
	v_add_u32_e32 v2, 0xfffffd00, v6
	v_cmp_gt_u32_e64 s[0:1], s12, v2
	s_and_saveexec_b64 s[4:5], s[0:1]
	s_cbranch_execz .LBB47_10
; %bb.8:                                ;   in Loop: Header=BB47_7 Depth=1
	v_add_u32_e32 v2, s18, v10
	v_lshlrev_b64 v[4:5], 3, v[2:3]
	v_mov_b32_e32 v2, s15
	v_add_co_u32_e64 v4, s[0:1], s10, v4
	v_addc_co_u32_e64 v5, s[0:1], v2, v5, s[0:1]
	global_load_dwordx2 v[4:5], v[4:5], off
	s_waitcnt vmcnt(0)
	v_xor_b32_e32 v5, 0x80000000, v5
	v_xor_b32_e32 v2, s6, v4
	v_xor_b32_e32 v13, s7, v5
	v_and_b32_e32 v15, s9, v13
	v_and_b32_e32 v14, s8, v2
	v_cmp_eq_u64_e64 s[0:1], 0, v[14:15]
	s_and_b64 exec, exec, s[0:1]
	s_cbranch_execz .LBB47_10
; %bb.9:                                ;   in Loop: Header=BB47_7 Depth=1
	v_lshrrev_b64 v[4:5], s14, v[4:5]
	v_lshlrev_b32_sdwa v2, v12, v4 dst_sel:DWORD dst_unused:UNUSED_PAD src0_sel:DWORD src1_sel:BYTE_0
	ds_add_u32 v2, v11
.LBB47_10:                              ;   in Loop: Header=BB47_7 Depth=1
	s_or_b64 exec, exec, s[4:5]
	v_add_u32_e32 v2, 0xfffffe00, v6
	v_cmp_gt_u32_e64 s[0:1], s12, v2
	s_and_saveexec_b64 s[4:5], s[0:1]
	s_cbranch_execz .LBB47_13
; %bb.11:                               ;   in Loop: Header=BB47_7 Depth=1
	v_add_u32_e32 v2, s18, v9
	v_lshlrev_b64 v[4:5], 3, v[2:3]
	v_mov_b32_e32 v2, s15
	v_add_co_u32_e64 v4, s[0:1], s10, v4
	v_addc_co_u32_e64 v5, s[0:1], v2, v5, s[0:1]
	global_load_dwordx2 v[4:5], v[4:5], off
	s_waitcnt vmcnt(0)
	v_xor_b32_e32 v5, 0x80000000, v5
	v_xor_b32_e32 v2, s6, v4
	;; [unrolled: 1-line block ×3, first 2 shown]
	v_and_b32_e32 v15, s9, v13
	v_and_b32_e32 v14, s8, v2
	v_cmp_eq_u64_e64 s[0:1], 0, v[14:15]
	s_and_b64 exec, exec, s[0:1]
	s_cbranch_execz .LBB47_13
; %bb.12:                               ;   in Loop: Header=BB47_7 Depth=1
	v_lshrrev_b64 v[4:5], s14, v[4:5]
	v_lshlrev_b32_sdwa v2, v12, v4 dst_sel:DWORD dst_unused:UNUSED_PAD src0_sel:DWORD src1_sel:BYTE_0
	ds_add_u32 v2, v11
.LBB47_13:                              ;   in Loop: Header=BB47_7 Depth=1
	s_or_b64 exec, exec, s[4:5]
	v_add_u32_e32 v2, 0xffffff00, v6
	v_cmp_gt_u32_e64 s[0:1], s12, v2
	s_and_saveexec_b64 s[4:5], s[0:1]
	s_cbranch_execz .LBB47_16
; %bb.14:                               ;   in Loop: Header=BB47_7 Depth=1
	v_add_u32_e32 v2, s18, v8
	v_lshlrev_b64 v[4:5], 3, v[2:3]
	v_mov_b32_e32 v2, s15
	v_add_co_u32_e64 v4, s[0:1], s10, v4
	v_addc_co_u32_e64 v5, s[0:1], v2, v5, s[0:1]
	global_load_dwordx2 v[4:5], v[4:5], off
	s_waitcnt vmcnt(0)
	v_xor_b32_e32 v5, 0x80000000, v5
	v_xor_b32_e32 v2, s6, v4
	;; [unrolled: 1-line block ×3, first 2 shown]
	v_and_b32_e32 v15, s9, v13
	v_and_b32_e32 v14, s8, v2
	v_cmp_eq_u64_e64 s[0:1], 0, v[14:15]
	s_and_b64 exec, exec, s[0:1]
	s_cbranch_execz .LBB47_16
; %bb.15:                               ;   in Loop: Header=BB47_7 Depth=1
	v_lshrrev_b64 v[4:5], s14, v[4:5]
	v_lshlrev_b32_sdwa v2, v12, v4 dst_sel:DWORD dst_unused:UNUSED_PAD src0_sel:DWORD src1_sel:BYTE_0
	ds_add_u32 v2, v11
.LBB47_16:                              ;   in Loop: Header=BB47_7 Depth=1
	s_or_b64 exec, exec, s[4:5]
	v_cmp_gt_u32_e64 s[0:1], s12, v6
	s_and_saveexec_b64 s[4:5], s[0:1]
	s_cbranch_execz .LBB47_6
; %bb.17:                               ;   in Loop: Header=BB47_7 Depth=1
	v_add_u32_e32 v2, s18, v7
	v_lshlrev_b64 v[4:5], 3, v[2:3]
	v_mov_b32_e32 v2, s15
	v_add_co_u32_e64 v4, s[0:1], s10, v4
	v_addc_co_u32_e64 v5, s[0:1], v2, v5, s[0:1]
	global_load_dwordx2 v[4:5], v[4:5], off
	s_waitcnt vmcnt(0)
	v_xor_b32_e32 v5, 0x80000000, v5
	v_xor_b32_e32 v2, s6, v4
	;; [unrolled: 1-line block ×3, first 2 shown]
	v_and_b32_e32 v15, s9, v13
	v_and_b32_e32 v14, s8, v2
	v_cmp_eq_u64_e64 s[0:1], 0, v[14:15]
	s_and_b64 exec, exec, s[0:1]
	s_cbranch_execz .LBB47_6
; %bb.18:                               ;   in Loop: Header=BB47_7 Depth=1
	v_lshrrev_b64 v[4:5], s14, v[4:5]
	v_lshlrev_b32_sdwa v2, v12, v4 dst_sel:DWORD dst_unused:UNUSED_PAD src0_sel:DWORD src1_sel:BYTE_0
	ds_add_u32 v2, v11
	s_branch .LBB47_6
.LBB47_19:
	s_and_b32 s16, s21, 3
	s_cmp_eq_u32 s16, 0
	s_cbranch_scc1 .LBB47_25
; %bb.20:
	s_lshl_b32 s0, s11, 8
	s_add_i32 s0, s0, s17
	v_add_u32_e32 v6, s0, v0
	v_mul_lo_u32 v2, s13, v6
	s_lshl_b32 s11, s13, 8
	v_mov_b32_e32 v3, 0
	v_mov_b32_e32 v7, 1
	;; [unrolled: 1-line block ×3, first 2 shown]
	s_branch .LBB47_22
.LBB47_21:                              ;   in Loop: Header=BB47_22 Depth=1
	s_or_b64 exec, exec, s[4:5]
	s_add_i32 s16, s16, -1
	v_add_u32_e32 v2, s11, v2
	s_cmp_lg_u32 s16, 0
	v_add_u32_e32 v6, 0x100, v6
	s_cbranch_scc0 .LBB47_25
.LBB47_22:                              ; =>This Inner Loop Header: Depth=1
	v_cmp_gt_u32_e64 s[0:1], s12, v6
	s_and_saveexec_b64 s[4:5], s[0:1]
	s_cbranch_execz .LBB47_21
; %bb.23:                               ;   in Loop: Header=BB47_22 Depth=1
	v_lshlrev_b64 v[4:5], 3, v[2:3]
	v_mov_b32_e32 v9, s15
	v_add_co_u32_e64 v4, s[0:1], s10, v4
	v_addc_co_u32_e64 v5, s[0:1], v9, v5, s[0:1]
	global_load_dwordx2 v[4:5], v[4:5], off
	s_waitcnt vmcnt(0)
	v_xor_b32_e32 v5, 0x80000000, v5
	v_xor_b32_e32 v9, s6, v4
	v_xor_b32_e32 v10, s7, v5
	v_and_b32_e32 v11, s9, v10
	v_and_b32_e32 v10, s8, v9
	v_cmp_eq_u64_e64 s[0:1], 0, v[10:11]
	s_and_b64 exec, exec, s[0:1]
	s_cbranch_execz .LBB47_21
; %bb.24:                               ;   in Loop: Header=BB47_22 Depth=1
	v_lshrrev_b64 v[4:5], s14, v[4:5]
	v_lshlrev_b32_sdwa v4, v8, v4 dst_sel:DWORD dst_unused:UNUSED_PAD src0_sel:DWORD src1_sel:BYTE_0
	ds_add_u32 v4, v7
	s_branch .LBB47_21
.LBB47_25:
	v_mov_b32_e32 v2, 0
	s_waitcnt lgkmcnt(0)
	s_barrier
	s_and_saveexec_b64 s[0:1], vcc
	s_cbranch_execz .LBB47_27
; %bb.26:
	ds_read_b32 v2, v1
.LBB47_27:
	s_or_b64 exec, exec, s[0:1]
	s_and_saveexec_b64 s[0:1], vcc
	s_cbranch_execz .LBB47_29
; %bb.28:
	v_lshl_or_b32 v0, s20, 8, v0
	v_mov_b32_e32 v1, 0
	v_lshlrev_b64 v[0:1], 1, v[0:1]
	v_mov_b32_e32 v3, s3
	v_add_co_u32_e32 v0, vcc, s2, v0
	v_addc_co_u32_e32 v1, vcc, v3, v1, vcc
	s_waitcnt lgkmcnt(0)
	global_store_short v[0:1], v2, off
.LBB47_29:
	s_endpgm
	.section	.rodata,"a",@progbits
	.p2align	6, 0x0
	.amdhsa_kernel _ZN2at6native6mbtopk23computeBlockDigitCountsIljmLi3EEEvNS_4cuda6detail10TensorInfoIKT_T0_EEjPjjS8_iijT1_PSB_Ps
		.amdhsa_group_segment_fixed_size 1024
		.amdhsa_private_segment_fixed_size 0
		.amdhsa_kernarg_size 536
		.amdhsa_user_sgpr_count 6
		.amdhsa_user_sgpr_private_segment_buffer 1
		.amdhsa_user_sgpr_dispatch_ptr 0
		.amdhsa_user_sgpr_queue_ptr 0
		.amdhsa_user_sgpr_kernarg_segment_ptr 1
		.amdhsa_user_sgpr_dispatch_id 0
		.amdhsa_user_sgpr_flat_scratch_init 0
		.amdhsa_user_sgpr_kernarg_preload_length 0
		.amdhsa_user_sgpr_kernarg_preload_offset 0
		.amdhsa_user_sgpr_private_segment_size 0
		.amdhsa_uses_dynamic_stack 0
		.amdhsa_system_sgpr_private_segment_wavefront_offset 0
		.amdhsa_system_sgpr_workgroup_id_x 1
		.amdhsa_system_sgpr_workgroup_id_y 1
		.amdhsa_system_sgpr_workgroup_id_z 1
		.amdhsa_system_sgpr_workgroup_info 0
		.amdhsa_system_vgpr_workitem_id 0
		.amdhsa_next_free_vgpr 16
		.amdhsa_next_free_sgpr 28
		.amdhsa_accum_offset 16
		.amdhsa_reserve_vcc 1
		.amdhsa_reserve_flat_scratch 0
		.amdhsa_float_round_mode_32 0
		.amdhsa_float_round_mode_16_64 0
		.amdhsa_float_denorm_mode_32 3
		.amdhsa_float_denorm_mode_16_64 3
		.amdhsa_dx10_clamp 1
		.amdhsa_ieee_mode 1
		.amdhsa_fp16_overflow 0
		.amdhsa_tg_split 0
		.amdhsa_exception_fp_ieee_invalid_op 0
		.amdhsa_exception_fp_denorm_src 0
		.amdhsa_exception_fp_ieee_div_zero 0
		.amdhsa_exception_fp_ieee_overflow 0
		.amdhsa_exception_fp_ieee_underflow 0
		.amdhsa_exception_fp_ieee_inexact 0
		.amdhsa_exception_int_div_zero 0
	.end_amdhsa_kernel
	.section	.text._ZN2at6native6mbtopk23computeBlockDigitCountsIljmLi3EEEvNS_4cuda6detail10TensorInfoIKT_T0_EEjPjjS8_iijT1_PSB_Ps,"axG",@progbits,_ZN2at6native6mbtopk23computeBlockDigitCountsIljmLi3EEEvNS_4cuda6detail10TensorInfoIKT_T0_EEjPjjS8_iijT1_PSB_Ps,comdat
.Lfunc_end47:
	.size	_ZN2at6native6mbtopk23computeBlockDigitCountsIljmLi3EEEvNS_4cuda6detail10TensorInfoIKT_T0_EEjPjjS8_iijT1_PSB_Ps, .Lfunc_end47-_ZN2at6native6mbtopk23computeBlockDigitCountsIljmLi3EEEvNS_4cuda6detail10TensorInfoIKT_T0_EEjPjjS8_iijT1_PSB_Ps
                                        ; -- End function
	.section	.AMDGPU.csdata,"",@progbits
; Kernel info:
; codeLenInByte = 1516
; NumSgprs: 32
; NumVgprs: 16
; NumAgprs: 0
; TotalNumVgprs: 16
; ScratchSize: 0
; MemoryBound: 0
; FloatMode: 240
; IeeeMode: 1
; LDSByteSize: 1024 bytes/workgroup (compile time only)
; SGPRBlocks: 3
; VGPRBlocks: 1
; NumSGPRsForWavesPerEU: 32
; NumVGPRsForWavesPerEU: 16
; AccumOffset: 16
; Occupancy: 8
; WaveLimiterHint : 1
; COMPUTE_PGM_RSRC2:SCRATCH_EN: 0
; COMPUTE_PGM_RSRC2:USER_SGPR: 6
; COMPUTE_PGM_RSRC2:TRAP_HANDLER: 0
; COMPUTE_PGM_RSRC2:TGID_X_EN: 1
; COMPUTE_PGM_RSRC2:TGID_Y_EN: 1
; COMPUTE_PGM_RSRC2:TGID_Z_EN: 1
; COMPUTE_PGM_RSRC2:TIDIG_COMP_CNT: 0
; COMPUTE_PGM_RSRC3_GFX90A:ACCUM_OFFSET: 3
; COMPUTE_PGM_RSRC3_GFX90A:TG_SPLIT: 0
	.section	.text._ZN2at6native6mbtopk10gatherTopKIljLi3EEEvNS_4cuda6detail10TensorInfoIKT_T0_EES8_S8_bjS8_NS5_IS6_S8_EES8_NS5_IlS8_EES8_jjPS6_PjSD_j,"axG",@progbits,_ZN2at6native6mbtopk10gatherTopKIljLi3EEEvNS_4cuda6detail10TensorInfoIKT_T0_EES8_S8_bjS8_NS5_IS6_S8_EES8_NS5_IlS8_EES8_jjPS6_PjSD_j,comdat
	.protected	_ZN2at6native6mbtopk10gatherTopKIljLi3EEEvNS_4cuda6detail10TensorInfoIKT_T0_EES8_S8_bjS8_NS5_IS6_S8_EES8_NS5_IlS8_EES8_jjPS6_PjSD_j ; -- Begin function _ZN2at6native6mbtopk10gatherTopKIljLi3EEEvNS_4cuda6detail10TensorInfoIKT_T0_EES8_S8_bjS8_NS5_IS6_S8_EES8_NS5_IlS8_EES8_jjPS6_PjSD_j
	.globl	_ZN2at6native6mbtopk10gatherTopKIljLi3EEEvNS_4cuda6detail10TensorInfoIKT_T0_EES8_S8_bjS8_NS5_IS6_S8_EES8_NS5_IlS8_EES8_jjPS6_PjSD_j
	.p2align	8
	.type	_ZN2at6native6mbtopk10gatherTopKIljLi3EEEvNS_4cuda6detail10TensorInfoIKT_T0_EES8_S8_bjS8_NS5_IS6_S8_EES8_NS5_IlS8_EES8_jjPS6_PjSD_j,@function
_ZN2at6native6mbtopk10gatherTopKIljLi3EEEvNS_4cuda6detail10TensorInfoIKT_T0_EES8_S8_bjS8_NS5_IS6_S8_EES8_NS5_IlS8_EES8_jjPS6_PjSD_j: ; @_ZN2at6native6mbtopk10gatherTopKIljLi3EEEvNS_4cuda6detail10TensorInfoIKT_T0_EES8_S8_bjS8_NS5_IS6_S8_EES8_NS5_IlS8_EES8_jjPS6_PjSD_j
; %bb.0:
	s_load_dwordx2 s[0:1], s[4:5], 0x2d8
	s_load_dword s2, s[4:5], 0x2d0
	s_waitcnt lgkmcnt(0)
	s_mul_i32 s1, s1, s8
	s_add_i32 s1, s1, s7
	s_mul_i32 s0, s1, s0
	s_add_i32 s0, s0, s6
	s_cmp_ge_u32 s0, s2
	s_cbranch_scc1 .LBB48_40
; %bb.1:
	s_load_dwordx8 s[8:15], s[4:5], 0x2a8
	s_load_dwordx4 s[16:19], s[4:5], 0x23c
	s_load_dwordx2 s[40:41], s[4:5], 0x1dc
	s_load_dwordx2 s[6:7], s[4:5], 0x1d0
	s_load_dwordx4 s[20:23], s[4:5], 0x15c
	s_load_dwordx2 s[42:43], s[4:5], 0xfc
	s_load_dwordx2 s[36:37], s[4:5], 0xf0
	;; [unrolled: 3-line block ×3, first 2 shown]
	s_mov_b32 s45, 0
	s_waitcnt lgkmcnt(0)
	v_cvt_f32_u32_e32 v1, s10
	s_sub_i32 s1, 0, s10
	v_cvt_f32_u32_e32 v2, s47
	v_rcp_iflag_f32_e32 v1, v1
	v_mul_f32_e32 v1, 0x4f7ffffe, v1
	v_cvt_u32_f32_e32 v1, v1
	v_readfirstlane_b32 s2, v1
	s_mul_i32 s1, s1, s2
	s_mul_hi_u32 s1, s2, s1
	s_add_i32 s2, s2, s1
	v_rcp_iflag_f32_e32 v1, v2
	s_mul_hi_u32 s1, s0, s2
	s_mul_i32 s2, s1, s10
	s_sub_i32 s2, s0, s2
	s_add_i32 s3, s1, 1
	s_sub_i32 s11, s2, s10
	v_mul_f32_e32 v1, 0x4f7ffffe, v1
	s_cmp_ge_u32 s2, s10
	v_cvt_u32_f32_e32 v1, v1
	s_cselect_b32 s1, s3, s1
	s_cselect_b32 s2, s11, s2
	s_add_i32 s3, s1, 1
	s_cmp_ge_u32 s2, s10
	s_cselect_b32 s44, s3, s1
	v_readfirstlane_b32 s1, v1
	v_cvt_f32_u32_e32 v1, s46
	s_mul_i32 s28, s44, s10
	s_sub_i32 s11, s0, s28
	s_sub_i32 s0, 0, s47
	s_mul_i32 s0, s0, s1
	s_mul_hi_u32 s0, s1, s0
	v_rcp_iflag_f32_e32 v1, v1
	s_add_i32 s1, s1, s0
	v_cvt_f32_u32_e32 v2, s43
	s_mul_hi_u32 s0, s44, s1
	s_mul_i32 s1, s0, s47
	s_sub_i32 s1, s44, s1
	v_mul_f32_e32 v1, 0x4f7ffffe, v1
	s_add_i32 s2, s0, 1
	s_sub_i32 s3, s1, s47
	v_cvt_u32_f32_e32 v1, v1
	v_rcp_iflag_f32_e32 v2, v2
	s_cmp_ge_u32 s1, s47
	s_cselect_b32 s0, s2, s0
	s_cselect_b32 s1, s3, s1
	s_add_i32 s2, s0, 1
	s_cmp_ge_u32 s1, s47
	v_readfirstlane_b32 s1, v1
	v_mul_f32_e32 v1, 0x4f7ffffe, v2
	s_cselect_b32 s19, s2, s0
	s_sub_i32 s0, 0, s46
	v_cvt_u32_f32_e32 v1, v1
	s_mul_i32 s0, s0, s1
	s_mul_hi_u32 s0, s1, s0
	s_add_i32 s1, s1, s0
	s_mul_hi_u32 s23, s19, s1
	v_readfirstlane_b32 s1, v1
	v_cvt_f32_u32_e32 v1, s42
	s_sub_i32 s0, 0, s43
	s_mul_i32 s0, s0, s1
	s_mul_hi_u32 s0, s1, s0
	v_rcp_iflag_f32_e32 v1, v1
	s_add_i32 s1, s1, s0
	v_cvt_f32_u32_e32 v2, s41
	s_mul_hi_u32 s0, s44, s1
	s_mul_i32 s1, s0, s43
	s_sub_i32 s1, s44, s1
	v_mul_f32_e32 v1, 0x4f7ffffe, v1
	s_add_i32 s2, s0, 1
	s_sub_i32 s3, s1, s43
	v_cvt_u32_f32_e32 v1, v1
	v_rcp_iflag_f32_e32 v2, v2
	s_cmp_ge_u32 s1, s43
	s_cselect_b32 s0, s2, s0
	s_cselect_b32 s1, s3, s1
	s_add_i32 s2, s0, 1
	s_cmp_ge_u32 s1, s43
	v_readfirstlane_b32 s1, v1
	v_mul_f32_e32 v1, 0x4f7ffffe, v2
	v_cvt_u32_f32_e32 v1, v1
	s_cselect_b32 s27, s2, s0
	s_sub_i32 s0, 0, s42
	s_mul_i32 s0, s0, s1
	s_mul_hi_u32 s0, s1, s0
	s_add_i32 s2, s1, s0
	v_readfirstlane_b32 s1, v1
	v_cvt_f32_u32_e32 v1, s40
	s_sub_i32 s0, 0, s41
	s_mul_i32 s0, s0, s1
	s_mul_hi_u32 s0, s1, s0
	s_add_i32 s1, s1, s0
	v_rcp_iflag_f32_e32 v1, v1
	s_mul_hi_u32 s0, s44, s1
	s_mul_i32 s1, s0, s41
	s_sub_i32 s1, s44, s1
	s_add_i32 s3, s0, 1
	s_sub_i32 s29, s1, s41
	v_mul_f32_e32 v1, 0x4f7ffffe, v1
	s_cmp_ge_u32 s1, s41
	v_cvt_u32_f32_e32 v1, v1
	s_cselect_b32 s0, s3, s0
	s_cselect_b32 s1, s29, s1
	s_add_i32 s3, s0, 1
	s_cmp_ge_u32 s1, s41
	s_cselect_b32 s33, s3, s0
	s_sub_i32 s0, 0, s40
	v_readfirstlane_b32 s1, v1
	s_mul_i32 s0, s0, s1
	s_mul_hi_u32 s0, s1, s0
	s_add_i32 s3, s1, s0
	s_lshl_b64 s[0:1], s[44:45], 3
	s_add_u32 s0, s12, s0
	s_addc_u32 s1, s13, s1
	s_load_dwordx2 s[34:35], s[0:1], 0x0
	s_mul_hi_u32 s55, s27, s2
	s_mul_hi_u32 s54, s33, s3
	v_cmp_ne_u32_e64 s[0:1], 0, v0
	v_cmp_eq_u32_e64 s[2:3], 0, v0
	s_and_saveexec_b64 s[12:13], s[2:3]
	s_cbranch_execz .LBB48_17
; %bb.2:
	s_load_dwordx2 s[48:49], s[4:5], 0x2c8
	s_mov_b32 s29, s45
	s_lshl_b64 s[50:51], s[28:29], 2
	s_add_u32 s28, s14, s50
	s_addc_u32 s29, s15, s51
	s_waitcnt lgkmcnt(0)
	s_add_u32 s30, s48, s50
	s_addc_u32 s31, s49, s51
	s_cmp_lt_u32 s10, 4
	s_cbranch_scc1 .LBB48_14
; %bb.3:
	s_mov_b32 s56, s45
	s_mov_b32 s57, s45
	;; [unrolled: 1-line block ×3, first 2 shown]
.LBB48_4:                               ; =>This Inner Loop Header: Depth=1
	s_add_u32 s28, s14, s50
	s_addc_u32 s29, s15, s51
	s_load_dwordx4 s[28:31], s[28:29], 0x0
	s_add_u32 s52, s48, s50
	s_addc_u32 s53, s49, s51
	s_cmp_ge_u32 s58, s11
	s_cbranch_scc0 .LBB48_11
; %bb.5:                                ;   in Loop: Header=BB48_4 Depth=1
	s_add_i32 s59, s58, 1
	s_cmp_ge_u32 s59, s11
	s_cbranch_scc0 .LBB48_12
.LBB48_6:                               ;   in Loop: Header=BB48_4 Depth=1
	s_add_i32 s59, s59, 1
	s_cmp_ge_u32 s59, s11
	s_cbranch_scc0 .LBB48_13
.LBB48_7:                               ;   in Loop: Header=BB48_4 Depth=1
	s_add_i32 s59, s59, 1
	s_cmp_ge_u32 s59, s11
	s_cbranch_scc1 .LBB48_9
.LBB48_8:                               ;   in Loop: Header=BB48_4 Depth=1
	s_load_dword s52, s[52:53], 0xc
	s_waitcnt lgkmcnt(0)
	s_add_i32 s45, s45, s31
	s_add_i32 s56, s52, s56
.LBB48_9:                               ;   in Loop: Header=BB48_4 Depth=1
	s_waitcnt lgkmcnt(0)
	s_add_i32 s28, s28, s57
	s_add_i32 s28, s28, s29
	;; [unrolled: 1-line block ×4, first 2 shown]
	s_add_u32 s14, s14, 16
	s_addc_u32 s15, s15, 0
	s_add_u32 s48, s48, 16
	s_addc_u32 s49, s49, 0
	s_add_i32 s53, s59, 4
	s_add_u32 s30, s48, s50
	s_addc_u32 s31, s49, s51
	s_add_u32 s28, s14, s50
	s_addc_u32 s29, s15, s51
	s_add_i32 s52, s59, 1
	s_cmp_ge_u32 s53, s10
	s_cbranch_scc1 .LBB48_15
; %bb.10:                               ;   in Loop: Header=BB48_4 Depth=1
	s_mov_b32 s58, s52
	s_branch .LBB48_4
.LBB48_11:                              ;   in Loop: Header=BB48_4 Depth=1
	s_load_dword s59, s[52:53], 0x0
	s_waitcnt lgkmcnt(0)
	s_add_i32 s45, s28, s45
	s_add_i32 s56, s59, s56
	;; [unrolled: 1-line block ×3, first 2 shown]
	s_cmp_ge_u32 s59, s11
	s_cbranch_scc1 .LBB48_6
.LBB48_12:                              ;   in Loop: Header=BB48_4 Depth=1
	s_load_dword s60, s[52:53], 0x4
	s_waitcnt lgkmcnt(0)
	s_add_i32 s45, s45, s29
	s_add_i32 s56, s60, s56
	;; [unrolled: 1-line block ×3, first 2 shown]
	s_cmp_ge_u32 s59, s11
	s_cbranch_scc1 .LBB48_7
.LBB48_13:                              ;   in Loop: Header=BB48_4 Depth=1
	s_load_dword s60, s[52:53], 0x8
	s_waitcnt lgkmcnt(0)
	s_add_i32 s45, s45, s30
	s_add_i32 s56, s60, s56
	;; [unrolled: 1-line block ×3, first 2 shown]
	s_cmp_ge_u32 s59, s11
	s_cbranch_scc0 .LBB48_8
	s_branch .LBB48_9
.LBB48_14:
	s_mov_b32 s56, 0
	s_mov_b32 s57, 0
	;; [unrolled: 1-line block ×3, first 2 shown]
	s_cmp_ge_u32 s14, s10
	s_cbranch_scc0 .LBB48_38
	s_branch .LBB48_16
.LBB48_15:
	s_add_i32 s14, s58, 4
	s_cmp_ge_u32 s14, s10
	s_cbranch_scc0 .LBB48_38
.LBB48_16:
	v_mov_b32_e32 v2, s56
	v_mov_b32_e32 v3, s57
	v_mov_b32_e32 v4, s45
	v_mov_b32_e32 v1, 0
	ds_write_b96 v1, v[2:4] offset:1056
.LBB48_17:
	s_or_b64 exec, exec, s[12:13]
	s_load_dwordx4 s[12:15], s[4:5], 0xd8
	s_waitcnt lgkmcnt(0)
	s_mul_i32 s15, s9, s11
	s_lshl_b32 s15, s15, 8
	s_add_i32 s28, s11, 1
	s_mov_b32 s11, 0
	s_sub_i32 s29, s12, s15
	s_add_u32 s29, s29, 0xff
	s_addc_u32 s30, 0, 0
	v_mov_b32_e32 v1, s29
	v_alignbit_b32 v1, s30, v1, 8
	s_cmp_lt_u32 s28, s10
	v_readfirstlane_b32 s10, v1
	s_cselect_b32 s9, s9, s10
	s_cmp_eq_u32 s9, 0
	s_barrier
	s_cbranch_scc1 .LBB48_40
; %bb.18:
	s_mul_i32 s10, s19, s47
	s_sub_i32 s10, s44, s10
	s_mul_i32 s10, s10, s26
	s_mul_i32 s26, s23, s46
	s_sub_i32 s26, s19, s26
	s_add_i32 s28, s23, 1
	s_sub_i32 s29, s26, s46
	s_cmp_ge_u32 s26, s46
	s_cselect_b32 s23, s28, s23
	s_cselect_b32 s26, s29, s26
	s_add_i32 s28, s23, 1
	s_cmp_ge_u32 s26, s46
	s_cselect_b32 s23, s28, s23
	s_mul_i32 s26, s23, s46
	s_sub_i32 s19, s19, s26
	s_mul_i32 s19, s19, s25
	s_add_i32 s10, s19, s10
	s_mul_i32 s19, s27, s43
	s_sub_i32 s19, s44, s19
	s_mul_i32 s19, s19, s22
	s_mul_i32 s22, s55, s42
	;; [unrolled: 1-line block ×3, first 2 shown]
	s_sub_i32 s22, s27, s22
	s_add_i32 s10, s10, s23
	s_add_i32 s23, s55, 1
	s_sub_i32 s24, s22, s42
	s_cmp_ge_u32 s22, s42
	s_cselect_b32 s23, s23, s55
	s_cselect_b32 s22, s24, s22
	s_add_i32 s24, s23, 1
	s_cmp_ge_u32 s22, s42
	s_cselect_b32 s22, s24, s23
	s_mul_i32 s23, s22, s42
	s_sub_i32 s23, s27, s23
	s_mul_i32 s21, s23, s21
	s_add_i32 s19, s21, s19
	s_mul_i32 s22, s22, s20
	s_add_i32 s20, s19, s22
	s_mul_i32 s19, s33, s41
	s_sub_i32 s19, s44, s19
	s_mul_i32 s19, s19, s18
	s_mul_i32 s18, s54, s40
	s_sub_i32 s18, s33, s18
	s_add_i32 s21, s54, 1
	s_sub_i32 s22, s18, s40
	s_cmp_ge_u32 s18, s40
	s_cselect_b32 s21, s21, s54
	s_cselect_b32 s18, s22, s18
	s_add_i32 s22, s21, 1
	s_cmp_ge_u32 s18, s40
	s_cselect_b32 s18, s22, s21
	s_mul_i32 s21, s18, s40
	s_sub_i32 s21, s33, s21
	s_mul_i32 s17, s21, s17
	s_add_i32 s17, s17, s19
	s_mul_i32 s18, s18, s16
	v_mov_b32_e32 v1, 0
	s_add_i32 s22, s17, s18
	s_lshl_b64 s[16:17], s[10:11], 3
	ds_read_b96 v[2:4], v1 offset:1056
	s_add_u32 s16, s38, s16
	s_mov_b32 s21, s11
	s_addc_u32 s17, s39, s17
	s_lshl_b64 s[18:19], s[20:21], 3
	s_add_u32 s18, s36, s18
	s_mov_b32 s23, s11
	s_addc_u32 s19, s37, s19
	s_lshl_b64 s[10:11], s[22:23], 3
	s_add_u32 s20, s6, s10
	s_waitcnt lgkmcnt(0)
	v_add_u32_e32 v5, v2, v3
	v_lshrrev_b32_e32 v2, 5, v0
	s_addc_u32 s21, s7, s11
	s_xor_b32 s11, s35, 0x80000000
	v_add_lshl_u32 v8, v2, v0, 2
	v_lshlrev_b32_e32 v2, 2, v0
	v_lshrrev_b32_e32 v3, 3, v0
	s_bitcmp1_b32 s14, 0
	s_load_dword s14, s[4:5], 0xe8
	s_load_dword s22, s[4:5], 0x1c8
	v_add_lshl_u32 v9, v3, v2, 2
	v_add_u32_e32 v2, -1, v0
	v_lshrrev_b32_e32 v3, 5, v2
	v_add_lshl_u32 v10, v3, v2, 2
	v_mbcnt_lo_u32_b32 v3, -1, 0
	v_add_u32_e32 v2, s15, v0
	v_mbcnt_hi_u32_b32 v11, -1, v3
	s_mov_b32 s10, s34
	s_cselect_b64 s[6:7], -1, 0
	v_cmp_gt_u32_e64 s[4:5], 64, v0
	s_waitcnt lgkmcnt(0)
	v_mul_lo_u32 v0, s14, v2
	s_lshl_b32 s23, s14, 8
	v_and_b32_e32 v12, 15, v11
	v_bfe_i32 v13, v11, 4, 1
	v_add_u32_e32 v14, -1, v11
	v_and_b32_e32 v15, 64, v11
                                        ; implicit-def: $vgpr6_vgpr7
	s_branch .LBB48_21
.LBB48_19:                              ;   in Loop: Header=BB48_21 Depth=1
	s_or_b64 exec, exec, s[14:15]
	v_add_u32_e32 v5, v18, v5
.LBB48_20:                              ;   in Loop: Header=BB48_21 Depth=1
	s_add_i32 s9, s9, -1
	v_add_u32_e32 v4, v17, v4
	v_add_u32_e32 v0, s23, v0
	s_cmp_lg_u32 s9, 0
	v_add_u32_e32 v2, 0x100, v2
	s_cbranch_scc0 .LBB48_40
.LBB48_21:                              ; =>This Inner Loop Header: Depth=1
	v_cmp_gt_u32_e32 vcc, s12, v2
	v_mov_b32_e32 v3, 0
	v_mov_b32_e32 v16, 0
	s_and_saveexec_b64 s[14:15], vcc
	s_cbranch_execz .LBB48_23
; %bb.22:                               ;   in Loop: Header=BB48_21 Depth=1
	v_lshlrev_b64 v[6:7], 3, v[0:1]
	v_mov_b32_e32 v3, s17
	v_add_co_u32_e32 v6, vcc, s16, v6
	v_addc_co_u32_e32 v7, vcc, v3, v7, vcc
	global_load_dwordx2 v[6:7], v[6:7], off
	s_waitcnt vmcnt(0)
	v_xor_b32_e32 v17, 0x80000000, v7
	v_mov_b32_e32 v16, v6
	v_cmp_lt_u64_e32 vcc, s[10:11], v[16:17]
	v_cndmask_b32_e64 v3, 0, 1, vcc
	v_cmp_gt_u64_e32 vcc, s[10:11], v[16:17]
	v_cndmask_b32_e64 v16, 0, 1, vcc
	v_cndmask_b32_e64 v3, v16, v3, s[6:7]
	v_cmp_eq_u64_e32 vcc, s[34:35], v[6:7]
	v_and_b32_e32 v3, 1, v3
	v_cndmask_b32_e64 v16, 0, 1, vcc
.LBB48_23:                              ;   in Loop: Header=BB48_21 Depth=1
	s_or_b64 exec, exec, s[14:15]
	ds_write_b32 v8, v3
	s_waitcnt lgkmcnt(0)
	s_barrier
	s_and_saveexec_b64 s[14:15], s[4:5]
	s_cbranch_execz .LBB48_25
; %bb.24:                               ;   in Loop: Header=BB48_21 Depth=1
	ds_read2_b32 v[18:19], v9 offset1:1
	ds_read2_b32 v[20:21], v9 offset0:2 offset1:3
	v_cmp_ne_u32_e32 vcc, 0, v12
	; wave barrier
	s_waitcnt lgkmcnt(1)
	v_add_u32_e32 v17, v19, v18
	s_waitcnt lgkmcnt(0)
	v_add3_u32 v17, v17, v20, v21
	s_nop 1
	v_mov_b32_dpp v19, v17 row_shr:1 row_mask:0xf bank_mask:0xf
	v_cndmask_b32_e32 v19, 0, v19, vcc
	v_add_u32_e32 v17, v19, v17
	v_cmp_lt_u32_e32 vcc, 1, v12
	s_nop 0
	v_mov_b32_dpp v19, v17 row_shr:2 row_mask:0xf bank_mask:0xf
	v_cndmask_b32_e32 v19, 0, v19, vcc
	v_add_u32_e32 v17, v17, v19
	v_cmp_lt_u32_e32 vcc, 3, v12
	;; [unrolled: 5-line block ×4, first 2 shown]
	s_nop 0
	v_mov_b32_dpp v19, v17 row_bcast:15 row_mask:0xf bank_mask:0xf
	v_and_b32_e32 v19, v13, v19
	v_add_u32_e32 v17, v17, v19
	s_nop 1
	v_mov_b32_dpp v19, v17 row_bcast:31 row_mask:0xf bank_mask:0xf
	v_cndmask_b32_e32 v19, 0, v19, vcc
	v_cmp_lt_i32_e32 vcc, v14, v15
	v_add_u32_e32 v17, v17, v19
	v_cndmask_b32_e32 v19, v14, v11, vcc
	v_lshlrev_b32_e32 v19, 2, v19
	ds_bpermute_b32 v17, v19, v17
	s_waitcnt lgkmcnt(0)
	v_add_u32_e32 v17, v17, v18
	v_cndmask_b32_e64 v17, v17, v3, s[2:3]
	ds_write_b32 v9, v17
	; wave barrier
	ds_read2_b32 v[18:19], v9 offset0:1 offset1:2
	ds_read_b32 v20, v9 offset:12
	s_waitcnt lgkmcnt(1)
	v_add_u32_e32 v17, v18, v17
	v_add_u32_e32 v18, v19, v17
	ds_write2_b32 v9, v17, v18 offset0:1 offset1:2
	s_waitcnt lgkmcnt(1)
	v_add_u32_e32 v17, v20, v18
	ds_write_b32 v9, v17 offset:12
.LBB48_25:                              ;   in Loop: Header=BB48_21 Depth=1
	s_or_b64 exec, exec, s[14:15]
	v_mov_b32_e32 v18, 0
	s_waitcnt lgkmcnt(0)
	s_barrier
	s_and_saveexec_b64 s[14:15], s[0:1]
	s_cbranch_execz .LBB48_27
; %bb.26:                               ;   in Loop: Header=BB48_21 Depth=1
	ds_read_b32 v18, v10
.LBB48_27:                              ;   in Loop: Header=BB48_21 Depth=1
	s_or_b64 exec, exec, s[14:15]
	ds_read_b32 v17, v1 offset:1048
	v_cmp_ne_u32_e32 vcc, 0, v3
	s_waitcnt lgkmcnt(0)
	s_barrier
	s_and_saveexec_b64 s[14:15], vcc
	s_cbranch_execz .LBB48_29
; %bb.28:                               ;   in Loop: Header=BB48_21 Depth=1
	v_add_u32_e32 v20, v18, v4
	v_mul_lo_u32 v18, v20, s22
	v_mov_b32_e32 v19, v1
	v_lshlrev_b64 v[18:19], 3, v[18:19]
	v_mov_b32_e32 v3, s19
	v_add_co_u32_e32 v18, vcc, s18, v18
	v_addc_co_u32_e32 v19, vcc, v3, v19, vcc
	global_store_dwordx2 v[18:19], v[6:7], off
	v_mul_lo_u32 v18, v20, s8
	v_mov_b32_e32 v19, v1
	v_lshlrev_b64 v[18:19], 3, v[18:19]
	v_mov_b32_e32 v20, s21
	v_add_co_u32_e32 v18, vcc, s20, v18
	v_mov_b32_e32 v3, v1
	v_addc_co_u32_e32 v19, vcc, v20, v19, vcc
	global_store_dwordx2 v[18:19], v[2:3], off
.LBB48_29:                              ;   in Loop: Header=BB48_21 Depth=1
	s_or_b64 exec, exec, s[14:15]
	v_cmp_le_u32_e32 vcc, s13, v5
	s_cbranch_vccnz .LBB48_20
; %bb.30:                               ;   in Loop: Header=BB48_21 Depth=1
	ds_write_b32 v8, v16
	s_waitcnt lgkmcnt(0)
	s_barrier
	s_and_saveexec_b64 s[14:15], s[4:5]
	s_cbranch_execz .LBB48_32
; %bb.31:                               ;   in Loop: Header=BB48_21 Depth=1
	ds_read2_b32 v[18:19], v9 offset1:1
	ds_read2_b32 v[20:21], v9 offset0:2 offset1:3
	v_cmp_ne_u32_e32 vcc, 0, v12
	; wave barrier
	s_waitcnt lgkmcnt(1)
	v_add_u32_e32 v3, v19, v18
	s_waitcnt lgkmcnt(0)
	v_add3_u32 v3, v3, v20, v21
	s_nop 1
	v_mov_b32_dpp v19, v3 row_shr:1 row_mask:0xf bank_mask:0xf
	v_cndmask_b32_e32 v19, 0, v19, vcc
	v_add_u32_e32 v3, v19, v3
	v_cmp_lt_u32_e32 vcc, 1, v12
	s_nop 0
	v_mov_b32_dpp v19, v3 row_shr:2 row_mask:0xf bank_mask:0xf
	v_cndmask_b32_e32 v19, 0, v19, vcc
	v_add_u32_e32 v3, v3, v19
	v_cmp_lt_u32_e32 vcc, 3, v12
	;; [unrolled: 5-line block ×4, first 2 shown]
	s_nop 0
	v_mov_b32_dpp v19, v3 row_bcast:15 row_mask:0xf bank_mask:0xf
	v_and_b32_e32 v19, v13, v19
	v_add_u32_e32 v3, v3, v19
	s_nop 1
	v_mov_b32_dpp v19, v3 row_bcast:31 row_mask:0xf bank_mask:0xf
	v_cndmask_b32_e32 v19, 0, v19, vcc
	v_cmp_lt_i32_e32 vcc, v14, v15
	v_add_u32_e32 v3, v3, v19
	v_cndmask_b32_e32 v19, v14, v11, vcc
	v_lshlrev_b32_e32 v19, 2, v19
	ds_bpermute_b32 v3, v19, v3
	s_waitcnt lgkmcnt(0)
	v_add_u32_e32 v3, v3, v18
	v_cndmask_b32_e64 v3, v3, v16, s[2:3]
	ds_write_b32 v9, v3
	; wave barrier
	ds_read2_b32 v[18:19], v9 offset0:1 offset1:2
	ds_read_b32 v20, v9 offset:12
	s_waitcnt lgkmcnt(1)
	v_add_u32_e32 v3, v18, v3
	v_add_u32_e32 v18, v19, v3
	ds_write2_b32 v9, v3, v18 offset0:1 offset1:2
	s_waitcnt lgkmcnt(1)
	v_add_u32_e32 v3, v20, v18
	ds_write_b32 v9, v3 offset:12
.LBB48_32:                              ;   in Loop: Header=BB48_21 Depth=1
	s_or_b64 exec, exec, s[14:15]
	v_mov_b32_e32 v3, 0
	s_waitcnt lgkmcnt(0)
	s_barrier
	s_and_saveexec_b64 s[14:15], s[0:1]
	s_cbranch_execz .LBB48_34
; %bb.33:                               ;   in Loop: Header=BB48_21 Depth=1
	ds_read_b32 v3, v10
.LBB48_34:                              ;   in Loop: Header=BB48_21 Depth=1
	s_or_b64 exec, exec, s[14:15]
	ds_read_b32 v18, v1 offset:1048
	v_cmp_ne_u32_e32 vcc, 0, v16
	s_waitcnt lgkmcnt(0)
	s_barrier
	s_and_saveexec_b64 s[14:15], vcc
	s_cbranch_execz .LBB48_19
; %bb.35:                               ;   in Loop: Header=BB48_21 Depth=1
	v_add_u32_e32 v16, v3, v5
	v_cmp_gt_u32_e32 vcc, s13, v16
	s_and_b64 exec, exec, vcc
	s_cbranch_execz .LBB48_19
; %bb.36:                               ;   in Loop: Header=BB48_21 Depth=1
	v_mul_lo_u32 v20, v16, s22
	v_mov_b32_e32 v21, v1
	v_lshlrev_b64 v[20:21], 3, v[20:21]
	v_mov_b32_e32 v3, s19
	v_add_co_u32_e32 v20, vcc, s18, v20
	v_addc_co_u32_e32 v21, vcc, v3, v21, vcc
	global_store_dwordx2 v[20:21], v[6:7], off
	v_mul_lo_u32 v20, v16, s8
	v_mov_b32_e32 v21, v1
	v_lshlrev_b64 v[20:21], 3, v[20:21]
	v_mov_b32_e32 v16, s21
	v_add_co_u32_e32 v20, vcc, s20, v20
	v_mov_b32_e32 v3, v1
	v_addc_co_u32_e32 v21, vcc, v16, v21, vcc
	global_store_dwordx2 v[20:21], v[2:3], off
	s_branch .LBB48_19
.LBB48_37:                              ;   in Loop: Header=BB48_38 Depth=1
	s_add_u32 s28, s28, 4
	s_addc_u32 s29, s29, 0
	s_waitcnt lgkmcnt(0)
	s_add_i32 s57, s15, s57
	s_add_u32 s30, s30, 4
	s_addc_u32 s31, s31, 0
	s_add_i32 s14, s14, 1
	s_cmp_lt_u32 s14, s10
	s_cbranch_scc0 .LBB48_16
.LBB48_38:                              ; =>This Inner Loop Header: Depth=1
	s_load_dword s15, s[28:29], 0x0
	s_cmp_ge_u32 s14, s11
	s_cbranch_scc1 .LBB48_37
; %bb.39:                               ;   in Loop: Header=BB48_38 Depth=1
	s_load_dword s48, s[30:31], 0x0
	s_waitcnt lgkmcnt(0)
	s_add_i32 s45, s15, s45
	s_add_i32 s56, s48, s56
	s_branch .LBB48_37
.LBB48_40:
	s_endpgm
	.section	.rodata,"a",@progbits
	.p2align	6, 0x0
	.amdhsa_kernel _ZN2at6native6mbtopk10gatherTopKIljLi3EEEvNS_4cuda6detail10TensorInfoIKT_T0_EES8_S8_bjS8_NS5_IS6_S8_EES8_NS5_IlS8_EES8_jjPS6_PjSD_j
		.amdhsa_group_segment_fixed_size 1068
		.amdhsa_private_segment_fixed_size 0
		.amdhsa_kernarg_size 984
		.amdhsa_user_sgpr_count 6
		.amdhsa_user_sgpr_private_segment_buffer 1
		.amdhsa_user_sgpr_dispatch_ptr 0
		.amdhsa_user_sgpr_queue_ptr 0
		.amdhsa_user_sgpr_kernarg_segment_ptr 1
		.amdhsa_user_sgpr_dispatch_id 0
		.amdhsa_user_sgpr_flat_scratch_init 0
		.amdhsa_user_sgpr_kernarg_preload_length 0
		.amdhsa_user_sgpr_kernarg_preload_offset 0
		.amdhsa_user_sgpr_private_segment_size 0
		.amdhsa_uses_dynamic_stack 0
		.amdhsa_system_sgpr_private_segment_wavefront_offset 0
		.amdhsa_system_sgpr_workgroup_id_x 1
		.amdhsa_system_sgpr_workgroup_id_y 1
		.amdhsa_system_sgpr_workgroup_id_z 1
		.amdhsa_system_sgpr_workgroup_info 0
		.amdhsa_system_vgpr_workitem_id 0
		.amdhsa_next_free_vgpr 22
		.amdhsa_next_free_sgpr 61
		.amdhsa_accum_offset 24
		.amdhsa_reserve_vcc 1
		.amdhsa_reserve_flat_scratch 0
		.amdhsa_float_round_mode_32 0
		.amdhsa_float_round_mode_16_64 0
		.amdhsa_float_denorm_mode_32 3
		.amdhsa_float_denorm_mode_16_64 3
		.amdhsa_dx10_clamp 1
		.amdhsa_ieee_mode 1
		.amdhsa_fp16_overflow 0
		.amdhsa_tg_split 0
		.amdhsa_exception_fp_ieee_invalid_op 0
		.amdhsa_exception_fp_denorm_src 0
		.amdhsa_exception_fp_ieee_div_zero 0
		.amdhsa_exception_fp_ieee_overflow 0
		.amdhsa_exception_fp_ieee_underflow 0
		.amdhsa_exception_fp_ieee_inexact 0
		.amdhsa_exception_int_div_zero 0
	.end_amdhsa_kernel
	.section	.text._ZN2at6native6mbtopk10gatherTopKIljLi3EEEvNS_4cuda6detail10TensorInfoIKT_T0_EES8_S8_bjS8_NS5_IS6_S8_EES8_NS5_IlS8_EES8_jjPS6_PjSD_j,"axG",@progbits,_ZN2at6native6mbtopk10gatherTopKIljLi3EEEvNS_4cuda6detail10TensorInfoIKT_T0_EES8_S8_bjS8_NS5_IS6_S8_EES8_NS5_IlS8_EES8_jjPS6_PjSD_j,comdat
.Lfunc_end48:
	.size	_ZN2at6native6mbtopk10gatherTopKIljLi3EEEvNS_4cuda6detail10TensorInfoIKT_T0_EES8_S8_bjS8_NS5_IS6_S8_EES8_NS5_IlS8_EES8_jjPS6_PjSD_j, .Lfunc_end48-_ZN2at6native6mbtopk10gatherTopKIljLi3EEEvNS_4cuda6detail10TensorInfoIKT_T0_EES8_S8_bjS8_NS5_IS6_S8_EES8_NS5_IlS8_EES8_jjPS6_PjSD_j
                                        ; -- End function
	.section	.AMDGPU.csdata,"",@progbits
; Kernel info:
; codeLenInByte = 2712
; NumSgprs: 65
; NumVgprs: 22
; NumAgprs: 0
; TotalNumVgprs: 22
; ScratchSize: 0
; MemoryBound: 0
; FloatMode: 240
; IeeeMode: 1
; LDSByteSize: 1068 bytes/workgroup (compile time only)
; SGPRBlocks: 8
; VGPRBlocks: 2
; NumSGPRsForWavesPerEU: 65
; NumVGPRsForWavesPerEU: 22
; AccumOffset: 24
; Occupancy: 8
; WaveLimiterHint : 1
; COMPUTE_PGM_RSRC2:SCRATCH_EN: 0
; COMPUTE_PGM_RSRC2:USER_SGPR: 6
; COMPUTE_PGM_RSRC2:TRAP_HANDLER: 0
; COMPUTE_PGM_RSRC2:TGID_X_EN: 1
; COMPUTE_PGM_RSRC2:TGID_Y_EN: 1
; COMPUTE_PGM_RSRC2:TGID_Z_EN: 1
; COMPUTE_PGM_RSRC2:TIDIG_COMP_CNT: 0
; COMPUTE_PGM_RSRC3_GFX90A:ACCUM_OFFSET: 5
; COMPUTE_PGM_RSRC3_GFX90A:TG_SPLIT: 0
	.section	.text._ZN2at6native6sbtopk10gatherTopKIljLi3ELb0EEEvNS_4cuda6detail10TensorInfoIKT_T0_EES8_S8_bS8_S8_NS5_IS6_S8_EES8_NS5_IlS8_EES8_PS6_,"axG",@progbits,_ZN2at6native6sbtopk10gatherTopKIljLi3ELb0EEEvNS_4cuda6detail10TensorInfoIKT_T0_EES8_S8_bS8_S8_NS5_IS6_S8_EES8_NS5_IlS8_EES8_PS6_,comdat
	.protected	_ZN2at6native6sbtopk10gatherTopKIljLi3ELb0EEEvNS_4cuda6detail10TensorInfoIKT_T0_EES8_S8_bS8_S8_NS5_IS6_S8_EES8_NS5_IlS8_EES8_PS6_ ; -- Begin function _ZN2at6native6sbtopk10gatherTopKIljLi3ELb0EEEvNS_4cuda6detail10TensorInfoIKT_T0_EES8_S8_bS8_S8_NS5_IS6_S8_EES8_NS5_IlS8_EES8_PS6_
	.globl	_ZN2at6native6sbtopk10gatherTopKIljLi3ELb0EEEvNS_4cuda6detail10TensorInfoIKT_T0_EES8_S8_bS8_S8_NS5_IS6_S8_EES8_NS5_IlS8_EES8_PS6_
	.p2align	8
	.type	_ZN2at6native6sbtopk10gatherTopKIljLi3ELb0EEEvNS_4cuda6detail10TensorInfoIKT_T0_EES8_S8_bS8_S8_NS5_IS6_S8_EES8_NS5_IlS8_EES8_PS6_,@function
_ZN2at6native6sbtopk10gatherTopKIljLi3ELb0EEEvNS_4cuda6detail10TensorInfoIKT_T0_EES8_S8_bS8_S8_NS5_IS6_S8_EES8_NS5_IlS8_EES8_PS6_: ; @_ZN2at6native6sbtopk10gatherTopKIljLi3ELb0EEEvNS_4cuda6detail10TensorInfoIKT_T0_EES8_S8_bS8_S8_NS5_IS6_S8_EES8_NS5_IlS8_EES8_PS6_
; %bb.0:
	s_load_dwordx2 s[12:13], s[4:5], 0x2b8
	s_load_dwordx4 s[60:63], s[4:5], 0xd8
	s_add_u32 s10, s4, 0x2b8
	s_addc_u32 s11, s5, 0
	s_waitcnt lgkmcnt(0)
	s_mul_i32 s0, s13, s8
	s_add_i32 s0, s0, s7
	s_mul_i32 s0, s0, s12
	s_add_i32 s13, s0, s6
	s_cmp_ge_u32 s13, s63
	s_cbranch_scc1 .LBB49_414
; %bb.1:
	s_load_dwordx4 s[0:3], s[4:5], 0x23c
                                        ; implicit-def: $vgpr59 : SGPR spill to VGPR lane
	s_load_dwordx2 s[16:17], s[4:5], 0xc
	s_load_dwordx2 s[14:15], s[4:5], 0x0
	s_mov_b32 s24, 0
	s_load_dword s20, s[4:5], 0xe8
	s_waitcnt lgkmcnt(0)
	v_writelane_b32 v59, s0, 0
	v_writelane_b32 v59, s1, 1
	;; [unrolled: 1-line block ×4, first 2 shown]
	s_load_dwordx2 s[18:19], s[4:5], 0x1dc
	s_load_dwordx2 s[0:1], s[4:5], 0x1d0
	v_cvt_f32_u32_e32 v1, s17
	s_waitcnt lgkmcnt(0)
	v_writelane_b32 v59, s0, 4
	v_writelane_b32 v59, s1, 5
	s_load_dwordx4 s[0:3], s[4:5], 0x15c
	v_rcp_iflag_f32_e32 v1, v1
	v_mul_f32_e32 v1, 0x4f7ffffe, v1
	s_waitcnt lgkmcnt(0)
	v_writelane_b32 v59, s0, 6
	v_writelane_b32 v59, s1, 7
	;; [unrolled: 1-line block ×4, first 2 shown]
	s_load_dwordx2 s[22:23], s[4:5], 0xfc
	s_load_dwordx2 s[0:1], s[4:5], 0xf0
	v_cvt_u32_f32_e32 v1, v1
	s_waitcnt lgkmcnt(0)
	v_cvt_f32_u32_e32 v2, s23
	v_writelane_b32 v59, s0, 10
	v_writelane_b32 v59, s1, 11
	v_writelane_b32 v59, s4, 12
	v_writelane_b32 v59, s5, 13
	s_load_dwordx4 s[0:3], s[4:5], 0x6c
	v_readfirstlane_b32 s4, v1
	v_cvt_f32_u32_e32 v1, s16
	s_waitcnt lgkmcnt(0)
	s_sub_i32 s3, 0, s17
	s_mul_i32 s3, s3, s4
	s_mul_hi_u32 s3, s4, s3
	s_add_i32 s4, s4, s3
	v_rcp_iflag_f32_e32 v1, v1
	s_mul_hi_u32 s3, s13, s4
	s_mul_i32 s4, s3, s17
	s_sub_i32 s4, s13, s4
	s_add_i32 s5, s3, 1
	s_sub_i32 s7, s4, s17
	v_mul_f32_e32 v1, 0x4f7ffffe, v1
	s_cmp_ge_u32 s4, s17
	v_cvt_u32_f32_e32 v1, v1
	v_rcp_iflag_f32_e32 v2, v2
	s_cselect_b32 s3, s5, s3
	s_cselect_b32 s4, s7, s4
	s_add_i32 s5, s3, 1
	s_cmp_ge_u32 s4, s17
	s_cselect_b32 s3, s5, s3
	v_readfirstlane_b32 s5, v1
	v_mul_f32_e32 v1, 0x4f7ffffe, v2
	v_cvt_u32_f32_e32 v1, v1
	s_sub_i32 s4, 0, s16
	s_mul_i32 s4, s4, s5
	s_mul_hi_u32 s4, s5, s4
	v_readfirstlane_b32 s7, v1
	v_cvt_f32_u32_e32 v1, s22
	s_add_i32 s5, s5, s4
	s_mul_hi_u32 s4, s3, s5
	s_sub_i32 s5, 0, s23
	s_mul_i32 s5, s5, s7
	s_mul_hi_u32 s5, s7, s5
	v_rcp_iflag_f32_e32 v1, v1
	s_add_i32 s7, s7, s5
	v_cvt_f32_u32_e32 v2, s19
	s_mul_hi_u32 s5, s13, s7
	s_mul_i32 s7, s5, s23
	s_sub_i32 s7, s13, s7
	v_mul_f32_e32 v1, 0x4f7ffffe, v1
	s_add_i32 s8, s5, 1
	s_sub_i32 s9, s7, s23
	v_cvt_u32_f32_e32 v1, v1
	v_rcp_iflag_f32_e32 v2, v2
	s_cmp_ge_u32 s7, s23
	s_cselect_b32 s5, s8, s5
	s_cselect_b32 s7, s9, s7
	s_add_i32 s8, s5, 1
	s_cmp_ge_u32 s7, s23
	v_readfirstlane_b32 s7, v1
	v_mul_f32_e32 v1, 0x4f7ffffe, v2
	s_cselect_b32 s8, s8, s5
	v_writelane_b32 v59, s22, 14
	s_sub_i32 s5, 0, s22
	v_cvt_u32_f32_e32 v1, v1
	s_mul_i32 s5, s5, s7
	s_mul_hi_u32 s5, s7, s5
	v_writelane_b32 v59, s23, 15
	s_add_i32 s7, s7, s5
	v_writelane_b32 v59, s8, 16
	s_mul_hi_u32 s5, s8, s7
	v_readfirstlane_b32 s7, v1
	v_cvt_f32_u32_e32 v1, s18
	v_writelane_b32 v59, s5, 17
	s_sub_i32 s5, 0, s19
	s_mul_i32 s5, s5, s7
	s_mul_hi_u32 s5, s7, s5
	s_add_i32 s7, s7, s5
	v_rcp_iflag_f32_e32 v1, v1
	s_mul_hi_u32 s5, s13, s7
	s_mul_i32 s7, s5, s19
	s_sub_i32 s7, s13, s7
	s_add_i32 s8, s5, 1
	s_sub_i32 s9, s7, s19
	v_mul_f32_e32 v1, 0x4f7ffffe, v1
	s_cmp_ge_u32 s7, s19
	v_cvt_u32_f32_e32 v1, v1
	s_cselect_b32 s5, s8, s5
	s_cselect_b32 s7, s9, s7
	s_add_i32 s8, s5, 1
	s_cmp_ge_u32 s7, s19
	s_cselect_b32 s8, s8, s5
	v_writelane_b32 v59, s18, 18
	s_sub_i32 s5, 0, s18
	v_readfirstlane_b32 s7, v1
	s_mul_i32 s5, s5, s7
	s_mul_hi_u32 s5, s7, s5
	v_writelane_b32 v59, s19, 19
	s_add_i32 s7, s7, s5
	v_writelane_b32 v59, s8, 20
	s_mul_hi_u32 s5, s8, s7
	v_writelane_b32 v59, s5, 21
	v_cmp_eq_u32_e64 s[18:19], 0, v0
	s_mov_b64 s[8:9], exec
	v_writelane_b32 v59, s18, 22
	v_writelane_b32 v59, s19, 23
	s_and_b64 s[18:19], s[8:9], s[18:19]
	s_mov_b64 exec, s[18:19]
	s_cbranch_execz .LBB49_3
; %bb.2:
	v_mov_b32_e32 v2, 0
	v_mov_b32_e32 v3, s60
	;; [unrolled: 1-line block ×3, first 2 shown]
	ds_write_b96 v2, v[2:4] offset:4096
.LBB49_3:
	s_or_b64 exec, exec, s[8:9]
	s_mul_i32 s5, s3, s17
	s_sub_i32 s5, s13, s5
	s_mul_i32 s5, s5, s2
	s_mul_i32 s2, s4, s16
	s_sub_i32 s2, s3, s2
	s_add_i32 s7, s4, 1
	s_sub_i32 s8, s2, s16
	s_cmp_ge_u32 s2, s16
	s_cselect_b32 s4, s7, s4
	s_cselect_b32 s2, s8, s2
	s_add_i32 s7, s4, 1
	s_cmp_ge_u32 s2, s16
	s_cselect_b32 s2, s7, s4
	s_mul_i32 s4, s2, s16
	s_sub_i32 s3, s3, s4
	s_mul_i32 s1, s3, s1
	s_add_i32 s1, s1, s5
	s_mul_i32 s2, s2, s0
	s_add_i32 s0, s1, s2
	s_mov_b32 s1, s24
	s_lshl_b64 s[0:1], s[0:1], 3
	s_add_u32 s33, s14, s0
	s_waitcnt lgkmcnt(0)
	s_barrier
	s_load_dword s0, s[10:11], 0xc
	v_writelane_b32 v59, s13, 24
	s_mov_b32 s2, 0
	s_addc_u32 s86, s15, s1
	v_writelane_b32 v59, s2, 25
	s_bitcmp1_b32 s62, 0
	v_mbcnt_lo_u32_b32 v1, -1, 0
	v_writelane_b32 v59, s3, 26
	s_cselect_b64 s[2:3], -1, 0
	v_mbcnt_hi_u32_b32 v1, -1, v1
	v_writelane_b32 v59, s2, 27
	s_waitcnt lgkmcnt(0)
	s_and_b32 s87, s0, 0xffff
	s_bfe_u32 s5, s0, 0xa0006
	v_cmp_gt_u32_e32 vcc, 64, v0
	v_cmp_gt_i32_e64 s[0:1], 4, v1
	v_writelane_b32 v59, s3, 28
	s_xor_b64 s[2:3], s[2:3], -1
	s_lshl_b32 s81, s87, 2
	s_and_b64 s[82:83], vcc, s[0:1]
	v_writelane_b32 v59, s2, 29
	s_cmpk_gt_u32 s60, 0x180
	v_writelane_b32 v59, s3, 30
	s_cselect_b64 s[0:1], -1, 0
	v_writelane_b32 v59, s0, 31
	s_cmp_gt_u32 s87, 63
	v_writelane_b32 v59, s1, 32
	s_cselect_b64 s[0:1], -1, 0
	v_writelane_b32 v59, s0, 33
	v_writelane_b32 v59, s1, 34
	s_add_i32 s0, s87, -1
	s_add_i32 s2, s0, s60
	s_cmp_lt_u32 s6, s12
	v_writelane_b32 v59, s0, 35
	s_cselect_b32 s0, 12, 18
	s_add_u32 s0, s10, s0
	s_addc_u32 s1, s11, 0
	v_writelane_b32 v59, s0, 36
	s_add_i32 s3, s5, -2
	v_writelane_b32 v59, s1, 37
	s_lshr_b32 s0, s3, 1
	s_add_i32 s4, s0, 1
	s_cmpk_gt_u32 s87, 0x7f
	v_mov_b32_e32 v21, 0
	s_cselect_b64 s[0:1], -1, 0
	v_writelane_b32 v59, s0, 38
	v_mul_lo_u32 v22, v0, s20
	v_mov_b32_e32 v23, v21
	v_writelane_b32 v59, s1, 39
	v_cmp_gt_u32_e64 s[6:7], s60, v0
	v_lshlrev_b64 v[2:3], 3, v[22:23]
	v_writelane_b32 v59, s6, 40
	v_mov_b32_e32 v4, s86
	v_add_co_u32_e32 v18, vcc, s33, v2
	v_lshrrev_b32_e32 v2, 4, v0
	v_writelane_b32 v59, s7, 41
	v_addc_co_u32_e32 v19, vcc, v4, v3, vcc
	v_and_b32_e32 v35, 60, v2
	v_cmp_gt_u32_e64 s[6:7], 2, v0
	v_lshlrev_b64 v[2:3], v1, -1
	v_writelane_b32 v59, s6, 42
	v_not_b32_e32 v16, v2
	v_cvt_f32_u32_e32 v2, s81
	v_writelane_b32 v59, s7, 43
	s_and_b32 s6, s5, 0x3fe
	s_and_b32 s7, s4, 7
	s_cmp_gt_u32 s3, 13
	s_cselect_b64 s[8:9], -1, 0
	v_writelane_b32 v59, s8, 44
	v_rcp_iflag_f32_e32 v2, v2
	v_writelane_b32 v59, s9, 45
	s_and_b32 s3, s4, -8
	v_writelane_b32 v59, s3, 46
	s_cmp_lg_u32 s7, 0
	v_writelane_b32 v59, s7, 47
	s_cselect_b64 s[8:9], -1, 0
	v_writelane_b32 v59, s8, 48
	v_mul_f32_e32 v2, 0x4f7ffffe, v2
	v_writelane_b32 v59, s9, 49
	v_cvt_u32_f32_e32 v2, v2
	v_writelane_b32 v59, s5, 50
	s_cmp_lg_u32 s6, s5
	v_writelane_b32 v59, s6, 51
	s_cselect_b64 s[4:5], -1, 0
	v_writelane_b32 v59, s4, 52
	v_writelane_b32 v59, s5, 53
	s_sub_i32 s3, 0, s81
	v_readfirstlane_b32 s4, v2
	s_mul_i32 s3, s3, s4
	s_mul_hi_u32 s3, s4, s3
	s_add_i32 s3, s4, s3
	v_cvt_f32_u32_e32 v2, s87
	v_writelane_b32 v59, s3, 54
	s_mul_hi_u32 s3, s60, s3
	s_mul_i32 s3, s3, s81
	s_sub_i32 s3, s60, s3
	s_sub_i32 s4, s3, s81
	v_rcp_iflag_f32_e32 v5, v2
	s_cmp_ge_u32 s3, s81
	s_cselect_b32 s3, s4, s3
	s_sub_i32 s4, s3, s81
	s_cmp_ge_u32 s3, s81
	v_mul_f32_e32 v5, 0x4f7ffffe, v5
	s_cselect_b32 s3, s4, s3
	v_cvt_u32_f32_e32 v5, v5
	v_lshlrev_b32_e32 v34, 2, v0
	s_sub_i32 s13, s60, s3
	v_cmp_gt_u32_e64 s[4:5], s13, v34
	v_writelane_b32 v59, s4, 55
	v_writelane_b32 v59, s5, 56
	s_sub_i32 s4, 0, s87
	v_readfirstlane_b32 s5, v5
	s_mul_i32 s4, s4, s5
	s_mul_hi_u32 s4, s5, s4
	s_add_i32 s4, s5, s4
	v_writelane_b32 v59, s4, 57
	s_mul_hi_u32 s4, s2, s4
	s_mul_i32 s4, s4, s87
	s_sub_i32 s4, s2, s4
	s_sub_i32 s5, s4, s87
	v_add_u32_e32 v38, s13, v0
	s_cmp_ge_u32 s4, s87
	v_mul_lo_u32 v20, v38, s20
	s_cselect_b32 s4, s5, s4
	v_not_b32_e32 v17, v3
	v_lshlrev_b64 v[2:3], 3, v[20:21]
	s_sub_i32 s5, s4, s87
	v_add_co_u32_e32 v24, vcc, s33, v2
	s_cmp_ge_u32 s4, s87
	v_mul_lo_u32 v2, s20, v34
	s_cselect_b32 s4, s5, s4
	v_add_u32_e32 v39, s20, v2
	v_or_b32_e32 v2, 2, v34
	s_sub_i32 s6, s2, s4
	v_mul_lo_u32 v40, s20, v2
	v_or_b32_e32 v2, 3, v34
	s_add_i32 s2, s87, s60
	v_mov_b32_e32 v6, s86
	v_cmp_gt_u32_e64 s[4:5], s6, v0
	v_mul_lo_u32 v41, s20, v2
	v_add_u32_e32 v2, s2, v0
	v_lshlrev_b32_e32 v36, 3, v0
	v_lshlrev_b32_e32 v4, 2, v1
	v_addc_co_u32_e32 v25, vcc, v6, v3, vcc
	v_writelane_b32 v59, s4, 58
	s_mul_i32 s80, s20, s87
	v_subrev_u32_e32 v2, s3, v2
	v_pk_mov_b32 v[6:7], 0, 0
	v_cmp_eq_u32_e64 s[0:1], 0, v1
	v_add_u32_e32 v37, 0xc00, v36
	v_and_b32_e32 v23, 0x100, v4
	v_cmp_gt_u32_e64 s[14:15], s60, v38
	v_writelane_b32 v59, s5, 59
	s_lshl_b32 s7, s80, 2
	v_lshlrev_b32_e32 v42, 2, v22
	v_mul_lo_u32 v43, s20, v2
	v_lshlrev_b32_e32 v44, 5, v0
	s_lshl_b32 s12, s87, 5
	s_lshl_b32 s4, s87, 3
	v_or_b32_e32 v45, 0xc00, v4
	s_mov_b32 s5, 62
	s_mov_b64 s[74:75], 0
	v_mov_b32_e32 v47, s61
	v_mov_b32_e32 v2, 1
	;; [unrolled: 1-line block ×3, first 2 shown]
	v_pk_mov_b32 v[28:29], v[6:7], v[6:7] op_sel:[0,1]
	v_pk_mov_b32 v[26:27], v[6:7], v[6:7] op_sel:[0,1]
	s_mov_b32 s10, 0
	v_writelane_b32 v59, s20, 60
                                        ; implicit-def: $sgpr64_sgpr65
                                        ; implicit-def: $sgpr66_sgpr67
                                        ; implicit-def: $sgpr68_sgpr69
                                        ; implicit-def: $sgpr70_sgpr71
                                        ; implicit-def: $sgpr2_sgpr3
                                        ; implicit-def: $sgpr76_sgpr77
                                        ; implicit-def: $sgpr78_sgpr79
                                        ; implicit-def: $sgpr92_sgpr93
                                        ; implicit-def: $sgpr94_sgpr95
                                        ; implicit-def: $sgpr72_sgpr73
	s_branch .LBB49_6
.LBB49_4:                               ;   in Loop: Header=BB49_6 Depth=1
	s_or_b64 exec, exec, s[20:21]
	s_andn2_b64 s[20:21], s[72:73], exec
	s_and_b64 s[18:19], s[18:19], exec
	s_or_b64 s[72:73], s[20:21], s[18:19]
	s_andn2_b64 s[94:95], s[94:95], exec
	s_andn2_b64 s[92:93], s[92:93], exec
	s_andn2_b64 s[78:79], s[78:79], exec
	s_andn2_b64 s[76:77], s[76:77], exec
	s_orn2_b64 s[16:17], s[16:17], exec
	v_pk_mov_b32 v[26:27], v[14:15], v[14:15] op_sel:[0,1]
	s_waitcnt vmcnt(0)
	v_pk_mov_b32 v[28:29], v[12:13], v[12:13] op_sel:[0,1]
	v_mov_b32_e32 v47, v30
	v_pk_mov_b32 v[6:7], v[10:11], v[10:11] op_sel:[0,1]
.LBB49_5:                               ;   in Loop: Header=BB49_6 Depth=1
	s_or_b64 exec, exec, s[8:9]
	s_and_b64 s[8:9], exec, s[16:17]
	s_or_b64 s[74:75], s[8:9], s[74:75]
	s_andn2_b64 s[2:3], s[2:3], exec
	s_and_b64 s[8:9], s[72:73], exec
	s_or_b64 s[2:3], s[2:3], s[8:9]
	s_andn2_b64 s[8:9], s[70:71], exec
	s_and_b64 s[16:17], s[94:95], exec
	;; [unrolled: 3-line block ×5, first 2 shown]
	s_or_b64 s[64:65], s[8:9], s[16:17]
	s_andn2_b64 exec, exec, s[74:75]
	s_cbranch_execz .LBB49_410
.LBB49_6:                               ; =>This Loop Header: Depth=1
                                        ;     Child Loop BB49_14 Depth 2
                                        ;     Child Loop BB49_32 Depth 2
	;; [unrolled: 1-line block ×25, first 2 shown]
	s_waitcnt vmcnt(0)
	ds_read_b64 v[4:5], v21 offset:4096
	s_waitcnt lgkmcnt(0)
	v_readfirstlane_b32 s11, v4
	s_cmp_lg_u32 s11, 0
	s_cbranch_scc1 .LBB49_39
; %bb.7:                                ;   in Loop: Header=BB49_6 Depth=1
	v_readlane_b32 s8, v59, 31
	v_readlane_b32 s9, v59, 32
	s_and_b64 vcc, exec, s[8:9]
	s_cbranch_vccz .LBB49_22
; %bb.8:                                ;   in Loop: Header=BB49_6 Depth=1
	s_movk_i32 s8, 0x181
	v_cmp_gt_u32_e32 vcc, s8, v5
	s_mov_b64 s[16:17], 0
	s_mov_b64 s[8:9], 0
	s_cbranch_vccz .LBB49_23
; %bb.9:                                ;   in Loop: Header=BB49_6 Depth=1
	v_pk_mov_b32 v[4:5], 0, 0
	s_mov_b64 s[8:9], exec
	v_readlane_b32 s18, v59, 40
	v_readlane_b32 s19, v59, 41
	s_and_b64 s[18:19], s[8:9], s[18:19]
	s_mov_b64 exec, s[18:19]
	s_cbranch_execz .LBB49_11
; %bb.10:                               ;   in Loop: Header=BB49_6 Depth=1
	global_load_dwordx2 v[4:5], v[18:19], off
.LBB49_11:                              ;   in Loop: Header=BB49_6 Depth=1
	s_or_b64 exec, exec, s[8:9]
	s_mov_b64 s[22:23], exec
	v_readlane_b32 s8, v59, 40
	v_readlane_b32 s9, v59, 41
	s_and_b64 s[8:9], s[22:23], s[8:9]
	s_mov_b64 exec, s[8:9]
	s_cbranch_execz .LBB49_24
; %bb.12:                               ;   in Loop: Header=BB49_6 Depth=1
	v_readlane_b32 s8, v59, 36
	v_readlane_b32 s9, v59, 37
	s_mov_b64 s[24:25], 0
	v_mov_b32_e32 v11, v0
	s_nop 2
	global_load_ushort v3, v21, s[8:9]
	v_readlane_b32 s8, v59, 60
	s_waitcnt vmcnt(0)
	v_add_u32_e32 v8, v0, v3
	v_mul_lo_u32 v10, s8, v3
	v_mul_lo_u32 v20, s8, v8
	s_branch .LBB49_14
.LBB49_13:                              ;   in Loop: Header=BB49_14 Depth=2
	s_or_b64 exec, exec, s[8:9]
	v_add_u32_e32 v20, v20, v10
	s_waitcnt vmcnt(0)
	v_pk_mov_b32 v[4:5], v[8:9], v[8:9] op_sel:[0,1]
	s_andn2_b64 exec, exec, s[24:25]
	s_cbranch_execz .LBB49_24
.LBB49_14:                              ;   Parent Loop BB49_6 Depth=1
                                        ; =>  This Inner Loop Header: Depth=2
	v_add_u32_e32 v11, v11, v3
	v_cmp_gt_u32_e64 s[18:19], s60, v11
	v_cmp_le_u32_e32 vcc, s60, v11
	v_pk_mov_b32 v[8:9], 0, 0
	s_and_saveexec_b64 s[8:9], s[18:19]
	s_cbranch_execz .LBB49_16
; %bb.15:                               ;   in Loop: Header=BB49_14 Depth=2
	v_lshlrev_b64 v[8:9], 3, v[20:21]
	s_waitcnt lgkmcnt(0)
	v_mov_b32_e32 v12, s86
	v_add_co_u32_e64 v8, s[18:19], s33, v8
	v_addc_co_u32_e64 v9, s[18:19], v12, v9, s[18:19]
	global_load_dwordx2 v[8:9], v[8:9], off
.LBB49_16:                              ;   in Loop: Header=BB49_14 Depth=2
	s_or_b64 exec, exec, s[8:9]
	s_waitcnt lgkmcnt(0)
	v_xor_b32_e32 v12, 0x80000000, v5
	v_and_b32_e32 v13, v12, v27
	v_and_b32_e32 v12, v4, v26
	v_cmp_eq_u64_e64 s[18:19], v[12:13], v[28:29]
	s_cmp_lg_u64 s[18:19], 0
	s_cselect_b64 s[8:9], -1, 0
	s_and_b64 s[20:21], s[0:1], s[8:9]
	v_mov_b32_e32 v12, 0
	s_and_saveexec_b64 s[8:9], s[20:21]
	s_cbranch_execz .LBB49_20
; %bb.17:                               ;   in Loop: Header=BB49_14 Depth=2
	s_mov_b64 s[28:29], exec
	v_mbcnt_lo_u32_b32 v12, s28, 0
	v_mbcnt_hi_u32_b32 v12, s29, v12
	s_bcnt1_i32_b64 s11, s[18:19]
	v_cmp_eq_u32_e64 s[20:21], 0, v12
                                        ; implicit-def: $vgpr13
	s_and_saveexec_b64 s[26:27], s[20:21]
	s_cbranch_execz .LBB49_19
; %bb.18:                               ;   in Loop: Header=BB49_14 Depth=2
	s_bcnt1_i32_b64 s20, s[28:29]
	s_mul_i32 s20, s11, s20
	v_mov_b32_e32 v13, s20
	ds_add_rtn_u32 v13, v21, v13 offset:4104
.LBB49_19:                              ;   in Loop: Header=BB49_14 Depth=2
	s_or_b64 exec, exec, s[26:27]
	s_waitcnt lgkmcnt(0)
	v_readfirstlane_b32 s20, v13
	v_mov_b32_e32 v13, s20
	v_mad_u32_u24 v12, s11, v12, v13
.LBB49_20:                              ;   in Loop: Header=BB49_14 Depth=2
	s_or_b64 exec, exec, s[8:9]
	ds_bpermute_b32 v12, v23, v12
	s_and_b64 s[8:9], exec, vcc
	s_or_b64 s[24:25], s[8:9], s[24:25]
	s_and_saveexec_b64 s[8:9], s[18:19]
	s_cbranch_execz .LBB49_13
; %bb.21:                               ;   in Loop: Header=BB49_14 Depth=2
	v_and_b32_e32 v14, s18, v16
	v_and_b32_e32 v13, s19, v17
	v_bcnt_u32_b32 v14, v14, 0
	v_bcnt_u32_b32 v13, v13, v14
	v_lshlrev_b32_e32 v13, 3, v13
	s_waitcnt lgkmcnt(0)
	v_lshl_add_u32 v12, v12, 3, v13
	ds_write_b64 v12, v[4:5]
	s_branch .LBB49_13
.LBB49_22:                              ;   in Loop: Header=BB49_6 Depth=1
	s_mov_b64 s[8:9], 0
                                        ; implicit-def: $sgpr11
	s_cbranch_execnz .LBB49_27
	s_branch .LBB49_37
.LBB49_23:                              ;   in Loop: Header=BB49_6 Depth=1
	s_mov_b32 s11, 0
	s_and_b64 vcc, exec, s[16:17]
	s_cbranch_vccnz .LBB49_27
	s_branch .LBB49_37
.LBB49_24:                              ;   in Loop: Header=BB49_6 Depth=1
	s_or_b64 exec, exec, s[22:23]
	s_waitcnt lgkmcnt(0)
	s_barrier
	s_mov_b64 s[8:9], exec
	v_readlane_b32 s18, v59, 22
	v_readlane_b32 s19, v59, 23
	s_and_b64 s[18:19], s[8:9], s[18:19]
	s_mov_b64 exec, s[18:19]
	s_cbranch_execz .LBB49_26
; %bb.25:                               ;   in Loop: Header=BB49_6 Depth=1
	ds_read_b32 v3, v21 offset:4104
	s_waitcnt lgkmcnt(0)
	ds_write_b32 v21, v3 offset:4096
.LBB49_26:                              ;   in Loop: Header=BB49_6 Depth=1
	s_or_b64 exec, exec, s[8:9]
	s_waitcnt lgkmcnt(0)
	s_barrier
	s_mov_b64 s[8:9], -1
	s_mov_b32 s11, 0
	s_and_b64 vcc, exec, s[16:17]
	s_cbranch_vccz .LBB49_37
.LBB49_27:                              ;   in Loop: Header=BB49_6 Depth=1
	s_waitcnt vmcnt(0)
	v_pk_mov_b32 v[4:5], 0, 0
	s_mov_b64 s[8:9], exec
	v_readlane_b32 s16, v59, 40
	v_readlane_b32 s17, v59, 41
	s_and_b64 s[16:17], s[8:9], s[16:17]
	s_mov_b64 exec, s[16:17]
	s_cbranch_execz .LBB49_29
; %bb.28:                               ;   in Loop: Header=BB49_6 Depth=1
	global_load_dwordx2 v[4:5], v[18:19], off
.LBB49_29:                              ;   in Loop: Header=BB49_6 Depth=1
	s_or_b64 exec, exec, s[8:9]
	s_mov_b64 s[8:9], exec
	v_readlane_b32 s16, v59, 40
	v_readlane_b32 s17, v59, 41
	s_and_b64 s[16:17], s[8:9], s[16:17]
	s_mov_b64 exec, s[16:17]
	s_cbranch_execz .LBB49_34
; %bb.30:                               ;   in Loop: Header=BB49_6 Depth=1
	v_readlane_b32 s16, v59, 36
	v_readlane_b32 s17, v59, 37
	;; [unrolled: 1-line block ×3, first 2 shown]
	v_mov_b32_e32 v10, v36
	v_mov_b32_e32 v13, v0
	s_nop 1
	global_load_ushort v3, v21, s[16:17]
	s_mov_b64 s[16:17], 0
	s_waitcnt vmcnt(0)
	v_add_u32_e32 v8, v0, v3
	v_lshlrev_b32_e32 v11, 3, v3
	v_mul_lo_u32 v12, s11, v3
	v_mul_lo_u32 v20, s11, v8
	s_branch .LBB49_32
.LBB49_31:                              ;   in Loop: Header=BB49_32 Depth=2
	s_or_b64 exec, exec, s[20:21]
	s_and_b64 s[18:19], exec, vcc
	s_or_b64 s[16:17], s[18:19], s[16:17]
	ds_write_b64 v10, v[4:5]
	v_add_u32_e32 v10, v10, v11
	v_add_u32_e32 v20, v20, v12
	s_waitcnt vmcnt(0)
	v_pk_mov_b32 v[4:5], v[8:9], v[8:9] op_sel:[0,1]
	s_andn2_b64 exec, exec, s[16:17]
	s_cbranch_execz .LBB49_34
.LBB49_32:                              ;   Parent Loop BB49_6 Depth=1
                                        ; =>  This Inner Loop Header: Depth=2
	v_add_u32_e32 v13, v13, v3
	v_cmp_gt_u32_e64 s[18:19], s60, v13
	v_cmp_le_u32_e32 vcc, s60, v13
	v_pk_mov_b32 v[8:9], 0, 0
	s_and_saveexec_b64 s[20:21], s[18:19]
	s_cbranch_execz .LBB49_31
; %bb.33:                               ;   in Loop: Header=BB49_32 Depth=2
	v_lshlrev_b64 v[8:9], 3, v[20:21]
	v_mov_b32_e32 v14, s86
	v_add_co_u32_e64 v8, s[18:19], s33, v8
	v_addc_co_u32_e64 v9, s[18:19], v14, v9, s[18:19]
	global_load_dwordx2 v[8:9], v[8:9], off
	s_branch .LBB49_31
.LBB49_34:                              ;   in Loop: Header=BB49_6 Depth=1
	s_or_b64 exec, exec, s[8:9]
	s_waitcnt lgkmcnt(0)
	s_barrier
	s_mov_b64 s[8:9], exec
	v_readlane_b32 s16, v59, 22
	v_readlane_b32 s17, v59, 23
	s_and_b64 s[16:17], s[8:9], s[16:17]
	s_mov_b64 exec, s[16:17]
	s_cbranch_execz .LBB49_36
; %bb.35:                               ;   in Loop: Header=BB49_6 Depth=1
	v_mov_b32_e32 v3, s60
	ds_write_b32 v21, v3 offset:4096
.LBB49_36:                              ;   in Loop: Header=BB49_6 Depth=1
	s_or_b64 exec, exec, s[8:9]
	s_mov_b64 s[8:9], -1
	s_waitcnt lgkmcnt(0)
	s_barrier
                                        ; implicit-def: $sgpr11
.LBB49_37:                              ;   in Loop: Header=BB49_6 Depth=1
	s_and_b64 vcc, exec, s[8:9]
	s_cbranch_vccz .LBB49_39
; %bb.38:                               ;   in Loop: Header=BB49_6 Depth=1
	ds_read_b32 v3, v21 offset:4096
	s_waitcnt lgkmcnt(0)
	v_readfirstlane_b32 s11, v3
.LBB49_39:                              ;   in Loop: Header=BB49_6 Depth=1
	s_cmp_lt_i32 s11, 1
	s_cbranch_scc0 .LBB49_51
; %bb.40:                               ;   in Loop: Header=BB49_6 Depth=1
	v_mov_b32_e32 v8, 0
	s_mov_b32 s8, 0
	v_mov_b32_e32 v9, 0
	v_mov_b32_e32 v10, v8
	;; [unrolled: 1-line block ×3, first 2 shown]
	s_mov_b64 s[48:49], exec
	v_readlane_b32 s16, v59, 55
	v_readlane_b32 s17, v59, 56
	s_and_b64 s[16:17], s[48:49], s[16:17]
	s_mov_b64 exec, s[16:17]
	s_cbranch_execz .LBB49_44
; %bb.41:                               ;   in Loop: Header=BB49_6 Depth=1
	s_and_b32 s9, s5, 0xfe
	s_mov_b64 s[50:51], 0
	s_mov_b32 s16, 0
	s_mov_b32 s17, 0
	;; [unrolled: 1-line block ×4, first 2 shown]
	v_mov_b32_e32 v3, v34
.LBB49_42:                              ;   Parent Loop BB49_6 Depth=1
                                        ; =>  This Inner Loop Header: Depth=2
	v_add_u32_e32 v20, s8, v42
	v_lshlrev_b64 v[12:13], 3, v[20:21]
	s_waitcnt vmcnt(0)
	v_mov_b32_e32 v4, s86
	v_add_u32_e32 v20, s8, v39
	v_add_co_u32_e64 v12, s[18:19], s33, v12
	v_lshlrev_b64 v[14:15], 3, v[20:21]
	v_addc_co_u32_e64 v13, s[18:19], v4, v13, s[18:19]
	v_add_u32_e32 v20, s8, v40
	v_add_co_u32_e64 v14, s[18:19], s33, v14
	v_lshlrev_b64 v[30:31], 3, v[20:21]
	v_addc_co_u32_e64 v15, s[18:19], v4, v15, s[18:19]
	global_load_dwordx2 v[12:13], v[12:13], off
	v_add_u32_e32 v20, s8, v41
	global_load_dwordx2 v[14:15], v[14:15], off
	v_add_co_u32_e64 v30, s[18:19], s33, v30
	v_lshlrev_b64 v[32:33], 3, v[20:21]
	v_addc_co_u32_e64 v31, s[18:19], v4, v31, s[18:19]
	global_load_dwordx2 v[30:31], v[30:31], off
	v_add_co_u32_e64 v32, s[18:19], s33, v32
	v_addc_co_u32_e64 v33, s[18:19], v4, v33, s[18:19]
	global_load_dwordx2 v[32:33], v[32:33], off
	v_mov_b32_e32 v11, v21
	v_mov_b32_e32 v9, v21
	;; [unrolled: 1-line block ×3, first 2 shown]
	v_add_u32_e32 v3, s81, v3
	v_cmp_le_u32_e32 vcc, s13, v3
	s_add_i32 s8, s8, s7
	s_waitcnt vmcnt(3)
	v_xor_b32_e32 v13, 0x80000000, v13
	v_and_b32_e32 v48, v12, v26
	v_and_b32_e32 v49, v13, v27
	v_lshrrev_b64 v[12:13], s9, v[12:13]
	s_waitcnt vmcnt(2)
	v_xor_b32_e32 v15, 0x80000000, v15
	v_and_b32_e32 v20, 3, v12
	v_cmp_eq_u64_e64 s[18:19], v[48:49], v[28:29]
	v_lshrrev_b64 v[12:13], s9, v[14:15]
	v_cmp_eq_u64_e64 s[22:23], 0, v[20:21]
	s_waitcnt vmcnt(1)
	v_xor_b32_e32 v31, 0x80000000, v31
	v_and_b32_e32 v10, 3, v12
	v_cmp_eq_u64_e64 s[24:25], 1, v[20:21]
	s_and_b64 s[22:23], s[18:19], s[22:23]
	v_and_b32_e32 v50, v14, v26
	v_and_b32_e32 v51, v15, v27
	s_waitcnt vmcnt(0)
	v_xor_b32_e32 v33, 0x80000000, v33
	v_lshrrev_b64 v[12:13], s9, v[30:31]
	v_cmp_eq_u64_e64 s[26:27], 2, v[20:21]
	v_cmp_eq_u64_e64 s[34:35], 0, v[10:11]
	;; [unrolled: 1-line block ×5, first 2 shown]
	v_cndmask_b32_e64 v10, 0, 1, s[22:23]
	s_and_b64 s[22:23], s[18:19], s[24:25]
	v_and_b32_e32 v48, v30, v26
	v_cmp_eq_u64_e64 s[20:21], v[50:51], v[28:29]
	v_and_b32_e32 v49, v31, v27
	v_cmp_eq_u64_e64 s[28:29], 3, v[20:21]
	v_and_b32_e32 v8, 3, v12
	v_lshrrev_b64 v[12:13], s9, v[32:33]
	v_cndmask_b32_e64 v11, 0, 1, s[22:23]
	s_and_b64 s[22:23], s[18:19], s[26:27]
	v_cmp_eq_u64_e64 s[30:31], v[48:49], v[28:29]
	v_cndmask_b32_e64 v13, 0, 1, s[22:23]
	s_and_b64 s[18:19], s[18:19], s[28:29]
	v_cmp_eq_u64_e64 s[22:23], 0, v[8:9]
	v_cmp_eq_u64_e64 s[24:25], 1, v[8:9]
	s_and_b64 s[36:37], s[20:21], s[36:37]
	s_and_b64 s[38:39], s[20:21], s[38:39]
	v_and_b32_e32 v14, v32, v26
	v_and_b32_e32 v15, v33, v27
	v_cndmask_b32_e64 v20, 0, 1, s[18:19]
	v_and_b32_e32 v4, 3, v12
	v_cmp_eq_u64_e64 s[26:27], 2, v[8:9]
	v_cmp_eq_u64_e64 s[28:29], 3, v[8:9]
	v_cmp_ne_u32_e64 s[42:43], 0, v10
	s_and_b64 s[34:35], s[20:21], s[34:35]
	v_cndmask_b32_e64 v9, 0, 1, s[36:37]
	v_cndmask_b32_e64 v10, 0, 1, s[38:39]
	s_and_b64 s[20:21], s[20:21], s[40:41]
	s_and_b64 s[22:23], s[30:31], s[22:23]
	;; [unrolled: 1-line block ×3, first 2 shown]
	v_cmp_eq_u64_e64 s[18:19], v[14:15], v[28:29]
	v_cndmask_b32_e64 v8, 0, 1, s[34:35]
	v_cmp_ne_u32_e64 s[34:35], 0, v11
	v_cmp_ne_u32_e64 s[36:37], 0, v13
	v_cmp_ne_u32_e64 s[38:39], 0, v20
	v_cndmask_b32_e64 v11, 0, 1, s[20:21]
	v_cmp_eq_u64_e64 s[20:21], 0, v[4:5]
	v_cmp_eq_u64_e64 s[40:41], 1, v[4:5]
	;; [unrolled: 1-line block ×4, first 2 shown]
	v_cndmask_b32_e64 v4, 0, 1, s[22:23]
	v_cmp_ne_u32_e64 s[22:23], 0, v9
	v_cndmask_b32_e64 v5, 0, 1, s[24:25]
	v_cmp_ne_u32_e64 s[24:25], 0, v10
	s_and_b64 s[26:27], s[30:31], s[26:27]
	s_and_b64 s[28:29], s[30:31], s[28:29]
	s_bcnt1_i32_b64 s54, s[42:43]
	v_cmp_ne_u32_e64 s[42:43], 0, v8
	s_bcnt1_i32_b64 s34, s[34:35]
	s_bcnt1_i32_b64 s35, s[36:37]
	v_cndmask_b32_e64 v8, 0, 1, s[26:27]
	s_bcnt1_i32_b64 s36, s[38:39]
	v_cmp_ne_u32_e64 s[26:27], 0, v11
	v_cndmask_b32_e64 v9, 0, 1, s[28:29]
	s_and_b64 s[20:21], s[18:19], s[20:21]
	s_bcnt1_i32_b64 s37, s[22:23]
	s_and_b64 s[22:23], s[18:19], s[40:41]
	s_bcnt1_i32_b64 s38, s[24:25]
	s_and_b64 s[24:25], s[18:19], s[44:45]
	s_and_b64 s[18:19], s[18:19], s[46:47]
	s_bcnt1_i32_b64 s30, s[42:43]
	v_cmp_ne_u32_e64 s[28:29], 0, v4
	v_cndmask_b32_e64 v4, 0, 1, s[20:21]
	s_add_i32 s31, s53, s54
	v_cmp_ne_u32_e64 s[20:21], 0, v5
	v_cndmask_b32_e64 v5, 0, 1, s[22:23]
	s_add_i32 s34, s52, s34
	;; [unrolled: 3-line block ×3, first 2 shown]
	s_bcnt1_i32_b64 s26, s[26:27]
	v_cmp_ne_u32_e64 s[24:25], 0, v9
	v_cndmask_b32_e64 v9, 0, 1, s[18:19]
	s_add_i32 s16, s16, s36
	s_bcnt1_i32_b64 s27, s[28:29]
	v_cmp_ne_u32_e64 s[18:19], 0, v4
	s_add_i32 s28, s31, s30
	s_bcnt1_i32_b64 s29, s[20:21]
	v_cmp_ne_u32_e64 s[20:21], 0, v5
	;; [unrolled: 3-line block ×4, first 2 shown]
	s_add_i32 s16, s16, s26
	s_bcnt1_i32_b64 s18, s[18:19]
	s_add_i32 s19, s28, s27
	s_bcnt1_i32_b64 s20, s[20:21]
	;; [unrolled: 2-line block ×4, first 2 shown]
	s_add_i32 s16, s16, s34
	s_add_i32 s53, s19, s18
	;; [unrolled: 1-line block ×5, first 2 shown]
	s_or_b64 s[50:51], vcc, s[50:51]
	v_mov_b32_e32 v8, s53
	v_mov_b32_e32 v9, s52
	v_mov_b32_e32 v10, s17
	v_mov_b32_e32 v11, s16
	s_andn2_b64 exec, exec, s[50:51]
	s_cbranch_execnz .LBB49_42
; %bb.43:                               ;   in Loop: Header=BB49_6 Depth=1
	s_or_b64 exec, exec, s[50:51]
.LBB49_44:                              ;   in Loop: Header=BB49_6 Depth=1
	s_or_b64 exec, exec, s[48:49]
	v_pk_mov_b32 v[12:13], 0, 0
	s_and_saveexec_b64 s[8:9], s[14:15]
	s_cbranch_execz .LBB49_46
; %bb.45:                               ;   in Loop: Header=BB49_6 Depth=1
	global_load_dwordx2 v[12:13], v[24:25], off
.LBB49_46:                              ;   in Loop: Header=BB49_6 Depth=1
	s_or_b64 exec, exec, s[8:9]
	s_mov_b64 s[16:17], 0
	s_mov_b64 s[88:89], 0
	s_and_saveexec_b64 s[20:21], s[14:15]
	s_cbranch_execz .LBB49_53
; %bb.47:                               ;   in Loop: Header=BB49_6 Depth=1
	s_and_b32 s24, s5, 0xfe
	s_mov_b64 s[8:9], 0
	s_waitcnt vmcnt(0)
	v_mov_b32_e32 v4, v43
	v_mov_b32_e32 v3, v38
	s_branch .LBB49_49
.LBB49_48:                              ;   in Loop: Header=BB49_49 Depth=2
	s_or_b64 exec, exec, s[22:23]
	v_xor_b32_e32 v13, 0x80000000, v13
	v_and_b32_e32 v31, v13, v27
	v_and_b32_e32 v30, v12, v26
	v_lshrrev_b64 v[12:13], s24, v[12:13]
	s_and_b64 s[18:19], exec, vcc
	v_and_b32_e32 v20, 3, v12
	s_or_b64 s[8:9], s[18:19], s[8:9]
	v_cmp_eq_u64_e32 vcc, v[30:31], v[28:29]
	v_cmp_eq_u64_e64 s[18:19], 0, v[20:21]
	s_and_b64 s[18:19], vcc, s[18:19]
	v_cndmask_b32_e64 v5, 0, 1, s[18:19]
	v_cmp_ne_u32_e64 s[18:19], 0, v5
	s_bcnt1_i32_b64 s18, s[18:19]
	v_add_u32_e32 v8, s18, v8
	v_cmp_eq_u64_e64 s[18:19], 1, v[20:21]
	s_and_b64 s[18:19], vcc, s[18:19]
	v_cndmask_b32_e64 v5, 0, 1, s[18:19]
	v_cmp_ne_u32_e64 s[18:19], 0, v5
	s_bcnt1_i32_b64 s18, s[18:19]
	v_add_u32_e32 v9, s18, v9
	;; [unrolled: 6-line block ×3, first 2 shown]
	v_cmp_eq_u64_e64 s[18:19], 3, v[20:21]
	s_and_b64 s[18:19], vcc, s[18:19]
	v_cndmask_b32_e64 v5, 0, 1, s[18:19]
	v_cmp_ne_u32_e32 vcc, 0, v5
	s_bcnt1_i32_b64 s18, vcc
	v_add_u32_e32 v11, s18, v11
	v_add_u32_e32 v4, s80, v4
	s_waitcnt vmcnt(0)
	v_pk_mov_b32 v[12:13], v[14:15], v[14:15] op_sel:[0,1]
	s_andn2_b64 exec, exec, s[8:9]
	s_cbranch_execz .LBB49_52
.LBB49_49:                              ;   Parent Loop BB49_6 Depth=1
                                        ; =>  This Inner Loop Header: Depth=2
	v_add_u32_e32 v3, s87, v3
	v_cmp_gt_u32_e64 s[18:19], s60, v3
	v_cmp_le_u32_e32 vcc, s60, v3
	v_pk_mov_b32 v[14:15], 0, 0
	s_and_saveexec_b64 s[22:23], s[18:19]
	s_cbranch_execz .LBB49_48
; %bb.50:                               ;   in Loop: Header=BB49_49 Depth=2
	v_mov_b32_e32 v5, v21
	v_lshlrev_b64 v[14:15], 3, v[4:5]
	v_mov_b32_e32 v5, s86
	v_add_co_u32_e64 v14, s[18:19], s33, v14
	v_addc_co_u32_e64 v15, s[18:19], v5, v15, s[18:19]
	global_load_dwordx2 v[14:15], v[14:15], off
	s_branch .LBB49_48
.LBB49_51:                              ;   in Loop: Header=BB49_6 Depth=1
	s_mov_b64 s[88:89], 0
                                        ; implicit-def: $vgpr11
	s_cbranch_execnz .LBB49_54
	s_branch .LBB49_63
.LBB49_52:                              ;   in Loop: Header=BB49_6 Depth=1
	s_or_b64 exec, exec, s[8:9]
	s_mov_b64 s[88:89], exec
.LBB49_53:                              ;   in Loop: Header=BB49_6 Depth=1
	s_or_b64 exec, exec, s[20:21]
	s_and_b64 vcc, exec, s[16:17]
	s_cbranch_vccz .LBB49_63
.LBB49_54:                              ;   in Loop: Header=BB49_6 Depth=1
	v_readlane_b32 s8, v59, 54
	s_mul_hi_u32 s8, s11, s8
	s_mul_i32 s8, s8, s81
	s_sub_i32 s8, s11, s8
	s_sub_i32 s9, s8, s81
	s_cmp_ge_u32 s8, s81
	s_cselect_b32 s8, s9, s8
	s_sub_i32 s9, s8, s81
	s_cmp_ge_u32 s8, s81
	s_cselect_b32 s8, s9, s8
	s_sub_i32 s8, s11, s8
	v_cmp_gt_u32_e32 vcc, s8, v34
	s_mov_b32 s9, 0
	v_mov_b32_e32 v8, 0
	v_mov_b32_e32 v9, 0
	;; [unrolled: 1-line block ×4, first 2 shown]
	s_and_saveexec_b64 s[90:91], vcc
	s_cbranch_execz .LBB49_58
; %bb.55:                               ;   in Loop: Header=BB49_6 Depth=1
	s_and_b32 s62, s5, 0xfe
	s_mov_b64 s[16:17], 0
	v_mov_b32_e32 v3, v44
	s_mov_b32 s63, 0
	s_mov_b32 s84, 0
	s_mov_b32 s85, 0
	v_mov_b32_e32 v48, v34
.LBB49_56:                              ;   Parent Loop BB49_6 Depth=1
                                        ; =>  This Inner Loop Header: Depth=2
	s_waitcnt vmcnt(0)
	ds_read_b128 v[12:15], v3
	ds_read_b128 v[8:11], v3 offset:16
	v_mov_b32_e32 v5, v21
	v_mov_b32_e32 v31, v21
	;; [unrolled: 1-line block ×3, first 2 shown]
	s_waitcnt lgkmcnt(1)
	v_xor_b32_e32 v13, 0x80000000, v13
	v_xor_b32_e32 v15, 0x80000000, v15
	v_and_b32_e32 v50, v12, v26
	v_and_b32_e32 v51, v13, v27
	v_lshrrev_b64 v[12:13], s62, v[12:13]
	s_waitcnt lgkmcnt(0)
	v_xor_b32_e32 v9, 0x80000000, v9
	v_and_b32_e32 v52, v14, v26
	v_and_b32_e32 v53, v15, v27
	v_lshrrev_b64 v[14:15], s62, v[14:15]
	v_and_b32_e32 v20, 3, v12
	v_xor_b32_e32 v11, 0x80000000, v11
	v_and_b32_e32 v54, v8, v26
	v_and_b32_e32 v55, v9, v27
	v_lshrrev_b64 v[8:9], s62, v[8:9]
	v_cmp_eq_u64_e64 s[18:19], v[50:51], v[28:29]
	v_and_b32_e32 v4, 3, v14
	v_cmp_eq_u64_e64 s[26:27], 0, v[20:21]
	v_and_b32_e32 v56, v10, v26
	v_and_b32_e32 v57, v11, v27
	v_lshrrev_b64 v[10:11], s62, v[10:11]
	v_cmp_eq_u64_e64 s[20:21], v[52:53], v[28:29]
	v_and_b32_e32 v30, 3, v8
	v_cmp_eq_u64_e64 s[28:29], 0, v[4:5]
	s_and_b64 s[26:27], s[18:19], s[26:27]
	v_cmp_eq_u64_e64 s[22:23], v[54:55], v[28:29]
	v_and_b32_e32 v32, 3, v10
	v_cmp_eq_u64_e64 s[30:31], 0, v[30:31]
	v_cmp_eq_u64_e64 s[38:39], 1, v[4:5]
	;; [unrolled: 1-line block ×4, first 2 shown]
	v_cndmask_b32_e64 v4, 0, 1, s[26:27]
	s_and_b64 s[26:27], s[20:21], s[28:29]
	v_cmp_eq_u64_e64 s[24:25], v[56:57], v[28:29]
	v_cmp_eq_u64_e64 s[34:35], 0, v[32:33]
	v_cndmask_b32_e64 v5, 0, 1, s[26:27]
	s_and_b64 s[26:27], s[22:23], s[30:31]
	v_cmp_eq_u64_e64 s[36:37], 1, v[20:21]
	v_cndmask_b32_e64 v8, 0, 1, s[26:27]
	s_and_b64 s[26:27], s[24:25], s[34:35]
	v_cndmask_b32_e64 v9, 0, 1, s[26:27]
	s_and_b64 s[26:27], s[18:19], s[36:37]
	v_cmp_eq_u64_e64 s[40:41], 1, v[30:31]
	v_cndmask_b32_e64 v10, 0, 1, s[26:27]
	s_and_b64 s[26:27], s[20:21], s[38:39]
	v_cmp_eq_u64_e64 s[42:43], 1, v[32:33]
	;; [unrolled: 3-line block ×3, first 2 shown]
	v_cmp_eq_u64_e64 s[52:53], 3, v[20:21]
	v_cndmask_b32_e64 v12, 0, 1, s[26:27]
	s_and_b64 s[26:27], s[24:25], s[42:43]
	v_cndmask_b32_e64 v13, 0, 1, s[26:27]
	s_and_b64 s[26:27], s[18:19], s[44:45]
	s_and_b64 s[18:19], s[18:19], s[52:53]
	v_cmp_eq_u64_e64 s[48:49], 2, v[30:31]
	v_cmp_eq_u64_e64 s[56:57], 3, v[30:31]
	v_cndmask_b32_e64 v14, 0, 1, s[26:27]
	s_and_b64 s[26:27], s[20:21], s[46:47]
	v_cndmask_b32_e64 v31, 0, 1, s[18:19]
	s_and_b64 s[18:19], s[20:21], s[54:55]
	v_cmp_eq_u64_e64 s[50:51], 2, v[32:33]
	v_cmp_eq_u64_e64 s[58:59], 3, v[32:33]
	v_cndmask_b32_e64 v15, 0, 1, s[26:27]
	s_and_b64 s[26:27], s[22:23], s[48:49]
	v_cndmask_b32_e64 v32, 0, 1, s[18:19]
	s_and_b64 s[18:19], s[22:23], s[56:57]
	v_cndmask_b32_e64 v20, 0, 1, s[26:27]
	s_and_b64 s[26:27], s[24:25], s[50:51]
	v_cndmask_b32_e64 v33, 0, 1, s[18:19]
	s_and_b64 s[18:19], s[24:25], s[58:59]
	v_cndmask_b32_e64 v30, 0, 1, s[26:27]
	v_cndmask_b32_e64 v49, 0, 1, s[18:19]
	v_cmp_ne_u32_e64 s[18:19], 0, v4
	v_cmp_ne_u32_e64 s[20:21], 0, v5
	;; [unrolled: 1-line block ×11, first 2 shown]
	s_bcnt1_i32_b64 s18, s[18:19]
	s_bcnt1_i32_b64 s19, s[20:21]
	;; [unrolled: 1-line block ×8, first 2 shown]
	v_cmp_ne_u32_e64 s[34:35], 0, v13
	v_cmp_ne_u32_e64 s[40:41], 0, v20
	;; [unrolled: 1-line block ×3, first 2 shown]
	s_bcnt1_i32_b64 s23, s[28:29]
	s_bcnt1_i32_b64 s27, s[38:39]
	;; [unrolled: 1-line block ×3, first 2 shown]
	s_add_i32 s18, s85, s18
	s_add_i32 s22, s84, s22
	;; [unrolled: 1-line block ×4, first 2 shown]
	v_cmp_ne_u32_e64 s[42:43], 0, v30
	v_cmp_ne_u32_e64 s[50:51], 0, v49
	s_bcnt1_i32_b64 s25, s[34:35]
	s_bcnt1_i32_b64 s28, s[40:41]
	;; [unrolled: 1-line block ×3, first 2 shown]
	s_add_i32 s18, s18, s19
	s_add_i32 s19, s22, s23
	;; [unrolled: 1-line block ×4, first 2 shown]
	v_add_u32_e32 v48, s81, v48
	s_bcnt1_i32_b64 s29, s[42:43]
	s_bcnt1_i32_b64 s35, s[50:51]
	s_add_i32 s18, s18, s20
	s_add_i32 s19, s19, s24
	;; [unrolled: 1-line block ×4, first 2 shown]
	v_cmp_le_u32_e32 vcc, s8, v48
	s_add_i32 s85, s18, s21
	s_add_i32 s84, s19, s25
	;; [unrolled: 1-line block ×4, first 2 shown]
	v_add_u32_e32 v3, s12, v3
	s_or_b64 s[16:17], vcc, s[16:17]
	v_mov_b32_e32 v8, s85
	v_mov_b32_e32 v9, s84
	v_mov_b32_e32 v10, s63
	v_mov_b32_e32 v11, s9
	s_andn2_b64 exec, exec, s[16:17]
	s_cbranch_execnz .LBB49_56
; %bb.57:                               ;   in Loop: Header=BB49_6 Depth=1
	s_or_b64 exec, exec, s[16:17]
.LBB49_58:                              ;   in Loop: Header=BB49_6 Depth=1
	s_or_b64 exec, exec, s[90:91]
	v_add_u32_e32 v3, s8, v0
	v_cmp_gt_u32_e32 vcc, s11, v3
	s_and_saveexec_b64 s[16:17], vcc
	s_cbranch_execz .LBB49_62
; %bb.59:                               ;   in Loop: Header=BB49_6 Depth=1
	s_and_b32 s8, s5, 0xfe
	s_waitcnt vmcnt(0)
	v_lshlrev_b32_e32 v4, 3, v3
	s_mov_b64 s[28:29], 0
.LBB49_60:                              ;   Parent Loop BB49_6 Depth=1
                                        ; =>  This Inner Loop Header: Depth=2
	ds_read_b64 v[12:13], v4
	v_add_u32_e32 v3, s87, v3
	v_cmp_le_u32_e32 vcc, s11, v3
	v_add_u32_e32 v4, s4, v4
	s_waitcnt lgkmcnt(0)
	v_xor_b32_e32 v13, 0x80000000, v13
	v_and_b32_e32 v14, v12, v26
	v_and_b32_e32 v15, v13, v27
	v_lshrrev_b64 v[12:13], s8, v[12:13]
	v_and_b32_e32 v20, 3, v12
	v_cmp_eq_u64_e64 s[18:19], v[14:15], v[28:29]
	v_cmp_eq_u64_e64 s[20:21], 0, v[20:21]
	;; [unrolled: 1-line block ×3, first 2 shown]
	s_and_b64 s[20:21], s[18:19], s[20:21]
	v_cmp_eq_u64_e64 s[24:25], 2, v[20:21]
	v_cmp_eq_u64_e64 s[26:27], 3, v[20:21]
	v_cndmask_b32_e64 v5, 0, 1, s[20:21]
	s_and_b64 s[20:21], s[18:19], s[22:23]
	v_cndmask_b32_e64 v12, 0, 1, s[20:21]
	s_and_b64 s[20:21], s[18:19], s[24:25]
	s_and_b64 s[18:19], s[18:19], s[26:27]
	v_cndmask_b32_e64 v13, 0, 1, s[20:21]
	v_cndmask_b32_e64 v14, 0, 1, s[18:19]
	v_cmp_ne_u32_e64 s[18:19], 0, v5
	v_cmp_ne_u32_e64 s[20:21], 0, v12
	v_cmp_ne_u32_e64 s[22:23], 0, v13
	v_cmp_ne_u32_e64 s[24:25], 0, v14
	s_bcnt1_i32_b64 s9, s[18:19]
	s_bcnt1_i32_b64 s18, s[20:21]
	;; [unrolled: 1-line block ×4, first 2 shown]
	v_add_u32_e32 v8, s9, v8
	v_add_u32_e32 v9, s18, v9
	;; [unrolled: 1-line block ×3, first 2 shown]
	s_or_b64 s[28:29], vcc, s[28:29]
	v_add_u32_e32 v11, s20, v11
	s_andn2_b64 exec, exec, s[28:29]
	s_cbranch_execnz .LBB49_60
; %bb.61:                               ;   in Loop: Header=BB49_6 Depth=1
	s_or_b64 exec, exec, s[28:29]
	s_or_b64 s[88:89], s[88:89], exec
.LBB49_62:                              ;   in Loop: Header=BB49_6 Depth=1
	s_or_b64 exec, exec, s[16:17]
.LBB49_63:                              ;   in Loop: Header=BB49_6 Depth=1
	s_and_saveexec_b64 s[8:9], s[88:89]
	s_or_b64 exec, exec, s[8:9]
	s_lshl_b32 s11, s10, 6
	s_and_saveexec_b64 s[8:9], s[0:1]
	s_cbranch_execz .LBB49_65
; %bb.64:                               ;   in Loop: Header=BB49_6 Depth=1
	v_or_b32_e32 v3, s11, v35
	v_lshlrev_b32_e32 v3, 2, v3
	ds_write_b128 v3, v[8:11] offset:3072
.LBB49_65:                              ;   in Loop: Header=BB49_6 Depth=1
	s_or_b64 exec, exec, s[8:9]
	s_waitcnt lgkmcnt(0)
	s_barrier
	s_and_saveexec_b64 s[16:17], s[82:83]
	s_cbranch_execz .LBB49_79
; %bb.66:                               ;   in Loop: Header=BB49_6 Depth=1
	v_readlane_b32 s8, v59, 33
	v_readlane_b32 s9, v59, 34
	v_add_u32_e32 v3, s11, v1
	s_andn2_b64 vcc, exec, s[8:9]
	s_waitcnt vmcnt(0)
	v_mov_b32_e32 v4, 0
	s_cbranch_vccnz .LBB49_78
; %bb.67:                               ;   in Loop: Header=BB49_6 Depth=1
	v_readlane_b32 s8, v59, 38
	v_readlane_b32 s9, v59, 39
	s_mov_b32 s18, 0
	s_and_b64 vcc, exec, s[8:9]
	v_mov_b32_e32 v4, 0
	s_cbranch_vccz .LBB49_71
; %bb.68:                               ;   in Loop: Header=BB49_6 Depth=1
	v_readlane_b32 s8, v59, 44
	v_readlane_b32 s18, v59, 25
	;; [unrolled: 1-line block ×3, first 2 shown]
	v_lshl_add_u32 v8, v3, 2, v46
	v_readlane_b32 s19, v59, 26
	s_andn2_b64 vcc, exec, s[8:9]
	s_cbranch_vccnz .LBB49_72
; %bb.69:                               ;   in Loop: Header=BB49_6 Depth=1
	v_writelane_b32 v59, s18, 25
	v_writelane_b32 v59, s19, 26
	s_mov_b32 s19, 1
	s_mov_b32 s18, 0
	v_mov_b32_e32 v4, 0
	v_readlane_b32 s8, v59, 46
	v_mov_b32_e32 v5, 0
.LBB49_70:                              ;   Parent Loop BB49_6 Depth=1
                                        ; =>  This Inner Loop Header: Depth=2
	v_lshl_add_u32 v9, s18, 4, v8
	v_lshl_add_u32 v20, s19, 4, v8
	ds_read2_b32 v[10:11], v9 offset1:8
	ds_read2_b32 v[12:13], v20 offset1:8
	ds_read2_b32 v[14:15], v9 offset0:16 offset1:24
	ds_read2_b32 v[30:31], v20 offset0:16 offset1:24
	ds_read2_b32 v[32:33], v9 offset0:32 offset1:40
	ds_read2_b32 v[48:49], v20 offset0:32 offset1:40
	ds_read2_b32 v[50:51], v9 offset0:48 offset1:56
	ds_read2_b32 v[52:53], v20 offset0:48 offset1:56
	s_waitcnt lgkmcnt(7)
	v_add3_u32 v4, v10, v4, v11
	s_waitcnt lgkmcnt(6)
	v_add3_u32 v5, v12, v5, v13
	;; [unrolled: 2-line block ×3, first 2 shown]
	v_add3_u32 v4, v14, v4, v15
	s_add_i32 s19, s19, 16
	s_add_i32 s18, s18, 16
	s_add_i32 s8, s8, -8
	s_waitcnt lgkmcnt(3)
	v_add3_u32 v4, v32, v4, v33
	s_waitcnt lgkmcnt(2)
	v_add3_u32 v5, v48, v5, v49
	s_cmp_lg_u32 s8, 0
	s_waitcnt lgkmcnt(0)
	v_add3_u32 v5, v52, v5, v53
	v_add3_u32 v4, v50, v4, v51
	s_cbranch_scc1 .LBB49_70
	s_branch .LBB49_73
.LBB49_71:                              ;   in Loop: Header=BB49_6 Depth=1
	s_cbranch_execnz .LBB49_76
	s_branch .LBB49_78
.LBB49_72:                              ;   in Loop: Header=BB49_6 Depth=1
	s_mov_b32 s8, s18
	s_mov_b32 s19, s18
	v_writelane_b32 v59, s8, 25
	v_pk_mov_b32 v[4:5], s[18:19], s[18:19] op_sel:[0,1]
	s_mov_b32 s19, 1
	v_writelane_b32 v59, s9, 26
.LBB49_73:                              ;   in Loop: Header=BB49_6 Depth=1
	v_readlane_b32 s8, v59, 48
	v_readlane_b32 s9, v59, 49
	s_andn2_b64 vcc, exec, s[8:9]
	v_readlane_b32 s8, v59, 47
	s_cbranch_vccnz .LBB49_75
.LBB49_74:                              ;   Parent Loop BB49_6 Depth=1
                                        ; =>  This Inner Loop Header: Depth=2
	v_lshl_add_u32 v9, s18, 4, v8
	v_lshl_add_u32 v10, s19, 4, v8
	ds_read_b32 v10, v10
	ds_read_b32 v9, v9
	s_add_i32 s19, s19, 2
	s_add_i32 s18, s18, 2
	s_add_i32 s8, s8, -1
	s_cmp_lg_u32 s8, 0
	s_waitcnt lgkmcnt(1)
	v_add_u32_e32 v5, v10, v5
	s_waitcnt lgkmcnt(0)
	v_add_u32_e32 v4, v9, v4
	s_cbranch_scc1 .LBB49_74
.LBB49_75:                              ;   in Loop: Header=BB49_6 Depth=1
	v_readlane_b32 s8, v59, 52
	v_add_u32_e32 v4, v4, v5
	v_readlane_b32 s18, v59, 51
	v_readlane_b32 s9, v59, 53
	s_and_b64 vcc, exec, s[8:9]
	s_cbranch_vccz .LBB49_78
.LBB49_76:                              ;   in Loop: Header=BB49_6 Depth=1
	s_lshl_b32 s8, s10, 8
	s_lshl_b32 s9, s18, 4
	s_add_i32 s8, s8, s9
	v_add_u32_e32 v5, s8, v45
	v_readlane_b32 s8, v59, 50
	s_sub_i32 s8, s8, s18
.LBB49_77:                              ;   Parent Loop BB49_6 Depth=1
                                        ; =>  This Inner Loop Header: Depth=2
	ds_read_b32 v8, v5
	s_add_i32 s8, s8, -1
	v_add_u32_e32 v5, 16, v5
	s_cmp_eq_u32 s8, 0
	s_waitcnt lgkmcnt(0)
	v_add_u32_e32 v4, v8, v4
	s_cbranch_scc0 .LBB49_77
.LBB49_78:                              ;   in Loop: Header=BB49_6 Depth=1
	v_lshlrev_b32_e32 v3, 2, v3
	ds_write_b32 v3, v4 offset:3072
.LBB49_79:                              ;   in Loop: Header=BB49_6 Depth=1
	s_or_b64 exec, exec, s[16:17]
	s_lshl_b32 s8, s11, 2
	v_mov_b32_e32 v3, s8
	s_waitcnt lgkmcnt(0)
	s_barrier
	ds_read_b128 v[8:11], v3 offset:3072
	s_and_b32 s55, s5, 0xfe
	v_readlane_b32 s8, v59, 29
	s_lshl_b64 s[22:23], 3, s55
	v_readlane_b32 s9, v59, 30
	s_waitcnt lgkmcnt(0)
	v_readfirstlane_b32 s11, v8
	v_readfirstlane_b32 s54, v9
	;; [unrolled: 1-line block ×4, first 2 shown]
	s_not_b64 s[24:25], s[22:23]
	s_andn2_b64 vcc, exec, s[8:9]
	v_cmp_eq_u32_e64 s[18:19], 1, v47
                                        ; implicit-def: $vgpr58 : SGPR spill to VGPR lane
	s_cbranch_vccnz .LBB49_92
; %bb.80:                               ;   in Loop: Header=BB49_6 Depth=1
	s_cmp_eq_u32 s11, 1
	s_cselect_b64 s[8:9], -1, 0
	s_and_b64 s[40:41], s[8:9], s[18:19]
	s_mov_b64 s[8:9], -1
	s_waitcnt vmcnt(0)
	v_pk_mov_b32 v[12:13], v[28:29], v[28:29] op_sel:[0,1]
	v_pk_mov_b32 v[14:15], v[26:27], v[26:27] op_sel:[0,1]
	;; [unrolled: 1-line block ×3, first 2 shown]
                                        ; implicit-def: $sgpr26_sgpr27
                                        ; implicit-def: $sgpr34_sgpr35
                                        ; implicit-def: $sgpr30_sgpr31
	s_and_saveexec_b64 s[28:29], s[40:41]
	s_cbranch_execz .LBB49_108
; %bb.81:                               ;   in Loop: Header=BB49_6 Depth=1
	ds_read_b32 v3, v21 offset:4096
	s_waitcnt lgkmcnt(0)
	s_barrier
	v_readfirstlane_b32 s30, v3
	s_mov_b64 s[8:9], exec
	v_readlane_b32 s16, v59, 42
	v_readlane_b32 s17, v59, 43
	s_and_b64 s[16:17], s[8:9], s[16:17]
	s_mov_b64 exec, s[16:17]
	s_cbranch_execz .LBB49_83
; %bb.82:                               ;   in Loop: Header=BB49_6 Depth=1
	v_mov_b32_e32 v20, v21
	ds_write_b64 v37, v[20:21]
.LBB49_83:                              ;   in Loop: Header=BB49_6 Depth=1
	s_or_b64 exec, exec, s[8:9]
	v_and_b32_e32 v13, s25, v29
	v_and_b32_e32 v12, s24, v28
	v_or_b32_e32 v15, s23, v27
	v_or_b32_e32 v14, s22, v26
	s_cmp_eq_u32 s30, 0
	s_waitcnt lgkmcnt(0)
	s_barrier
	s_cbranch_scc1 .LBB49_94
; %bb.84:                               ;   in Loop: Header=BB49_6 Depth=1
	v_readlane_b32 s8, v59, 35
	s_add_i32 s8, s30, s8
	v_readlane_b32 s9, v59, 57
	s_mul_hi_u32 s9, s8, s9
	s_mul_i32 s9, s9, s87
	s_sub_i32 s9, s8, s9
	s_sub_i32 s16, s9, s87
	s_cmp_ge_u32 s9, s87
	s_cselect_b32 s9, s16, s9
	s_sub_i32 s16, s9, s87
	s_cmp_ge_u32 s9, s87
	s_cselect_b32 s9, s16, s9
	s_sub_i32 s31, s8, s9
	v_cmp_gt_u32_e32 vcc, s31, v0
	s_mov_b64 s[20:21], 0
                                        ; implicit-def: $vgpr10_vgpr11
	s_and_saveexec_b64 s[8:9], vcc
	s_cbranch_execz .LBB49_96
; %bb.85:                               ;   in Loop: Header=BB49_6 Depth=1
	v_mov_b32_e32 v20, v36
	v_mov_b32_e32 v30, v0
                                        ; implicit-def: $sgpr16_sgpr17
	s_branch .LBB49_87
.LBB49_86:                              ;   in Loop: Header=BB49_87 Depth=2
	s_or_b64 exec, exec, s[26:27]
	s_waitcnt lgkmcnt(0)
	s_barrier
	ds_read_b128 v[8:11], v21 offset:3072
	v_add_u32_e32 v30, s87, v30
	v_cmp_le_u32_e32 vcc, s31, v30
	v_add_u32_e32 v20, s4, v20
	s_waitcnt lgkmcnt(0)
	v_readfirstlane_b32 s27, v9
	v_readfirstlane_b32 s26, v8
	s_cmp_lg_u64 s[26:27], 0
	s_cselect_b64 s[26:27], -1, 0
	s_or_b64 s[34:35], vcc, s[26:27]
	s_and_b64 s[34:35], exec, s[34:35]
	s_or_b64 s[20:21], s[34:35], s[20:21]
	s_andn2_b64 s[16:17], s[16:17], exec
	s_and_b64 s[26:27], s[26:27], exec
	s_or_b64 s[16:17], s[16:17], s[26:27]
	s_barrier
	s_andn2_b64 exec, exec, s[20:21]
	s_cbranch_execz .LBB49_95
.LBB49_87:                              ;   Parent Loop BB49_6 Depth=1
                                        ; =>  This Inner Loop Header: Depth=2
	v_cmp_gt_u32_e32 vcc, s30, v30
	v_pk_mov_b32 v[4:5], 0, 0
	s_and_saveexec_b64 s[26:27], vcc
	s_cbranch_execz .LBB49_89
; %bb.88:                               ;   in Loop: Header=BB49_87 Depth=2
	ds_read_b64 v[4:5], v20
.LBB49_89:                              ;   in Loop: Header=BB49_87 Depth=2
	s_or_b64 exec, exec, s[26:27]
	s_and_saveexec_b64 s[26:27], vcc
	s_cbranch_execz .LBB49_86
; %bb.90:                               ;   in Loop: Header=BB49_87 Depth=2
	s_waitcnt lgkmcnt(0)
	v_xor_b32_e32 v3, 0x80000000, v5
	v_and_b32_e32 v9, v3, v15
	v_and_b32_e32 v8, v4, v14
	v_cmp_eq_u64_e32 vcc, v[8:9], v[12:13]
	s_and_b64 exec, exec, vcc
	s_cbranch_execz .LBB49_86
; %bb.91:                               ;   in Loop: Header=BB49_87 Depth=2
	v_mov_b32_e32 v3, v21
	ds_write_b128 v21, v[2:5] offset:3072
	s_branch .LBB49_86
.LBB49_92:                              ;   in Loop: Header=BB49_6 Depth=1
	s_mov_b64 s[28:29], 0
	s_mov_b64 s[20:21], 0
                                        ; implicit-def: $sgpr30_sgpr31
                                        ; implicit-def: $sgpr34_sgpr35
                                        ; implicit-def: $sgpr26_sgpr27
                                        ; implicit-def: $vgpr3
                                        ; implicit-def: $vgpr30
                                        ; implicit-def: $vgpr12_vgpr13
                                        ; implicit-def: $vgpr14_vgpr15
                                        ; implicit-def: $vgpr10_vgpr11
	s_cbranch_execnz .LBB49_244
.LBB49_93:                              ;   in Loop: Header=BB49_6 Depth=1
	s_mov_b64 s[36:37], s[26:27]
	s_mov_b64 s[38:39], s[26:27]
	s_and_saveexec_b64 s[8:9], s[28:29]
	s_cbranch_execnz .LBB49_406
	s_branch .LBB49_407
.LBB49_94:                              ;   in Loop: Header=BB49_6 Depth=1
	s_mov_b64 s[26:27], -1
	s_mov_b64 s[20:21], 0
                                        ; implicit-def: $sgpr30_sgpr31
                                        ; implicit-def: $vgpr10_vgpr11
	s_mov_b64 s[34:35], s[26:27]
	s_cbranch_execnz .LBB49_97
	s_branch .LBB49_107
.LBB49_95:                              ;   in Loop: Header=BB49_6 Depth=1
	s_or_b64 exec, exec, s[20:21]
	s_and_b64 s[20:21], s[16:17], exec
.LBB49_96:                              ;   in Loop: Header=BB49_6 Depth=1
	s_or_b64 exec, exec, s[8:9]
	s_mov_b64 s[30:31], -1
	s_mov_b64 s[26:27], 0
	s_mov_b64 s[34:35], s[26:27]
	s_branch .LBB49_107
.LBB49_97:                              ;   in Loop: Header=BB49_6 Depth=1
	s_mov_b64 s[20:21], 0
                                        ; implicit-def: $vgpr10_vgpr11
	s_mov_b64 s[16:17], exec
	v_readlane_b32 s8, v59, 58
	v_readlane_b32 s9, v59, 59
	s_and_b64 s[8:9], s[16:17], s[8:9]
	s_mov_b64 exec, s[8:9]
	s_cbranch_execz .LBB49_106
; %bb.98:                               ;   in Loop: Header=BB49_6 Depth=1
	s_mov_b64 s[26:27], 0
	v_mov_b32_e32 v20, v22
	v_mov_b32_e32 v30, v0
                                        ; implicit-def: $sgpr8_sgpr9
	s_branch .LBB49_100
.LBB49_99:                              ;   in Loop: Header=BB49_100 Depth=2
	s_or_b64 exec, exec, s[20:21]
	s_waitcnt lgkmcnt(0)
	s_barrier
	ds_read_b128 v[8:11], v21 offset:3072
	v_add_u32_e32 v30, s87, v30
	v_cmp_le_u32_e32 vcc, s6, v30
	v_add_u32_e32 v20, s80, v20
	s_waitcnt lgkmcnt(0)
	v_readfirstlane_b32 s21, v9
	v_readfirstlane_b32 s20, v8
	s_cmp_lg_u64 s[20:21], 0
	s_cselect_b64 s[20:21], -1, 0
	s_or_b64 s[30:31], vcc, s[20:21]
	s_and_b64 s[30:31], exec, s[30:31]
	s_or_b64 s[26:27], s[30:31], s[26:27]
	s_andn2_b64 s[8:9], s[8:9], exec
	s_and_b64 s[20:21], s[20:21], exec
	s_or_b64 s[8:9], s[8:9], s[20:21]
	s_barrier
	s_andn2_b64 exec, exec, s[26:27]
	s_cbranch_execz .LBB49_105
.LBB49_100:                             ;   Parent Loop BB49_6 Depth=1
                                        ; =>  This Inner Loop Header: Depth=2
	v_cmp_gt_u32_e32 vcc, s60, v30
	s_waitcnt vmcnt(0)
	v_pk_mov_b32 v[4:5], 0, 0
	s_and_saveexec_b64 s[30:31], vcc
	s_cbranch_execz .LBB49_102
; %bb.101:                              ;   in Loop: Header=BB49_100 Depth=2
	v_lshlrev_b64 v[4:5], 3, v[20:21]
	v_mov_b32_e32 v3, s86
	v_add_co_u32_e64 v4, s[20:21], s33, v4
	v_addc_co_u32_e64 v5, s[20:21], v3, v5, s[20:21]
	global_load_dwordx2 v[4:5], v[4:5], off
.LBB49_102:                             ;   in Loop: Header=BB49_100 Depth=2
	s_or_b64 exec, exec, s[30:31]
	s_and_saveexec_b64 s[20:21], vcc
	s_cbranch_execz .LBB49_99
; %bb.103:                              ;   in Loop: Header=BB49_100 Depth=2
	s_waitcnt vmcnt(0)
	v_xor_b32_e32 v3, 0x80000000, v5
	v_and_b32_e32 v9, v3, v15
	v_and_b32_e32 v8, v4, v14
	v_cmp_eq_u64_e32 vcc, v[8:9], v[12:13]
	s_and_b64 exec, exec, vcc
	s_cbranch_execz .LBB49_99
; %bb.104:                              ;   in Loop: Header=BB49_100 Depth=2
	v_mov_b32_e32 v3, v21
	ds_write_b128 v21, v[2:5] offset:3072
	s_branch .LBB49_99
.LBB49_105:                             ;   in Loop: Header=BB49_6 Depth=1
	s_or_b64 exec, exec, s[26:27]
	s_and_b64 s[20:21], s[8:9], exec
.LBB49_106:                             ;   in Loop: Header=BB49_6 Depth=1
	s_or_b64 exec, exec, s[16:17]
	s_mov_b64 s[34:35], -1
	s_mov_b64 s[26:27], 0
	s_mov_b64 s[30:31], 0
.LBB49_107:                             ;   in Loop: Header=BB49_6 Depth=1
	s_orn2_b64 s[8:9], s[20:21], exec
.LBB49_108:                             ;   in Loop: Header=BB49_6 Depth=1
	s_or_b64 exec, exec, s[28:29]
	s_mov_b64 s[36:37], 0
	s_mov_b64 s[28:29], 0
	s_mov_b64 s[20:21], 0
                                        ; implicit-def: $vgpr3
                                        ; implicit-def: $vgpr30
	s_and_saveexec_b64 s[38:39], s[8:9]
	s_cbranch_execz .LBB49_243
; %bb.109:                              ;   in Loop: Header=BB49_6 Depth=1
	s_xor_b64 s[20:21], s[40:41], -1
	s_mov_b64 s[8:9], 0
	v_mov_b32_e32 v30, 1
	v_mov_b32_e32 v3, 1
	s_and_saveexec_b64 s[16:17], s[20:21]
	s_cbranch_execz .LBB49_119
; %bb.110:                              ;   in Loop: Header=BB49_6 Depth=1
	v_cmp_ge_u32_e32 vcc, s11, v47
                                        ; implicit-def: $sgpr28
                                        ; implicit-def: $sgpr8_sgpr9
	s_and_saveexec_b64 s[20:21], vcc
	s_xor_b64 s[20:21], exec, s[20:21]
	s_cbranch_execz .LBB49_116
; %bb.111:                              ;   in Loop: Header=BB49_6 Depth=1
	ds_read_b32 v3, v21 offset:4096
	s_waitcnt lgkmcnt(0)
	v_cmp_ne_u32_e32 vcc, 0, v3
	s_cbranch_vccnz .LBB49_115
; %bb.112:                              ;   in Loop: Header=BB49_6 Depth=1
	s_mov_b64 s[8:9], exec
	v_readlane_b32 s28, v59, 22
	v_readlane_b32 s29, v59, 23
	s_and_b64 s[28:29], s[8:9], s[28:29]
	s_mov_b64 exec, s[28:29]
	s_cbranch_execz .LBB49_114
; %bb.113:                              ;   in Loop: Header=BB49_6 Depth=1
	v_mov_b32_e32 v3, s11
	ds_write_b32 v21, v3 offset:4100
.LBB49_114:                             ;   in Loop: Header=BB49_6 Depth=1
	s_or_b64 exec, exec, s[8:9]
	s_waitcnt lgkmcnt(0)
	s_barrier
.LBB49_115:                             ;   in Loop: Header=BB49_6 Depth=1
	v_and_b32_e32 v13, s25, v13
	v_and_b32_e32 v12, s24, v12
	v_or_b32_e32 v15, s23, v15
	v_or_b32_e32 v14, s22, v14
	s_mov_b64 s[8:9], 0
	s_mov_b32 s28, 8
.LBB49_116:                             ;   in Loop: Header=BB49_6 Depth=1
	s_or_saveexec_b64 s[20:21], s[20:21]
	v_mov_b32_e32 v3, s28
	v_mov_b32_e32 v30, v47
	s_xor_b64 exec, exec, s[20:21]
; %bb.117:                              ;   in Loop: Header=BB49_6 Depth=1
	v_subrev_u32_e32 v30, s11, v47
	v_mov_b32_e32 v3, 0
	s_or_b64 s[8:9], s[8:9], exec
; %bb.118:                              ;   in Loop: Header=BB49_6 Depth=1
	s_or_b64 exec, exec, s[20:21]
	s_and_b64 s[8:9], s[8:9], exec
.LBB49_119:                             ;   in Loop: Header=BB49_6 Depth=1
	s_or_b64 exec, exec, s[16:17]
	s_mov_b64 s[42:43], -1
                                        ; implicit-def: $sgpr16_sgpr17
                                        ; implicit-def: $sgpr40_sgpr41
                                        ; implicit-def: $sgpr46_sgpr47
	s_and_saveexec_b64 s[20:21], s[8:9]
	s_xor_b64 s[28:29], exec, s[20:21]
	s_cbranch_execz .LBB49_240
; %bb.120:                              ;   in Loop: Header=BB49_6 Depth=1
	s_cmp_eq_u32 s54, 1
	s_cselect_b64 s[8:9], -1, 0
	v_cmp_eq_u32_e32 vcc, 1, v30
	s_and_b64 s[48:49], s[8:9], vcc
	s_mov_b64 s[16:17], -1
                                        ; implicit-def: $sgpr40_sgpr41
                                        ; implicit-def: $sgpr44_sgpr45
                                        ; implicit-def: $sgpr42_sgpr43
	s_and_saveexec_b64 s[46:47], s[48:49]
	s_cbranch_execz .LBB49_146
; %bb.121:                              ;   in Loop: Header=BB49_6 Depth=1
	ds_read_b32 v3, v21 offset:4096
	s_waitcnt lgkmcnt(0)
	s_barrier
	v_readfirstlane_b32 s42, v3
	s_mov_b64 s[8:9], exec
	v_readlane_b32 s16, v59, 42
	v_readlane_b32 s17, v59, 43
	s_and_b64 s[16:17], s[8:9], s[16:17]
	s_mov_b64 exec, s[16:17]
	s_cbranch_execz .LBB49_123
; %bb.122:                              ;   in Loop: Header=BB49_6 Depth=1
	v_mov_b32_e32 v20, v21
	ds_write_b64 v37, v[20:21]
.LBB49_123:                             ;   in Loop: Header=BB49_6 Depth=1
	s_or_b64 exec, exec, s[8:9]
	s_lshl_b64 s[8:9], 1, s55
	v_and_b32_e32 v3, s25, v13
	s_waitcnt vmcnt(0)
	v_and_b32_e32 v4, s24, v12
	v_or_b32_e32 v13, s9, v3
	v_or_b32_e32 v12, s8, v4
	;; [unrolled: 1-line block ×4, first 2 shown]
	s_cmp_eq_u32 s42, 0
	s_waitcnt lgkmcnt(0)
	s_barrier
	s_cbranch_scc1 .LBB49_132
; %bb.124:                              ;   in Loop: Header=BB49_6 Depth=1
	v_readlane_b32 s8, v59, 35
	s_add_i32 s8, s42, s8
	v_readlane_b32 s9, v59, 57
	s_mul_hi_u32 s9, s8, s9
	s_mul_i32 s9, s9, s87
	s_sub_i32 s9, s8, s9
	s_sub_i32 s16, s9, s87
	s_cmp_ge_u32 s9, s87
	s_cselect_b32 s9, s16, s9
	s_sub_i32 s16, s9, s87
	s_cmp_ge_u32 s9, s87
	s_cselect_b32 s9, s16, s9
	s_sub_i32 s43, s8, s9
	v_cmp_gt_u32_e32 vcc, s43, v0
	s_mov_b64 s[20:21], 0
                                        ; implicit-def: $vgpr10_vgpr11
	s_and_saveexec_b64 s[8:9], vcc
	s_cbranch_execz .LBB49_134
; %bb.125:                              ;   in Loop: Header=BB49_6 Depth=1
	v_mov_b32_e32 v20, v36
	v_mov_b32_e32 v31, v0
                                        ; implicit-def: $sgpr16_sgpr17
	s_branch .LBB49_127
.LBB49_126:                             ;   in Loop: Header=BB49_127 Depth=2
	s_or_b64 exec, exec, s[40:41]
	s_waitcnt lgkmcnt(0)
	s_barrier
	ds_read_b128 v[8:11], v21 offset:3072
	v_add_u32_e32 v31, s87, v31
	v_cmp_le_u32_e32 vcc, s43, v31
	v_add_u32_e32 v20, s4, v20
	s_waitcnt lgkmcnt(0)
	v_readfirstlane_b32 s41, v9
	v_readfirstlane_b32 s40, v8
	s_cmp_lg_u64 s[40:41], 0
	s_cselect_b64 s[40:41], -1, 0
	s_or_b64 s[44:45], vcc, s[40:41]
	s_and_b64 s[44:45], exec, s[44:45]
	s_or_b64 s[20:21], s[44:45], s[20:21]
	s_andn2_b64 s[16:17], s[16:17], exec
	s_and_b64 s[40:41], s[40:41], exec
	s_or_b64 s[16:17], s[16:17], s[40:41]
	s_barrier
	s_andn2_b64 exec, exec, s[20:21]
	s_cbranch_execz .LBB49_133
.LBB49_127:                             ;   Parent Loop BB49_6 Depth=1
                                        ; =>  This Inner Loop Header: Depth=2
	v_cmp_gt_u32_e32 vcc, s42, v31
	v_pk_mov_b32 v[4:5], 0, 0
	s_and_saveexec_b64 s[40:41], vcc
	s_cbranch_execz .LBB49_129
; %bb.128:                              ;   in Loop: Header=BB49_127 Depth=2
	ds_read_b64 v[4:5], v20
.LBB49_129:                             ;   in Loop: Header=BB49_127 Depth=2
	s_or_b64 exec, exec, s[40:41]
	s_and_saveexec_b64 s[40:41], vcc
	s_cbranch_execz .LBB49_126
; %bb.130:                              ;   in Loop: Header=BB49_127 Depth=2
	s_waitcnt lgkmcnt(0)
	v_xor_b32_e32 v3, 0x80000000, v5
	v_and_b32_e32 v9, v3, v15
	v_and_b32_e32 v8, v4, v14
	v_cmp_eq_u64_e32 vcc, v[8:9], v[12:13]
	s_and_b64 exec, exec, vcc
	s_cbranch_execz .LBB49_126
; %bb.131:                              ;   in Loop: Header=BB49_127 Depth=2
	v_mov_b32_e32 v3, v21
	ds_write_b128 v21, v[2:5] offset:3072
	s_branch .LBB49_126
.LBB49_132:                             ;   in Loop: Header=BB49_6 Depth=1
	s_mov_b64 s[40:41], -1
	s_mov_b64 s[20:21], 0
                                        ; implicit-def: $sgpr42_sgpr43
                                        ; implicit-def: $vgpr10_vgpr11
	s_mov_b64 s[44:45], s[40:41]
	s_cbranch_execnz .LBB49_135
	s_branch .LBB49_145
.LBB49_133:                             ;   in Loop: Header=BB49_6 Depth=1
	s_or_b64 exec, exec, s[20:21]
	s_and_b64 s[20:21], s[16:17], exec
.LBB49_134:                             ;   in Loop: Header=BB49_6 Depth=1
	s_or_b64 exec, exec, s[8:9]
	s_mov_b64 s[42:43], -1
	s_mov_b64 s[40:41], 0
	s_mov_b64 s[44:45], s[40:41]
	s_branch .LBB49_145
.LBB49_135:                             ;   in Loop: Header=BB49_6 Depth=1
	s_mov_b64 s[20:21], 0
                                        ; implicit-def: $vgpr10_vgpr11
	s_mov_b64 s[16:17], exec
	v_readlane_b32 s8, v59, 58
	v_readlane_b32 s9, v59, 59
	s_and_b64 s[8:9], s[16:17], s[8:9]
	s_mov_b64 exec, s[8:9]
	s_cbranch_execz .LBB49_144
; %bb.136:                              ;   in Loop: Header=BB49_6 Depth=1
	s_mov_b64 s[40:41], 0
	v_mov_b32_e32 v20, v22
	v_mov_b32_e32 v31, v0
                                        ; implicit-def: $sgpr8_sgpr9
	s_branch .LBB49_138
.LBB49_137:                             ;   in Loop: Header=BB49_138 Depth=2
	s_or_b64 exec, exec, s[20:21]
	s_waitcnt lgkmcnt(0)
	s_barrier
	ds_read_b128 v[8:11], v21 offset:3072
	v_add_u32_e32 v31, s87, v31
	v_cmp_le_u32_e32 vcc, s6, v31
	v_add_u32_e32 v20, s80, v20
	s_waitcnt lgkmcnt(0)
	v_readfirstlane_b32 s21, v9
	v_readfirstlane_b32 s20, v8
	s_cmp_lg_u64 s[20:21], 0
	s_cselect_b64 s[20:21], -1, 0
	s_or_b64 s[42:43], vcc, s[20:21]
	s_and_b64 s[42:43], exec, s[42:43]
	s_or_b64 s[40:41], s[42:43], s[40:41]
	s_andn2_b64 s[8:9], s[8:9], exec
	s_and_b64 s[20:21], s[20:21], exec
	s_or_b64 s[8:9], s[8:9], s[20:21]
	s_barrier
	s_andn2_b64 exec, exec, s[40:41]
	s_cbranch_execz .LBB49_143
.LBB49_138:                             ;   Parent Loop BB49_6 Depth=1
                                        ; =>  This Inner Loop Header: Depth=2
	v_cmp_gt_u32_e32 vcc, s60, v31
	s_waitcnt vmcnt(0)
	v_pk_mov_b32 v[4:5], 0, 0
	s_and_saveexec_b64 s[42:43], vcc
	s_cbranch_execz .LBB49_140
; %bb.139:                              ;   in Loop: Header=BB49_138 Depth=2
	v_lshlrev_b64 v[4:5], 3, v[20:21]
	v_mov_b32_e32 v3, s86
	v_add_co_u32_e64 v4, s[20:21], s33, v4
	v_addc_co_u32_e64 v5, s[20:21], v3, v5, s[20:21]
	global_load_dwordx2 v[4:5], v[4:5], off
.LBB49_140:                             ;   in Loop: Header=BB49_138 Depth=2
	s_or_b64 exec, exec, s[42:43]
	s_and_saveexec_b64 s[20:21], vcc
	s_cbranch_execz .LBB49_137
; %bb.141:                              ;   in Loop: Header=BB49_138 Depth=2
	s_waitcnt vmcnt(0)
	v_xor_b32_e32 v3, 0x80000000, v5
	v_and_b32_e32 v9, v3, v15
	v_and_b32_e32 v8, v4, v14
	v_cmp_eq_u64_e32 vcc, v[8:9], v[12:13]
	s_and_b64 exec, exec, vcc
	s_cbranch_execz .LBB49_137
; %bb.142:                              ;   in Loop: Header=BB49_138 Depth=2
	v_mov_b32_e32 v3, v21
	ds_write_b128 v21, v[2:5] offset:3072
	s_branch .LBB49_137
.LBB49_143:                             ;   in Loop: Header=BB49_6 Depth=1
	s_or_b64 exec, exec, s[40:41]
	s_and_b64 s[20:21], s[8:9], exec
.LBB49_144:                             ;   in Loop: Header=BB49_6 Depth=1
	s_or_b64 exec, exec, s[16:17]
	s_mov_b64 s[44:45], -1
	s_mov_b64 s[40:41], 0
	s_mov_b64 s[42:43], 0
.LBB49_145:                             ;   in Loop: Header=BB49_6 Depth=1
	s_orn2_b64 s[16:17], s[20:21], exec
.LBB49_146:                             ;   in Loop: Header=BB49_6 Depth=1
	s_or_b64 exec, exec, s[46:47]
	s_mov_b64 s[8:9], 0
                                        ; implicit-def: $vgpr3
	s_and_saveexec_b64 s[46:47], s[16:17]
	s_cbranch_execz .LBB49_239
; %bb.147:                              ;   in Loop: Header=BB49_6 Depth=1
	s_xor_b64 s[8:9], s[48:49], -1
	s_mov_b64 s[52:53], 0
	v_mov_b32_e32 v31, 1
	v_mov_b32_e32 v3, 1
	s_and_saveexec_b64 s[16:17], s[8:9]
	s_cbranch_execz .LBB49_157
; %bb.148:                              ;   in Loop: Header=BB49_6 Depth=1
	v_cmp_ge_u32_e32 vcc, s54, v30
                                        ; implicit-def: $sgpr48
                                        ; implicit-def: $sgpr8_sgpr9
	s_and_saveexec_b64 s[20:21], vcc
	s_xor_b64 s[20:21], exec, s[20:21]
	s_cbranch_execz .LBB49_154
; %bb.149:                              ;   in Loop: Header=BB49_6 Depth=1
	ds_read_b32 v3, v21 offset:4096
	s_waitcnt lgkmcnt(0)
	v_cmp_ne_u32_e32 vcc, 0, v3
	s_cbranch_vccnz .LBB49_153
; %bb.150:                              ;   in Loop: Header=BB49_6 Depth=1
	s_mov_b64 s[8:9], exec
	v_readlane_b32 s48, v59, 22
	v_readlane_b32 s49, v59, 23
	s_and_b64 s[48:49], s[8:9], s[48:49]
	s_mov_b64 exec, s[48:49]
	s_cbranch_execz .LBB49_152
; %bb.151:                              ;   in Loop: Header=BB49_6 Depth=1
	v_mov_b32_e32 v3, s54
	ds_write_b32 v21, v3 offset:4100
.LBB49_152:                             ;   in Loop: Header=BB49_6 Depth=1
	s_or_b64 exec, exec, s[8:9]
	s_waitcnt lgkmcnt(0)
	s_barrier
.LBB49_153:                             ;   in Loop: Header=BB49_6 Depth=1
	s_lshl_b64 s[8:9], 1, s55
	v_and_b32_e32 v3, s25, v13
	s_waitcnt vmcnt(0)
	v_and_b32_e32 v4, s24, v12
	v_or_b32_e32 v13, s9, v3
	v_or_b32_e32 v12, s8, v4
	;; [unrolled: 1-line block ×4, first 2 shown]
	s_mov_b64 s[8:9], 0
	s_mov_b32 s48, 8
.LBB49_154:                             ;   in Loop: Header=BB49_6 Depth=1
	s_or_saveexec_b64 s[20:21], s[20:21]
	v_mov_b32_e32 v3, s48
	s_xor_b64 exec, exec, s[20:21]
; %bb.155:                              ;   in Loop: Header=BB49_6 Depth=1
	v_subrev_u32_e32 v30, s54, v30
	v_mov_b32_e32 v3, 0
	s_or_b64 s[8:9], s[8:9], exec
; %bb.156:                              ;   in Loop: Header=BB49_6 Depth=1
	s_or_b64 exec, exec, s[20:21]
	s_and_b64 s[52:53], s[8:9], exec
	v_mov_b32_e32 v31, v30
.LBB49_157:                             ;   in Loop: Header=BB49_6 Depth=1
	s_or_b64 exec, exec, s[16:17]
	s_mov_b64 s[8:9], -1
                                        ; implicit-def: $sgpr16_sgpr17
                                        ; implicit-def: $sgpr20_sgpr21
                                        ; implicit-def: $sgpr50_sgpr51
	s_and_saveexec_b64 s[48:49], s[52:53]
	s_cbranch_execz .LBB49_238
; %bb.158:                              ;   in Loop: Header=BB49_6 Depth=1
	s_cmp_eq_u32 s62, 1
	s_cselect_b64 s[8:9], -1, 0
	v_cmp_eq_u32_e32 vcc, 1, v31
	s_and_b64 s[58:59], s[8:9], vcc
	s_mov_b64 s[16:17], -1
                                        ; implicit-def: $sgpr50_sgpr51
                                        ; implicit-def: $sgpr52_sgpr53
                                        ; implicit-def: $vcc
	s_and_saveexec_b64 s[56:57], s[58:59]
	s_cbranch_execz .LBB49_184
; %bb.159:                              ;   in Loop: Header=BB49_6 Depth=1
	ds_read_b32 v3, v21 offset:4096
	s_waitcnt lgkmcnt(0)
	s_barrier
	v_readfirstlane_b32 s52, v3
	s_mov_b64 s[8:9], exec
	v_readlane_b32 s16, v59, 42
	v_readlane_b32 s17, v59, 43
	s_and_b64 s[16:17], s[8:9], s[16:17]
	s_mov_b64 exec, s[16:17]
	s_cbranch_execz .LBB49_161
; %bb.160:                              ;   in Loop: Header=BB49_6 Depth=1
	v_mov_b32_e32 v20, v21
	ds_write_b64 v37, v[20:21]
.LBB49_161:                             ;   in Loop: Header=BB49_6 Depth=1
	s_or_b64 exec, exec, s[8:9]
	s_lshl_b64 s[8:9], 2, s55
	v_and_b32_e32 v3, s25, v13
	s_waitcnt vmcnt(0)
	v_and_b32_e32 v4, s24, v12
	v_or_b32_e32 v13, s9, v3
	v_or_b32_e32 v12, s8, v4
	;; [unrolled: 1-line block ×4, first 2 shown]
	s_cmp_eq_u32 s52, 0
	s_waitcnt lgkmcnt(0)
	s_barrier
	s_cbranch_scc1 .LBB49_170
; %bb.162:                              ;   in Loop: Header=BB49_6 Depth=1
	v_readlane_b32 s8, v59, 35
	s_add_i32 s8, s52, s8
	v_readlane_b32 s9, v59, 57
	s_mul_hi_u32 s9, s8, s9
	s_mul_i32 s9, s9, s87
	s_sub_i32 s9, s8, s9
	s_sub_i32 s16, s9, s87
	s_cmp_ge_u32 s9, s87
	s_cselect_b32 s9, s16, s9
	s_sub_i32 s16, s9, s87
	s_cmp_ge_u32 s9, s87
	s_cselect_b32 s9, s16, s9
	s_sub_i32 s53, s8, s9
	v_cmp_gt_u32_e32 vcc, s53, v0
	s_mov_b64 s[20:21], 0
                                        ; implicit-def: $vgpr10_vgpr11
	s_and_saveexec_b64 s[8:9], vcc
	s_cbranch_execz .LBB49_172
; %bb.163:                              ;   in Loop: Header=BB49_6 Depth=1
	v_mov_b32_e32 v20, v36
	v_mov_b32_e32 v30, v0
                                        ; implicit-def: $sgpr16_sgpr17
	s_branch .LBB49_165
.LBB49_164:                             ;   in Loop: Header=BB49_165 Depth=2
	s_or_b64 exec, exec, s[50:51]
	s_waitcnt lgkmcnt(0)
	s_barrier
	ds_read_b128 v[8:11], v21 offset:3072
	v_add_u32_e32 v30, s87, v30
	v_cmp_le_u32_e32 vcc, s53, v30
	v_add_u32_e32 v20, s4, v20
	s_waitcnt lgkmcnt(0)
	v_readfirstlane_b32 s51, v9
	v_readfirstlane_b32 s50, v8
	s_cmp_lg_u64 s[50:51], 0
	s_cselect_b64 s[50:51], -1, 0
	s_or_b64 s[84:85], vcc, s[50:51]
	s_and_b64 s[84:85], exec, s[84:85]
	s_or_b64 s[20:21], s[84:85], s[20:21]
	s_andn2_b64 s[16:17], s[16:17], exec
	s_and_b64 s[50:51], s[50:51], exec
	s_or_b64 s[16:17], s[16:17], s[50:51]
	s_barrier
	s_andn2_b64 exec, exec, s[20:21]
	s_cbranch_execz .LBB49_171
.LBB49_165:                             ;   Parent Loop BB49_6 Depth=1
                                        ; =>  This Inner Loop Header: Depth=2
	v_cmp_gt_u32_e32 vcc, s52, v30
	v_pk_mov_b32 v[4:5], 0, 0
	s_and_saveexec_b64 s[50:51], vcc
	s_cbranch_execz .LBB49_167
; %bb.166:                              ;   in Loop: Header=BB49_165 Depth=2
	ds_read_b64 v[4:5], v20
.LBB49_167:                             ;   in Loop: Header=BB49_165 Depth=2
	s_or_b64 exec, exec, s[50:51]
	s_and_saveexec_b64 s[50:51], vcc
	s_cbranch_execz .LBB49_164
; %bb.168:                              ;   in Loop: Header=BB49_165 Depth=2
	s_waitcnt lgkmcnt(0)
	v_xor_b32_e32 v3, 0x80000000, v5
	v_and_b32_e32 v9, v3, v15
	v_and_b32_e32 v8, v4, v14
	v_cmp_eq_u64_e32 vcc, v[8:9], v[12:13]
	s_and_b64 exec, exec, vcc
	s_cbranch_execz .LBB49_164
; %bb.169:                              ;   in Loop: Header=BB49_165 Depth=2
	v_mov_b32_e32 v3, v21
	ds_write_b128 v21, v[2:5] offset:3072
	s_branch .LBB49_164
.LBB49_170:                             ;   in Loop: Header=BB49_6 Depth=1
	s_mov_b64 s[50:51], -1
	s_mov_b64 s[20:21], 0
                                        ; implicit-def: $sgpr8_sgpr9
                                        ; implicit-def: $vgpr10_vgpr11
	s_mov_b64 s[52:53], s[50:51]
	s_cbranch_execnz .LBB49_173
	s_branch .LBB49_183
.LBB49_171:                             ;   in Loop: Header=BB49_6 Depth=1
	s_or_b64 exec, exec, s[20:21]
	s_and_b64 s[20:21], s[16:17], exec
.LBB49_172:                             ;   in Loop: Header=BB49_6 Depth=1
	s_or_b64 exec, exec, s[8:9]
	s_mov_b64 s[8:9], -1
	s_mov_b64 s[50:51], 0
	s_mov_b64 s[52:53], s[50:51]
	s_branch .LBB49_183
.LBB49_173:                             ;   in Loop: Header=BB49_6 Depth=1
	s_mov_b64 s[20:21], 0
                                        ; implicit-def: $vgpr10_vgpr11
	s_mov_b64 s[16:17], exec
	v_readlane_b32 s8, v59, 58
	v_readlane_b32 s9, v59, 59
	s_and_b64 s[8:9], s[16:17], s[8:9]
	s_mov_b64 exec, s[8:9]
	s_cbranch_execz .LBB49_182
; %bb.174:                              ;   in Loop: Header=BB49_6 Depth=1
	s_mov_b64 s[50:51], 0
	v_mov_b32_e32 v20, v22
	v_mov_b32_e32 v30, v0
                                        ; implicit-def: $sgpr8_sgpr9
	s_branch .LBB49_176
.LBB49_175:                             ;   in Loop: Header=BB49_176 Depth=2
	s_or_b64 exec, exec, s[20:21]
	s_waitcnt lgkmcnt(0)
	s_barrier
	ds_read_b128 v[8:11], v21 offset:3072
	v_add_u32_e32 v30, s87, v30
	v_cmp_le_u32_e32 vcc, s6, v30
	v_add_u32_e32 v20, s80, v20
	s_waitcnt lgkmcnt(0)
	v_readfirstlane_b32 s21, v9
	v_readfirstlane_b32 s20, v8
	s_cmp_lg_u64 s[20:21], 0
	s_cselect_b64 s[20:21], -1, 0
	s_or_b64 s[52:53], vcc, s[20:21]
	s_and_b64 s[52:53], exec, s[52:53]
	s_or_b64 s[50:51], s[52:53], s[50:51]
	s_andn2_b64 s[8:9], s[8:9], exec
	s_and_b64 s[20:21], s[20:21], exec
	s_or_b64 s[8:9], s[8:9], s[20:21]
	s_barrier
	s_andn2_b64 exec, exec, s[50:51]
	s_cbranch_execz .LBB49_181
.LBB49_176:                             ;   Parent Loop BB49_6 Depth=1
                                        ; =>  This Inner Loop Header: Depth=2
	v_cmp_gt_u32_e32 vcc, s60, v30
	s_waitcnt vmcnt(0)
	v_pk_mov_b32 v[4:5], 0, 0
	s_and_saveexec_b64 s[52:53], vcc
	s_cbranch_execz .LBB49_178
; %bb.177:                              ;   in Loop: Header=BB49_176 Depth=2
	v_lshlrev_b64 v[4:5], 3, v[20:21]
	v_mov_b32_e32 v3, s86
	v_add_co_u32_e64 v4, s[20:21], s33, v4
	v_addc_co_u32_e64 v5, s[20:21], v3, v5, s[20:21]
	global_load_dwordx2 v[4:5], v[4:5], off
.LBB49_178:                             ;   in Loop: Header=BB49_176 Depth=2
	s_or_b64 exec, exec, s[52:53]
	s_and_saveexec_b64 s[20:21], vcc
	s_cbranch_execz .LBB49_175
; %bb.179:                              ;   in Loop: Header=BB49_176 Depth=2
	s_waitcnt vmcnt(0)
	v_xor_b32_e32 v3, 0x80000000, v5
	v_and_b32_e32 v9, v3, v15
	v_and_b32_e32 v8, v4, v14
	v_cmp_eq_u64_e32 vcc, v[8:9], v[12:13]
	s_and_b64 exec, exec, vcc
	s_cbranch_execz .LBB49_175
; %bb.180:                              ;   in Loop: Header=BB49_176 Depth=2
	v_mov_b32_e32 v3, v21
	ds_write_b128 v21, v[2:5] offset:3072
	s_branch .LBB49_175
.LBB49_181:                             ;   in Loop: Header=BB49_6 Depth=1
	s_or_b64 exec, exec, s[50:51]
	s_and_b64 s[20:21], s[8:9], exec
.LBB49_182:                             ;   in Loop: Header=BB49_6 Depth=1
	s_or_b64 exec, exec, s[16:17]
	s_mov_b64 s[52:53], -1
	s_mov_b64 s[50:51], 0
	s_mov_b64 s[8:9], 0
.LBB49_183:                             ;   in Loop: Header=BB49_6 Depth=1
	s_orn2_b64 s[16:17], s[20:21], exec
	s_mov_b64 vcc, s[8:9]
.LBB49_184:                             ;   in Loop: Header=BB49_6 Depth=1
	s_or_b64 exec, exec, s[56:57]
	s_mov_b64 s[8:9], 0
                                        ; implicit-def: $vgpr3
	s_and_saveexec_b64 s[56:57], s[16:17]
	s_cbranch_execz .LBB49_237
; %bb.185:                              ;   in Loop: Header=BB49_6 Depth=1
	s_xor_b64 s[8:9], s[58:59], -1
	s_mov_b64 s[84:85], 0
	v_mov_b32_e32 v30, 1
	v_mov_b32_e32 v3, 1
	s_and_saveexec_b64 s[16:17], s[8:9]
	s_cbranch_execz .LBB49_195
; %bb.186:                              ;   in Loop: Header=BB49_6 Depth=1
	s_mov_b64 s[88:89], vcc
	v_cmp_ge_u32_e32 vcc, s62, v31
                                        ; implicit-def: $sgpr58
                                        ; implicit-def: $sgpr8_sgpr9
	s_and_saveexec_b64 s[20:21], vcc
	s_xor_b64 s[20:21], exec, s[20:21]
	s_cbranch_execz .LBB49_192
; %bb.187:                              ;   in Loop: Header=BB49_6 Depth=1
	ds_read_b32 v3, v21 offset:4096
	s_waitcnt lgkmcnt(0)
	v_cmp_ne_u32_e32 vcc, 0, v3
	s_cbranch_vccnz .LBB49_191
; %bb.188:                              ;   in Loop: Header=BB49_6 Depth=1
	s_mov_b64 s[8:9], exec
	v_readlane_b32 s58, v59, 22
	v_readlane_b32 s59, v59, 23
	s_and_b64 s[58:59], s[8:9], s[58:59]
	s_mov_b64 exec, s[58:59]
	s_cbranch_execz .LBB49_190
; %bb.189:                              ;   in Loop: Header=BB49_6 Depth=1
	v_mov_b32_e32 v3, s62
	ds_write_b32 v21, v3 offset:4100
.LBB49_190:                             ;   in Loop: Header=BB49_6 Depth=1
	s_or_b64 exec, exec, s[8:9]
	s_waitcnt lgkmcnt(0)
	s_barrier
.LBB49_191:                             ;   in Loop: Header=BB49_6 Depth=1
	s_lshl_b64 s[8:9], 2, s55
	v_and_b32_e32 v3, s25, v13
	s_waitcnt vmcnt(0)
	v_and_b32_e32 v4, s24, v12
	v_or_b32_e32 v13, s9, v3
	v_or_b32_e32 v12, s8, v4
	;; [unrolled: 1-line block ×4, first 2 shown]
	s_mov_b64 s[8:9], 0
	s_mov_b32 s58, 8
.LBB49_192:                             ;   in Loop: Header=BB49_6 Depth=1
	s_or_saveexec_b64 s[20:21], s[20:21]
	v_mov_b32_e32 v3, s58
	s_xor_b64 exec, exec, s[20:21]
; %bb.193:                              ;   in Loop: Header=BB49_6 Depth=1
	v_subrev_u32_e32 v31, s62, v31
	v_mov_b32_e32 v3, 0
	s_or_b64 s[8:9], s[8:9], exec
; %bb.194:                              ;   in Loop: Header=BB49_6 Depth=1
	s_or_b64 exec, exec, s[20:21]
	s_and_b64 s[84:85], s[8:9], exec
	v_mov_b32_e32 v30, v31
	s_mov_b64 vcc, s[88:89]
.LBB49_195:                             ;   in Loop: Header=BB49_6 Depth=1
	s_or_b64 exec, exec, s[16:17]
	s_mov_b64 s[8:9], -1
                                        ; implicit-def: $sgpr16_sgpr17
                                        ; implicit-def: $sgpr88_sgpr89
                                        ; implicit-def: $sgpr20_sgpr21
	s_and_saveexec_b64 s[58:59], s[84:85]
	s_cbranch_execz .LBB49_236
; %bb.196:                              ;   in Loop: Header=BB49_6 Depth=1
	v_writelane_b32 v58, vcc_lo, 1
	s_cmp_eq_u32 s63, 1
	v_writelane_b32 v58, vcc_hi, 2
	s_cselect_b64 s[8:9], -1, 0
	v_cmp_eq_u32_e32 vcc, 1, v30
	s_and_b64 s[84:85], s[8:9], vcc
	s_mov_b64 s[8:9], -1
                                        ; implicit-def: $sgpr16_sgpr17
                                        ; implicit-def: $sgpr88_sgpr89
                                        ; implicit-def: $sgpr20_sgpr21
	s_mov_b64 s[90:91], exec
	v_writelane_b32 v58, s84, 3
	v_writelane_b32 v58, s85, 4
	s_and_b64 s[84:85], s[90:91], s[84:85]
	s_mov_b64 exec, s[84:85]
	s_cbranch_execz .LBB49_223
; %bb.197:                              ;   in Loop: Header=BB49_6 Depth=1
	ds_read_b32 v3, v21 offset:4096
	s_waitcnt lgkmcnt(0)
	s_barrier
	v_readfirstlane_b32 s88, v3
	s_mov_b64 s[8:9], exec
	v_readlane_b32 s16, v59, 42
	v_readlane_b32 s17, v59, 43
	s_and_b64 s[16:17], s[8:9], s[16:17]
	s_mov_b64 exec, s[16:17]
	s_cbranch_execz .LBB49_199
; %bb.198:                              ;   in Loop: Header=BB49_6 Depth=1
	v_mov_b32_e32 v20, v21
	ds_write_b64 v37, v[20:21]
.LBB49_199:                             ;   in Loop: Header=BB49_6 Depth=1
	s_or_b64 exec, exec, s[8:9]
	v_or_b32_e32 v13, s23, v13
	v_or_b32_e32 v12, s22, v12
	;; [unrolled: 1-line block ×4, first 2 shown]
	s_cmp_eq_u32 s88, 0
	s_waitcnt lgkmcnt(0)
	s_barrier
	s_cbranch_scc1 .LBB49_208
; %bb.200:                              ;   in Loop: Header=BB49_6 Depth=1
	v_readlane_b32 s8, v59, 35
	s_add_i32 s8, s88, s8
	v_readlane_b32 s9, v59, 57
	s_mul_hi_u32 s9, s8, s9
	s_mul_i32 s9, s9, s87
	s_sub_i32 s9, s8, s9
	s_sub_i32 s16, s9, s87
	s_cmp_ge_u32 s9, s87
	s_cselect_b32 s9, s16, s9
	s_sub_i32 s16, s9, s87
	s_cmp_ge_u32 s9, s87
	s_cselect_b32 s9, s16, s9
	s_sub_i32 s89, s8, s9
	s_mov_b64 s[84:85], 0
	v_cmp_gt_u32_e32 vcc, s89, v0
                                        ; implicit-def: $vgpr10_vgpr11
	s_mov_b64 s[8:9], exec
	v_writelane_b32 v58, s8, 5
	s_and_b64 s[16:17], s[8:9], vcc
	v_writelane_b32 v58, s9, 6
	s_mov_b64 exec, s[16:17]
	s_cbranch_execz .LBB49_210
; %bb.201:                              ;   in Loop: Header=BB49_6 Depth=1
	s_mov_b64 s[20:21], 0
	v_mov_b32_e32 v20, v36
	v_mov_b32_e32 v31, v0
                                        ; implicit-def: $sgpr16_sgpr17
	s_branch .LBB49_203
.LBB49_202:                             ;   in Loop: Header=BB49_203 Depth=2
	s_or_b64 exec, exec, s[84:85]
	s_waitcnt lgkmcnt(0)
	s_barrier
	ds_read_b128 v[8:11], v21 offset:3072
	v_add_u32_e32 v31, s87, v31
	v_cmp_le_u32_e32 vcc, s89, v31
	v_add_u32_e32 v20, s4, v20
	s_waitcnt lgkmcnt(0)
	v_readfirstlane_b32 s9, v9
	v_readfirstlane_b32 s8, v8
	s_cmp_lg_u64 s[8:9], 0
	s_cselect_b64 s[8:9], -1, 0
	s_or_b64 s[84:85], vcc, s[8:9]
	s_and_b64 s[84:85], exec, s[84:85]
	s_or_b64 s[20:21], s[84:85], s[20:21]
	s_andn2_b64 s[16:17], s[16:17], exec
	s_and_b64 s[8:9], s[8:9], exec
	s_or_b64 s[16:17], s[16:17], s[8:9]
	s_barrier
	s_andn2_b64 exec, exec, s[20:21]
	s_cbranch_execz .LBB49_209
.LBB49_203:                             ;   Parent Loop BB49_6 Depth=1
                                        ; =>  This Inner Loop Header: Depth=2
	v_cmp_gt_u32_e32 vcc, s88, v31
	s_waitcnt vmcnt(0)
	v_pk_mov_b32 v[4:5], 0, 0
	s_and_saveexec_b64 s[84:85], vcc
	s_cbranch_execz .LBB49_205
; %bb.204:                              ;   in Loop: Header=BB49_203 Depth=2
	ds_read_b64 v[4:5], v20
.LBB49_205:                             ;   in Loop: Header=BB49_203 Depth=2
	s_or_b64 exec, exec, s[84:85]
	s_and_saveexec_b64 s[84:85], vcc
	s_cbranch_execz .LBB49_202
; %bb.206:                              ;   in Loop: Header=BB49_203 Depth=2
	s_waitcnt lgkmcnt(0)
	v_xor_b32_e32 v3, 0x80000000, v5
	v_and_b32_e32 v9, v3, v15
	v_and_b32_e32 v8, v4, v14
	v_cmp_eq_u64_e32 vcc, v[8:9], v[12:13]
	s_and_b64 exec, exec, vcc
	s_cbranch_execz .LBB49_202
; %bb.207:                              ;   in Loop: Header=BB49_203 Depth=2
	v_mov_b32_e32 v3, v21
	ds_write_b128 v21, v[2:5] offset:3072
	s_branch .LBB49_202
.LBB49_208:                             ;   in Loop: Header=BB49_6 Depth=1
	s_mov_b64 s[16:17], -1
	s_mov_b64 s[84:85], 0
                                        ; implicit-def: $sgpr20_sgpr21
                                        ; implicit-def: $vgpr10_vgpr11
	s_branch .LBB49_211
.LBB49_209:                             ;   in Loop: Header=BB49_6 Depth=1
	s_or_b64 exec, exec, s[20:21]
	s_and_b64 s[84:85], s[16:17], exec
.LBB49_210:                             ;   in Loop: Header=BB49_6 Depth=1
	v_readlane_b32 s8, v58, 5
	v_readlane_b32 s9, v58, 6
	s_or_b64 exec, exec, s[8:9]
	s_mov_b64 s[20:21], -1
	s_mov_b64 s[16:17], 0
.LBB49_211:                             ;   in Loop: Header=BB49_6 Depth=1
	s_and_b64 vcc, exec, s[16:17]
	s_mov_b64 s[88:89], s[16:17]
	s_cbranch_vccz .LBB49_222
; %bb.212:                              ;   in Loop: Header=BB49_6 Depth=1
	s_mov_b64 s[84:85], 0
                                        ; implicit-def: $vgpr10_vgpr11
	s_mov_b64 s[16:17], exec
	v_readlane_b32 s8, v59, 58
	v_readlane_b32 s9, v59, 59
	s_and_b64 s[8:9], s[16:17], s[8:9]
	s_mov_b64 exec, s[8:9]
	s_cbranch_execz .LBB49_221
; %bb.213:                              ;   in Loop: Header=BB49_6 Depth=1
	v_mov_b32_e32 v20, v22
	v_mov_b32_e32 v31, v0
                                        ; implicit-def: $sgpr8_sgpr9
	s_branch .LBB49_215
.LBB49_214:                             ;   in Loop: Header=BB49_215 Depth=2
	s_or_b64 exec, exec, s[20:21]
	s_waitcnt lgkmcnt(0)
	s_barrier
	ds_read_b128 v[8:11], v21 offset:3072
	v_add_u32_e32 v31, s87, v31
	v_cmp_le_u32_e32 vcc, s6, v31
	v_add_u32_e32 v20, s80, v20
	s_waitcnt lgkmcnt(0)
	v_readfirstlane_b32 s21, v9
	v_readfirstlane_b32 s20, v8
	s_cmp_lg_u64 s[20:21], 0
	s_cselect_b64 s[20:21], -1, 0
	s_or_b64 s[88:89], vcc, s[20:21]
	s_and_b64 s[88:89], exec, s[88:89]
	s_or_b64 s[84:85], s[88:89], s[84:85]
	s_andn2_b64 s[8:9], s[8:9], exec
	s_and_b64 s[20:21], s[20:21], exec
	s_or_b64 s[8:9], s[8:9], s[20:21]
	s_barrier
	s_andn2_b64 exec, exec, s[84:85]
	s_cbranch_execz .LBB49_220
.LBB49_215:                             ;   Parent Loop BB49_6 Depth=1
                                        ; =>  This Inner Loop Header: Depth=2
	v_cmp_gt_u32_e32 vcc, s60, v31
	s_waitcnt vmcnt(0)
	v_pk_mov_b32 v[4:5], 0, 0
	s_and_saveexec_b64 s[88:89], vcc
	s_cbranch_execz .LBB49_217
; %bb.216:                              ;   in Loop: Header=BB49_215 Depth=2
	v_lshlrev_b64 v[4:5], 3, v[20:21]
	v_mov_b32_e32 v3, s86
	v_add_co_u32_e64 v4, s[20:21], s33, v4
	v_addc_co_u32_e64 v5, s[20:21], v3, v5, s[20:21]
	global_load_dwordx2 v[4:5], v[4:5], off
.LBB49_217:                             ;   in Loop: Header=BB49_215 Depth=2
	s_or_b64 exec, exec, s[88:89]
	s_and_saveexec_b64 s[20:21], vcc
	s_cbranch_execz .LBB49_214
; %bb.218:                              ;   in Loop: Header=BB49_215 Depth=2
	s_waitcnt vmcnt(0)
	v_xor_b32_e32 v3, 0x80000000, v5
	v_and_b32_e32 v9, v3, v15
	v_and_b32_e32 v8, v4, v14
	v_cmp_eq_u64_e32 vcc, v[8:9], v[12:13]
	s_and_b64 exec, exec, vcc
	s_cbranch_execz .LBB49_214
; %bb.219:                              ;   in Loop: Header=BB49_215 Depth=2
	v_mov_b32_e32 v3, v21
	ds_write_b128 v21, v[2:5] offset:3072
	s_branch .LBB49_214
.LBB49_220:                             ;   in Loop: Header=BB49_6 Depth=1
	s_or_b64 exec, exec, s[84:85]
	s_and_b64 s[84:85], s[8:9], exec
.LBB49_221:                             ;   in Loop: Header=BB49_6 Depth=1
	s_or_b64 exec, exec, s[16:17]
	s_mov_b64 s[88:89], -1
	s_mov_b64 s[16:17], 0
	s_mov_b64 s[20:21], 0
.LBB49_222:                             ;   in Loop: Header=BB49_6 Depth=1
	s_orn2_b64 s[8:9], s[84:85], exec
.LBB49_223:                             ;   in Loop: Header=BB49_6 Depth=1
	s_or_b64 exec, exec, s[90:91]
	s_mov_b64 s[84:85], 0
                                        ; implicit-def: $vgpr3
                                        ; implicit-def: $vgpr4
	s_and_saveexec_b64 s[90:91], s[8:9]
	v_readlane_b32 vcc_lo, v58, 1
	v_readlane_b32 vcc_hi, v58, 2
	s_cbranch_execz .LBB49_235
; %bb.224:                              ;   in Loop: Header=BB49_6 Depth=1
	v_readlane_b32 s8, v58, 3
	v_readlane_b32 s9, v58, 4
	s_xor_b64 s[84:85], s[8:9], -1
	v_mov_b32_e32 v3, 1
	s_waitcnt vmcnt(0)
	v_mov_b32_e32 v4, 1
	s_and_saveexec_b64 s[8:9], s[84:85]
	s_cbranch_execz .LBB49_234
; %bb.225:                              ;   in Loop: Header=BB49_6 Depth=1
	v_cmp_ge_u32_e32 vcc, s63, v30
                                        ; implicit-def: $sgpr84
                                        ; kill: killed $sgpr84
	s_and_saveexec_b64 s[84:85], vcc
	s_xor_b64 s[84:85], exec, s[84:85]
	s_cbranch_execz .LBB49_231
; %bb.226:                              ;   in Loop: Header=BB49_6 Depth=1
	ds_read_b32 v3, v21 offset:4096
	s_waitcnt lgkmcnt(0)
	v_cmp_ne_u32_e32 vcc, 0, v3
	s_cbranch_vccnz .LBB49_230
; %bb.227:                              ;   in Loop: Header=BB49_6 Depth=1
	v_writelane_b32 v58, s84, 7
	v_writelane_b32 v58, s85, 8
	s_mov_b64 s[84:85], exec
	v_writelane_b32 v58, s84, 9
	v_writelane_b32 v58, s85, 10
	v_readlane_b32 vcc_lo, v59, 22
	v_readlane_b32 s84, v58, 9
	v_readlane_b32 vcc_hi, v59, 23
	v_readlane_b32 s85, v58, 10
	s_and_b64 vcc, s[84:85], vcc
	s_mov_b64 exec, vcc
	s_cbranch_execz .LBB49_229
; %bb.228:                              ;   in Loop: Header=BB49_6 Depth=1
	v_mov_b32_e32 v3, s63
	ds_write_b32 v21, v3 offset:4100
.LBB49_229:                             ;   in Loop: Header=BB49_6 Depth=1
	v_readlane_b32 vcc_lo, v58, 9
	v_readlane_b32 vcc_hi, v58, 10
	s_or_b64 exec, exec, vcc
	v_readlane_b32 s84, v58, 7
	v_readlane_b32 s85, v58, 8
	s_waitcnt lgkmcnt(0)
	s_barrier
.LBB49_230:                             ;   in Loop: Header=BB49_6 Depth=1
	v_or_b32_e32 v13, s23, v13
	v_or_b32_e32 v12, s22, v12
	;; [unrolled: 1-line block ×4, first 2 shown]
	s_mov_b32 vcc_lo, 8
	v_writelane_b32 v58, vcc_lo, 11
.LBB49_231:                             ;   in Loop: Header=BB49_6 Depth=1
	s_or_saveexec_b64 s[84:85], s[84:85]
	v_readlane_b32 vcc_lo, v58, 11
	v_mov_b32_e32 v3, vcc_lo
	s_xor_b64 exec, exec, s[84:85]
; %bb.232:                              ;   in Loop: Header=BB49_6 Depth=1
	v_subrev_u32_e32 v30, s63, v30
	v_mov_b32_e32 v3, 8
; %bb.233:                              ;   in Loop: Header=BB49_6 Depth=1
	s_or_b64 exec, exec, s[84:85]
	v_readlane_b32 vcc_lo, v58, 1
	v_mov_b32_e32 v4, v30
	v_readlane_b32 vcc_hi, v58, 2
.LBB49_234:                             ;   in Loop: Header=BB49_6 Depth=1
	s_or_b64 exec, exec, s[8:9]
	s_mov_b64 s[84:85], exec
.LBB49_235:                             ;   in Loop: Header=BB49_6 Depth=1
	s_or_b64 exec, exec, s[90:91]
	s_orn2_b64 s[8:9], s[84:85], exec
	s_waitcnt vmcnt(0)
	v_mov_b32_e32 v30, v4
.LBB49_236:                             ;   in Loop: Header=BB49_6 Depth=1
	s_or_b64 exec, exec, s[58:59]
	s_andn2_b64 s[50:51], s[50:51], exec
	s_and_b64 s[16:17], s[16:17], exec
	s_or_b64 s[50:51], s[50:51], s[16:17]
	s_andn2_b64 s[16:17], s[52:53], exec
	s_and_b64 s[52:53], s[88:89], exec
	s_or_b64 s[52:53], s[16:17], s[52:53]
	s_andn2_b64 s[16:17], vcc, exec
	s_and_b64 s[20:21], s[20:21], exec
	s_or_b64 vcc, s[16:17], s[20:21]
	s_and_b64 s[8:9], s[8:9], exec
	v_mov_b32_e32 v31, v30
.LBB49_237:                             ;   in Loop: Header=BB49_6 Depth=1
	s_or_b64 exec, exec, s[56:57]
	s_and_b64 s[50:51], s[50:51], exec
	s_and_b64 s[20:21], s[52:53], exec
	s_and_b64 s[16:17], vcc, exec
	s_orn2_b64 s[8:9], s[8:9], exec
.LBB49_238:                             ;   in Loop: Header=BB49_6 Depth=1
	s_or_b64 exec, exec, s[48:49]
	s_andn2_b64 s[44:45], s[44:45], exec
	s_and_b64 s[20:21], s[20:21], exec
	s_andn2_b64 s[40:41], s[40:41], exec
	s_and_b64 s[48:49], s[50:51], exec
	s_or_b64 s[44:45], s[44:45], s[20:21]
	s_andn2_b64 s[20:21], s[42:43], exec
	s_and_b64 s[16:17], s[16:17], exec
	s_or_b64 s[40:41], s[40:41], s[48:49]
	s_or_b64 s[42:43], s[20:21], s[16:17]
	s_and_b64 s[8:9], s[8:9], exec
	v_mov_b32_e32 v30, v31
.LBB49_239:                             ;   in Loop: Header=BB49_6 Depth=1
	s_or_b64 exec, exec, s[46:47]
	s_and_b64 s[46:47], s[40:41], exec
	s_and_b64 s[40:41], s[44:45], exec
	;; [unrolled: 1-line block ×3, first 2 shown]
	s_orn2_b64 s[42:43], s[8:9], exec
.LBB49_240:                             ;   in Loop: Header=BB49_6 Depth=1
	s_or_b64 exec, exec, s[28:29]
	s_mov_b64 s[8:9], 0
	s_mov_b64 s[20:21], 0
	s_and_saveexec_b64 s[28:29], s[42:43]
	s_xor_b64 s[28:29], exec, s[28:29]
; %bb.241:                              ;   in Loop: Header=BB49_6 Depth=1
	v_cmp_eq_u32_e32 vcc, 8, v3
	v_cmp_ne_u32_e64 s[20:21], 8, v3
	s_andn2_b64 s[46:47], s[46:47], exec
	s_andn2_b64 s[40:41], s[40:41], exec
	;; [unrolled: 1-line block ×3, first 2 shown]
	s_and_b64 s[20:21], s[20:21], exec
	s_and_b64 s[8:9], vcc, exec
; %bb.242:                              ;   in Loop: Header=BB49_6 Depth=1
	s_or_b64 exec, exec, s[28:29]
	s_andn2_b64 s[26:27], s[26:27], exec
	s_and_b64 s[28:29], s[46:47], exec
	s_or_b64 s[26:27], s[26:27], s[28:29]
	s_andn2_b64 s[28:29], s[34:35], exec
	s_and_b64 s[34:35], s[40:41], exec
	s_or_b64 s[34:35], s[28:29], s[34:35]
	;; [unrolled: 3-line block ×3, first 2 shown]
	s_and_b64 s[20:21], s[20:21], exec
	s_and_b64 s[28:29], s[8:9], exec
.LBB49_243:                             ;   in Loop: Header=BB49_6 Depth=1
	s_or_b64 exec, exec, s[38:39]
	s_and_b64 vcc, exec, s[36:37]
	s_cbranch_vccz .LBB49_93
.LBB49_244:                             ;   in Loop: Header=BB49_6 Depth=1
	s_cmp_eq_u32 s63, 1
	s_cselect_b64 s[8:9], -1, 0
	s_and_b64 s[34:35], s[8:9], s[18:19]
	s_mov_b64 s[8:9], -1
                                        ; implicit-def: $sgpr36_sgpr37
                                        ; implicit-def: $sgpr38_sgpr39
                                        ; implicit-def: $sgpr26_sgpr27
	s_and_saveexec_b64 s[30:31], s[34:35]
	s_cbranch_execz .LBB49_270
; %bb.245:                              ;   in Loop: Header=BB49_6 Depth=1
	ds_read_b32 v3, v21 offset:4096
	s_waitcnt lgkmcnt(0)
	s_barrier
	v_readfirstlane_b32 s36, v3
	s_mov_b64 s[8:9], exec
	v_readlane_b32 s16, v59, 42
	v_readlane_b32 s17, v59, 43
	s_and_b64 s[16:17], s[8:9], s[16:17]
	s_mov_b64 exec, s[16:17]
	s_cbranch_execz .LBB49_247
; %bb.246:                              ;   in Loop: Header=BB49_6 Depth=1
	v_mov_b32_e32 v20, v21
	ds_write_b64 v37, v[20:21]
.LBB49_247:                             ;   in Loop: Header=BB49_6 Depth=1
	s_or_b64 exec, exec, s[8:9]
	v_or_b32_e32 v29, s23, v29
	v_or_b32_e32 v28, s22, v28
	;; [unrolled: 1-line block ×4, first 2 shown]
	s_cmp_eq_u32 s36, 0
	s_waitcnt lgkmcnt(0)
	s_barrier
	s_cbranch_scc1 .LBB49_256
; %bb.248:                              ;   in Loop: Header=BB49_6 Depth=1
	v_readlane_b32 s8, v59, 35
	s_add_i32 s8, s36, s8
	v_readlane_b32 s9, v59, 57
	s_mul_hi_u32 s9, s8, s9
	s_mul_i32 s9, s9, s87
	s_sub_i32 s9, s8, s9
	s_sub_i32 s16, s9, s87
	s_cmp_ge_u32 s9, s87
	s_cselect_b32 s9, s16, s9
	s_sub_i32 s16, s9, s87
	s_cmp_ge_u32 s9, s87
	s_cselect_b32 s9, s16, s9
	s_sub_i32 s37, s8, s9
	v_cmp_gt_u32_e32 vcc, s37, v0
	s_mov_b64 s[18:19], 0
                                        ; implicit-def: $vgpr6_vgpr7
	s_and_saveexec_b64 s[8:9], vcc
	s_cbranch_execz .LBB49_258
; %bb.249:                              ;   in Loop: Header=BB49_6 Depth=1
	v_mov_b32_e32 v8, v36
	v_mov_b32_e32 v9, v0
                                        ; implicit-def: $sgpr16_sgpr17
	s_branch .LBB49_251
.LBB49_250:                             ;   in Loop: Header=BB49_251 Depth=2
	s_or_b64 exec, exec, s[26:27]
	s_waitcnt lgkmcnt(0)
	s_barrier
	ds_read_b128 v[4:7], v21 offset:3072
	v_add_u32_e32 v9, s87, v9
	v_cmp_le_u32_e32 vcc, s37, v9
	v_add_u32_e32 v8, s4, v8
	s_waitcnt lgkmcnt(0)
	v_readfirstlane_b32 s27, v5
	v_readfirstlane_b32 s26, v4
	s_cmp_lg_u64 s[26:27], 0
	s_cselect_b64 s[26:27], -1, 0
	s_or_b64 s[38:39], vcc, s[26:27]
	s_and_b64 s[38:39], exec, s[38:39]
	s_or_b64 s[18:19], s[38:39], s[18:19]
	s_andn2_b64 s[16:17], s[16:17], exec
	s_and_b64 s[26:27], s[26:27], exec
	s_or_b64 s[16:17], s[16:17], s[26:27]
	s_barrier
	s_andn2_b64 exec, exec, s[18:19]
	s_cbranch_execz .LBB49_257
.LBB49_251:                             ;   Parent Loop BB49_6 Depth=1
                                        ; =>  This Inner Loop Header: Depth=2
	v_cmp_gt_u32_e32 vcc, s36, v9
	s_waitcnt vmcnt(0)
	v_pk_mov_b32 v[4:5], 0, 0
	s_and_saveexec_b64 s[26:27], vcc
	s_cbranch_execz .LBB49_253
; %bb.252:                              ;   in Loop: Header=BB49_251 Depth=2
	ds_read_b64 v[4:5], v8
.LBB49_253:                             ;   in Loop: Header=BB49_251 Depth=2
	s_or_b64 exec, exec, s[26:27]
	s_and_saveexec_b64 s[26:27], vcc
	s_cbranch_execz .LBB49_250
; %bb.254:                              ;   in Loop: Header=BB49_251 Depth=2
	s_waitcnt lgkmcnt(0)
	v_xor_b32_e32 v3, 0x80000000, v5
	v_and_b32_e32 v7, v3, v27
	v_and_b32_e32 v6, v4, v26
	v_cmp_eq_u64_e32 vcc, v[6:7], v[28:29]
	s_and_b64 exec, exec, vcc
	s_cbranch_execz .LBB49_250
; %bb.255:                              ;   in Loop: Header=BB49_251 Depth=2
	v_mov_b32_e32 v3, v21
	ds_write_b128 v21, v[2:5] offset:3072
	s_branch .LBB49_250
.LBB49_256:                             ;   in Loop: Header=BB49_6 Depth=1
	s_mov_b64 s[36:37], -1
	s_mov_b64 s[18:19], 0
                                        ; implicit-def: $sgpr38_sgpr39
                                        ; implicit-def: $vgpr6_vgpr7
	s_mov_b64 s[26:27], s[36:37]
	s_cbranch_execnz .LBB49_259
	s_branch .LBB49_269
.LBB49_257:                             ;   in Loop: Header=BB49_6 Depth=1
	s_or_b64 exec, exec, s[18:19]
	s_and_b64 s[18:19], s[16:17], exec
.LBB49_258:                             ;   in Loop: Header=BB49_6 Depth=1
	s_or_b64 exec, exec, s[8:9]
	s_mov_b64 s[36:37], 0
	s_mov_b64 s[38:39], -1
	s_mov_b64 s[26:27], s[36:37]
	s_branch .LBB49_269
.LBB49_259:                             ;   in Loop: Header=BB49_6 Depth=1
	s_mov_b64 s[18:19], 0
                                        ; implicit-def: $vgpr6_vgpr7
	s_mov_b64 s[16:17], exec
	v_readlane_b32 s8, v59, 58
	v_readlane_b32 s9, v59, 59
	s_and_b64 s[8:9], s[16:17], s[8:9]
	s_mov_b64 exec, s[8:9]
	s_cbranch_execz .LBB49_268
; %bb.260:                              ;   in Loop: Header=BB49_6 Depth=1
	s_mov_b64 s[26:27], 0
	v_mov_b32_e32 v20, v22
	v_mov_b32_e32 v8, v0
                                        ; implicit-def: $sgpr8_sgpr9
	s_branch .LBB49_262
.LBB49_261:                             ;   in Loop: Header=BB49_262 Depth=2
	s_or_b64 exec, exec, s[18:19]
	s_waitcnt lgkmcnt(0)
	s_barrier
	s_waitcnt vmcnt(0)
	ds_read_b128 v[4:7], v21 offset:3072
	v_add_u32_e32 v8, s87, v8
	v_cmp_le_u32_e32 vcc, s6, v8
	v_add_u32_e32 v20, s80, v20
	s_waitcnt lgkmcnt(0)
	v_readfirstlane_b32 s19, v5
	v_readfirstlane_b32 s18, v4
	s_cmp_lg_u64 s[18:19], 0
	s_cselect_b64 s[18:19], -1, 0
	s_or_b64 s[36:37], vcc, s[18:19]
	s_and_b64 s[36:37], exec, s[36:37]
	s_or_b64 s[26:27], s[36:37], s[26:27]
	s_andn2_b64 s[8:9], s[8:9], exec
	s_and_b64 s[18:19], s[18:19], exec
	s_or_b64 s[8:9], s[8:9], s[18:19]
	s_barrier
	s_andn2_b64 exec, exec, s[26:27]
	s_cbranch_execz .LBB49_267
.LBB49_262:                             ;   Parent Loop BB49_6 Depth=1
                                        ; =>  This Inner Loop Header: Depth=2
	v_cmp_gt_u32_e32 vcc, s60, v8
	s_waitcnt vmcnt(0)
	v_pk_mov_b32 v[4:5], 0, 0
	s_and_saveexec_b64 s[36:37], vcc
	s_cbranch_execz .LBB49_264
; %bb.263:                              ;   in Loop: Header=BB49_262 Depth=2
	v_lshlrev_b64 v[4:5], 3, v[20:21]
	v_mov_b32_e32 v3, s86
	v_add_co_u32_e64 v4, s[18:19], s33, v4
	v_addc_co_u32_e64 v5, s[18:19], v3, v5, s[18:19]
	global_load_dwordx2 v[4:5], v[4:5], off
.LBB49_264:                             ;   in Loop: Header=BB49_262 Depth=2
	s_or_b64 exec, exec, s[36:37]
	s_and_saveexec_b64 s[18:19], vcc
	s_cbranch_execz .LBB49_261
; %bb.265:                              ;   in Loop: Header=BB49_262 Depth=2
	s_waitcnt vmcnt(0)
	v_xor_b32_e32 v3, 0x80000000, v5
	v_and_b32_e32 v7, v3, v27
	v_and_b32_e32 v6, v4, v26
	v_cmp_eq_u64_e32 vcc, v[6:7], v[28:29]
	s_and_b64 exec, exec, vcc
	s_cbranch_execz .LBB49_261
; %bb.266:                              ;   in Loop: Header=BB49_262 Depth=2
	v_mov_b32_e32 v3, v21
	ds_write_b128 v21, v[2:5] offset:3072
	s_branch .LBB49_261
.LBB49_267:                             ;   in Loop: Header=BB49_6 Depth=1
	s_or_b64 exec, exec, s[26:27]
	s_and_b64 s[18:19], s[8:9], exec
.LBB49_268:                             ;   in Loop: Header=BB49_6 Depth=1
	s_or_b64 exec, exec, s[16:17]
	s_mov_b64 s[38:39], 0
	s_mov_b64 s[36:37], -1
	s_mov_b64 s[26:27], 0
.LBB49_269:                             ;   in Loop: Header=BB49_6 Depth=1
	s_orn2_b64 s[8:9], s[18:19], exec
.LBB49_270:                             ;   in Loop: Header=BB49_6 Depth=1
	s_or_b64 exec, exec, s[30:31]
                                        ; implicit-def: $vgpr3
                                        ; implicit-def: $vgpr30
                                        ; implicit-def: $vgpr12_vgpr13
                                        ; implicit-def: $vgpr14_vgpr15
                                        ; implicit-def: $vgpr10_vgpr11
	s_and_saveexec_b64 s[30:31], s[8:9]
	s_cbranch_execz .LBB49_405
; %bb.271:                              ;   in Loop: Header=BB49_6 Depth=1
	s_xor_b64 s[18:19], s[34:35], -1
	s_mov_b64 s[8:9], 0
	v_mov_b32_e32 v30, 1
	v_mov_b32_e32 v3, 1
	s_and_saveexec_b64 s[16:17], s[18:19]
	s_cbranch_execz .LBB49_281
; %bb.272:                              ;   in Loop: Header=BB49_6 Depth=1
	v_cmp_ge_u32_e32 vcc, s63, v47
                                        ; implicit-def: $sgpr34
                                        ; implicit-def: $sgpr8_sgpr9
	s_and_saveexec_b64 s[18:19], vcc
	s_xor_b64 s[18:19], exec, s[18:19]
	s_cbranch_execz .LBB49_278
; %bb.273:                              ;   in Loop: Header=BB49_6 Depth=1
	ds_read_b32 v3, v21 offset:4096
	s_waitcnt lgkmcnt(0)
	v_cmp_ne_u32_e32 vcc, 0, v3
	s_cbranch_vccnz .LBB49_277
; %bb.274:                              ;   in Loop: Header=BB49_6 Depth=1
	s_mov_b64 s[8:9], exec
	v_readlane_b32 s34, v59, 22
	v_readlane_b32 s35, v59, 23
	s_and_b64 s[34:35], s[8:9], s[34:35]
	s_mov_b64 exec, s[34:35]
	s_cbranch_execz .LBB49_276
; %bb.275:                              ;   in Loop: Header=BB49_6 Depth=1
	v_mov_b32_e32 v3, s63
	ds_write_b32 v21, v3 offset:4100
.LBB49_276:                             ;   in Loop: Header=BB49_6 Depth=1
	s_or_b64 exec, exec, s[8:9]
	s_waitcnt lgkmcnt(0)
	s_barrier
.LBB49_277:                             ;   in Loop: Header=BB49_6 Depth=1
	v_or_b32_e32 v29, s23, v29
	v_or_b32_e32 v28, s22, v28
	;; [unrolled: 1-line block ×4, first 2 shown]
	s_mov_b64 s[8:9], 0
	s_mov_b32 s34, 5
.LBB49_278:                             ;   in Loop: Header=BB49_6 Depth=1
	s_or_saveexec_b64 s[18:19], s[18:19]
	v_mov_b32_e32 v3, s34
	s_xor_b64 exec, exec, s[18:19]
; %bb.279:                              ;   in Loop: Header=BB49_6 Depth=1
	v_subrev_u32_e32 v47, s63, v47
	v_mov_b32_e32 v3, 0
	s_or_b64 s[8:9], s[8:9], exec
; %bb.280:                              ;   in Loop: Header=BB49_6 Depth=1
	s_or_b64 exec, exec, s[18:19]
	s_and_b64 s[8:9], s[8:9], exec
	v_mov_b32_e32 v30, v47
.LBB49_281:                             ;   in Loop: Header=BB49_6 Depth=1
	s_or_b64 exec, exec, s[16:17]
	s_mov_b64 s[42:43], -1
                                        ; implicit-def: $sgpr16_sgpr17
                                        ; implicit-def: $sgpr40_sgpr41
                                        ; implicit-def: $sgpr46_sgpr47
	s_and_saveexec_b64 s[18:19], s[8:9]
	s_xor_b64 s[34:35], exec, s[18:19]
	s_cbranch_execz .LBB49_402
; %bb.282:                              ;   in Loop: Header=BB49_6 Depth=1
	s_cmp_eq_u32 s62, 1
	s_cselect_b64 s[8:9], -1, 0
	v_cmp_eq_u32_e32 vcc, 1, v30
	s_and_b64 s[48:49], s[8:9], vcc
	s_mov_b64 s[16:17], -1
                                        ; implicit-def: $sgpr40_sgpr41
                                        ; implicit-def: $sgpr42_sgpr43
                                        ; implicit-def: $sgpr44_sgpr45
	s_and_saveexec_b64 s[46:47], s[48:49]
	s_cbranch_execz .LBB49_308
; %bb.283:                              ;   in Loop: Header=BB49_6 Depth=1
	ds_read_b32 v3, v21 offset:4096
	s_waitcnt lgkmcnt(0)
	s_barrier
	v_readfirstlane_b32 s42, v3
	s_mov_b64 s[8:9], exec
	v_readlane_b32 s16, v59, 42
	v_readlane_b32 s17, v59, 43
	s_and_b64 s[16:17], s[8:9], s[16:17]
	s_mov_b64 exec, s[16:17]
	s_cbranch_execz .LBB49_285
; %bb.284:                              ;   in Loop: Header=BB49_6 Depth=1
	v_mov_b32_e32 v20, v21
	ds_write_b64 v37, v[20:21]
.LBB49_285:                             ;   in Loop: Header=BB49_6 Depth=1
	s_or_b64 exec, exec, s[8:9]
	s_lshl_b64 s[8:9], 2, s55
	v_and_b32_e32 v3, s25, v29
	s_waitcnt vmcnt(0)
	v_and_b32_e32 v4, s24, v28
	v_or_b32_e32 v29, s9, v3
	v_or_b32_e32 v28, s8, v4
	;; [unrolled: 1-line block ×4, first 2 shown]
	s_cmp_eq_u32 s42, 0
	s_waitcnt lgkmcnt(0)
	s_barrier
	s_cbranch_scc1 .LBB49_294
; %bb.286:                              ;   in Loop: Header=BB49_6 Depth=1
	v_readlane_b32 s8, v59, 35
	s_add_i32 s8, s42, s8
	v_readlane_b32 s9, v59, 57
	s_mul_hi_u32 s9, s8, s9
	s_mul_i32 s9, s9, s87
	s_sub_i32 s9, s8, s9
	s_sub_i32 s16, s9, s87
	s_cmp_ge_u32 s9, s87
	s_cselect_b32 s9, s16, s9
	s_sub_i32 s16, s9, s87
	s_cmp_ge_u32 s9, s87
	s_cselect_b32 s9, s16, s9
	s_sub_i32 s43, s8, s9
	v_cmp_gt_u32_e32 vcc, s43, v0
	s_mov_b64 s[18:19], 0
                                        ; implicit-def: $vgpr6_vgpr7
	s_and_saveexec_b64 s[8:9], vcc
	s_cbranch_execz .LBB49_296
; %bb.287:                              ;   in Loop: Header=BB49_6 Depth=1
	v_mov_b32_e32 v8, v36
	v_mov_b32_e32 v9, v0
                                        ; implicit-def: $sgpr16_sgpr17
	s_branch .LBB49_289
.LBB49_288:                             ;   in Loop: Header=BB49_289 Depth=2
	s_or_b64 exec, exec, s[40:41]
	s_waitcnt lgkmcnt(0)
	s_barrier
	ds_read_b128 v[4:7], v21 offset:3072
	v_add_u32_e32 v9, s87, v9
	v_cmp_le_u32_e32 vcc, s43, v9
	v_add_u32_e32 v8, s4, v8
	s_waitcnt lgkmcnt(0)
	v_readfirstlane_b32 s41, v5
	v_readfirstlane_b32 s40, v4
	s_cmp_lg_u64 s[40:41], 0
	s_cselect_b64 s[40:41], -1, 0
	s_or_b64 s[44:45], vcc, s[40:41]
	s_and_b64 s[44:45], exec, s[44:45]
	s_or_b64 s[18:19], s[44:45], s[18:19]
	s_andn2_b64 s[16:17], s[16:17], exec
	s_and_b64 s[40:41], s[40:41], exec
	s_or_b64 s[16:17], s[16:17], s[40:41]
	s_barrier
	s_andn2_b64 exec, exec, s[18:19]
	s_cbranch_execz .LBB49_295
.LBB49_289:                             ;   Parent Loop BB49_6 Depth=1
                                        ; =>  This Inner Loop Header: Depth=2
	v_cmp_gt_u32_e32 vcc, s42, v9
	v_pk_mov_b32 v[4:5], 0, 0
	s_and_saveexec_b64 s[40:41], vcc
	s_cbranch_execz .LBB49_291
; %bb.290:                              ;   in Loop: Header=BB49_289 Depth=2
	ds_read_b64 v[4:5], v8
.LBB49_291:                             ;   in Loop: Header=BB49_289 Depth=2
	s_or_b64 exec, exec, s[40:41]
	s_and_saveexec_b64 s[40:41], vcc
	s_cbranch_execz .LBB49_288
; %bb.292:                              ;   in Loop: Header=BB49_289 Depth=2
	s_waitcnt lgkmcnt(0)
	v_xor_b32_e32 v3, 0x80000000, v5
	v_and_b32_e32 v7, v3, v27
	v_and_b32_e32 v6, v4, v26
	v_cmp_eq_u64_e32 vcc, v[6:7], v[28:29]
	s_and_b64 exec, exec, vcc
	s_cbranch_execz .LBB49_288
; %bb.293:                              ;   in Loop: Header=BB49_289 Depth=2
	v_mov_b32_e32 v3, v21
	ds_write_b128 v21, v[2:5] offset:3072
	s_branch .LBB49_288
.LBB49_294:                             ;   in Loop: Header=BB49_6 Depth=1
	s_mov_b64 s[40:41], -1
	s_mov_b64 s[18:19], 0
                                        ; implicit-def: $sgpr42_sgpr43
                                        ; implicit-def: $vgpr6_vgpr7
	s_mov_b64 s[44:45], s[40:41]
	s_cbranch_execnz .LBB49_297
	s_branch .LBB49_307
.LBB49_295:                             ;   in Loop: Header=BB49_6 Depth=1
	s_or_b64 exec, exec, s[18:19]
	s_and_b64 s[18:19], s[16:17], exec
.LBB49_296:                             ;   in Loop: Header=BB49_6 Depth=1
	s_or_b64 exec, exec, s[8:9]
	s_mov_b64 s[40:41], 0
	s_mov_b64 s[42:43], -1
	s_mov_b64 s[44:45], s[40:41]
	s_branch .LBB49_307
.LBB49_297:                             ;   in Loop: Header=BB49_6 Depth=1
	s_mov_b64 s[18:19], 0
                                        ; implicit-def: $vgpr6_vgpr7
	s_mov_b64 s[16:17], exec
	v_readlane_b32 s8, v59, 58
	v_readlane_b32 s9, v59, 59
	s_and_b64 s[8:9], s[16:17], s[8:9]
	s_mov_b64 exec, s[8:9]
	s_cbranch_execz .LBB49_306
; %bb.298:                              ;   in Loop: Header=BB49_6 Depth=1
	s_mov_b64 s[40:41], 0
	v_mov_b32_e32 v20, v22
	v_mov_b32_e32 v8, v0
                                        ; implicit-def: $sgpr8_sgpr9
	s_branch .LBB49_300
.LBB49_299:                             ;   in Loop: Header=BB49_300 Depth=2
	s_or_b64 exec, exec, s[18:19]
	s_waitcnt lgkmcnt(0)
	s_barrier
	s_waitcnt vmcnt(0)
	ds_read_b128 v[4:7], v21 offset:3072
	v_add_u32_e32 v8, s87, v8
	v_cmp_le_u32_e32 vcc, s6, v8
	v_add_u32_e32 v20, s80, v20
	s_waitcnt lgkmcnt(0)
	v_readfirstlane_b32 s19, v5
	v_readfirstlane_b32 s18, v4
	s_cmp_lg_u64 s[18:19], 0
	s_cselect_b64 s[18:19], -1, 0
	s_or_b64 s[42:43], vcc, s[18:19]
	s_and_b64 s[42:43], exec, s[42:43]
	s_or_b64 s[40:41], s[42:43], s[40:41]
	s_andn2_b64 s[8:9], s[8:9], exec
	s_and_b64 s[18:19], s[18:19], exec
	s_or_b64 s[8:9], s[8:9], s[18:19]
	s_barrier
	s_andn2_b64 exec, exec, s[40:41]
	s_cbranch_execz .LBB49_305
.LBB49_300:                             ;   Parent Loop BB49_6 Depth=1
                                        ; =>  This Inner Loop Header: Depth=2
	v_cmp_gt_u32_e32 vcc, s60, v8
	v_pk_mov_b32 v[4:5], 0, 0
	s_and_saveexec_b64 s[42:43], vcc
	s_cbranch_execz .LBB49_302
; %bb.301:                              ;   in Loop: Header=BB49_300 Depth=2
	v_lshlrev_b64 v[4:5], 3, v[20:21]
	v_mov_b32_e32 v3, s86
	v_add_co_u32_e64 v4, s[18:19], s33, v4
	v_addc_co_u32_e64 v5, s[18:19], v3, v5, s[18:19]
	global_load_dwordx2 v[4:5], v[4:5], off
.LBB49_302:                             ;   in Loop: Header=BB49_300 Depth=2
	s_or_b64 exec, exec, s[42:43]
	s_and_saveexec_b64 s[18:19], vcc
	s_cbranch_execz .LBB49_299
; %bb.303:                              ;   in Loop: Header=BB49_300 Depth=2
	s_waitcnt vmcnt(0)
	v_xor_b32_e32 v3, 0x80000000, v5
	v_and_b32_e32 v7, v3, v27
	v_and_b32_e32 v6, v4, v26
	v_cmp_eq_u64_e32 vcc, v[6:7], v[28:29]
	s_and_b64 exec, exec, vcc
	s_cbranch_execz .LBB49_299
; %bb.304:                              ;   in Loop: Header=BB49_300 Depth=2
	v_mov_b32_e32 v3, v21
	ds_write_b128 v21, v[2:5] offset:3072
	s_branch .LBB49_299
.LBB49_305:                             ;   in Loop: Header=BB49_6 Depth=1
	s_or_b64 exec, exec, s[40:41]
	s_and_b64 s[18:19], s[8:9], exec
.LBB49_306:                             ;   in Loop: Header=BB49_6 Depth=1
	s_or_b64 exec, exec, s[16:17]
	s_mov_b64 s[42:43], 0
	s_mov_b64 s[40:41], -1
	s_mov_b64 s[44:45], 0
.LBB49_307:                             ;   in Loop: Header=BB49_6 Depth=1
	s_orn2_b64 s[16:17], s[18:19], exec
.LBB49_308:                             ;   in Loop: Header=BB49_6 Depth=1
	s_or_b64 exec, exec, s[46:47]
	s_mov_b64 s[8:9], 0
                                        ; implicit-def: $vgpr3
	s_and_saveexec_b64 s[46:47], s[16:17]
	s_cbranch_execz .LBB49_401
; %bb.309:                              ;   in Loop: Header=BB49_6 Depth=1
	s_xor_b64 s[8:9], s[48:49], -1
	s_mov_b64 s[52:53], 0
	v_mov_b32_e32 v8, 1
	v_mov_b32_e32 v3, 1
	s_and_saveexec_b64 s[16:17], s[8:9]
	s_cbranch_execz .LBB49_319
; %bb.310:                              ;   in Loop: Header=BB49_6 Depth=1
	v_cmp_ge_u32_e32 vcc, s62, v30
                                        ; implicit-def: $sgpr48
                                        ; implicit-def: $sgpr8_sgpr9
	s_and_saveexec_b64 s[18:19], vcc
	s_xor_b64 s[18:19], exec, s[18:19]
	s_cbranch_execz .LBB49_316
; %bb.311:                              ;   in Loop: Header=BB49_6 Depth=1
	ds_read_b32 v3, v21 offset:4096
	s_waitcnt lgkmcnt(0)
	v_cmp_ne_u32_e32 vcc, 0, v3
	s_cbranch_vccnz .LBB49_315
; %bb.312:                              ;   in Loop: Header=BB49_6 Depth=1
	s_mov_b64 s[8:9], exec
	v_readlane_b32 s48, v59, 22
	v_readlane_b32 s49, v59, 23
	s_and_b64 s[48:49], s[8:9], s[48:49]
	s_mov_b64 exec, s[48:49]
	s_cbranch_execz .LBB49_314
; %bb.313:                              ;   in Loop: Header=BB49_6 Depth=1
	v_mov_b32_e32 v3, s62
	ds_write_b32 v21, v3 offset:4100
.LBB49_314:                             ;   in Loop: Header=BB49_6 Depth=1
	s_or_b64 exec, exec, s[8:9]
	s_waitcnt lgkmcnt(0)
	s_barrier
.LBB49_315:                             ;   in Loop: Header=BB49_6 Depth=1
	s_lshl_b64 s[8:9], 2, s55
	v_and_b32_e32 v3, s25, v29
	s_waitcnt vmcnt(0)
	v_and_b32_e32 v4, s24, v28
	v_or_b32_e32 v29, s9, v3
	v_or_b32_e32 v28, s8, v4
	;; [unrolled: 1-line block ×4, first 2 shown]
	s_mov_b64 s[8:9], 0
	s_mov_b32 s48, 5
.LBB49_316:                             ;   in Loop: Header=BB49_6 Depth=1
	s_or_saveexec_b64 s[18:19], s[18:19]
	v_mov_b32_e32 v3, s48
	s_xor_b64 exec, exec, s[18:19]
; %bb.317:                              ;   in Loop: Header=BB49_6 Depth=1
	v_subrev_u32_e32 v30, s62, v30
	v_mov_b32_e32 v3, 0
	s_or_b64 s[8:9], s[8:9], exec
; %bb.318:                              ;   in Loop: Header=BB49_6 Depth=1
	s_or_b64 exec, exec, s[18:19]
	s_and_b64 s[52:53], s[8:9], exec
	v_mov_b32_e32 v8, v30
.LBB49_319:                             ;   in Loop: Header=BB49_6 Depth=1
	s_or_b64 exec, exec, s[16:17]
	s_mov_b64 s[8:9], -1
                                        ; implicit-def: $sgpr16_sgpr17
                                        ; implicit-def: $sgpr18_sgpr19
                                        ; implicit-def: $sgpr50_sgpr51
	s_and_saveexec_b64 s[48:49], s[52:53]
	s_cbranch_execz .LBB49_400
; %bb.320:                              ;   in Loop: Header=BB49_6 Depth=1
	s_cmp_eq_u32 s54, 1
	s_cselect_b64 s[8:9], -1, 0
	v_cmp_eq_u32_e32 vcc, 1, v8
	s_and_b64 s[58:59], s[8:9], vcc
	s_mov_b64 s[16:17], -1
                                        ; implicit-def: $sgpr50_sgpr51
                                        ; implicit-def: $sgpr62_sgpr63
                                        ; implicit-def: $sgpr52_sgpr53
	s_and_saveexec_b64 s[56:57], s[58:59]
	s_cbranch_execz .LBB49_346
; %bb.321:                              ;   in Loop: Header=BB49_6 Depth=1
	ds_read_b32 v3, v21 offset:4096
	s_waitcnt lgkmcnt(0)
	s_barrier
	v_readfirstlane_b32 s52, v3
	s_mov_b64 s[8:9], exec
	v_readlane_b32 s16, v59, 42
	v_readlane_b32 s17, v59, 43
	s_and_b64 s[16:17], s[8:9], s[16:17]
	s_mov_b64 exec, s[16:17]
	s_cbranch_execz .LBB49_323
; %bb.322:                              ;   in Loop: Header=BB49_6 Depth=1
	v_mov_b32_e32 v20, v21
	ds_write_b64 v37, v[20:21]
.LBB49_323:                             ;   in Loop: Header=BB49_6 Depth=1
	s_or_b64 exec, exec, s[8:9]
	s_lshl_b64 s[8:9], 1, s55
	v_and_b32_e32 v3, s25, v29
	s_waitcnt vmcnt(0)
	v_and_b32_e32 v4, s24, v28
	v_or_b32_e32 v29, s9, v3
	v_or_b32_e32 v28, s8, v4
	;; [unrolled: 1-line block ×4, first 2 shown]
	s_cmp_eq_u32 s52, 0
	s_waitcnt lgkmcnt(0)
	s_barrier
	s_cbranch_scc1 .LBB49_332
; %bb.324:                              ;   in Loop: Header=BB49_6 Depth=1
	v_readlane_b32 s8, v59, 35
	s_add_i32 s8, s52, s8
	v_readlane_b32 s9, v59, 57
	s_mul_hi_u32 s9, s8, s9
	s_mul_i32 s9, s9, s87
	s_sub_i32 s9, s8, s9
	s_sub_i32 s16, s9, s87
	s_cmp_ge_u32 s9, s87
	s_cselect_b32 s9, s16, s9
	s_sub_i32 s16, s9, s87
	s_cmp_ge_u32 s9, s87
	s_cselect_b32 s9, s16, s9
	s_sub_i32 s53, s8, s9
	v_cmp_gt_u32_e32 vcc, s53, v0
	s_mov_b64 s[18:19], 0
                                        ; implicit-def: $vgpr6_vgpr7
	s_and_saveexec_b64 s[8:9], vcc
	s_cbranch_execz .LBB49_334
; %bb.325:                              ;   in Loop: Header=BB49_6 Depth=1
	v_mov_b32_e32 v9, v36
	v_mov_b32_e32 v10, v0
                                        ; implicit-def: $sgpr16_sgpr17
	s_branch .LBB49_327
.LBB49_326:                             ;   in Loop: Header=BB49_327 Depth=2
	s_or_b64 exec, exec, s[50:51]
	s_waitcnt lgkmcnt(0)
	s_barrier
	ds_read_b128 v[4:7], v21 offset:3072
	v_add_u32_e32 v10, s87, v10
	v_cmp_le_u32_e32 vcc, s53, v10
	v_add_u32_e32 v9, s4, v9
	s_waitcnt lgkmcnt(0)
	v_readfirstlane_b32 s51, v5
	v_readfirstlane_b32 s50, v4
	s_cmp_lg_u64 s[50:51], 0
	s_cselect_b64 s[50:51], -1, 0
	s_or_b64 s[62:63], vcc, s[50:51]
	s_and_b64 s[62:63], exec, s[62:63]
	s_or_b64 s[18:19], s[62:63], s[18:19]
	s_andn2_b64 s[16:17], s[16:17], exec
	s_and_b64 s[50:51], s[50:51], exec
	s_or_b64 s[16:17], s[16:17], s[50:51]
	s_barrier
	s_andn2_b64 exec, exec, s[18:19]
	s_cbranch_execz .LBB49_333
.LBB49_327:                             ;   Parent Loop BB49_6 Depth=1
                                        ; =>  This Inner Loop Header: Depth=2
	v_cmp_gt_u32_e32 vcc, s52, v10
	v_pk_mov_b32 v[4:5], 0, 0
	s_and_saveexec_b64 s[50:51], vcc
	s_cbranch_execz .LBB49_329
; %bb.328:                              ;   in Loop: Header=BB49_327 Depth=2
	ds_read_b64 v[4:5], v9
.LBB49_329:                             ;   in Loop: Header=BB49_327 Depth=2
	s_or_b64 exec, exec, s[50:51]
	s_and_saveexec_b64 s[50:51], vcc
	s_cbranch_execz .LBB49_326
; %bb.330:                              ;   in Loop: Header=BB49_327 Depth=2
	s_waitcnt lgkmcnt(0)
	v_xor_b32_e32 v3, 0x80000000, v5
	v_and_b32_e32 v7, v3, v27
	v_and_b32_e32 v6, v4, v26
	v_cmp_eq_u64_e32 vcc, v[6:7], v[28:29]
	s_and_b64 exec, exec, vcc
	s_cbranch_execz .LBB49_326
; %bb.331:                              ;   in Loop: Header=BB49_327 Depth=2
	v_mov_b32_e32 v3, v21
	ds_write_b128 v21, v[2:5] offset:3072
	s_branch .LBB49_326
.LBB49_332:                             ;   in Loop: Header=BB49_6 Depth=1
	s_mov_b64 s[50:51], -1
	s_mov_b64 s[18:19], 0
                                        ; implicit-def: $sgpr62_sgpr63
                                        ; implicit-def: $vgpr6_vgpr7
	s_mov_b64 s[52:53], s[50:51]
	s_cbranch_execnz .LBB49_335
	s_branch .LBB49_345
.LBB49_333:                             ;   in Loop: Header=BB49_6 Depth=1
	s_or_b64 exec, exec, s[18:19]
	s_and_b64 s[18:19], s[16:17], exec
.LBB49_334:                             ;   in Loop: Header=BB49_6 Depth=1
	s_or_b64 exec, exec, s[8:9]
	s_mov_b64 s[50:51], 0
	s_mov_b64 s[62:63], -1
	s_mov_b64 s[52:53], s[50:51]
	s_branch .LBB49_345
.LBB49_335:                             ;   in Loop: Header=BB49_6 Depth=1
	s_mov_b64 s[18:19], 0
                                        ; implicit-def: $vgpr6_vgpr7
	s_mov_b64 s[16:17], exec
	v_readlane_b32 s8, v59, 58
	v_readlane_b32 s9, v59, 59
	s_and_b64 s[8:9], s[16:17], s[8:9]
	s_mov_b64 exec, s[8:9]
	s_cbranch_execz .LBB49_344
; %bb.336:                              ;   in Loop: Header=BB49_6 Depth=1
	s_mov_b64 s[50:51], 0
	v_mov_b32_e32 v20, v22
	v_mov_b32_e32 v9, v0
                                        ; implicit-def: $sgpr8_sgpr9
	s_branch .LBB49_338
.LBB49_337:                             ;   in Loop: Header=BB49_338 Depth=2
	s_or_b64 exec, exec, s[18:19]
	s_waitcnt lgkmcnt(0)
	s_barrier
	s_waitcnt vmcnt(0)
	ds_read_b128 v[4:7], v21 offset:3072
	v_add_u32_e32 v9, s87, v9
	v_cmp_le_u32_e32 vcc, s6, v9
	v_add_u32_e32 v20, s80, v20
	s_waitcnt lgkmcnt(0)
	v_readfirstlane_b32 s19, v5
	v_readfirstlane_b32 s18, v4
	s_cmp_lg_u64 s[18:19], 0
	s_cselect_b64 s[18:19], -1, 0
	s_or_b64 s[52:53], vcc, s[18:19]
	s_and_b64 s[52:53], exec, s[52:53]
	s_or_b64 s[50:51], s[52:53], s[50:51]
	s_andn2_b64 s[8:9], s[8:9], exec
	s_and_b64 s[18:19], s[18:19], exec
	s_or_b64 s[8:9], s[8:9], s[18:19]
	s_barrier
	s_andn2_b64 exec, exec, s[50:51]
	s_cbranch_execz .LBB49_343
.LBB49_338:                             ;   Parent Loop BB49_6 Depth=1
                                        ; =>  This Inner Loop Header: Depth=2
	v_cmp_gt_u32_e32 vcc, s60, v9
	v_pk_mov_b32 v[4:5], 0, 0
	s_and_saveexec_b64 s[52:53], vcc
	s_cbranch_execz .LBB49_340
; %bb.339:                              ;   in Loop: Header=BB49_338 Depth=2
	v_lshlrev_b64 v[4:5], 3, v[20:21]
	v_mov_b32_e32 v3, s86
	v_add_co_u32_e64 v4, s[18:19], s33, v4
	v_addc_co_u32_e64 v5, s[18:19], v3, v5, s[18:19]
	global_load_dwordx2 v[4:5], v[4:5], off
.LBB49_340:                             ;   in Loop: Header=BB49_338 Depth=2
	s_or_b64 exec, exec, s[52:53]
	s_and_saveexec_b64 s[18:19], vcc
	s_cbranch_execz .LBB49_337
; %bb.341:                              ;   in Loop: Header=BB49_338 Depth=2
	s_waitcnt vmcnt(0)
	v_xor_b32_e32 v3, 0x80000000, v5
	v_and_b32_e32 v7, v3, v27
	v_and_b32_e32 v6, v4, v26
	v_cmp_eq_u64_e32 vcc, v[6:7], v[28:29]
	s_and_b64 exec, exec, vcc
	s_cbranch_execz .LBB49_337
; %bb.342:                              ;   in Loop: Header=BB49_338 Depth=2
	v_mov_b32_e32 v3, v21
	ds_write_b128 v21, v[2:5] offset:3072
	s_branch .LBB49_337
.LBB49_343:                             ;   in Loop: Header=BB49_6 Depth=1
	s_or_b64 exec, exec, s[50:51]
	s_and_b64 s[18:19], s[8:9], exec
.LBB49_344:                             ;   in Loop: Header=BB49_6 Depth=1
	s_or_b64 exec, exec, s[16:17]
	s_mov_b64 s[62:63], 0
	s_mov_b64 s[50:51], -1
	s_mov_b64 s[52:53], 0
.LBB49_345:                             ;   in Loop: Header=BB49_6 Depth=1
	s_orn2_b64 s[16:17], s[18:19], exec
.LBB49_346:                             ;   in Loop: Header=BB49_6 Depth=1
	s_or_b64 exec, exec, s[56:57]
	s_mov_b64 s[8:9], 0
                                        ; implicit-def: $vgpr3
	s_and_saveexec_b64 s[56:57], s[16:17]
	s_cbranch_execz .LBB49_399
; %bb.347:                              ;   in Loop: Header=BB49_6 Depth=1
	s_xor_b64 s[8:9], s[58:59], -1
	s_mov_b64 s[84:85], 0
	v_mov_b32_e32 v9, 1
	v_mov_b32_e32 v3, 1
	s_and_saveexec_b64 s[16:17], s[8:9]
	s_cbranch_execz .LBB49_357
; %bb.348:                              ;   in Loop: Header=BB49_6 Depth=1
	s_mov_b64 s[88:89], s[62:63]
	v_cmp_ge_u32_e32 vcc, s54, v8
                                        ; implicit-def: $sgpr58
                                        ; implicit-def: $sgpr8_sgpr9
	s_and_saveexec_b64 s[18:19], vcc
	s_xor_b64 s[18:19], exec, s[18:19]
	s_cbranch_execz .LBB49_354
; %bb.349:                              ;   in Loop: Header=BB49_6 Depth=1
	ds_read_b32 v3, v21 offset:4096
	s_waitcnt lgkmcnt(0)
	v_cmp_ne_u32_e32 vcc, 0, v3
	s_cbranch_vccnz .LBB49_353
; %bb.350:                              ;   in Loop: Header=BB49_6 Depth=1
	s_mov_b64 s[8:9], exec
	v_readlane_b32 s58, v59, 22
	v_readlane_b32 s59, v59, 23
	s_and_b64 s[58:59], s[8:9], s[58:59]
	s_mov_b64 exec, s[58:59]
	s_cbranch_execz .LBB49_352
; %bb.351:                              ;   in Loop: Header=BB49_6 Depth=1
	v_mov_b32_e32 v3, s54
	ds_write_b32 v21, v3 offset:4100
.LBB49_352:                             ;   in Loop: Header=BB49_6 Depth=1
	s_or_b64 exec, exec, s[8:9]
	s_waitcnt lgkmcnt(0)
	s_barrier
.LBB49_353:                             ;   in Loop: Header=BB49_6 Depth=1
	s_lshl_b64 s[8:9], 1, s55
	v_and_b32_e32 v3, s25, v29
	s_waitcnt vmcnt(0)
	v_and_b32_e32 v4, s24, v28
	v_or_b32_e32 v29, s9, v3
	v_or_b32_e32 v28, s8, v4
	;; [unrolled: 1-line block ×4, first 2 shown]
	s_mov_b64 s[8:9], 0
	s_mov_b32 s58, 5
.LBB49_354:                             ;   in Loop: Header=BB49_6 Depth=1
	s_or_saveexec_b64 s[18:19], s[18:19]
	v_mov_b32_e32 v3, s58
	s_xor_b64 exec, exec, s[18:19]
; %bb.355:                              ;   in Loop: Header=BB49_6 Depth=1
	v_subrev_u32_e32 v8, s54, v8
	v_mov_b32_e32 v3, 0
	s_or_b64 s[8:9], s[8:9], exec
; %bb.356:                              ;   in Loop: Header=BB49_6 Depth=1
	s_or_b64 exec, exec, s[18:19]
	s_and_b64 s[84:85], s[8:9], exec
	v_mov_b32_e32 v9, v8
	s_mov_b64 s[62:63], s[88:89]
.LBB49_357:                             ;   in Loop: Header=BB49_6 Depth=1
	s_or_b64 exec, exec, s[16:17]
	s_mov_b64 s[8:9], -1
                                        ; implicit-def: $sgpr16_sgpr17
                                        ; implicit-def: $sgpr18_sgpr19
                                        ; implicit-def: $sgpr88_sgpr89
	s_and_saveexec_b64 s[58:59], s[84:85]
	s_cbranch_execz .LBB49_398
; %bb.358:                              ;   in Loop: Header=BB49_6 Depth=1
	s_cmp_eq_u32 s11, 1
	s_cselect_b64 s[8:9], -1, 0
	v_cmp_eq_u32_e32 vcc, 1, v9
	v_writelane_b32 v59, s62, 61
	s_and_b64 s[54:55], s[8:9], vcc
	s_mov_b64 s[8:9], -1
	v_writelane_b32 v59, s63, 62
                                        ; implicit-def: $sgpr16_sgpr17
                                        ; implicit-def: $sgpr18_sgpr19
                                        ; implicit-def: $sgpr88_sgpr89
	s_mov_b64 s[90:91], exec
	v_writelane_b32 v59, s54, 63
	v_writelane_b32 v58, s55, 0
	s_and_b64 s[54:55], s[90:91], s[54:55]
	s_mov_b64 exec, s[54:55]
	s_cbranch_execz .LBB49_385
; %bb.359:                              ;   in Loop: Header=BB49_6 Depth=1
	ds_read_b32 v3, v21 offset:4096
	s_waitcnt lgkmcnt(0)
	s_barrier
	v_readfirstlane_b32 s54, v3
	s_mov_b64 s[8:9], exec
	v_readlane_b32 s16, v59, 42
	v_readlane_b32 s17, v59, 43
	s_and_b64 s[16:17], s[8:9], s[16:17]
	s_mov_b64 exec, s[16:17]
	s_cbranch_execz .LBB49_361
; %bb.360:                              ;   in Loop: Header=BB49_6 Depth=1
	v_mov_b32_e32 v20, v21
	ds_write_b64 v37, v[20:21]
.LBB49_361:                             ;   in Loop: Header=BB49_6 Depth=1
	s_or_b64 exec, exec, s[8:9]
	v_and_b32_e32 v29, s25, v29
	v_and_b32_e32 v28, s24, v28
	v_or_b32_e32 v27, s23, v27
	v_or_b32_e32 v26, s22, v26
	s_cmp_eq_u32 s54, 0
	s_waitcnt lgkmcnt(0)
	s_barrier
	s_cbranch_scc1 .LBB49_370
; %bb.362:                              ;   in Loop: Header=BB49_6 Depth=1
	v_readlane_b32 s8, v59, 35
	s_add_i32 s8, s54, s8
	v_readlane_b32 s9, v59, 57
	s_mul_hi_u32 s9, s8, s9
	s_mul_i32 s9, s9, s87
	s_sub_i32 s9, s8, s9
	s_sub_i32 s16, s9, s87
	s_cmp_ge_u32 s9, s87
	s_cselect_b32 s9, s16, s9
	s_sub_i32 s16, s9, s87
	s_cmp_ge_u32 s9, s87
	s_cselect_b32 s9, s16, s9
	s_sub_i32 s55, s8, s9
	v_cmp_gt_u32_e32 vcc, s55, v0
	s_mov_b64 s[84:85], 0
                                        ; implicit-def: $vgpr6_vgpr7
	s_and_saveexec_b64 s[8:9], vcc
	s_cbranch_execz .LBB49_372
; %bb.363:                              ;   in Loop: Header=BB49_6 Depth=1
	s_mov_b64 s[18:19], 0
	v_mov_b32_e32 v8, v36
	v_mov_b32_e32 v10, v0
                                        ; implicit-def: $sgpr16_sgpr17
	s_branch .LBB49_365
.LBB49_364:                             ;   in Loop: Header=BB49_365 Depth=2
	s_or_b64 exec, exec, s[84:85]
	s_waitcnt lgkmcnt(0)
	s_barrier
	ds_read_b128 v[4:7], v21 offset:3072
	v_add_u32_e32 v10, s87, v10
	v_cmp_le_u32_e32 vcc, s55, v10
	v_add_u32_e32 v8, s4, v8
	s_waitcnt lgkmcnt(0)
	v_readfirstlane_b32 s63, v5
	v_readfirstlane_b32 s62, v4
	s_cmp_lg_u64 s[62:63], 0
	s_cselect_b64 s[62:63], -1, 0
	s_or_b64 s[84:85], vcc, s[62:63]
	s_and_b64 s[84:85], exec, s[84:85]
	s_or_b64 s[18:19], s[84:85], s[18:19]
	s_andn2_b64 s[16:17], s[16:17], exec
	s_and_b64 s[62:63], s[62:63], exec
	s_or_b64 s[16:17], s[16:17], s[62:63]
	s_barrier
	s_andn2_b64 exec, exec, s[18:19]
	s_cbranch_execz .LBB49_371
.LBB49_365:                             ;   Parent Loop BB49_6 Depth=1
                                        ; =>  This Inner Loop Header: Depth=2
	v_cmp_gt_u32_e32 vcc, s54, v10
	s_waitcnt vmcnt(0)
	v_pk_mov_b32 v[4:5], 0, 0
	s_and_saveexec_b64 s[84:85], vcc
	s_cbranch_execz .LBB49_367
; %bb.366:                              ;   in Loop: Header=BB49_365 Depth=2
	ds_read_b64 v[4:5], v8
.LBB49_367:                             ;   in Loop: Header=BB49_365 Depth=2
	s_or_b64 exec, exec, s[84:85]
	s_and_saveexec_b64 s[84:85], vcc
	s_cbranch_execz .LBB49_364
; %bb.368:                              ;   in Loop: Header=BB49_365 Depth=2
	s_waitcnt lgkmcnt(0)
	v_xor_b32_e32 v3, 0x80000000, v5
	v_and_b32_e32 v7, v3, v27
	v_and_b32_e32 v6, v4, v26
	v_cmp_eq_u64_e32 vcc, v[6:7], v[28:29]
	s_and_b64 exec, exec, vcc
	s_cbranch_execz .LBB49_364
; %bb.369:                              ;   in Loop: Header=BB49_365 Depth=2
	v_mov_b32_e32 v3, v21
	ds_write_b128 v21, v[2:5] offset:3072
	s_branch .LBB49_364
.LBB49_370:                             ;   in Loop: Header=BB49_6 Depth=1
	s_mov_b64 s[16:17], -1
	s_mov_b64 s[84:85], 0
                                        ; implicit-def: $sgpr18_sgpr19
                                        ; implicit-def: $vgpr6_vgpr7
	s_branch .LBB49_373
.LBB49_371:                             ;   in Loop: Header=BB49_6 Depth=1
	s_or_b64 exec, exec, s[18:19]
	s_and_b64 s[84:85], s[16:17], exec
.LBB49_372:                             ;   in Loop: Header=BB49_6 Depth=1
	s_or_b64 exec, exec, s[8:9]
	s_mov_b64 s[16:17], 0
	s_mov_b64 s[18:19], -1
.LBB49_373:                             ;   in Loop: Header=BB49_6 Depth=1
	s_and_b64 vcc, exec, s[16:17]
	s_mov_b64 s[88:89], s[16:17]
	s_cbranch_vccz .LBB49_384
; %bb.374:                              ;   in Loop: Header=BB49_6 Depth=1
	s_mov_b64 s[84:85], 0
                                        ; implicit-def: $vgpr6_vgpr7
	s_mov_b64 s[16:17], exec
	v_readlane_b32 s8, v59, 58
	v_readlane_b32 s9, v59, 59
	s_and_b64 s[8:9], s[16:17], s[8:9]
	s_mov_b64 exec, s[8:9]
	s_cbranch_execz .LBB49_383
; %bb.375:                              ;   in Loop: Header=BB49_6 Depth=1
	v_mov_b32_e32 v20, v22
	v_mov_b32_e32 v8, v0
                                        ; implicit-def: $sgpr8_sgpr9
	s_branch .LBB49_377
.LBB49_376:                             ;   in Loop: Header=BB49_377 Depth=2
	s_or_b64 exec, exec, s[18:19]
	s_waitcnt lgkmcnt(0)
	s_barrier
	s_waitcnt vmcnt(0)
	ds_read_b128 v[4:7], v21 offset:3072
	v_add_u32_e32 v8, s87, v8
	v_cmp_le_u32_e32 vcc, s6, v8
	v_add_u32_e32 v20, s80, v20
	s_waitcnt lgkmcnt(0)
	v_readfirstlane_b32 s19, v5
	v_readfirstlane_b32 s18, v4
	s_cmp_lg_u64 s[18:19], 0
	s_cselect_b64 s[18:19], -1, 0
	s_or_b64 s[54:55], vcc, s[18:19]
	s_and_b64 s[54:55], exec, s[54:55]
	s_or_b64 s[84:85], s[54:55], s[84:85]
	s_andn2_b64 s[8:9], s[8:9], exec
	s_and_b64 s[18:19], s[18:19], exec
	s_or_b64 s[8:9], s[8:9], s[18:19]
	s_barrier
	s_andn2_b64 exec, exec, s[84:85]
	s_cbranch_execz .LBB49_382
.LBB49_377:                             ;   Parent Loop BB49_6 Depth=1
                                        ; =>  This Inner Loop Header: Depth=2
	v_cmp_gt_u32_e32 vcc, s60, v8
	s_waitcnt vmcnt(0)
	v_pk_mov_b32 v[4:5], 0, 0
	s_and_saveexec_b64 s[88:89], vcc
	s_cbranch_execz .LBB49_379
; %bb.378:                              ;   in Loop: Header=BB49_377 Depth=2
	v_lshlrev_b64 v[4:5], 3, v[20:21]
	v_mov_b32_e32 v3, s86
	v_add_co_u32_e64 v4, s[18:19], s33, v4
	v_addc_co_u32_e64 v5, s[18:19], v3, v5, s[18:19]
	global_load_dwordx2 v[4:5], v[4:5], off
.LBB49_379:                             ;   in Loop: Header=BB49_377 Depth=2
	s_or_b64 exec, exec, s[88:89]
	s_and_saveexec_b64 s[18:19], vcc
	s_cbranch_execz .LBB49_376
; %bb.380:                              ;   in Loop: Header=BB49_377 Depth=2
	s_waitcnt vmcnt(0)
	v_xor_b32_e32 v3, 0x80000000, v5
	v_and_b32_e32 v7, v3, v27
	v_and_b32_e32 v6, v4, v26
	v_cmp_eq_u64_e32 vcc, v[6:7], v[28:29]
	s_and_b64 exec, exec, vcc
	s_cbranch_execz .LBB49_376
; %bb.381:                              ;   in Loop: Header=BB49_377 Depth=2
	v_mov_b32_e32 v3, v21
	ds_write_b128 v21, v[2:5] offset:3072
	s_branch .LBB49_376
.LBB49_382:                             ;   in Loop: Header=BB49_6 Depth=1
	s_or_b64 exec, exec, s[84:85]
	s_and_b64 s[84:85], s[8:9], exec
.LBB49_383:                             ;   in Loop: Header=BB49_6 Depth=1
	s_or_b64 exec, exec, s[16:17]
	s_mov_b64 s[18:19], 0
	s_mov_b64 s[16:17], -1
	s_mov_b64 s[88:89], 0
.LBB49_384:                             ;   in Loop: Header=BB49_6 Depth=1
	s_orn2_b64 s[8:9], s[84:85], exec
.LBB49_385:                             ;   in Loop: Header=BB49_6 Depth=1
	s_or_b64 exec, exec, s[90:91]
	s_mov_b64 s[84:85], 0
                                        ; implicit-def: $vgpr3
                                        ; implicit-def: $vgpr4
	s_and_saveexec_b64 s[90:91], s[8:9]
	v_readlane_b32 s62, v59, 61
	v_readlane_b32 s63, v59, 62
	s_cbranch_execz .LBB49_397
; %bb.386:                              ;   in Loop: Header=BB49_6 Depth=1
	v_readlane_b32 s8, v59, 63
	v_readlane_b32 s9, v58, 0
	s_xor_b64 s[54:55], s[8:9], -1
	v_mov_b32_e32 v3, 1
	s_waitcnt vmcnt(0)
	v_mov_b32_e32 v4, 1
	s_and_saveexec_b64 s[8:9], s[54:55]
	s_cbranch_execz .LBB49_396
; %bb.387:                              ;   in Loop: Header=BB49_6 Depth=1
	v_cmp_ge_u32_e32 vcc, s11, v9
                                        ; implicit-def: $sgpr54
	s_and_saveexec_b64 s[62:63], vcc
	s_xor_b64 s[84:85], exec, s[62:63]
	s_cbranch_execz .LBB49_393
; %bb.388:                              ;   in Loop: Header=BB49_6 Depth=1
	ds_read_b32 v3, v21 offset:4096
	s_waitcnt lgkmcnt(0)
	v_cmp_ne_u32_e32 vcc, 0, v3
	s_cbranch_vccnz .LBB49_392
; %bb.389:                              ;   in Loop: Header=BB49_6 Depth=1
	s_mov_b64 vcc, exec
	v_readlane_b32 s54, v59, 22
	v_readlane_b32 s55, v59, 23
	s_and_b64 s[54:55], vcc, s[54:55]
	s_mov_b64 exec, s[54:55]
	s_cbranch_execz .LBB49_391
; %bb.390:                              ;   in Loop: Header=BB49_6 Depth=1
	v_mov_b32_e32 v3, s11
	ds_write_b32 v21, v3 offset:4100
.LBB49_391:                             ;   in Loop: Header=BB49_6 Depth=1
	s_or_b64 exec, exec, vcc
	s_waitcnt lgkmcnt(0)
	s_barrier
.LBB49_392:                             ;   in Loop: Header=BB49_6 Depth=1
	v_and_b32_e32 v29, s25, v29
	v_and_b32_e32 v28, s24, v28
	v_or_b32_e32 v27, s23, v27
	v_or_b32_e32 v26, s22, v26
	s_mov_b32 s54, 5
.LBB49_393:                             ;   in Loop: Header=BB49_6 Depth=1
	s_or_saveexec_b64 s[22:23], s[84:85]
	v_mov_b32_e32 v3, s54
	s_xor_b64 exec, exec, s[22:23]
; %bb.394:                              ;   in Loop: Header=BB49_6 Depth=1
	v_subrev_u32_e32 v9, s11, v9
	v_mov_b32_e32 v3, 5
; %bb.395:                              ;   in Loop: Header=BB49_6 Depth=1
	s_or_b64 exec, exec, s[22:23]
	v_readlane_b32 s62, v59, 61
	v_mov_b32_e32 v4, v9
	v_readlane_b32 s63, v59, 62
.LBB49_396:                             ;   in Loop: Header=BB49_6 Depth=1
	s_or_b64 exec, exec, s[8:9]
	s_mov_b64 s[84:85], exec
.LBB49_397:                             ;   in Loop: Header=BB49_6 Depth=1
	s_or_b64 exec, exec, s[90:91]
	s_orn2_b64 s[8:9], s[84:85], exec
	s_waitcnt vmcnt(0)
	v_mov_b32_e32 v9, v4
.LBB49_398:                             ;   in Loop: Header=BB49_6 Depth=1
	s_or_b64 exec, exec, s[58:59]
	s_andn2_b64 s[22:23], s[50:51], exec
	s_and_b64 s[16:17], s[16:17], exec
	s_or_b64 s[50:51], s[22:23], s[16:17]
	s_andn2_b64 s[16:17], s[62:63], exec
	s_and_b64 s[18:19], s[18:19], exec
	s_or_b64 s[62:63], s[16:17], s[18:19]
	;; [unrolled: 3-line block ×3, first 2 shown]
	s_and_b64 s[8:9], s[8:9], exec
	v_mov_b32_e32 v8, v9
.LBB49_399:                             ;   in Loop: Header=BB49_6 Depth=1
	s_or_b64 exec, exec, s[56:57]
	s_and_b64 s[50:51], s[50:51], exec
	s_and_b64 s[18:19], s[62:63], exec
	;; [unrolled: 1-line block ×3, first 2 shown]
	s_orn2_b64 s[8:9], s[8:9], exec
.LBB49_400:                             ;   in Loop: Header=BB49_6 Depth=1
	s_or_b64 exec, exec, s[48:49]
	s_andn2_b64 s[22:23], s[40:41], exec
	s_and_b64 s[24:25], s[50:51], exec
	s_or_b64 s[40:41], s[22:23], s[24:25]
	s_andn2_b64 s[22:23], s[42:43], exec
	s_and_b64 s[18:19], s[18:19], exec
	s_or_b64 s[42:43], s[22:23], s[18:19]
	;; [unrolled: 3-line block ×3, first 2 shown]
	s_and_b64 s[8:9], s[8:9], exec
	v_mov_b32_e32 v30, v8
.LBB49_401:                             ;   in Loop: Header=BB49_6 Depth=1
	s_or_b64 exec, exec, s[46:47]
	s_and_b64 s[46:47], s[40:41], exec
	s_and_b64 s[40:41], s[42:43], exec
	;; [unrolled: 1-line block ×3, first 2 shown]
	s_orn2_b64 s[42:43], s[8:9], exec
.LBB49_402:                             ;   in Loop: Header=BB49_6 Depth=1
	s_or_b64 exec, exec, s[34:35]
	s_mov_b64 s[8:9], s[28:29]
	s_mov_b64 s[18:19], s[20:21]
	s_and_saveexec_b64 s[22:23], s[42:43]
; %bb.403:                              ;   in Loop: Header=BB49_6 Depth=1
	v_cmp_ne_u32_e64 s[18:19], 5, v3
	v_cmp_eq_u32_e32 vcc, 5, v3
	s_andn2_b64 s[8:9], s[20:21], exec
	s_and_b64 s[18:19], s[18:19], exec
	s_or_b64 s[18:19], s[8:9], s[18:19]
	s_andn2_b64 s[8:9], s[28:29], exec
	s_and_b64 s[24:25], vcc, exec
	s_andn2_b64 s[46:47], s[46:47], exec
	s_andn2_b64 s[40:41], s[40:41], exec
	;; [unrolled: 1-line block ×3, first 2 shown]
	s_or_b64 s[8:9], s[8:9], s[24:25]
; %bb.404:                              ;   in Loop: Header=BB49_6 Depth=1
	s_or_b64 exec, exec, s[22:23]
	s_andn2_b64 s[22:23], s[36:37], exec
	s_and_b64 s[24:25], s[46:47], exec
	s_or_b64 s[36:37], s[22:23], s[24:25]
	s_andn2_b64 s[22:23], s[38:39], exec
	s_and_b64 s[24:25], s[40:41], exec
	s_or_b64 s[38:39], s[22:23], s[24:25]
	;; [unrolled: 3-line block ×5, first 2 shown]
	s_waitcnt vmcnt(0)
	v_pk_mov_b32 v[12:13], v[28:29], v[28:29] op_sel:[0,1]
	v_pk_mov_b32 v[14:15], v[26:27], v[26:27] op_sel:[0,1]
	;; [unrolled: 1-line block ×3, first 2 shown]
.LBB49_405:                             ;   in Loop: Header=BB49_6 Depth=1
	s_or_b64 exec, exec, s[30:31]
	s_mov_b64 s[34:35], s[26:27]
	s_mov_b64 s[30:31], s[26:27]
	s_and_saveexec_b64 s[8:9], s[28:29]
.LBB49_406:                             ;   in Loop: Header=BB49_6 Depth=1
	v_mov_b32_e32 v3, 0
	s_andn2_b64 s[26:27], s[26:27], exec
	s_andn2_b64 s[36:37], s[36:37], exec
	;; [unrolled: 1-line block ×5, first 2 shown]
	s_or_b64 s[20:21], s[20:21], exec
.LBB49_407:                             ;   in Loop: Header=BB49_6 Depth=1
	s_or_b64 exec, exec, s[8:9]
	s_andn2_b64 s[8:9], s[72:73], exec
	s_and_b64 s[18:19], s[26:27], exec
	s_or_b64 s[72:73], s[8:9], s[18:19]
	s_andn2_b64 s[8:9], s[94:95], exec
	s_and_b64 s[18:19], s[36:37], exec
	s_or_b64 s[94:95], s[8:9], s[18:19]
	;; [unrolled: 3-line block ×4, first 2 shown]
	s_andn2_b64 s[8:9], s[76:77], exec
	s_and_b64 s[18:19], s[30:31], exec
	s_mov_b64 s[16:17], -1
	s_or_b64 s[76:77], s[8:9], s[18:19]
                                        ; implicit-def: $vgpr26_vgpr27
                                        ; implicit-def: $vgpr28_vgpr29
                                        ; implicit-def: $vgpr47
                                        ; implicit-def: $vgpr6_vgpr7
	s_and_saveexec_b64 s[8:9], s[20:21]
	s_xor_b64 s[8:9], exec, s[8:9]
	s_cbranch_execz .LBB49_5
; %bb.408:                              ;   in Loop: Header=BB49_6 Depth=1
	v_cmp_eq_u32_e32 vcc, 0, v3
	s_mov_b64 s[18:19], -1
	s_and_saveexec_b64 s[20:21], vcc
	s_cbranch_execz .LBB49_4
; %bb.409:                              ;   in Loop: Header=BB49_6 Depth=1
	s_xor_b32 s10, s10, 1
	s_add_i32 s11, s5, -2
	s_cmp_eq_u32 s5, 0
	s_cselect_b64 s[16:17], -1, 0
	s_xor_b64 s[18:19], exec, -1
	s_orn2_b64 s[16:17], s[16:17], exec
	s_mov_b32 s5, s11
	s_branch .LBB49_4
.LBB49_410:
	s_or_b64 exec, exec, s[74:75]
	s_xor_b64 s[8:9], s[70:71], -1
	s_xor_b64 s[18:19], s[68:69], -1
	;; [unrolled: 1-line block ×5, first 2 shown]
	s_mov_b64 s[12:13], 0
	s_and_saveexec_b64 s[6:7], s[4:5]
	s_xor_b64 s[10:11], exec, s[6:7]
	s_cbranch_execnz .LBB49_415
; %bb.411:
	s_andn2_saveexec_b64 s[0:1], s[10:11]
	s_cbranch_execnz .LBB49_434
.LBB49_412:
	s_or_b64 exec, exec, s[0:1]
	s_and_saveexec_b64 s[0:1], s[12:13]
.LBB49_413:
	; divergent unreachable
.LBB49_414:
	s_endpgm
.LBB49_415:
	s_mov_b64 s[14:15], 0
	s_and_saveexec_b64 s[4:5], s[16:17]
	s_xor_b64 s[12:13], exec, s[4:5]
	s_cbranch_execz .LBB49_432
; %bb.416:
	s_mov_b64 s[16:17], 0
	s_and_saveexec_b64 s[4:5], s[18:19]
	s_xor_b64 s[14:15], exec, s[4:5]
	s_cbranch_execz .LBB49_430
; %bb.417:
	;; [unrolled: 5-line block ×3, first 2 shown]
	s_and_saveexec_b64 s[4:5], s[2:3]
	s_xor_b64 s[2:3], exec, s[4:5]
	s_cbranch_execz .LBB49_420
; %bb.419:
	s_waitcnt vmcnt(0)
	v_xor_b32_e32 v13, 0x80000000, v13
	v_pk_mov_b32 v[10:11], v[12:13], v[12:13] op_sel:[0,1]
.LBB49_420:
	s_or_b64 exec, exec, s[2:3]
	s_mov_b64 s[2:3], exec
	v_readlane_b32 s4, v59, 22
	v_readlane_b32 s5, v59, 23
	;; [unrolled: 1-line block ×3, first 2 shown]
	s_and_b64 s[4:5], s[2:3], s[4:5]
	v_readlane_b32 s31, v59, 28
	v_readlane_b32 s20, v59, 60
	s_mov_b64 exec, s[4:5]
	s_cbranch_execz .LBB49_422
; %bb.421:
	v_mov_b32_e32 v1, 0
	ds_write_b32 v1, v1 offset:4108
.LBB49_422:
	s_or_b64 exec, exec, s[2:3]
	s_waitcnt vmcnt(0)
	v_pk_mov_b32 v[4:5], 0, 0
	s_waitcnt lgkmcnt(0)
	s_barrier
	s_mov_b64 s[2:3], exec
	v_readlane_b32 s4, v59, 40
	v_readlane_b32 s5, v59, 41
	s_and_b64 s[4:5], s[2:3], s[4:5]
	s_mov_b64 exec, s[4:5]
	s_cbranch_execz .LBB49_424
; %bb.423:
	global_load_dwordx2 v[4:5], v[18:19], off
.LBB49_424:
	s_or_b64 exec, exec, s[2:3]
	v_readlane_b32 s8, v59, 14
	v_readlane_b32 s9, v59, 15
	;; [unrolled: 1-line block ×3, first 2 shown]
	s_mul_i32 s2, s7, s9
	v_readlane_b32 s9, v59, 17
	s_mul_i32 s3, s9, s8
	s_add_i32 s40, s60, 63
	v_readlane_b32 s6, v59, 24
	s_sub_i32 s3, s7, s3
	s_andn2_b32 s40, s40, 63
	s_sub_i32 s2, s6, s2
	s_add_i32 s4, s9, 1
	s_sub_i32 s5, s3, s8
	s_cmp_ge_u32 s3, s8
	s_cselect_b32 s4, s4, s9
	s_cselect_b32 s3, s5, s3
	s_add_i32 s5, s4, 1
	s_cmp_ge_u32 s3, s8
	s_cselect_b32 s3, s5, s4
	v_readlane_b32 s24, v59, 6
	s_mul_i32 s4, s3, s8
	v_readlane_b32 s25, v59, 7
	v_readlane_b32 s26, v59, 8
	s_sub_i32 s4, s7, s4
	s_mul_i32 s2, s2, s26
	s_mul_i32 s4, s4, s25
	v_readlane_b32 s8, v59, 18
	s_add_i32 s2, s4, s2
	s_mul_i32 s3, s3, s24
	v_readlane_b32 s9, v59, 19
	v_readlane_b32 s18, v59, 20
	s_add_i32 s2, s2, s3
	s_mul_i32 s3, s18, s9
	s_sub_i32 s3, s6, s3
	v_readlane_b32 s4, v59, 0
	v_readlane_b32 s6, v59, 2
	;; [unrolled: 1-line block ×4, first 2 shown]
	s_mov_b32 s26, s6
	v_readlane_b32 s7, v59, 21
	s_mov_b64 s[24:25], s[4:5]
	s_mul_i32 s4, s7, s8
	s_sub_i32 s4, s18, s4
	s_add_i32 s5, s7, 1
	s_sub_i32 s6, s4, s8
	s_cmp_ge_u32 s4, s8
	s_cselect_b32 s5, s5, s7
	s_cselect_b32 s4, s6, s4
	s_add_i32 s6, s5, 1
	s_cmp_ge_u32 s4, s8
	s_cselect_b32 s4, s6, s5
	s_mul_i32 s5, s4, s8
	s_sub_i32 s5, s18, s5
	s_mul_i32 s3, s3, s26
	s_mul_i32 s5, s5, s25
	s_add_i32 s3, s5, s3
	s_mul_i32 s4, s4, s24
	s_add_i32 s4, s3, s4
	s_mov_b32 s3, 0
	s_lshl_b64 s[6:7], s[2:3], 3
	v_readlane_b32 s8, v59, 10
	v_readlane_b32 s9, v59, 11
	s_add_u32 s41, s8, s6
	s_mov_b32 s5, s3
	s_addc_u32 s42, s9, s7
	s_lshl_b64 s[2:3], s[4:5], 3
	v_readlane_b32 s4, v59, 4
	v_readlane_b32 s5, v59, 5
	s_add_u32 s43, s4, s2
	s_addc_u32 s44, s5, s3
	v_readlane_b32 s2, v59, 12
	v_readlane_b32 s3, v59, 13
	s_load_dword s45, s[2:3], 0x1c8
	s_load_dword s46, s[2:3], 0x2a8
	v_add_u32_e32 v1, s87, v0
	v_cmp_gt_u32_e32 vcc, s40, v0
	s_mov_b64 s[18:19], -1
	s_mov_b64 s[2:3], 0
	v_mul_lo_u32 v2, s20, v1
	s_mov_b64 s[4:5], 0
	v_readlane_b32 s27, v59, 9
	s_and_saveexec_b64 s[8:9], vcc
	s_cbranch_execnz .LBB49_435
; %bb.425:
	s_or_b64 exec, exec, s[8:9]
	s_and_saveexec_b64 s[8:9], s[18:19]
	s_cbranch_execnz .LBB49_450
.LBB49_426:
	s_or_b64 exec, exec, s[8:9]
	s_and_saveexec_b64 s[0:1], s[4:5]
	s_xor_b64 s[0:1], exec, s[0:1]
	s_cbranch_execnz .LBB49_472
.LBB49_427:
	s_or_b64 exec, exec, s[0:1]
	s_and_b64 s[18:19], s[2:3], exec
.LBB49_428:
	s_andn2_saveexec_b64 s[0:1], s[16:17]
	s_cbranch_execnz .LBB49_475
.LBB49_429:
	s_or_b64 exec, exec, s[0:1]
	s_and_b64 s[16:17], s[18:19], exec
.LBB49_430:
	s_andn2_saveexec_b64 s[0:1], s[14:15]
	s_cbranch_execnz .LBB49_474
.LBB49_431:
	s_or_b64 exec, exec, s[0:1]
	s_and_b64 s[14:15], s[16:17], exec
.LBB49_432:
	s_andn2_saveexec_b64 s[0:1], s[12:13]
	s_cbranch_execnz .LBB49_473
.LBB49_433:
	s_or_b64 exec, exec, s[0:1]
	s_and_b64 s[12:13], s[14:15], exec
	s_andn2_saveexec_b64 s[0:1], s[10:11]
	s_cbranch_execz .LBB49_412
.LBB49_434:
	s_or_b64 s[12:13], s[12:13], exec
	s_trap 2
	s_or_b64 exec, exec, s[0:1]
	s_and_saveexec_b64 s[0:1], s[12:13]
	s_cbranch_execnz .LBB49_413
	s_branch .LBB49_414
.LBB49_435:
	v_xor_b32_e32 v7, 0x80000000, v11
	v_mov_b32_e32 v6, v10
	v_mul_lo_u32 v8, s20, v1
	s_mov_b64 s[18:19], 0
	v_mov_b32_e32 v9, 0
	v_mov_b32_e32 v14, v0
                                        ; implicit-def: $sgpr20_sgpr21
                                        ; implicit-def: $vgpr3
	s_branch .LBB49_437
.LBB49_436:                             ;   in Loop: Header=BB49_437 Depth=1
	s_or_b64 exec, exec, s[22:23]
	s_xor_b64 s[6:7], s[26:27], -1
	s_and_b64 s[4:5], exec, s[4:5]
	s_or_b64 s[18:19], s[4:5], s[18:19]
	s_andn2_b64 s[4:5], s[20:21], exec
	s_and_b64 s[6:7], s[6:7], exec
	s_or_b64 s[20:21], s[4:5], s[6:7]
	v_pk_mov_b32 v[4:5], v[12:13], v[12:13] op_sel:[0,1]
	v_mov_b32_e32 v14, v1
	s_andn2_b64 exec, exec, s[18:19]
	s_cbranch_execz .LBB49_449
.LBB49_437:                             ; =>This Inner Loop Header: Depth=1
	v_add_u32_e32 v1, s87, v14
	v_cmp_gt_u32_e32 vcc, s60, v1
	v_pk_mov_b32 v[12:13], 0, 0
	s_and_saveexec_b64 s[4:5], vcc
	s_cbranch_execz .LBB49_439
; %bb.438:                              ;   in Loop: Header=BB49_437 Depth=1
	v_lshlrev_b64 v[12:13], 3, v[8:9]
	v_mov_b32_e32 v15, s86
	v_add_co_u32_e32 v12, vcc, s33, v12
	v_addc_co_u32_e32 v13, vcc, v15, v13, vcc
	global_load_dwordx2 v[12:13], v[12:13], off
.LBB49_439:                             ;   in Loop: Header=BB49_437 Depth=1
	s_or_b64 exec, exec, s[4:5]
	s_waitcnt vmcnt(0)
	v_xor_b32_e32 v21, 0x80000000, v5
	v_mov_b32_e32 v20, v4
	v_cmp_gt_u64_e64 s[4:5], v[20:21], v[6:7]
	v_cndmask_b32_e64 v15, 0, 1, s[4:5]
	v_cmp_lt_u64_e64 s[4:5], v[20:21], v[6:7]
	v_cndmask_b32_e64 v20, 0, 1, s[4:5]
	v_cndmask_b32_e64 v15, v20, v15, s[30:31]
	v_and_b32_e32 v15, 1, v15
	v_cmp_gt_u32_e32 vcc, s60, v14
	v_cmp_eq_u32_e64 s[4:5], 1, v15
	s_and_b64 s[24:25], vcc, s[4:5]
	v_cndmask_b32_e64 v15, 0, 1, s[24:25]
	v_cmp_ne_u32_e32 vcc, 0, v15
	s_cmp_lg_u64 vcc, 0
	s_cselect_b64 s[4:5], -1, 0
	s_and_b64 s[4:5], s[0:1], s[4:5]
	s_and_saveexec_b64 s[22:23], s[4:5]
	s_cbranch_execz .LBB49_443
; %bb.440:                              ;   in Loop: Header=BB49_437 Depth=1
	s_mov_b64 s[28:29], exec
	s_waitcnt lgkmcnt(0)
	v_mbcnt_lo_u32_b32 v3, s28, 0
	v_mbcnt_hi_u32_b32 v3, s29, v3
	s_bcnt1_i32_b64 s6, vcc
	v_cmp_eq_u32_e64 s[4:5], 0, v3
                                        ; implicit-def: $vgpr15
	s_and_saveexec_b64 s[26:27], s[4:5]
	s_cbranch_execz .LBB49_442
; %bb.441:                              ;   in Loop: Header=BB49_437 Depth=1
	s_bcnt1_i32_b64 s4, s[28:29]
	s_mul_i32 s4, s6, s4
	v_mov_b32_e32 v15, s4
	ds_add_rtn_u32 v15, v9, v15 offset:4108
.LBB49_442:                             ;   in Loop: Header=BB49_437 Depth=1
	s_or_b64 exec, exec, s[26:27]
	s_waitcnt lgkmcnt(0)
	v_readfirstlane_b32 s4, v15
	v_mov_b32_e32 v15, s4
	v_mad_u32_u24 v3, s6, v3, v15
.LBB49_443:                             ;   in Loop: Header=BB49_437 Depth=1
	s_or_b64 exec, exec, s[22:23]
	s_waitcnt lgkmcnt(0)
	ds_bpermute_b32 v3, v23, v3
	s_mov_b64 s[4:5], -1
	s_mov_b64 s[28:29], -1
                                        ; implicit-def: $sgpr26_sgpr27
	s_and_saveexec_b64 s[22:23], s[24:25]
	s_cbranch_execz .LBB49_447
; %bb.444:                              ;   in Loop: Header=BB49_437 Depth=1
	v_and_b32_e32 v20, vcc_lo, v16
	v_and_b32_e32 v15, vcc_hi, v17
	v_bcnt_u32_b32 v20, v20, 0
	v_bcnt_u32_b32 v15, v15, v20
	s_waitcnt lgkmcnt(0)
	v_add_u32_e32 v15, v3, v15
	v_cmp_gt_u32_e32 vcc, s61, v15
	s_mov_b64 s[24:25], 0
	s_and_saveexec_b64 s[26:27], vcc
	s_cbranch_execz .LBB49_446
; %bb.445:                              ;   in Loop: Header=BB49_437 Depth=1
	v_mul_lo_u32 v20, v15, s45
	v_mov_b32_e32 v21, v9
	v_lshlrev_b64 v[20:21], 3, v[20:21]
	v_mul_lo_u32 v24, v15, s46
	v_mov_b32_e32 v15, s42
	v_add_co_u32_e32 v20, vcc, s41, v20
	v_addc_co_u32_e32 v21, vcc, v15, v21, vcc
	v_mov_b32_e32 v25, v9
	global_store_dwordx2 v[20:21], v[4:5], off
	v_lshlrev_b64 v[4:5], 3, v[24:25]
	v_mov_b32_e32 v20, s44
	v_add_co_u32_e32 v4, vcc, s43, v4
	s_mov_b64 s[24:25], exec
	v_mov_b32_e32 v15, v9
	v_addc_co_u32_e32 v5, vcc, v20, v5, vcc
	global_store_dwordx2 v[4:5], v[14:15], off
.LBB49_446:                             ;   in Loop: Header=BB49_437 Depth=1
	s_or_b64 exec, exec, s[26:27]
	s_mov_b64 s[26:27], -1
	s_orn2_b64 s[28:29], s[24:25], exec
.LBB49_447:                             ;   in Loop: Header=BB49_437 Depth=1
	s_or_b64 exec, exec, s[22:23]
	s_and_saveexec_b64 s[22:23], s[28:29]
	s_cbranch_execz .LBB49_436
; %bb.448:                              ;   in Loop: Header=BB49_437 Depth=1
	v_cmp_le_u32_e32 vcc, s40, v1
	v_add_u32_e32 v8, s80, v8
	s_andn2_b64 s[26:27], s[26:27], exec
	s_orn2_b64 s[4:5], vcc, exec
	s_branch .LBB49_436
.LBB49_449:
	s_or_b64 exec, exec, s[18:19]
	s_mov_b64 s[4:5], exec
	s_orn2_b64 s[18:19], s[20:21], exec
	s_or_b64 exec, exec, s[8:9]
	s_and_saveexec_b64 s[8:9], s[18:19]
	s_cbranch_execz .LBB49_426
.LBB49_450:
	s_waitcnt vmcnt(0)
	v_pk_mov_b32 v[4:5], 0, 0
	s_waitcnt lgkmcnt(0)
	s_barrier
	s_mov_b64 s[2:3], exec
	v_readlane_b32 s6, v59, 40
	v_readlane_b32 s7, v59, 41
	s_and_b64 s[6:7], s[2:3], s[6:7]
	s_mov_b64 exec, s[6:7]
	s_cbranch_execz .LBB49_452
; %bb.451:
	global_load_dwordx2 v[4:5], v[18:19], off
.LBB49_452:
	s_or_b64 exec, exec, s[2:3]
	s_mov_b64 s[6:7], 0
	v_mov_b32_e32 v3, 0
                                        ; implicit-def: $sgpr18_sgpr19
                                        ; implicit-def: $sgpr20_sgpr21
                                        ; implicit-def: $sgpr22_sgpr23
                                        ; implicit-def: $vgpr8
	s_branch .LBB49_455
.LBB49_453:                             ;   in Loop: Header=BB49_455 Depth=1
	s_or_b64 exec, exec, s[28:29]
	s_andn2_b64 s[22:23], s[22:23], exec
	s_and_b64 s[26:27], s[34:35], exec
	s_andn2_b64 s[20:21], s[20:21], exec
	s_and_b64 s[2:3], s[2:3], exec
	s_or_b64 s[22:23], s[22:23], s[26:27]
	s_or_b64 s[20:21], s[20:21], s[2:3]
	v_mov_b32_e32 v0, v9
.LBB49_454:                             ;   in Loop: Header=BB49_455 Depth=1
	s_or_b64 exec, exec, s[24:25]
	s_xor_b64 s[2:3], s[22:23], -1
	s_and_b64 s[24:25], exec, s[20:21]
	s_or_b64 s[6:7], s[24:25], s[6:7]
	s_andn2_b64 s[18:19], s[18:19], exec
	s_and_b64 s[2:3], s[2:3], exec
	s_or_b64 s[18:19], s[18:19], s[2:3]
	s_andn2_b64 exec, exec, s[6:7]
	s_cbranch_execz .LBB49_470
.LBB49_455:                             ; =>This Inner Loop Header: Depth=1
	v_cmp_gt_u32_e32 vcc, s40, v0
	s_or_b64 s[22:23], s[22:23], exec
	s_or_b64 s[20:21], s[20:21], exec
	s_and_saveexec_b64 s[24:25], vcc
	s_cbranch_execz .LBB49_454
; %bb.456:                              ;   in Loop: Header=BB49_455 Depth=1
	v_add_u32_e32 v9, s87, v0
	v_cmp_gt_u32_e32 vcc, s60, v9
	v_pk_mov_b32 v[6:7], 0, 0
	s_and_saveexec_b64 s[2:3], vcc
	s_cbranch_execz .LBB49_458
; %bb.457:                              ;   in Loop: Header=BB49_455 Depth=1
	v_lshlrev_b64 v[6:7], 3, v[2:3]
	v_mov_b32_e32 v1, s86
	v_add_co_u32_e32 v6, vcc, s33, v6
	v_addc_co_u32_e32 v7, vcc, v1, v7, vcc
	global_load_dwordx2 v[6:7], v[6:7], off
.LBB49_458:                             ;   in Loop: Header=BB49_455 Depth=1
	s_or_b64 exec, exec, s[2:3]
	v_cmp_gt_u32_e32 vcc, s60, v0
	s_waitcnt vmcnt(0)
	v_cmp_eq_u64_e64 s[2:3], v[4:5], v[10:11]
	s_and_b64 s[28:29], vcc, s[2:3]
	v_cndmask_b32_e64 v1, 0, 1, s[28:29]
	v_cmp_ne_u32_e32 vcc, 0, v1
	s_cmp_lg_u64 vcc, 0
	s_cselect_b64 s[2:3], -1, 0
	s_and_b64 s[2:3], s[0:1], s[2:3]
	s_and_saveexec_b64 s[26:27], s[2:3]
	s_cbranch_execz .LBB49_462
; %bb.459:                              ;   in Loop: Header=BB49_455 Depth=1
	s_mov_b64 s[34:35], exec
	v_mbcnt_lo_u32_b32 v1, s34, 0
	v_mbcnt_hi_u32_b32 v1, s35, v1
	s_bcnt1_i32_b64 s36, vcc
	v_cmp_eq_u32_e64 s[2:3], 0, v1
                                        ; implicit-def: $vgpr8
	s_and_saveexec_b64 s[30:31], s[2:3]
	s_cbranch_execz .LBB49_461
; %bb.460:                              ;   in Loop: Header=BB49_455 Depth=1
	s_bcnt1_i32_b64 s2, s[34:35]
	s_mul_i32 s2, s36, s2
	v_mov_b32_e32 v8, s2
	ds_add_rtn_u32 v8, v3, v8 offset:4108
.LBB49_461:                             ;   in Loop: Header=BB49_455 Depth=1
	s_or_b64 exec, exec, s[30:31]
	s_waitcnt lgkmcnt(0)
	v_readfirstlane_b32 s2, v8
	v_mov_b32_e32 v8, s2
	v_mad_u32_u24 v8, s36, v1, v8
.LBB49_462:                             ;   in Loop: Header=BB49_455 Depth=1
	s_or_b64 exec, exec, s[26:27]
	ds_bpermute_b32 v8, v23, v8
	s_cmp_eq_u64 vcc, 0
	s_cselect_b64 s[26:27], -1, 0
	s_mov_b64 s[30:31], -1
	s_mov_b64 s[34:35], -1
	s_waitcnt lgkmcnt(0)
	v_cmp_gt_u32_e64 s[2:3], s61, v8
	s_or_b64 s[26:27], s[26:27], s[2:3]
	v_cndmask_b32_e64 v5, v5, v7, s[26:27]
	s_and_b64 s[36:37], s[28:29], s[26:27]
	v_cndmask_b32_e64 v4, v4, v6, s[26:27]
	s_mov_b64 s[2:3], -1
	s_and_saveexec_b64 s[28:29], s[36:37]
	s_cbranch_execz .LBB49_468
; %bb.463:                              ;   in Loop: Header=BB49_455 Depth=1
	v_and_b32_e32 v4, vcc_lo, v16
	v_and_b32_e32 v1, vcc_hi, v17
	v_bcnt_u32_b32 v4, v4, 0
	v_bcnt_u32_b32 v1, v1, v4
	v_sub_u32_e32 v4, s61, v8
	v_cmp_le_u32_e64 s[30:31], v4, v1
	v_cmp_gt_u32_e32 vcc, v4, v1
	s_mov_b64 s[36:37], -1
	s_and_saveexec_b64 s[34:35], vcc
	s_cbranch_execz .LBB49_467
; %bb.464:                              ;   in Loop: Header=BB49_455 Depth=1
	v_add_u32_e32 v1, v8, v1
	v_cmp_gt_u32_e32 vcc, s61, v1
	s_mov_b64 s[38:39], s[30:31]
	s_and_saveexec_b64 s[36:37], vcc
	s_cbranch_execz .LBB49_466
; %bb.465:                              ;   in Loop: Header=BB49_455 Depth=1
	v_mul_lo_u32 v4, v1, s45
	v_mov_b32_e32 v5, v3
	v_lshlrev_b64 v[4:5], 3, v[4:5]
	v_mul_lo_u32 v12, v1, s46
	v_mov_b32_e32 v1, s42
	v_add_co_u32_e32 v4, vcc, s41, v4
	v_addc_co_u32_e32 v5, vcc, v1, v5, vcc
	v_mov_b32_e32 v13, v3
	global_store_dwordx2 v[4:5], v[10:11], off
	v_lshlrev_b64 v[4:5], 3, v[12:13]
	v_mov_b32_e32 v12, s44
	v_add_co_u32_e32 v4, vcc, s43, v4
	v_mov_b32_e32 v1, v3
	v_addc_co_u32_e32 v5, vcc, v12, v5, vcc
	s_or_b64 s[38:39], s[30:31], exec
	global_store_dwordx2 v[4:5], v[0:1], off
.LBB49_466:                             ;   in Loop: Header=BB49_455 Depth=1
	s_or_b64 exec, exec, s[36:37]
	s_andn2_b64 s[30:31], s[30:31], exec
	s_and_b64 s[38:39], s[38:39], exec
	s_xor_b64 s[36:37], exec, -1
	s_or_b64 s[30:31], s[30:31], s[38:39]
.LBB49_467:                             ;   in Loop: Header=BB49_455 Depth=1
	s_or_b64 exec, exec, s[34:35]
	s_orn2_b64 s[34:35], s[36:37], exec
	s_or_b64 s[26:27], s[26:27], exec
	s_orn2_b64 s[30:31], s[30:31], exec
	v_pk_mov_b32 v[4:5], v[6:7], v[6:7] op_sel:[0,1]
.LBB49_468:                             ;   in Loop: Header=BB49_455 Depth=1
	s_or_b64 exec, exec, s[28:29]
	s_and_saveexec_b64 s[28:29], s[30:31]
	s_cbranch_execz .LBB49_453
; %bb.469:                              ;   in Loop: Header=BB49_455 Depth=1
	s_xor_b64 s[2:3], s[26:27], -1
	v_add_u32_e32 v2, s80, v2
	s_or_b64 s[34:35], s[34:35], exec
	s_orn2_b64 s[2:3], s[2:3], exec
	s_branch .LBB49_453
.LBB49_470:
	s_or_b64 exec, exec, s[6:7]
	s_mov_b64 s[0:1], 0
	s_and_saveexec_b64 s[2:3], s[18:19]
	s_xor_b64 s[2:3], exec, s[2:3]
	s_cbranch_execnz .LBB49_476
.LBB49_471:
	s_or_b64 exec, exec, s[2:3]
	s_and_b64 s[2:3], s[0:1], exec
	s_andn2_b64 s[4:5], s[4:5], exec
	s_or_b64 exec, exec, s[8:9]
	s_and_saveexec_b64 s[0:1], s[4:5]
	s_xor_b64 s[0:1], exec, s[0:1]
	s_cbranch_execz .LBB49_427
.LBB49_472:
	s_or_b64 s[2:3], s[2:3], exec
	s_trap 2
	s_branch .LBB49_427
.LBB49_473:
	s_or_b64 s[14:15], s[14:15], exec
	s_trap 2
	s_branch .LBB49_433
.LBB49_474:
	s_or_b64 s[16:17], s[16:17], exec
	s_trap 2
	s_branch .LBB49_431
.LBB49_475:
	s_trap 2
	s_or_b64 s[18:19], s[18:19], exec
	s_branch .LBB49_429
.LBB49_476:
	s_mov_b64 s[0:1], exec
	s_trap 2
	s_branch .LBB49_471
	.section	.rodata,"a",@progbits
	.p2align	6, 0x0
	.amdhsa_kernel _ZN2at6native6sbtopk10gatherTopKIljLi3ELb0EEEvNS_4cuda6detail10TensorInfoIKT_T0_EES8_S8_bS8_S8_NS5_IS6_S8_EES8_NS5_IlS8_EES8_PS6_
		.amdhsa_group_segment_fixed_size 4112
		.amdhsa_private_segment_fixed_size 0
		.amdhsa_kernarg_size 952
		.amdhsa_user_sgpr_count 6
		.amdhsa_user_sgpr_private_segment_buffer 1
		.amdhsa_user_sgpr_dispatch_ptr 0
		.amdhsa_user_sgpr_queue_ptr 0
		.amdhsa_user_sgpr_kernarg_segment_ptr 1
		.amdhsa_user_sgpr_dispatch_id 0
		.amdhsa_user_sgpr_flat_scratch_init 0
		.amdhsa_user_sgpr_kernarg_preload_length 0
		.amdhsa_user_sgpr_kernarg_preload_offset 0
		.amdhsa_user_sgpr_private_segment_size 0
		.amdhsa_uses_dynamic_stack 0
		.amdhsa_system_sgpr_private_segment_wavefront_offset 0
		.amdhsa_system_sgpr_workgroup_id_x 1
		.amdhsa_system_sgpr_workgroup_id_y 1
		.amdhsa_system_sgpr_workgroup_id_z 1
		.amdhsa_system_sgpr_workgroup_info 0
		.amdhsa_system_vgpr_workitem_id 0
		.amdhsa_next_free_vgpr 60
		.amdhsa_next_free_sgpr 96
		.amdhsa_accum_offset 60
		.amdhsa_reserve_vcc 1
		.amdhsa_reserve_flat_scratch 0
		.amdhsa_float_round_mode_32 0
		.amdhsa_float_round_mode_16_64 0
		.amdhsa_float_denorm_mode_32 3
		.amdhsa_float_denorm_mode_16_64 3
		.amdhsa_dx10_clamp 1
		.amdhsa_ieee_mode 1
		.amdhsa_fp16_overflow 0
		.amdhsa_tg_split 0
		.amdhsa_exception_fp_ieee_invalid_op 0
		.amdhsa_exception_fp_denorm_src 0
		.amdhsa_exception_fp_ieee_div_zero 0
		.amdhsa_exception_fp_ieee_overflow 0
		.amdhsa_exception_fp_ieee_underflow 0
		.amdhsa_exception_fp_ieee_inexact 0
		.amdhsa_exception_int_div_zero 0
	.end_amdhsa_kernel
	.section	.text._ZN2at6native6sbtopk10gatherTopKIljLi3ELb0EEEvNS_4cuda6detail10TensorInfoIKT_T0_EES8_S8_bS8_S8_NS5_IS6_S8_EES8_NS5_IlS8_EES8_PS6_,"axG",@progbits,_ZN2at6native6sbtopk10gatherTopKIljLi3ELb0EEEvNS_4cuda6detail10TensorInfoIKT_T0_EES8_S8_bS8_S8_NS5_IS6_S8_EES8_NS5_IlS8_EES8_PS6_,comdat
.Lfunc_end49:
	.size	_ZN2at6native6sbtopk10gatherTopKIljLi3ELb0EEEvNS_4cuda6detail10TensorInfoIKT_T0_EES8_S8_bS8_S8_NS5_IS6_S8_EES8_NS5_IlS8_EES8_PS6_, .Lfunc_end49-_ZN2at6native6sbtopk10gatherTopKIljLi3ELb0EEEvNS_4cuda6detail10TensorInfoIKT_T0_EES8_S8_bS8_S8_NS5_IS6_S8_EES8_NS5_IlS8_EES8_PS6_
                                        ; -- End function
	.section	.AMDGPU.csdata,"",@progbits
; Kernel info:
; codeLenInByte = 17304
; NumSgprs: 100
; NumVgprs: 60
; NumAgprs: 0
; TotalNumVgprs: 60
; ScratchSize: 0
; MemoryBound: 0
; FloatMode: 240
; IeeeMode: 1
; LDSByteSize: 4112 bytes/workgroup (compile time only)
; SGPRBlocks: 12
; VGPRBlocks: 7
; NumSGPRsForWavesPerEU: 100
; NumVGPRsForWavesPerEU: 60
; AccumOffset: 60
; Occupancy: 8
; WaveLimiterHint : 1
; COMPUTE_PGM_RSRC2:SCRATCH_EN: 0
; COMPUTE_PGM_RSRC2:USER_SGPR: 6
; COMPUTE_PGM_RSRC2:TRAP_HANDLER: 0
; COMPUTE_PGM_RSRC2:TGID_X_EN: 1
; COMPUTE_PGM_RSRC2:TGID_Y_EN: 1
; COMPUTE_PGM_RSRC2:TGID_Z_EN: 1
; COMPUTE_PGM_RSRC2:TIDIG_COMP_CNT: 0
; COMPUTE_PGM_RSRC3_GFX90A:ACCUM_OFFSET: 14
; COMPUTE_PGM_RSRC3_GFX90A:TG_SPLIT: 0
	.section	.text._ZN2at6native6mbtopk23computeBlockDigitCountsIljmLin1EEEvNS_4cuda6detail10TensorInfoIKT_T0_EEjPjjS8_iijT1_PSB_Ps,"axG",@progbits,_ZN2at6native6mbtopk23computeBlockDigitCountsIljmLin1EEEvNS_4cuda6detail10TensorInfoIKT_T0_EEjPjjS8_iijT1_PSB_Ps,comdat
	.protected	_ZN2at6native6mbtopk23computeBlockDigitCountsIljmLin1EEEvNS_4cuda6detail10TensorInfoIKT_T0_EEjPjjS8_iijT1_PSB_Ps ; -- Begin function _ZN2at6native6mbtopk23computeBlockDigitCountsIljmLin1EEEvNS_4cuda6detail10TensorInfoIKT_T0_EEjPjjS8_iijT1_PSB_Ps
	.globl	_ZN2at6native6mbtopk23computeBlockDigitCountsIljmLin1EEEvNS_4cuda6detail10TensorInfoIKT_T0_EEjPjjS8_iijT1_PSB_Ps
	.p2align	8
	.type	_ZN2at6native6mbtopk23computeBlockDigitCountsIljmLin1EEEvNS_4cuda6detail10TensorInfoIKT_T0_EEjPjjS8_iijT1_PSB_Ps,@function
_ZN2at6native6mbtopk23computeBlockDigitCountsIljmLin1EEEvNS_4cuda6detail10TensorInfoIKT_T0_EEjPjjS8_iijT1_PSB_Ps: ; @_ZN2at6native6mbtopk23computeBlockDigitCountsIljmLin1EEEvNS_4cuda6detail10TensorInfoIKT_T0_EEjPjjS8_iijT1_PSB_Ps
; %bb.0:
	s_load_dword s18, s[4:5], 0xf8
	s_load_dwordx4 s[12:15], s[4:5], 0xe8
	s_load_dwordx2 s[0:1], s[4:5], 0x118
	s_waitcnt lgkmcnt(0)
	v_cvt_f32_u32_e32 v1, s18
	s_sub_i32 s2, 0, s18
	s_mul_i32 s1, s1, s8
	s_add_i32 s1, s1, s7
	v_rcp_iflag_f32_e32 v1, v1
	s_mul_i32 s16, s1, s0
	s_add_i32 s16, s16, s6
	v_mul_f32_e32 v1, 0x4f7ffffe, v1
	v_cvt_u32_f32_e32 v1, v1
	v_readfirstlane_b32 s0, v1
	s_mul_i32 s2, s2, s0
	s_mul_hi_u32 s1, s0, s2
	s_add_i32 s0, s0, s1
	s_mul_hi_u32 s0, s16, s0
	s_mul_i32 s1, s0, s18
	s_sub_i32 s1, s16, s1
	s_add_i32 s2, s0, 1
	s_sub_i32 s3, s1, s18
	s_cmp_ge_u32 s1, s18
	s_cselect_b32 s0, s2, s0
	s_cselect_b32 s1, s3, s1
	s_add_i32 s2, s0, 1
	s_cmp_ge_u32 s1, s18
	s_cselect_b32 s0, s2, s0
	s_cmp_ge_u32 s0, s12
	s_mov_b32 s1, 0
	s_cbranch_scc1 .LBB50_32
; %bb.1:
	s_load_dwordx4 s[8:11], s[4:5], 0x100
	s_load_dword s17, s[4:5], 0xd0
	s_load_dwordx2 s[2:3], s[4:5], 0x110
	s_lshl_b64 s[6:7], s[0:1], 3
	s_mov_b32 s19, s0
	s_waitcnt lgkmcnt(0)
	s_add_u32 s6, s10, s6
	s_addc_u32 s7, s11, s7
	s_load_dwordx2 s[6:7], s[6:7], 0x0
	s_cmp_lt_i32 s17, 2
	s_cbranch_scc1 .LBB50_4
; %bb.2:
	s_add_i32 s20, s17, -1
	s_mov_b32 s21, 0
	s_add_i32 s12, s17, 1
	s_lshl_b64 s[10:11], s[20:21], 2
	s_add_u32 s1, s10, s4
	s_addc_u32 s11, s11, s5
	s_add_u32 s10, s1, 8
	s_addc_u32 s11, s11, 0
	s_mov_b32 s19, s0
	s_mov_b32 s1, s21
.LBB50_3:                               ; =>This Inner Loop Header: Depth=1
	s_load_dword s17, s[10:11], 0x0
	s_load_dword s21, s[10:11], 0x64
	s_mov_b32 s20, s19
	s_waitcnt lgkmcnt(0)
	v_cvt_f32_u32_e32 v1, s17
	s_sub_i32 s19, 0, s17
	v_rcp_iflag_f32_e32 v1, v1
	v_mul_f32_e32 v1, 0x4f7ffffe, v1
	v_cvt_u32_f32_e32 v1, v1
	v_readfirstlane_b32 s22, v1
	s_mul_i32 s19, s19, s22
	s_mul_hi_u32 s19, s22, s19
	s_add_i32 s22, s22, s19
	s_mul_hi_u32 s19, s20, s22
	s_mul_i32 s22, s19, s17
	s_sub_i32 s22, s20, s22
	s_add_i32 s23, s19, 1
	s_sub_i32 s24, s22, s17
	s_cmp_ge_u32 s22, s17
	s_cselect_b32 s19, s23, s19
	s_cselect_b32 s22, s24, s22
	s_add_i32 s23, s19, 1
	s_cmp_ge_u32 s22, s17
	s_cselect_b32 s19, s23, s19
	s_mul_i32 s17, s19, s17
	s_sub_i32 s17, s20, s17
	s_mul_i32 s17, s21, s17
	s_add_i32 s12, s12, -1
	s_add_i32 s1, s17, s1
	s_add_u32 s10, s10, -4
	s_addc_u32 s11, s11, -1
	s_cmp_gt_u32 s12, 2
	s_cbranch_scc1 .LBB50_3
.LBB50_4:
	s_movk_i32 s10, 0x100
	v_cmp_gt_u32_e32 vcc, s10, v0
	v_lshlrev_b32_e32 v1, 2, v0
	s_and_saveexec_b64 s[10:11], vcc
	s_cbranch_execz .LBB50_6
; %bb.5:
	v_mov_b32_e32 v2, 0
	ds_write_b32 v1, v2
.LBB50_6:
	s_or_b64 exec, exec, s[10:11]
	s_load_dword s12, s[4:5], 0xd8
	s_mul_i32 s0, s0, s18
	s_sub_i32 s0, s16, s0
	s_add_i32 s10, s0, 1
	s_mul_i32 s0, s15, s0
	s_lshl_b32 s17, s0, 8
	s_waitcnt lgkmcnt(0)
	s_sub_i32 s0, s12, s17
	s_add_u32 s0, s0, 0xff
	s_addc_u32 s11, 0, 0
	v_mov_b32_e32 v2, s0
	v_alignbit_b32 v2, s11, v2, 8
	s_cmp_lt_u32 s10, s18
	v_readfirstlane_b32 s0, v2
	s_cselect_b32 s18, s15, s0
	s_cmp_lt_i32 s18, 1
	s_mov_b32 s11, 0
	s_barrier
	s_cbranch_scc1 .LBB50_28
; %bb.7:
	s_load_dword s0, s[4:5], 0x6c
	s_load_dwordx2 s[20:21], s[4:5], 0x0
	s_waitcnt lgkmcnt(0)
	s_mul_i32 s0, s0, s19
	s_add_i32 s10, s0, s1
	s_lshl_b64 s[0:1], s[10:11], 3
	s_add_u32 s10, s20, s0
	s_addc_u32 s15, s21, s1
	s_and_b32 s14, s14, 0xff
	s_cmp_lt_u32 s18, 4
	s_cbranch_scc1 .LBB50_22
; %bb.8:
	v_add_u32_e32 v2, s17, v0
	v_add_u32_e32 v3, 0x200, v2
	;; [unrolled: 1-line block ×3, first 2 shown]
	v_mul_lo_u32 v8, s13, v3
	v_add_u32_e32 v3, 0x100, v2
	s_and_b32 s11, s18, 0x7ffffffc
	v_mul_lo_u32 v7, s13, v6
	s_lshl_b32 s19, s13, 10
	v_mul_lo_u32 v9, s13, v3
	v_mul_lo_u32 v10, s13, v2
	s_mov_b32 s20, 0
	v_mov_b32_e32 v3, 0
	v_mov_b32_e32 v11, 1
	;; [unrolled: 1-line block ×3, first 2 shown]
	s_mov_b32 s21, 0
	s_branch .LBB50_10
.LBB50_9:                               ;   in Loop: Header=BB50_10 Depth=1
	s_or_b64 exec, exec, s[4:5]
	s_add_i32 s21, s21, 4
	s_add_i32 s20, s20, s19
	s_cmp_eq_u32 s11, s21
	v_add_u32_e32 v6, 0x400, v6
	s_cbranch_scc1 .LBB50_22
.LBB50_10:                              ; =>This Inner Loop Header: Depth=1
	v_add_u32_e32 v2, 0xfffffd00, v6
	v_cmp_gt_u32_e64 s[0:1], s12, v2
	s_and_saveexec_b64 s[4:5], s[0:1]
	s_cbranch_execz .LBB50_13
; %bb.11:                               ;   in Loop: Header=BB50_10 Depth=1
	v_add_u32_e32 v2, s20, v10
	v_lshlrev_b64 v[4:5], 3, v[2:3]
	v_mov_b32_e32 v2, s15
	v_add_co_u32_e64 v4, s[0:1], s10, v4
	v_addc_co_u32_e64 v5, s[0:1], v2, v5, s[0:1]
	global_load_dwordx2 v[4:5], v[4:5], off
	s_waitcnt vmcnt(0)
	v_xor_b32_e32 v5, 0x80000000, v5
	v_xor_b32_e32 v2, s6, v4
	v_xor_b32_e32 v13, s7, v5
	v_and_b32_e32 v15, s9, v13
	v_and_b32_e32 v14, s8, v2
	v_cmp_eq_u64_e64 s[0:1], 0, v[14:15]
	s_and_b64 exec, exec, s[0:1]
	s_cbranch_execz .LBB50_13
; %bb.12:                               ;   in Loop: Header=BB50_10 Depth=1
	v_lshrrev_b64 v[4:5], s14, v[4:5]
	v_lshlrev_b32_sdwa v2, v12, v4 dst_sel:DWORD dst_unused:UNUSED_PAD src0_sel:DWORD src1_sel:BYTE_0
	ds_add_u32 v2, v11
.LBB50_13:                              ;   in Loop: Header=BB50_10 Depth=1
	s_or_b64 exec, exec, s[4:5]
	v_add_u32_e32 v2, 0xfffffe00, v6
	v_cmp_gt_u32_e64 s[0:1], s12, v2
	s_and_saveexec_b64 s[4:5], s[0:1]
	s_cbranch_execz .LBB50_16
; %bb.14:                               ;   in Loop: Header=BB50_10 Depth=1
	v_add_u32_e32 v2, s20, v9
	v_lshlrev_b64 v[4:5], 3, v[2:3]
	v_mov_b32_e32 v2, s15
	v_add_co_u32_e64 v4, s[0:1], s10, v4
	v_addc_co_u32_e64 v5, s[0:1], v2, v5, s[0:1]
	global_load_dwordx2 v[4:5], v[4:5], off
	s_waitcnt vmcnt(0)
	v_xor_b32_e32 v5, 0x80000000, v5
	v_xor_b32_e32 v2, s6, v4
	v_xor_b32_e32 v13, s7, v5
	v_and_b32_e32 v15, s9, v13
	v_and_b32_e32 v14, s8, v2
	v_cmp_eq_u64_e64 s[0:1], 0, v[14:15]
	s_and_b64 exec, exec, s[0:1]
	s_cbranch_execz .LBB50_16
; %bb.15:                               ;   in Loop: Header=BB50_10 Depth=1
	v_lshrrev_b64 v[4:5], s14, v[4:5]
	v_lshlrev_b32_sdwa v2, v12, v4 dst_sel:DWORD dst_unused:UNUSED_PAD src0_sel:DWORD src1_sel:BYTE_0
	ds_add_u32 v2, v11
.LBB50_16:                              ;   in Loop: Header=BB50_10 Depth=1
	s_or_b64 exec, exec, s[4:5]
	;; [unrolled: 26-line block ×3, first 2 shown]
	v_cmp_gt_u32_e64 s[0:1], s12, v6
	s_and_saveexec_b64 s[4:5], s[0:1]
	s_cbranch_execz .LBB50_9
; %bb.20:                               ;   in Loop: Header=BB50_10 Depth=1
	v_add_u32_e32 v2, s20, v7
	v_lshlrev_b64 v[4:5], 3, v[2:3]
	v_mov_b32_e32 v2, s15
	v_add_co_u32_e64 v4, s[0:1], s10, v4
	v_addc_co_u32_e64 v5, s[0:1], v2, v5, s[0:1]
	global_load_dwordx2 v[4:5], v[4:5], off
	s_waitcnt vmcnt(0)
	v_xor_b32_e32 v5, 0x80000000, v5
	v_xor_b32_e32 v2, s6, v4
	;; [unrolled: 1-line block ×3, first 2 shown]
	v_and_b32_e32 v15, s9, v13
	v_and_b32_e32 v14, s8, v2
	v_cmp_eq_u64_e64 s[0:1], 0, v[14:15]
	s_and_b64 exec, exec, s[0:1]
	s_cbranch_execz .LBB50_9
; %bb.21:                               ;   in Loop: Header=BB50_10 Depth=1
	v_lshrrev_b64 v[4:5], s14, v[4:5]
	v_lshlrev_b32_sdwa v2, v12, v4 dst_sel:DWORD dst_unused:UNUSED_PAD src0_sel:DWORD src1_sel:BYTE_0
	ds_add_u32 v2, v11
	s_branch .LBB50_9
.LBB50_22:
	s_and_b32 s18, s18, 3
	s_cmp_eq_u32 s18, 0
	s_cbranch_scc1 .LBB50_28
; %bb.23:
	s_lshl_b32 s0, s11, 8
	s_add_i32 s0, s0, s17
	v_add_u32_e32 v6, s0, v0
	v_mul_lo_u32 v2, s13, v6
	s_lshl_b32 s11, s13, 8
	v_mov_b32_e32 v3, 0
	v_mov_b32_e32 v7, 1
	;; [unrolled: 1-line block ×3, first 2 shown]
	s_branch .LBB50_25
.LBB50_24:                              ;   in Loop: Header=BB50_25 Depth=1
	s_or_b64 exec, exec, s[4:5]
	s_add_i32 s18, s18, -1
	v_add_u32_e32 v2, s11, v2
	s_cmp_lg_u32 s18, 0
	v_add_u32_e32 v6, 0x100, v6
	s_cbranch_scc0 .LBB50_28
.LBB50_25:                              ; =>This Inner Loop Header: Depth=1
	v_cmp_gt_u32_e64 s[0:1], s12, v6
	s_and_saveexec_b64 s[4:5], s[0:1]
	s_cbranch_execz .LBB50_24
; %bb.26:                               ;   in Loop: Header=BB50_25 Depth=1
	v_lshlrev_b64 v[4:5], 3, v[2:3]
	v_mov_b32_e32 v9, s15
	v_add_co_u32_e64 v4, s[0:1], s10, v4
	v_addc_co_u32_e64 v5, s[0:1], v9, v5, s[0:1]
	global_load_dwordx2 v[4:5], v[4:5], off
	s_waitcnt vmcnt(0)
	v_xor_b32_e32 v5, 0x80000000, v5
	v_xor_b32_e32 v9, s6, v4
	;; [unrolled: 1-line block ×3, first 2 shown]
	v_and_b32_e32 v11, s9, v10
	v_and_b32_e32 v10, s8, v9
	v_cmp_eq_u64_e64 s[0:1], 0, v[10:11]
	s_and_b64 exec, exec, s[0:1]
	s_cbranch_execz .LBB50_24
; %bb.27:                               ;   in Loop: Header=BB50_25 Depth=1
	v_lshrrev_b64 v[4:5], s14, v[4:5]
	v_lshlrev_b32_sdwa v4, v8, v4 dst_sel:DWORD dst_unused:UNUSED_PAD src0_sel:DWORD src1_sel:BYTE_0
	ds_add_u32 v4, v7
	s_branch .LBB50_24
.LBB50_28:
	v_mov_b32_e32 v2, 0
	s_waitcnt lgkmcnt(0)
	s_barrier
	s_and_saveexec_b64 s[0:1], vcc
	s_cbranch_execz .LBB50_30
; %bb.29:
	ds_read_b32 v2, v1
.LBB50_30:
	s_or_b64 exec, exec, s[0:1]
	s_and_saveexec_b64 s[0:1], vcc
	s_cbranch_execz .LBB50_32
; %bb.31:
	v_lshl_or_b32 v0, s16, 8, v0
	v_mov_b32_e32 v1, 0
	v_lshlrev_b64 v[0:1], 1, v[0:1]
	v_mov_b32_e32 v3, s3
	v_add_co_u32_e32 v0, vcc, s2, v0
	v_addc_co_u32_e32 v1, vcc, v3, v1, vcc
	s_waitcnt lgkmcnt(0)
	global_store_short v[0:1], v2, off
.LBB50_32:
	s_endpgm
	.section	.rodata,"a",@progbits
	.p2align	6, 0x0
	.amdhsa_kernel _ZN2at6native6mbtopk23computeBlockDigitCountsIljmLin1EEEvNS_4cuda6detail10TensorInfoIKT_T0_EEjPjjS8_iijT1_PSB_Ps
		.amdhsa_group_segment_fixed_size 1024
		.amdhsa_private_segment_fixed_size 0
		.amdhsa_kernarg_size 536
		.amdhsa_user_sgpr_count 6
		.amdhsa_user_sgpr_private_segment_buffer 1
		.amdhsa_user_sgpr_dispatch_ptr 0
		.amdhsa_user_sgpr_queue_ptr 0
		.amdhsa_user_sgpr_kernarg_segment_ptr 1
		.amdhsa_user_sgpr_dispatch_id 0
		.amdhsa_user_sgpr_flat_scratch_init 0
		.amdhsa_user_sgpr_kernarg_preload_length 0
		.amdhsa_user_sgpr_kernarg_preload_offset 0
		.amdhsa_user_sgpr_private_segment_size 0
		.amdhsa_uses_dynamic_stack 0
		.amdhsa_system_sgpr_private_segment_wavefront_offset 0
		.amdhsa_system_sgpr_workgroup_id_x 1
		.amdhsa_system_sgpr_workgroup_id_y 1
		.amdhsa_system_sgpr_workgroup_id_z 1
		.amdhsa_system_sgpr_workgroup_info 0
		.amdhsa_system_vgpr_workitem_id 0
		.amdhsa_next_free_vgpr 16
		.amdhsa_next_free_sgpr 25
		.amdhsa_accum_offset 16
		.amdhsa_reserve_vcc 1
		.amdhsa_reserve_flat_scratch 0
		.amdhsa_float_round_mode_32 0
		.amdhsa_float_round_mode_16_64 0
		.amdhsa_float_denorm_mode_32 3
		.amdhsa_float_denorm_mode_16_64 3
		.amdhsa_dx10_clamp 1
		.amdhsa_ieee_mode 1
		.amdhsa_fp16_overflow 0
		.amdhsa_tg_split 0
		.amdhsa_exception_fp_ieee_invalid_op 0
		.amdhsa_exception_fp_denorm_src 0
		.amdhsa_exception_fp_ieee_div_zero 0
		.amdhsa_exception_fp_ieee_overflow 0
		.amdhsa_exception_fp_ieee_underflow 0
		.amdhsa_exception_fp_ieee_inexact 0
		.amdhsa_exception_int_div_zero 0
	.end_amdhsa_kernel
	.section	.text._ZN2at6native6mbtopk23computeBlockDigitCountsIljmLin1EEEvNS_4cuda6detail10TensorInfoIKT_T0_EEjPjjS8_iijT1_PSB_Ps,"axG",@progbits,_ZN2at6native6mbtopk23computeBlockDigitCountsIljmLin1EEEvNS_4cuda6detail10TensorInfoIKT_T0_EEjPjjS8_iijT1_PSB_Ps,comdat
.Lfunc_end50:
	.size	_ZN2at6native6mbtopk23computeBlockDigitCountsIljmLin1EEEvNS_4cuda6detail10TensorInfoIKT_T0_EEjPjjS8_iijT1_PSB_Ps, .Lfunc_end50-_ZN2at6native6mbtopk23computeBlockDigitCountsIljmLin1EEEvNS_4cuda6detail10TensorInfoIKT_T0_EEjPjjS8_iijT1_PSB_Ps
                                        ; -- End function
	.section	.AMDGPU.csdata,"",@progbits
; Kernel info:
; codeLenInByte = 1516
; NumSgprs: 29
; NumVgprs: 16
; NumAgprs: 0
; TotalNumVgprs: 16
; ScratchSize: 0
; MemoryBound: 0
; FloatMode: 240
; IeeeMode: 1
; LDSByteSize: 1024 bytes/workgroup (compile time only)
; SGPRBlocks: 3
; VGPRBlocks: 1
; NumSGPRsForWavesPerEU: 29
; NumVGPRsForWavesPerEU: 16
; AccumOffset: 16
; Occupancy: 8
; WaveLimiterHint : 1
; COMPUTE_PGM_RSRC2:SCRATCH_EN: 0
; COMPUTE_PGM_RSRC2:USER_SGPR: 6
; COMPUTE_PGM_RSRC2:TRAP_HANDLER: 0
; COMPUTE_PGM_RSRC2:TGID_X_EN: 1
; COMPUTE_PGM_RSRC2:TGID_Y_EN: 1
; COMPUTE_PGM_RSRC2:TGID_Z_EN: 1
; COMPUTE_PGM_RSRC2:TIDIG_COMP_CNT: 0
; COMPUTE_PGM_RSRC3_GFX90A:ACCUM_OFFSET: 3
; COMPUTE_PGM_RSRC3_GFX90A:TG_SPLIT: 0
	.section	.text._ZN2at6native6mbtopk10gatherTopKIljLin1EEEvNS_4cuda6detail10TensorInfoIKT_T0_EES8_S8_bjS8_NS5_IS6_S8_EES8_NS5_IlS8_EES8_jjPS6_PjSD_j,"axG",@progbits,_ZN2at6native6mbtopk10gatherTopKIljLin1EEEvNS_4cuda6detail10TensorInfoIKT_T0_EES8_S8_bjS8_NS5_IS6_S8_EES8_NS5_IlS8_EES8_jjPS6_PjSD_j,comdat
	.protected	_ZN2at6native6mbtopk10gatherTopKIljLin1EEEvNS_4cuda6detail10TensorInfoIKT_T0_EES8_S8_bjS8_NS5_IS6_S8_EES8_NS5_IlS8_EES8_jjPS6_PjSD_j ; -- Begin function _ZN2at6native6mbtopk10gatherTopKIljLin1EEEvNS_4cuda6detail10TensorInfoIKT_T0_EES8_S8_bjS8_NS5_IS6_S8_EES8_NS5_IlS8_EES8_jjPS6_PjSD_j
	.globl	_ZN2at6native6mbtopk10gatherTopKIljLin1EEEvNS_4cuda6detail10TensorInfoIKT_T0_EES8_S8_bjS8_NS5_IS6_S8_EES8_NS5_IlS8_EES8_jjPS6_PjSD_j
	.p2align	8
	.type	_ZN2at6native6mbtopk10gatherTopKIljLin1EEEvNS_4cuda6detail10TensorInfoIKT_T0_EES8_S8_bjS8_NS5_IS6_S8_EES8_NS5_IlS8_EES8_jjPS6_PjSD_j,@function
_ZN2at6native6mbtopk10gatherTopKIljLin1EEEvNS_4cuda6detail10TensorInfoIKT_T0_EES8_S8_bjS8_NS5_IS6_S8_EES8_NS5_IlS8_EES8_jjPS6_PjSD_j: ; @_ZN2at6native6mbtopk10gatherTopKIljLin1EEEvNS_4cuda6detail10TensorInfoIKT_T0_EES8_S8_bjS8_NS5_IS6_S8_EES8_NS5_IlS8_EES8_jjPS6_PjSD_j
; %bb.0:
	s_load_dwordx2 s[0:1], s[4:5], 0x2d8
	s_load_dword s2, s[4:5], 0x2d0
	s_waitcnt lgkmcnt(0)
	s_mul_i32 s1, s1, s8
	s_add_i32 s1, s1, s7
	s_mul_i32 s12, s1, s0
	s_add_i32 s12, s12, s6
	s_cmp_ge_u32 s12, s2
	s_cbranch_scc1 .LBB51_49
; %bb.1:
	s_load_dwordx4 s[8:11], s[4:5], 0x2a8
	s_load_dword s0, s[4:5], 0xd0
	s_mov_b32 s7, 0
	s_waitcnt lgkmcnt(0)
	v_cvt_f32_u32_e32 v1, s10
	s_sub_i32 s1, 0, s10
	v_rcp_iflag_f32_e32 v1, v1
	v_mul_f32_e32 v1, 0x4f7ffffe, v1
	v_cvt_u32_f32_e32 v1, v1
	v_readfirstlane_b32 s2, v1
	s_mul_i32 s1, s1, s2
	s_mul_hi_u32 s1, s2, s1
	s_add_i32 s2, s2, s1
	s_mul_hi_u32 s1, s12, s2
	s_mul_i32 s2, s1, s10
	s_sub_i32 s2, s12, s2
	s_add_i32 s3, s1, 1
	s_sub_i32 s6, s2, s10
	s_cmp_ge_u32 s2, s10
	s_cselect_b32 s1, s3, s1
	s_cselect_b32 s2, s6, s2
	s_add_i32 s3, s1, 1
	s_cmp_ge_u32 s2, s10
	s_cselect_b32 s22, s3, s1
	s_cmp_lt_i32 s0, 2
	s_mov_b32 s6, s22
	s_cbranch_scc1 .LBB51_4
; %bb.2:
	s_add_i32 s6, s0, -1
	s_add_i32 s2, s0, 1
	s_lshl_b64 s[0:1], s[6:7], 2
	s_add_u32 s0, s0, s4
	s_addc_u32 s1, s1, s5
	s_add_u32 s0, s0, 8
	s_addc_u32 s1, s1, 0
	s_mov_b32 s6, s22
.LBB51_3:                               ; =>This Inner Loop Header: Depth=1
	s_load_dword s3, s[0:1], 0x0
	s_load_dword s13, s[0:1], 0x64
	s_mov_b32 s11, s6
	s_waitcnt lgkmcnt(0)
	v_cvt_f32_u32_e32 v1, s3
	s_sub_i32 s6, 0, s3
	v_rcp_iflag_f32_e32 v1, v1
	v_mul_f32_e32 v1, 0x4f7ffffe, v1
	v_cvt_u32_f32_e32 v1, v1
	v_readfirstlane_b32 s14, v1
	s_mul_i32 s6, s6, s14
	s_mul_hi_u32 s6, s14, s6
	s_add_i32 s14, s14, s6
	s_mul_hi_u32 s6, s11, s14
	s_mul_i32 s14, s6, s3
	s_sub_i32 s14, s11, s14
	s_add_i32 s15, s6, 1
	s_sub_i32 s16, s14, s3
	s_cmp_ge_u32 s14, s3
	s_cselect_b32 s6, s15, s6
	s_cselect_b32 s14, s16, s14
	s_add_i32 s15, s6, 1
	s_cmp_ge_u32 s14, s3
	s_cselect_b32 s6, s15, s6
	s_mul_i32 s3, s6, s3
	s_sub_i32 s3, s11, s3
	s_mul_i32 s3, s13, s3
	s_add_i32 s2, s2, -1
	s_add_i32 s7, s3, s7
	s_add_u32 s0, s0, -4
	s_addc_u32 s1, s1, -1
	s_cmp_gt_u32 s2, 2
	s_cbranch_scc1 .LBB51_3
.LBB51_4:
	s_load_dword s2, s[4:5], 0x1c0
	s_add_u32 s0, s4, 0xf0
	s_addc_u32 s1, s5, 0
	s_mov_b32 s25, 0
	s_mov_b32 s24, s22
	s_waitcnt lgkmcnt(0)
	s_cmp_lt_i32 s2, 2
	s_cbranch_scc1 .LBB51_7
; %bb.5:
	s_add_i32 s24, s2, -1
	s_add_i32 s11, s2, 1
	s_lshl_b64 s[2:3], s[24:25], 2
	s_add_u32 s2, s2, s0
	s_addc_u32 s3, s3, s1
	s_add_u32 s2, s2, 8
	s_addc_u32 s3, s3, 0
	s_mov_b32 s24, s22
.LBB51_6:                               ; =>This Inner Loop Header: Depth=1
	s_load_dword s13, s[2:3], 0x0
	s_load_dword s15, s[2:3], 0x64
	s_mov_b32 s14, s24
	s_waitcnt lgkmcnt(0)
	v_cvt_f32_u32_e32 v1, s13
	s_sub_i32 s16, 0, s13
	v_rcp_iflag_f32_e32 v1, v1
	v_mul_f32_e32 v1, 0x4f7ffffe, v1
	v_cvt_u32_f32_e32 v1, v1
	v_readfirstlane_b32 s17, v1
	s_mul_i32 s16, s16, s17
	s_mul_hi_u32 s16, s17, s16
	s_add_i32 s17, s17, s16
	s_mul_hi_u32 s16, s24, s17
	s_mul_i32 s17, s16, s13
	s_sub_i32 s17, s24, s17
	s_add_i32 s18, s16, 1
	s_sub_i32 s19, s17, s13
	s_cmp_ge_u32 s17, s13
	s_cselect_b32 s16, s18, s16
	s_cselect_b32 s17, s19, s17
	s_add_i32 s18, s16, 1
	s_cmp_ge_u32 s17, s13
	s_cselect_b32 s24, s18, s16
	s_mul_i32 s13, s24, s13
	s_sub_i32 s13, s14, s13
	s_mul_i32 s13, s15, s13
	s_add_i32 s11, s11, -1
	s_add_i32 s25, s13, s25
	s_add_u32 s2, s2, -4
	s_addc_u32 s3, s3, -1
	s_cmp_gt_u32 s11, 2
	s_cbranch_scc1 .LBB51_6
.LBB51_7:
	s_load_dword s33, s[4:5], 0x6c
	s_load_dword s13, s[4:5], 0x2a0
	s_add_u32 s2, s4, 0x1d0
	s_addc_u32 s3, s5, 0
	s_mov_b32 s27, 0
	s_mov_b32 s26, s22
	s_waitcnt lgkmcnt(0)
	s_cmp_lt_i32 s13, 2
	s_cbranch_scc1 .LBB51_10
; %bb.8:
	s_add_i32 s26, s13, -1
	s_add_i32 s11, s13, 1
	s_lshl_b64 s[14:15], s[26:27], 2
	s_add_u32 s2, s14, s2
	s_addc_u32 s3, s15, s3
	s_add_u32 s2, s2, 8
	s_addc_u32 s3, s3, 0
	s_mov_b32 s26, s22
.LBB51_9:                               ; =>This Inner Loop Header: Depth=1
	s_load_dword s13, s[2:3], 0x0
	s_load_dword s15, s[2:3], 0x64
	s_mov_b32 s14, s26
	s_waitcnt lgkmcnt(0)
	v_cvt_f32_u32_e32 v1, s13
	s_sub_i32 s16, 0, s13
	v_rcp_iflag_f32_e32 v1, v1
	v_mul_f32_e32 v1, 0x4f7ffffe, v1
	v_cvt_u32_f32_e32 v1, v1
	v_readfirstlane_b32 s17, v1
	s_mul_i32 s16, s16, s17
	s_mul_hi_u32 s16, s17, s16
	s_add_i32 s17, s17, s16
	s_mul_hi_u32 s16, s26, s17
	s_mul_i32 s17, s16, s13
	s_sub_i32 s17, s26, s17
	s_add_i32 s18, s16, 1
	s_sub_i32 s19, s17, s13
	s_cmp_ge_u32 s17, s13
	s_cselect_b32 s16, s18, s16
	s_cselect_b32 s17, s19, s17
	s_add_i32 s18, s16, 1
	s_cmp_ge_u32 s17, s13
	s_cselect_b32 s26, s18, s16
	s_mul_i32 s13, s26, s13
	s_sub_i32 s13, s14, s13
	s_mul_i32 s13, s15, s13
	s_add_i32 s11, s11, -1
	s_add_i32 s27, s13, s27
	s_add_u32 s2, s2, -4
	s_addc_u32 s3, s3, -1
	s_cmp_gt_u32 s11, 2
	s_cbranch_scc1 .LBB51_9
.LBB51_10:
	s_mul_i32 s16, s22, s10
	s_sub_i32 s11, s12, s16
	s_load_dwordx4 s[12:15], s[4:5], 0x2b8
	s_load_dwordx2 s[34:35], s[4:5], 0x0
	s_load_dwordx2 s[30:31], s[4:5], 0xf0
	;; [unrolled: 1-line block ×3, first 2 shown]
	s_mov_b32 s23, 0
	s_load_dword s42, s[0:1], 0x6c
	s_lshl_b64 s[0:1], s[22:23], 3
	s_waitcnt lgkmcnt(0)
	s_add_u32 s0, s12, s0
	s_addc_u32 s1, s13, s1
	s_load_dwordx2 s[20:21], s[0:1], 0x0
	v_cmp_ne_u32_e64 s[0:1], 0, v0
	v_cmp_eq_u32_e64 s[2:3], 0, v0
	s_and_saveexec_b64 s[12:13], s[2:3]
	s_cbranch_execz .LBB51_26
; %bb.11:
	s_load_dwordx2 s[36:37], s[4:5], 0x2c8
	s_mov_b32 s17, s23
	s_lshl_b64 s[38:39], s[16:17], 2
	s_add_u32 s16, s14, s38
	s_addc_u32 s17, s15, s39
	s_waitcnt lgkmcnt(0)
	s_add_u32 s18, s36, s38
	s_addc_u32 s19, s37, s39
	s_mov_b32 s22, 0
	s_mov_b32 s43, 0
	s_cmp_lt_u32 s10, 4
	s_cbranch_scc1 .LBB51_23
; %bb.12:
	s_mov_b32 s44, 0
.LBB51_13:                              ; =>This Inner Loop Header: Depth=1
	s_add_u32 s16, s14, s38
	s_addc_u32 s17, s15, s39
	s_load_dwordx4 s[16:19], s[16:17], 0x0
	s_add_u32 s40, s36, s38
	s_addc_u32 s41, s37, s39
	s_cmp_ge_u32 s44, s11
	s_cbranch_scc0 .LBB51_20
; %bb.14:                               ;   in Loop: Header=BB51_13 Depth=1
	s_add_i32 s45, s44, 1
	s_cmp_ge_u32 s45, s11
	s_cbranch_scc0 .LBB51_21
.LBB51_15:                              ;   in Loop: Header=BB51_13 Depth=1
	s_add_i32 s45, s45, 1
	s_cmp_ge_u32 s45, s11
	s_cbranch_scc0 .LBB51_22
.LBB51_16:                              ;   in Loop: Header=BB51_13 Depth=1
	s_add_i32 s45, s45, 1
	s_cmp_ge_u32 s45, s11
	s_cbranch_scc1 .LBB51_18
.LBB51_17:                              ;   in Loop: Header=BB51_13 Depth=1
	s_load_dword s40, s[40:41], 0xc
	s_waitcnt lgkmcnt(0)
	s_add_i32 s23, s23, s19
	s_add_i32 s22, s40, s22
.LBB51_18:                              ;   in Loop: Header=BB51_13 Depth=1
	s_waitcnt lgkmcnt(0)
	s_add_i32 s16, s16, s43
	s_add_i32 s16, s16, s17
	;; [unrolled: 1-line block ×4, first 2 shown]
	s_add_u32 s14, s14, 16
	s_addc_u32 s15, s15, 0
	s_add_u32 s36, s36, 16
	s_addc_u32 s37, s37, 0
	s_add_i32 s41, s45, 4
	s_add_u32 s18, s36, s38
	s_addc_u32 s19, s37, s39
	s_add_u32 s16, s14, s38
	s_addc_u32 s17, s15, s39
	s_add_i32 s40, s45, 1
	s_cmp_ge_u32 s41, s10
	s_cbranch_scc1 .LBB51_24
; %bb.19:                               ;   in Loop: Header=BB51_13 Depth=1
	s_mov_b32 s44, s40
	s_branch .LBB51_13
.LBB51_20:                              ;   in Loop: Header=BB51_13 Depth=1
	s_load_dword s45, s[40:41], 0x0
	s_waitcnt lgkmcnt(0)
	s_add_i32 s23, s16, s23
	s_add_i32 s22, s45, s22
	;; [unrolled: 1-line block ×3, first 2 shown]
	s_cmp_ge_u32 s45, s11
	s_cbranch_scc1 .LBB51_15
.LBB51_21:                              ;   in Loop: Header=BB51_13 Depth=1
	s_load_dword s46, s[40:41], 0x4
	s_waitcnt lgkmcnt(0)
	s_add_i32 s23, s23, s17
	s_add_i32 s22, s46, s22
	s_add_i32 s45, s45, 1
	s_cmp_ge_u32 s45, s11
	s_cbranch_scc1 .LBB51_16
.LBB51_22:                              ;   in Loop: Header=BB51_13 Depth=1
	s_load_dword s46, s[40:41], 0x8
	s_waitcnt lgkmcnt(0)
	s_add_i32 s23, s23, s18
	s_add_i32 s22, s46, s22
	s_add_i32 s45, s45, 1
	s_cmp_ge_u32 s45, s11
	s_cbranch_scc0 .LBB51_17
	s_branch .LBB51_18
.LBB51_23:
	s_mov_b32 s14, 0
	s_cmp_ge_u32 s14, s10
	s_cbranch_scc0 .LBB51_47
	s_branch .LBB51_25
.LBB51_24:
	s_add_i32 s14, s44, 4
	s_cmp_ge_u32 s14, s10
	s_cbranch_scc0 .LBB51_47
.LBB51_25:
	v_mov_b32_e32 v2, s22
	v_mov_b32_e32 v3, s43
	;; [unrolled: 1-line block ×4, first 2 shown]
	ds_write_b96 v1, v[2:4] offset:1056
.LBB51_26:
	s_or_b64 exec, exec, s[12:13]
	s_load_dword s16, s[4:5], 0x23c
	s_load_dwordx4 s[12:15], s[4:5], 0xd8
	s_waitcnt lgkmcnt(0)
	s_mul_i32 s15, s9, s11
	s_lshl_b32 s15, s15, 8
	s_add_i32 s17, s11, 1
	s_mov_b32 s11, 0
	s_sub_i32 s18, s12, s15
	s_add_u32 s18, s18, 0xff
	s_addc_u32 s19, 0, 0
	v_mov_b32_e32 v1, s18
	v_alignbit_b32 v1, s19, v1, 8
	s_cmp_lt_u32 s17, s10
	v_readfirstlane_b32 s10, v1
	s_cselect_b32 s9, s9, s10
	s_cmp_eq_u32 s9, 0
	s_barrier
	s_cbranch_scc1 .LBB51_49
; %bb.27:
	s_mul_i32 s10, s42, s24
	s_mul_i32 s6, s33, s6
	s_add_i32 s18, s10, s25
	s_add_i32 s10, s6, s7
	s_mul_i32 s6, s16, s26
	v_mov_b32_e32 v1, 0
	s_add_i32 s6, s6, s27
	s_lshl_b64 s[16:17], s[10:11], 3
	ds_read_b96 v[2:4], v1 offset:1056
	s_add_u32 s16, s34, s16
	s_mov_b32 s19, s11
	s_addc_u32 s17, s35, s17
	s_lshl_b64 s[18:19], s[18:19], 3
	s_add_u32 s18, s30, s18
	s_mov_b32 s7, s11
	s_addc_u32 s19, s31, s19
	s_lshl_b64 s[6:7], s[6:7], 3
	s_add_u32 s22, s28, s6
	s_waitcnt lgkmcnt(0)
	v_add_u32_e32 v5, v2, v3
	v_lshrrev_b32_e32 v2, 5, v0
	s_addc_u32 s23, s29, s7
	s_xor_b32 s11, s21, 0x80000000
	v_add_lshl_u32 v8, v2, v0, 2
	v_lshlrev_b32_e32 v2, 2, v0
	v_lshrrev_b32_e32 v3, 3, v0
	s_bitcmp1_b32 s14, 0
	s_load_dword s14, s[4:5], 0xe8
	s_load_dword s24, s[4:5], 0x1c8
	v_add_lshl_u32 v9, v3, v2, 2
	v_add_u32_e32 v2, -1, v0
	v_lshrrev_b32_e32 v3, 5, v2
	v_add_lshl_u32 v10, v3, v2, 2
	v_mbcnt_lo_u32_b32 v3, -1, 0
	v_add_u32_e32 v2, s15, v0
	v_mbcnt_hi_u32_b32 v11, -1, v3
	s_mov_b32 s10, s20
	s_cselect_b64 s[6:7], -1, 0
	v_cmp_gt_u32_e64 s[4:5], 64, v0
	s_waitcnt lgkmcnt(0)
	v_mul_lo_u32 v0, s14, v2
	s_lshl_b32 s25, s14, 8
	v_and_b32_e32 v12, 15, v11
	v_bfe_i32 v13, v11, 4, 1
	v_add_u32_e32 v14, -1, v11
	v_and_b32_e32 v15, 64, v11
                                        ; implicit-def: $vgpr6_vgpr7
	s_branch .LBB51_30
.LBB51_28:                              ;   in Loop: Header=BB51_30 Depth=1
	s_or_b64 exec, exec, s[14:15]
	v_add_u32_e32 v5, v18, v5
.LBB51_29:                              ;   in Loop: Header=BB51_30 Depth=1
	s_add_i32 s9, s9, -1
	v_add_u32_e32 v4, v17, v4
	v_add_u32_e32 v0, s25, v0
	s_cmp_lg_u32 s9, 0
	v_add_u32_e32 v2, 0x100, v2
	s_cbranch_scc0 .LBB51_49
.LBB51_30:                              ; =>This Inner Loop Header: Depth=1
	v_cmp_gt_u32_e32 vcc, s12, v2
	v_mov_b32_e32 v3, 0
	v_mov_b32_e32 v16, 0
	s_and_saveexec_b64 s[14:15], vcc
	s_cbranch_execz .LBB51_32
; %bb.31:                               ;   in Loop: Header=BB51_30 Depth=1
	v_lshlrev_b64 v[6:7], 3, v[0:1]
	v_mov_b32_e32 v3, s17
	v_add_co_u32_e32 v6, vcc, s16, v6
	v_addc_co_u32_e32 v7, vcc, v3, v7, vcc
	global_load_dwordx2 v[6:7], v[6:7], off
	s_waitcnt vmcnt(0)
	v_xor_b32_e32 v17, 0x80000000, v7
	v_mov_b32_e32 v16, v6
	v_cmp_lt_u64_e32 vcc, s[10:11], v[16:17]
	v_cndmask_b32_e64 v3, 0, 1, vcc
	v_cmp_gt_u64_e32 vcc, s[10:11], v[16:17]
	v_cndmask_b32_e64 v16, 0, 1, vcc
	v_cndmask_b32_e64 v3, v16, v3, s[6:7]
	v_cmp_eq_u64_e32 vcc, s[20:21], v[6:7]
	v_and_b32_e32 v3, 1, v3
	v_cndmask_b32_e64 v16, 0, 1, vcc
.LBB51_32:                              ;   in Loop: Header=BB51_30 Depth=1
	s_or_b64 exec, exec, s[14:15]
	ds_write_b32 v8, v3
	s_waitcnt lgkmcnt(0)
	s_barrier
	s_and_saveexec_b64 s[14:15], s[4:5]
	s_cbranch_execz .LBB51_34
; %bb.33:                               ;   in Loop: Header=BB51_30 Depth=1
	ds_read2_b32 v[18:19], v9 offset1:1
	ds_read2_b32 v[20:21], v9 offset0:2 offset1:3
	v_cmp_ne_u32_e32 vcc, 0, v12
	; wave barrier
	s_waitcnt lgkmcnt(1)
	v_add_u32_e32 v17, v19, v18
	s_waitcnt lgkmcnt(0)
	v_add3_u32 v17, v17, v20, v21
	s_nop 1
	v_mov_b32_dpp v19, v17 row_shr:1 row_mask:0xf bank_mask:0xf
	v_cndmask_b32_e32 v19, 0, v19, vcc
	v_add_u32_e32 v17, v19, v17
	v_cmp_lt_u32_e32 vcc, 1, v12
	s_nop 0
	v_mov_b32_dpp v19, v17 row_shr:2 row_mask:0xf bank_mask:0xf
	v_cndmask_b32_e32 v19, 0, v19, vcc
	v_add_u32_e32 v17, v17, v19
	v_cmp_lt_u32_e32 vcc, 3, v12
	;; [unrolled: 5-line block ×4, first 2 shown]
	s_nop 0
	v_mov_b32_dpp v19, v17 row_bcast:15 row_mask:0xf bank_mask:0xf
	v_and_b32_e32 v19, v13, v19
	v_add_u32_e32 v17, v17, v19
	s_nop 1
	v_mov_b32_dpp v19, v17 row_bcast:31 row_mask:0xf bank_mask:0xf
	v_cndmask_b32_e32 v19, 0, v19, vcc
	v_cmp_lt_i32_e32 vcc, v14, v15
	v_add_u32_e32 v17, v17, v19
	v_cndmask_b32_e32 v19, v14, v11, vcc
	v_lshlrev_b32_e32 v19, 2, v19
	ds_bpermute_b32 v17, v19, v17
	s_waitcnt lgkmcnt(0)
	v_add_u32_e32 v17, v17, v18
	v_cndmask_b32_e64 v17, v17, v3, s[2:3]
	ds_write_b32 v9, v17
	; wave barrier
	ds_read2_b32 v[18:19], v9 offset0:1 offset1:2
	ds_read_b32 v20, v9 offset:12
	s_waitcnt lgkmcnt(1)
	v_add_u32_e32 v17, v18, v17
	v_add_u32_e32 v18, v19, v17
	ds_write2_b32 v9, v17, v18 offset0:1 offset1:2
	s_waitcnt lgkmcnt(1)
	v_add_u32_e32 v17, v20, v18
	ds_write_b32 v9, v17 offset:12
.LBB51_34:                              ;   in Loop: Header=BB51_30 Depth=1
	s_or_b64 exec, exec, s[14:15]
	v_mov_b32_e32 v18, 0
	s_waitcnt lgkmcnt(0)
	s_barrier
	s_and_saveexec_b64 s[14:15], s[0:1]
	s_cbranch_execz .LBB51_36
; %bb.35:                               ;   in Loop: Header=BB51_30 Depth=1
	ds_read_b32 v18, v10
.LBB51_36:                              ;   in Loop: Header=BB51_30 Depth=1
	s_or_b64 exec, exec, s[14:15]
	ds_read_b32 v17, v1 offset:1048
	v_cmp_ne_u32_e32 vcc, 0, v3
	s_waitcnt lgkmcnt(0)
	s_barrier
	s_and_saveexec_b64 s[14:15], vcc
	s_cbranch_execz .LBB51_38
; %bb.37:                               ;   in Loop: Header=BB51_30 Depth=1
	v_add_u32_e32 v20, v18, v4
	v_mul_lo_u32 v18, v20, s24
	v_mov_b32_e32 v19, v1
	v_lshlrev_b64 v[18:19], 3, v[18:19]
	v_mov_b32_e32 v3, s19
	v_add_co_u32_e32 v18, vcc, s18, v18
	v_addc_co_u32_e32 v19, vcc, v3, v19, vcc
	global_store_dwordx2 v[18:19], v[6:7], off
	v_mul_lo_u32 v18, v20, s8
	v_mov_b32_e32 v19, v1
	v_lshlrev_b64 v[18:19], 3, v[18:19]
	v_mov_b32_e32 v20, s23
	v_add_co_u32_e32 v18, vcc, s22, v18
	v_mov_b32_e32 v3, v1
	v_addc_co_u32_e32 v19, vcc, v20, v19, vcc
	global_store_dwordx2 v[18:19], v[2:3], off
.LBB51_38:                              ;   in Loop: Header=BB51_30 Depth=1
	s_or_b64 exec, exec, s[14:15]
	v_cmp_le_u32_e32 vcc, s13, v5
	s_cbranch_vccnz .LBB51_29
; %bb.39:                               ;   in Loop: Header=BB51_30 Depth=1
	ds_write_b32 v8, v16
	s_waitcnt lgkmcnt(0)
	s_barrier
	s_and_saveexec_b64 s[14:15], s[4:5]
	s_cbranch_execz .LBB51_41
; %bb.40:                               ;   in Loop: Header=BB51_30 Depth=1
	ds_read2_b32 v[18:19], v9 offset1:1
	ds_read2_b32 v[20:21], v9 offset0:2 offset1:3
	v_cmp_ne_u32_e32 vcc, 0, v12
	; wave barrier
	s_waitcnt lgkmcnt(1)
	v_add_u32_e32 v3, v19, v18
	s_waitcnt lgkmcnt(0)
	v_add3_u32 v3, v3, v20, v21
	s_nop 1
	v_mov_b32_dpp v19, v3 row_shr:1 row_mask:0xf bank_mask:0xf
	v_cndmask_b32_e32 v19, 0, v19, vcc
	v_add_u32_e32 v3, v19, v3
	v_cmp_lt_u32_e32 vcc, 1, v12
	s_nop 0
	v_mov_b32_dpp v19, v3 row_shr:2 row_mask:0xf bank_mask:0xf
	v_cndmask_b32_e32 v19, 0, v19, vcc
	v_add_u32_e32 v3, v3, v19
	v_cmp_lt_u32_e32 vcc, 3, v12
	;; [unrolled: 5-line block ×4, first 2 shown]
	s_nop 0
	v_mov_b32_dpp v19, v3 row_bcast:15 row_mask:0xf bank_mask:0xf
	v_and_b32_e32 v19, v13, v19
	v_add_u32_e32 v3, v3, v19
	s_nop 1
	v_mov_b32_dpp v19, v3 row_bcast:31 row_mask:0xf bank_mask:0xf
	v_cndmask_b32_e32 v19, 0, v19, vcc
	v_cmp_lt_i32_e32 vcc, v14, v15
	v_add_u32_e32 v3, v3, v19
	v_cndmask_b32_e32 v19, v14, v11, vcc
	v_lshlrev_b32_e32 v19, 2, v19
	ds_bpermute_b32 v3, v19, v3
	s_waitcnt lgkmcnt(0)
	v_add_u32_e32 v3, v3, v18
	v_cndmask_b32_e64 v3, v3, v16, s[2:3]
	ds_write_b32 v9, v3
	; wave barrier
	ds_read2_b32 v[18:19], v9 offset0:1 offset1:2
	ds_read_b32 v20, v9 offset:12
	s_waitcnt lgkmcnt(1)
	v_add_u32_e32 v3, v18, v3
	v_add_u32_e32 v18, v19, v3
	ds_write2_b32 v9, v3, v18 offset0:1 offset1:2
	s_waitcnt lgkmcnt(1)
	v_add_u32_e32 v3, v20, v18
	ds_write_b32 v9, v3 offset:12
.LBB51_41:                              ;   in Loop: Header=BB51_30 Depth=1
	s_or_b64 exec, exec, s[14:15]
	v_mov_b32_e32 v3, 0
	s_waitcnt lgkmcnt(0)
	s_barrier
	s_and_saveexec_b64 s[14:15], s[0:1]
	s_cbranch_execz .LBB51_43
; %bb.42:                               ;   in Loop: Header=BB51_30 Depth=1
	ds_read_b32 v3, v10
.LBB51_43:                              ;   in Loop: Header=BB51_30 Depth=1
	s_or_b64 exec, exec, s[14:15]
	ds_read_b32 v18, v1 offset:1048
	v_cmp_ne_u32_e32 vcc, 0, v16
	s_waitcnt lgkmcnt(0)
	s_barrier
	s_and_saveexec_b64 s[14:15], vcc
	s_cbranch_execz .LBB51_28
; %bb.44:                               ;   in Loop: Header=BB51_30 Depth=1
	v_add_u32_e32 v16, v3, v5
	v_cmp_gt_u32_e32 vcc, s13, v16
	s_and_b64 exec, exec, vcc
	s_cbranch_execz .LBB51_28
; %bb.45:                               ;   in Loop: Header=BB51_30 Depth=1
	v_mul_lo_u32 v20, v16, s24
	v_mov_b32_e32 v21, v1
	v_lshlrev_b64 v[20:21], 3, v[20:21]
	v_mov_b32_e32 v3, s19
	v_add_co_u32_e32 v20, vcc, s18, v20
	v_addc_co_u32_e32 v21, vcc, v3, v21, vcc
	global_store_dwordx2 v[20:21], v[6:7], off
	v_mul_lo_u32 v20, v16, s8
	v_mov_b32_e32 v21, v1
	v_lshlrev_b64 v[20:21], 3, v[20:21]
	v_mov_b32_e32 v16, s23
	v_add_co_u32_e32 v20, vcc, s22, v20
	v_mov_b32_e32 v3, v1
	v_addc_co_u32_e32 v21, vcc, v16, v21, vcc
	global_store_dwordx2 v[20:21], v[2:3], off
	s_branch .LBB51_28
.LBB51_46:                              ;   in Loop: Header=BB51_47 Depth=1
	s_add_u32 s16, s16, 4
	s_addc_u32 s17, s17, 0
	s_waitcnt lgkmcnt(0)
	s_add_i32 s43, s15, s43
	s_add_u32 s18, s18, 4
	s_addc_u32 s19, s19, 0
	s_add_i32 s14, s14, 1
	s_cmp_lt_u32 s14, s10
	s_cbranch_scc0 .LBB51_25
.LBB51_47:                              ; =>This Inner Loop Header: Depth=1
	s_load_dword s15, s[16:17], 0x0
	s_cmp_ge_u32 s14, s11
	s_cbranch_scc1 .LBB51_46
; %bb.48:                               ;   in Loop: Header=BB51_47 Depth=1
	s_load_dword s36, s[18:19], 0x0
	s_waitcnt lgkmcnt(0)
	s_add_i32 s23, s15, s23
	s_add_i32 s22, s36, s22
	s_branch .LBB51_46
.LBB51_49:
	s_endpgm
	.section	.rodata,"a",@progbits
	.p2align	6, 0x0
	.amdhsa_kernel _ZN2at6native6mbtopk10gatherTopKIljLin1EEEvNS_4cuda6detail10TensorInfoIKT_T0_EES8_S8_bjS8_NS5_IS6_S8_EES8_NS5_IlS8_EES8_jjPS6_PjSD_j
		.amdhsa_group_segment_fixed_size 1068
		.amdhsa_private_segment_fixed_size 0
		.amdhsa_kernarg_size 984
		.amdhsa_user_sgpr_count 6
		.amdhsa_user_sgpr_private_segment_buffer 1
		.amdhsa_user_sgpr_dispatch_ptr 0
		.amdhsa_user_sgpr_queue_ptr 0
		.amdhsa_user_sgpr_kernarg_segment_ptr 1
		.amdhsa_user_sgpr_dispatch_id 0
		.amdhsa_user_sgpr_flat_scratch_init 0
		.amdhsa_user_sgpr_kernarg_preload_length 0
		.amdhsa_user_sgpr_kernarg_preload_offset 0
		.amdhsa_user_sgpr_private_segment_size 0
		.amdhsa_uses_dynamic_stack 0
		.amdhsa_system_sgpr_private_segment_wavefront_offset 0
		.amdhsa_system_sgpr_workgroup_id_x 1
		.amdhsa_system_sgpr_workgroup_id_y 1
		.amdhsa_system_sgpr_workgroup_id_z 1
		.amdhsa_system_sgpr_workgroup_info 0
		.amdhsa_system_vgpr_workitem_id 0
		.amdhsa_next_free_vgpr 22
		.amdhsa_next_free_sgpr 47
		.amdhsa_accum_offset 24
		.amdhsa_reserve_vcc 1
		.amdhsa_reserve_flat_scratch 0
		.amdhsa_float_round_mode_32 0
		.amdhsa_float_round_mode_16_64 0
		.amdhsa_float_denorm_mode_32 3
		.amdhsa_float_denorm_mode_16_64 3
		.amdhsa_dx10_clamp 1
		.amdhsa_ieee_mode 1
		.amdhsa_fp16_overflow 0
		.amdhsa_tg_split 0
		.amdhsa_exception_fp_ieee_invalid_op 0
		.amdhsa_exception_fp_denorm_src 0
		.amdhsa_exception_fp_ieee_div_zero 0
		.amdhsa_exception_fp_ieee_overflow 0
		.amdhsa_exception_fp_ieee_underflow 0
		.amdhsa_exception_fp_ieee_inexact 0
		.amdhsa_exception_int_div_zero 0
	.end_amdhsa_kernel
	.section	.text._ZN2at6native6mbtopk10gatherTopKIljLin1EEEvNS_4cuda6detail10TensorInfoIKT_T0_EES8_S8_bjS8_NS5_IS6_S8_EES8_NS5_IlS8_EES8_jjPS6_PjSD_j,"axG",@progbits,_ZN2at6native6mbtopk10gatherTopKIljLin1EEEvNS_4cuda6detail10TensorInfoIKT_T0_EES8_S8_bjS8_NS5_IS6_S8_EES8_NS5_IlS8_EES8_jjPS6_PjSD_j,comdat
.Lfunc_end51:
	.size	_ZN2at6native6mbtopk10gatherTopKIljLin1EEEvNS_4cuda6detail10TensorInfoIKT_T0_EES8_S8_bjS8_NS5_IS6_S8_EES8_NS5_IlS8_EES8_jjPS6_PjSD_j, .Lfunc_end51-_ZN2at6native6mbtopk10gatherTopKIljLin1EEEvNS_4cuda6detail10TensorInfoIKT_T0_EES8_S8_bjS8_NS5_IS6_S8_EES8_NS5_IlS8_EES8_jjPS6_PjSD_j
                                        ; -- End function
	.section	.AMDGPU.csdata,"",@progbits
; Kernel info:
; codeLenInByte = 2736
; NumSgprs: 51
; NumVgprs: 22
; NumAgprs: 0
; TotalNumVgprs: 22
; ScratchSize: 0
; MemoryBound: 0
; FloatMode: 240
; IeeeMode: 1
; LDSByteSize: 1068 bytes/workgroup (compile time only)
; SGPRBlocks: 6
; VGPRBlocks: 2
; NumSGPRsForWavesPerEU: 51
; NumVGPRsForWavesPerEU: 22
; AccumOffset: 24
; Occupancy: 8
; WaveLimiterHint : 1
; COMPUTE_PGM_RSRC2:SCRATCH_EN: 0
; COMPUTE_PGM_RSRC2:USER_SGPR: 6
; COMPUTE_PGM_RSRC2:TRAP_HANDLER: 0
; COMPUTE_PGM_RSRC2:TGID_X_EN: 1
; COMPUTE_PGM_RSRC2:TGID_Y_EN: 1
; COMPUTE_PGM_RSRC2:TGID_Z_EN: 1
; COMPUTE_PGM_RSRC2:TIDIG_COMP_CNT: 0
; COMPUTE_PGM_RSRC3_GFX90A:ACCUM_OFFSET: 5
; COMPUTE_PGM_RSRC3_GFX90A:TG_SPLIT: 0
	.section	.text._ZN2at6native6sbtopk10gatherTopKIljLin1ELb0EEEvNS_4cuda6detail10TensorInfoIKT_T0_EES8_S8_bS8_S8_NS5_IS6_S8_EES8_NS5_IlS8_EES8_PS6_,"axG",@progbits,_ZN2at6native6sbtopk10gatherTopKIljLin1ELb0EEEvNS_4cuda6detail10TensorInfoIKT_T0_EES8_S8_bS8_S8_NS5_IS6_S8_EES8_NS5_IlS8_EES8_PS6_,comdat
	.protected	_ZN2at6native6sbtopk10gatherTopKIljLin1ELb0EEEvNS_4cuda6detail10TensorInfoIKT_T0_EES8_S8_bS8_S8_NS5_IS6_S8_EES8_NS5_IlS8_EES8_PS6_ ; -- Begin function _ZN2at6native6sbtopk10gatherTopKIljLin1ELb0EEEvNS_4cuda6detail10TensorInfoIKT_T0_EES8_S8_bS8_S8_NS5_IS6_S8_EES8_NS5_IlS8_EES8_PS6_
	.globl	_ZN2at6native6sbtopk10gatherTopKIljLin1ELb0EEEvNS_4cuda6detail10TensorInfoIKT_T0_EES8_S8_bS8_S8_NS5_IS6_S8_EES8_NS5_IlS8_EES8_PS6_
	.p2align	8
	.type	_ZN2at6native6sbtopk10gatherTopKIljLin1ELb0EEEvNS_4cuda6detail10TensorInfoIKT_T0_EES8_S8_bS8_S8_NS5_IS6_S8_EES8_NS5_IlS8_EES8_PS6_,@function
_ZN2at6native6sbtopk10gatherTopKIljLin1ELb0EEEvNS_4cuda6detail10TensorInfoIKT_T0_EES8_S8_bS8_S8_NS5_IS6_S8_EES8_NS5_IlS8_EES8_PS6_: ; @_ZN2at6native6sbtopk10gatherTopKIljLin1ELb0EEEvNS_4cuda6detail10TensorInfoIKT_T0_EES8_S8_bS8_S8_NS5_IS6_S8_EES8_NS5_IlS8_EES8_PS6_
; %bb.0:
	s_load_dwordx2 s[10:11], s[4:5], 0x2b8
	s_load_dwordx4 s[60:63], s[4:5], 0xd8
	s_mov_b64 s[20:21], s[4:5]
	s_add_u32 s2, s20, 0x2b8
	s_addc_u32 s3, s21, 0
	s_waitcnt lgkmcnt(0)
	s_mul_i32 s0, s11, s8
	s_add_i32 s0, s0, s7
	s_mul_i32 s0, s0, s10
	s_add_i32 s79, s0, s6
	s_cmp_ge_u32 s79, s63
	s_cbranch_scc1 .LBB52_423
; %bb.1:
	s_load_dword s5, s[20:21], 0xd0
	s_load_dword s22, s[20:21], 0xe8
	s_mov_b32 s1, 0
	s_mov_b32 s0, s79
	s_waitcnt lgkmcnt(0)
	s_cmp_lt_i32 s5, 2
	s_cbranch_scc1 .LBB52_4
; %bb.2:
	s_add_i32 s0, s5, -1
	s_add_i32 s4, s5, 1
	s_lshl_b64 s[8:9], s[0:1], 2
	s_add_u32 s0, s8, s20
	s_addc_u32 s5, s9, s21
	s_add_u32 s8, s0, 8
	s_addc_u32 s9, s5, 0
	s_mov_b32 s0, s79
.LBB52_3:                               ; =>This Inner Loop Header: Depth=1
	s_load_dword s5, s[8:9], 0x0
	s_load_dword s11, s[8:9], 0x64
	s_mov_b32 s7, s0
	s_waitcnt lgkmcnt(0)
	v_cvt_f32_u32_e32 v1, s5
	s_sub_i32 s0, 0, s5
	v_rcp_iflag_f32_e32 v1, v1
	v_mul_f32_e32 v1, 0x4f7ffffe, v1
	v_cvt_u32_f32_e32 v1, v1
	v_readfirstlane_b32 s12, v1
	s_mul_i32 s0, s0, s12
	s_mul_hi_u32 s0, s12, s0
	s_add_i32 s12, s12, s0
	s_mul_hi_u32 s0, s7, s12
	s_mul_i32 s12, s0, s5
	s_sub_i32 s12, s7, s12
	s_add_i32 s13, s0, 1
	s_sub_i32 s14, s12, s5
	s_cmp_ge_u32 s12, s5
	s_cselect_b32 s0, s13, s0
	s_cselect_b32 s12, s14, s12
	s_add_i32 s13, s0, 1
	s_cmp_ge_u32 s12, s5
	s_cselect_b32 s0, s13, s0
	s_mul_i32 s5, s0, s5
	s_sub_i32 s5, s7, s5
	s_mul_i32 s5, s11, s5
	s_add_i32 s4, s4, -1
	s_add_i32 s1, s5, s1
	s_add_u32 s8, s8, -4
	s_addc_u32 s9, s9, -1
	s_cmp_gt_u32 s4, 2
	s_cbranch_scc1 .LBB52_3
.LBB52_4:
	s_load_dword s5, s[20:21], 0x1c0
	s_add_u32 s8, s20, 0xf0
	s_addc_u32 s9, s21, 0
	s_mov_b32 s65, 0
	s_mov_b32 s7, s79
	s_waitcnt lgkmcnt(0)
	s_cmp_lt_i32 s5, 2
	s_cbranch_scc1 .LBB52_7
; %bb.5:
	s_add_i32 s64, s5, -1
	s_add_i32 s4, s5, 1
	s_lshl_b64 s[12:13], s[64:65], 2
	s_add_u32 s5, s12, s8
	s_addc_u32 s7, s13, s9
	s_add_u32 s12, s5, 8
	s_addc_u32 s13, s7, 0
	s_mov_b32 s7, s79
.LBB52_6:                               ; =>This Inner Loop Header: Depth=1
	s_load_dword s5, s[12:13], 0x0
	s_load_dword s14, s[12:13], 0x64
	s_mov_b32 s11, s7
	s_waitcnt lgkmcnt(0)
	v_cvt_f32_u32_e32 v1, s5
	s_sub_i32 s7, 0, s5
	v_rcp_iflag_f32_e32 v1, v1
	v_mul_f32_e32 v1, 0x4f7ffffe, v1
	v_cvt_u32_f32_e32 v1, v1
	v_readfirstlane_b32 s15, v1
	s_mul_i32 s7, s7, s15
	s_mul_hi_u32 s7, s15, s7
	s_add_i32 s15, s15, s7
	s_mul_hi_u32 s7, s11, s15
	s_mul_i32 s15, s7, s5
	s_sub_i32 s15, s11, s15
	s_add_i32 s16, s7, 1
	s_sub_i32 s17, s15, s5
	s_cmp_ge_u32 s15, s5
	s_cselect_b32 s7, s16, s7
	s_cselect_b32 s15, s17, s15
	s_add_i32 s16, s7, 1
	s_cmp_ge_u32 s15, s5
	s_cselect_b32 s7, s16, s7
	s_mul_i32 s5, s7, s5
	s_sub_i32 s5, s11, s5
	s_mul_i32 s5, s14, s5
	s_add_i32 s4, s4, -1
	s_add_i32 s65, s5, s65
	s_add_u32 s12, s12, -4
	s_addc_u32 s13, s13, -1
	s_cmp_gt_u32 s4, 2
	s_cbranch_scc1 .LBB52_6
.LBB52_7:
	s_load_dword s4, s[20:21], 0x6c
	s_load_dword s13, s[20:21], 0x2a0
	s_add_u32 s11, s20, 0x1d0
	s_addc_u32 s12, s21, 0
	s_mov_b32 s67, 0
	s_waitcnt lgkmcnt(0)
	s_cmp_lt_i32 s13, 2
	s_cbranch_scc1 .LBB52_10
; %bb.8:
	s_add_i32 s66, s13, -1
	s_add_i32 s5, s13, 1
	s_lshl_b64 s[14:15], s[66:67], 2
	s_add_u32 s11, s14, s11
	s_addc_u32 s13, s15, s12
	s_add_u32 s12, s11, 8
	s_addc_u32 s13, s13, 0
.LBB52_9:                               ; =>This Inner Loop Header: Depth=1
	s_load_dword s11, s[12:13], 0x0
	s_load_dword s15, s[12:13], 0x64
	s_mov_b32 s14, s79
	s_waitcnt lgkmcnt(0)
	v_cvt_f32_u32_e32 v1, s11
	s_sub_i32 s16, 0, s11
	v_rcp_iflag_f32_e32 v1, v1
	v_mul_f32_e32 v1, 0x4f7ffffe, v1
	v_cvt_u32_f32_e32 v1, v1
	v_readfirstlane_b32 s17, v1
	s_mul_i32 s16, s16, s17
	s_mul_hi_u32 s16, s17, s16
	s_add_i32 s17, s17, s16
	s_mul_hi_u32 s16, s79, s17
	s_mul_i32 s17, s16, s11
	s_sub_i32 s17, s79, s17
	s_add_i32 s18, s16, 1
	s_sub_i32 s19, s17, s11
	s_cmp_ge_u32 s17, s11
	s_cselect_b32 s16, s18, s16
	s_cselect_b32 s17, s19, s17
	s_add_i32 s18, s16, 1
	s_cmp_ge_u32 s17, s11
	s_cselect_b32 s79, s18, s16
	s_mul_i32 s11, s79, s11
	s_sub_i32 s11, s14, s11
	s_mul_i32 s11, s15, s11
	s_add_i32 s5, s5, -1
	s_add_i32 s67, s11, s67
	s_add_u32 s12, s12, -4
	s_addc_u32 s13, s13, -1
	s_cmp_gt_u32 s5, 2
	s_cbranch_scc1 .LBB52_9
.LBB52_10:
	s_load_dword s5, s[8:9], 0x6c
	s_nop 0
	s_load_dwordx2 s[8:9], s[20:21], 0x0
	s_load_dwordx2 s[12:13], s[20:21], 0xf0
                                        ; implicit-def: $vgpr59 : SGPR spill to VGPR lane
	s_mov_b32 s16, 0
	v_cmp_eq_u32_e64 s[14:15], 0, v0
	s_waitcnt lgkmcnt(0)
	v_writelane_b32 v59, s5, 0
	v_writelane_b32 v59, s12, 1
	;; [unrolled: 1-line block ×3, first 2 shown]
	s_load_dwordx2 s[12:13], s[20:21], 0x1d0
	s_waitcnt lgkmcnt(0)
	v_writelane_b32 v59, s12, 3
	v_writelane_b32 v59, s13, 4
	s_mov_b64 s[12:13], exec
	v_writelane_b32 v59, s14, 5
	v_writelane_b32 v59, s15, 6
	s_and_b64 s[14:15], s[12:13], s[14:15]
	s_mov_b64 exec, s[14:15]
	s_cbranch_execz .LBB52_12
; %bb.11:
	v_mov_b32_e32 v2, 0
	v_mov_b32_e32 v3, s60
	;; [unrolled: 1-line block ×3, first 2 shown]
	ds_write_b96 v2, v[2:4] offset:4096
.LBB52_12:
	s_or_b64 exec, exec, s[12:13]
	v_writelane_b32 v59, s20, 7
	s_load_dword s5, s[20:21], 0x23c
	s_mul_i32 s0, s4, s0
	s_add_i32 s0, s0, s1
	s_mov_b32 s1, s16
	s_lshl_b64 s[0:1], s[0:1], 3
	v_writelane_b32 v59, s21, 8
	s_add_u32 s33, s8, s0
	s_waitcnt lgkmcnt(0)
	v_writelane_b32 v59, s5, 9
	s_mov_b32 s4, 0
	s_addc_u32 s64, s9, s1
	v_writelane_b32 v59, s4, 10
	s_barrier
	s_load_dword s0, s[2:3], 0xc
	s_bitcmp1_b32 s62, 0
	v_writelane_b32 v59, s5, 11
	s_cselect_b64 s[4:5], -1, 0
	v_writelane_b32 v59, s4, 12
	v_writelane_b32 v59, s5, 13
	s_xor_b64 s[4:5], s[4:5], -1
	v_mbcnt_lo_u32_b32 v1, -1, 0
	v_writelane_b32 v59, s4, 14
	v_mbcnt_hi_u32_b32 v1, -1, v1
	v_writelane_b32 v59, s5, 15
	s_waitcnt lgkmcnt(0)
	s_and_b32 s66, s0, 0xffff
	s_bfe_u32 s5, s0, 0xa0006
	v_cmp_gt_u32_e32 vcc, 64, v0
	v_cmp_gt_i32_e64 s[0:1], 4, v1
	s_lshl_b32 s12, s66, 2
	s_and_b64 s[0:1], vcc, s[0:1]
	v_writelane_b32 v59, s0, 16
	s_cmpk_gt_u32 s60, 0x180
	v_writelane_b32 v59, s1, 17
	s_cselect_b64 s[0:1], -1, 0
	v_writelane_b32 v59, s0, 18
	s_cmp_gt_u32 s66, 63
	v_writelane_b32 v59, s1, 19
	s_cselect_b64 s[0:1], -1, 0
	v_writelane_b32 v59, s0, 20
	v_writelane_b32 v59, s1, 21
	s_add_i32 s0, s66, -1
	s_add_i32 s4, s0, s60
	s_cmp_lt_u32 s6, s10
	v_writelane_b32 v59, s0, 22
	s_cselect_b32 s0, 12, 18
	s_add_u32 s0, s2, s0
	s_addc_u32 s1, s3, 0
	v_writelane_b32 v59, s0, 23
	s_add_i32 s2, s5, -2
	v_writelane_b32 v59, s1, 24
	s_lshr_b32 s0, s2, 1
	s_add_i32 s3, s0, 1
	s_cmpk_gt_u32 s66, 0x7f
	v_mov_b32_e32 v21, 0
	s_cselect_b64 s[0:1], -1, 0
	v_writelane_b32 v59, s0, 25
	v_mul_lo_u32 v22, v0, s22
	v_mov_b32_e32 v23, v21
	v_writelane_b32 v59, s1, 26
	v_cmp_gt_u32_e64 s[8:9], s60, v0
	v_lshlrev_b64 v[2:3], 3, v[22:23]
	v_writelane_b32 v59, s8, 27
	v_mov_b32_e32 v4, s64
	v_add_co_u32_e32 v18, vcc, s33, v2
	v_lshrrev_b32_e32 v2, 4, v0
	v_writelane_b32 v59, s9, 28
	v_addc_co_u32_e32 v19, vcc, v4, v3, vcc
	v_and_b32_e32 v35, 60, v2
	v_cmp_gt_u32_e64 s[8:9], 2, v0
	v_lshlrev_b64 v[2:3], v1, -1
	v_writelane_b32 v59, s8, 29
	v_not_b32_e32 v16, v2
	v_cvt_f32_u32_e32 v2, s12
	v_writelane_b32 v59, s9, 30
	s_and_b32 s6, s5, 0x3fe
	s_and_b32 s8, s3, 7
	s_cmp_gt_u32 s2, 13
	s_cselect_b64 s[10:11], -1, 0
	v_writelane_b32 v59, s10, 31
	v_rcp_iflag_f32_e32 v2, v2
	v_writelane_b32 v59, s11, 32
	s_and_b32 s2, s3, -8
	v_writelane_b32 v59, s2, 33
	s_cmp_lg_u32 s8, 0
	v_writelane_b32 v59, s8, 34
	s_cselect_b64 s[2:3], -1, 0
	v_writelane_b32 v59, s2, 35
	v_mul_f32_e32 v2, 0x4f7ffffe, v2
	v_writelane_b32 v59, s3, 36
	v_cvt_u32_f32_e32 v2, v2
	v_writelane_b32 v59, s5, 37
	s_cmp_lg_u32 s6, s5
	v_writelane_b32 v59, s6, 38
	s_cselect_b64 s[2:3], -1, 0
	v_writelane_b32 v59, s2, 39
	v_writelane_b32 v59, s3, 40
	s_sub_i32 s2, 0, s12
	v_readfirstlane_b32 s3, v2
	s_mul_i32 s2, s2, s3
	s_mul_hi_u32 s2, s3, s2
	v_cvt_f32_u32_e32 v2, s66
	s_add_i32 s2, s3, s2
	v_writelane_b32 v59, s2, 41
	s_mul_hi_u32 s2, s60, s2
	s_mul_i32 s2, s2, s12
	s_sub_i32 s2, s60, s2
	v_rcp_iflag_f32_e32 v5, v2
	s_sub_i32 s3, s2, s12
	s_cmp_ge_u32 s2, s12
	s_cselect_b32 s2, s3, s2
	s_sub_i32 s3, s2, s12
	v_mul_f32_e32 v5, 0x4f7ffffe, v5
	s_cmp_ge_u32 s2, s12
	v_cvt_u32_f32_e32 v5, v5
	s_cselect_b32 s2, s3, s2
	v_lshlrev_b32_e32 v34, 2, v0
	s_sub_i32 s13, s60, s2
	v_cmp_gt_u32_e64 s[8:9], s13, v34
	v_writelane_b32 v59, s8, 42
	v_add_u32_e32 v38, s13, v0
	s_sub_i32 s3, 0, s66
	v_readfirstlane_b32 s5, v5
	v_writelane_b32 v59, s9, 43
	v_cmp_gt_u32_e64 s[8:9], s60, v38
	s_mul_i32 s3, s3, s5
	v_writelane_b32 v59, s8, 44
	s_mul_hi_u32 s3, s5, s3
	v_writelane_b32 v59, s9, 45
	s_add_i32 s3, s5, s3
	v_writelane_b32 v59, s3, 46
	s_mul_hi_u32 s3, s4, s3
	s_mul_i32 s3, s3, s66
	s_sub_i32 s3, s4, s3
	s_sub_i32 s5, s3, s66
	s_cmp_ge_u32 s3, s66
	v_mul_lo_u32 v20, v38, s22
	s_cselect_b32 s3, s5, s3
	v_not_b32_e32 v17, v3
	v_lshlrev_b64 v[2:3], 3, v[20:21]
	s_sub_i32 s5, s3, s66
	v_add_co_u32_e32 v24, vcc, s33, v2
	s_cmp_ge_u32 s3, s66
	v_mul_lo_u32 v2, s22, v34
	s_cselect_b32 s3, s5, s3
	v_add_u32_e32 v39, s22, v2
	v_or_b32_e32 v2, 2, v34
	s_sub_i32 s6, s4, s3
	v_mul_lo_u32 v40, s22, v2
	v_or_b32_e32 v2, 3, v34
	s_add_i32 s3, s66, s60
	v_mov_b32_e32 v6, s64
	v_cmp_gt_u32_e64 s[4:5], s6, v0
	v_mul_lo_u32 v41, s22, v2
	v_add_u32_e32 v2, s3, v0
	v_lshlrev_b32_e32 v36, 3, v0
	v_lshlrev_b32_e32 v4, 2, v1
	v_addc_co_u32_e32 v25, vcc, v6, v3, vcc
	v_writelane_b32 v59, s4, 47
	s_mul_i32 s78, s22, s66
	v_subrev_u32_e32 v2, s2, v2
	v_pk_mov_b32 v[6:7], 0, 0
	v_cmp_eq_u32_e64 s[0:1], 0, v1
	v_add_u32_e32 v37, 0xc00, v36
	v_and_b32_e32 v23, 0x100, v4
	v_writelane_b32 v59, s5, 48
	s_lshl_b32 s72, s78, 2
	v_lshlrev_b32_e32 v42, 2, v22
	v_mul_lo_u32 v43, s22, v2
	v_lshlrev_b32_e32 v44, 5, v0
	s_lshl_b32 s73, s66, 5
	s_lshl_b32 s10, s66, 3
	v_or_b32_e32 v45, 0xc00, v4
	s_mov_b32 s11, 62
	s_mov_b64 s[90:91], 0
	v_mov_b32_e32 v47, s61
	v_mov_b32_e32 v2, 1
	;; [unrolled: 1-line block ×3, first 2 shown]
	v_pk_mov_b32 v[28:29], v[6:7], v[6:7] op_sel:[0,1]
	v_pk_mov_b32 v[26:27], v[6:7], v[6:7] op_sel:[0,1]
	s_mov_b32 s62, 0
	v_writelane_b32 v59, s22, 49
                                        ; implicit-def: $sgpr92_sgpr93
                                        ; implicit-def: $sgpr94_sgpr95
                                        ; implicit-def: $sgpr70_sgpr71
                                        ; implicit-def: $sgpr2_sgpr3
                                        ; implicit-def: $sgpr68_sgpr69
                                        ; implicit-def: $sgpr84_sgpr85
                                        ; implicit-def: $sgpr86_sgpr87
                                        ; implicit-def: $sgpr88_sgpr89
                                        ; implicit-def: $sgpr80_sgpr81
                                        ; implicit-def: $sgpr82_sgpr83
	s_branch .LBB52_15
.LBB52_13:                              ;   in Loop: Header=BB52_15 Depth=1
	s_or_b64 exec, exec, s[20:21]
	s_andn2_b64 s[4:5], s[82:83], exec
	s_and_b64 s[14:15], s[18:19], exec
	s_or_b64 s[82:83], s[4:5], s[14:15]
	s_andn2_b64 s[80:81], s[80:81], exec
	s_andn2_b64 s[88:89], s[88:89], exec
	s_andn2_b64 s[86:87], s[86:87], exec
	s_andn2_b64 s[84:85], s[84:85], exec
	s_orn2_b64 s[16:17], s[16:17], exec
	v_pk_mov_b32 v[26:27], v[14:15], v[14:15] op_sel:[0,1]
	v_pk_mov_b32 v[28:29], v[12:13], v[12:13] op_sel:[0,1]
	v_mov_b32_e32 v47, v30
	v_pk_mov_b32 v[6:7], v[10:11], v[10:11] op_sel:[0,1]
.LBB52_14:                              ;   in Loop: Header=BB52_15 Depth=1
	s_or_b64 exec, exec, s[8:9]
	s_and_b64 s[4:5], exec, s[16:17]
	s_or_b64 s[90:91], s[4:5], s[90:91]
	s_andn2_b64 s[4:5], s[68:69], exec
	s_and_b64 s[8:9], s[82:83], exec
	s_or_b64 s[68:69], s[4:5], s[8:9]
	s_andn2_b64 s[2:3], s[2:3], exec
	s_and_b64 s[4:5], s[80:81], exec
	;; [unrolled: 3-line block ×5, first 2 shown]
	s_or_b64 s[92:93], s[4:5], s[8:9]
	s_andn2_b64 exec, exec, s[90:91]
	s_cbranch_execz .LBB52_419
.LBB52_15:                              ; =>This Loop Header: Depth=1
                                        ;     Child Loop BB52_23 Depth 2
                                        ;     Child Loop BB52_41 Depth 2
	;; [unrolled: 1-line block ×25, first 2 shown]
	s_waitcnt vmcnt(0)
	ds_read_b64 v[4:5], v21 offset:4096
	s_waitcnt lgkmcnt(0)
	v_readfirstlane_b32 s4, v4
	s_cmp_lg_u32 s4, 0
	s_cbranch_scc1 .LBB52_48
; %bb.16:                               ;   in Loop: Header=BB52_15 Depth=1
	v_readlane_b32 s4, v59, 18
	v_readlane_b32 s5, v59, 19
	s_and_b64 vcc, exec, s[4:5]
	s_cbranch_vccz .LBB52_31
; %bb.17:                               ;   in Loop: Header=BB52_15 Depth=1
	s_movk_i32 s4, 0x181
	v_cmp_gt_u32_e32 vcc, s4, v5
	s_mov_b64 s[8:9], 0
	s_mov_b64 s[16:17], 0
	s_cbranch_vccz .LBB52_32
; %bb.18:                               ;   in Loop: Header=BB52_15 Depth=1
	v_pk_mov_b32 v[4:5], 0, 0
	s_mov_b64 s[16:17], exec
	v_readlane_b32 s4, v59, 27
	v_readlane_b32 s5, v59, 28
	s_and_b64 s[4:5], s[16:17], s[4:5]
	s_mov_b64 exec, s[4:5]
	s_cbranch_execz .LBB52_20
; %bb.19:                               ;   in Loop: Header=BB52_15 Depth=1
	global_load_dwordx2 v[4:5], v[18:19], off
.LBB52_20:                              ;   in Loop: Header=BB52_15 Depth=1
	s_or_b64 exec, exec, s[16:17]
	s_mov_b64 s[16:17], exec
	v_readlane_b32 s4, v59, 27
	v_readlane_b32 s5, v59, 28
	s_and_b64 s[4:5], s[16:17], s[4:5]
	s_mov_b64 exec, s[4:5]
	s_cbranch_execz .LBB52_33
; %bb.21:                               ;   in Loop: Header=BB52_15 Depth=1
	v_readlane_b32 s4, v59, 23
	v_readlane_b32 s5, v59, 24
	s_mov_b64 s[22:23], 0
	v_mov_b32_e32 v11, v0
	s_nop 2
	global_load_ushort v3, v21, s[4:5]
	v_readlane_b32 s4, v59, 49
	s_waitcnt vmcnt(0)
	v_add_u32_e32 v8, v0, v3
	v_mul_lo_u32 v10, s4, v3
	v_mul_lo_u32 v20, s4, v8
	s_branch .LBB52_23
.LBB52_22:                              ;   in Loop: Header=BB52_23 Depth=2
	s_or_b64 exec, exec, s[20:21]
	v_add_u32_e32 v20, v20, v10
	s_waitcnt vmcnt(0)
	v_pk_mov_b32 v[4:5], v[8:9], v[8:9] op_sel:[0,1]
	s_andn2_b64 exec, exec, s[22:23]
	s_cbranch_execz .LBB52_33
.LBB52_23:                              ;   Parent Loop BB52_15 Depth=1
                                        ; =>  This Inner Loop Header: Depth=2
	v_add_u32_e32 v11, v11, v3
	v_cmp_gt_u32_e64 s[18:19], s60, v11
	v_cmp_le_u32_e32 vcc, s60, v11
	v_pk_mov_b32 v[8:9], 0, 0
	s_and_saveexec_b64 s[20:21], s[18:19]
	s_cbranch_execz .LBB52_25
; %bb.24:                               ;   in Loop: Header=BB52_23 Depth=2
	v_lshlrev_b64 v[8:9], 3, v[20:21]
	s_waitcnt lgkmcnt(0)
	v_mov_b32_e32 v12, s64
	v_add_co_u32_e64 v8, s[18:19], s33, v8
	v_addc_co_u32_e64 v9, s[18:19], v12, v9, s[18:19]
	global_load_dwordx2 v[8:9], v[8:9], off
.LBB52_25:                              ;   in Loop: Header=BB52_23 Depth=2
	s_or_b64 exec, exec, s[20:21]
	s_waitcnt lgkmcnt(0)
	v_xor_b32_e32 v12, 0x80000000, v5
	v_and_b32_e32 v13, v12, v27
	v_and_b32_e32 v12, v4, v26
	v_cmp_eq_u64_e64 s[18:19], v[12:13], v[28:29]
	s_cmp_lg_u64 s[18:19], 0
	s_cselect_b64 s[4:5], -1, 0
	s_and_b64 s[4:5], s[0:1], s[4:5]
	v_mov_b32_e32 v12, 0
	s_and_saveexec_b64 s[24:25], s[4:5]
	s_cbranch_execz .LBB52_29
; %bb.26:                               ;   in Loop: Header=BB52_23 Depth=2
	s_mov_b64 s[28:29], exec
	v_mbcnt_lo_u32_b32 v12, s28, 0
	v_mbcnt_hi_u32_b32 v12, s29, v12
	s_bcnt1_i32_b64 s4, s[18:19]
	v_cmp_eq_u32_e64 s[20:21], 0, v12
                                        ; implicit-def: $vgpr13
	s_and_saveexec_b64 s[26:27], s[20:21]
	s_cbranch_execz .LBB52_28
; %bb.27:                               ;   in Loop: Header=BB52_23 Depth=2
	s_bcnt1_i32_b64 s5, s[28:29]
	s_mul_i32 s5, s4, s5
	v_mov_b32_e32 v13, s5
	ds_add_rtn_u32 v13, v21, v13 offset:4104
.LBB52_28:                              ;   in Loop: Header=BB52_23 Depth=2
	s_or_b64 exec, exec, s[26:27]
	s_waitcnt lgkmcnt(0)
	v_readfirstlane_b32 s5, v13
	v_mov_b32_e32 v13, s5
	v_mad_u32_u24 v12, s4, v12, v13
.LBB52_29:                              ;   in Loop: Header=BB52_23 Depth=2
	s_or_b64 exec, exec, s[24:25]
	ds_bpermute_b32 v12, v23, v12
	s_and_b64 s[4:5], exec, vcc
	s_or_b64 s[22:23], s[4:5], s[22:23]
	s_and_saveexec_b64 s[20:21], s[18:19]
	s_cbranch_execz .LBB52_22
; %bb.30:                               ;   in Loop: Header=BB52_23 Depth=2
	v_and_b32_e32 v14, s18, v16
	v_and_b32_e32 v13, s19, v17
	v_bcnt_u32_b32 v14, v14, 0
	v_bcnt_u32_b32 v13, v13, v14
	v_lshlrev_b32_e32 v13, 3, v13
	s_waitcnt lgkmcnt(0)
	v_lshl_add_u32 v12, v12, 3, v13
	ds_write_b64 v12, v[4:5]
	s_branch .LBB52_22
.LBB52_31:                              ;   in Loop: Header=BB52_15 Depth=1
	s_mov_b64 s[16:17], 0
                                        ; implicit-def: $sgpr4
	s_cbranch_execnz .LBB52_36
	s_branch .LBB52_46
.LBB52_32:                              ;   in Loop: Header=BB52_15 Depth=1
	s_mov_b32 s4, 0
	s_and_b64 vcc, exec, s[8:9]
	s_cbranch_vccnz .LBB52_36
	s_branch .LBB52_46
.LBB52_33:                              ;   in Loop: Header=BB52_15 Depth=1
	s_or_b64 exec, exec, s[16:17]
	s_waitcnt lgkmcnt(0)
	s_barrier
	s_mov_b64 s[16:17], exec
	v_readlane_b32 s4, v59, 5
	v_readlane_b32 s5, v59, 6
	s_and_b64 s[4:5], s[16:17], s[4:5]
	s_mov_b64 exec, s[4:5]
	s_cbranch_execz .LBB52_35
; %bb.34:                               ;   in Loop: Header=BB52_15 Depth=1
	ds_read_b32 v3, v21 offset:4104
	s_waitcnt lgkmcnt(0)
	ds_write_b32 v21, v3 offset:4096
.LBB52_35:                              ;   in Loop: Header=BB52_15 Depth=1
	s_or_b64 exec, exec, s[16:17]
	s_waitcnt lgkmcnt(0)
	s_barrier
	s_mov_b64 s[16:17], -1
	s_mov_b32 s4, 0
	s_and_b64 vcc, exec, s[8:9]
	s_cbranch_vccz .LBB52_46
.LBB52_36:                              ;   in Loop: Header=BB52_15 Depth=1
	s_waitcnt vmcnt(0)
	v_pk_mov_b32 v[4:5], 0, 0
	s_mov_b64 s[8:9], exec
	v_readlane_b32 s4, v59, 27
	v_readlane_b32 s5, v59, 28
	s_and_b64 s[4:5], s[8:9], s[4:5]
	s_mov_b64 exec, s[4:5]
	s_cbranch_execz .LBB52_38
; %bb.37:                               ;   in Loop: Header=BB52_15 Depth=1
	global_load_dwordx2 v[4:5], v[18:19], off
.LBB52_38:                              ;   in Loop: Header=BB52_15 Depth=1
	s_or_b64 exec, exec, s[8:9]
	s_mov_b64 s[8:9], exec
	v_readlane_b32 s4, v59, 27
	v_readlane_b32 s5, v59, 28
	s_and_b64 s[4:5], s[8:9], s[4:5]
	s_mov_b64 exec, s[4:5]
	s_cbranch_execz .LBB52_43
; %bb.39:                               ;   in Loop: Header=BB52_15 Depth=1
	v_readlane_b32 s4, v59, 23
	v_readlane_b32 s5, v59, 24
	s_mov_b64 s[16:17], 0
	v_mov_b32_e32 v10, v36
	v_mov_b32_e32 v13, v0
	s_nop 1
	global_load_ushort v3, v21, s[4:5]
	v_readlane_b32 s4, v59, 49
	s_waitcnt vmcnt(0)
	v_add_u32_e32 v8, v0, v3
	v_lshlrev_b32_e32 v11, 3, v3
	v_mul_lo_u32 v12, s4, v3
	v_mul_lo_u32 v20, s4, v8
	s_branch .LBB52_41
.LBB52_40:                              ;   in Loop: Header=BB52_41 Depth=2
	s_or_b64 exec, exec, s[20:21]
	s_and_b64 s[4:5], exec, vcc
	s_or_b64 s[16:17], s[4:5], s[16:17]
	ds_write_b64 v10, v[4:5]
	v_add_u32_e32 v10, v10, v11
	v_add_u32_e32 v20, v20, v12
	s_waitcnt vmcnt(0)
	v_pk_mov_b32 v[4:5], v[8:9], v[8:9] op_sel:[0,1]
	s_andn2_b64 exec, exec, s[16:17]
	s_cbranch_execz .LBB52_43
.LBB52_41:                              ;   Parent Loop BB52_15 Depth=1
                                        ; =>  This Inner Loop Header: Depth=2
	v_add_u32_e32 v13, v13, v3
	v_cmp_gt_u32_e64 s[18:19], s60, v13
	v_cmp_le_u32_e32 vcc, s60, v13
	v_pk_mov_b32 v[8:9], 0, 0
	s_and_saveexec_b64 s[20:21], s[18:19]
	s_cbranch_execz .LBB52_40
; %bb.42:                               ;   in Loop: Header=BB52_41 Depth=2
	v_lshlrev_b64 v[8:9], 3, v[20:21]
	v_mov_b32_e32 v14, s64
	v_add_co_u32_e64 v8, s[18:19], s33, v8
	v_addc_co_u32_e64 v9, s[18:19], v14, v9, s[18:19]
	global_load_dwordx2 v[8:9], v[8:9], off
	s_branch .LBB52_40
.LBB52_43:                              ;   in Loop: Header=BB52_15 Depth=1
	s_or_b64 exec, exec, s[8:9]
	s_waitcnt lgkmcnt(0)
	s_barrier
	s_mov_b64 s[8:9], exec
	v_readlane_b32 s4, v59, 5
	v_readlane_b32 s5, v59, 6
	s_and_b64 s[4:5], s[8:9], s[4:5]
	s_mov_b64 exec, s[4:5]
	s_cbranch_execz .LBB52_45
; %bb.44:                               ;   in Loop: Header=BB52_15 Depth=1
	v_mov_b32_e32 v3, s60
	ds_write_b32 v21, v3 offset:4096
.LBB52_45:                              ;   in Loop: Header=BB52_15 Depth=1
	s_or_b64 exec, exec, s[8:9]
	s_mov_b64 s[16:17], -1
	s_waitcnt lgkmcnt(0)
	s_barrier
                                        ; implicit-def: $sgpr4
.LBB52_46:                              ;   in Loop: Header=BB52_15 Depth=1
	s_and_b64 vcc, exec, s[16:17]
	s_cbranch_vccz .LBB52_48
; %bb.47:                               ;   in Loop: Header=BB52_15 Depth=1
	ds_read_b32 v3, v21 offset:4096
	s_waitcnt lgkmcnt(0)
	v_readfirstlane_b32 s4, v3
.LBB52_48:                              ;   in Loop: Header=BB52_15 Depth=1
	s_cmp_lt_i32 s4, 1
	s_cbranch_scc0 .LBB52_60
; %bb.49:                               ;   in Loop: Header=BB52_15 Depth=1
	v_mov_b32_e32 v8, 0
	s_mov_b32 s5, 0
	v_mov_b32_e32 v9, 0
	v_mov_b32_e32 v10, v8
	;; [unrolled: 1-line block ×3, first 2 shown]
	s_mov_b64 s[16:17], exec
	v_readlane_b32 s8, v59, 42
	v_readlane_b32 s9, v59, 43
	s_and_b64 s[8:9], s[16:17], s[8:9]
	s_mov_b64 exec, s[8:9]
	s_cbranch_execz .LBB52_53
; %bb.50:                               ;   in Loop: Header=BB52_15 Depth=1
	s_and_b32 s8, s11, 0xfe
	s_mov_b64 s[48:49], 0
	s_mov_b32 s9, 0
	s_mov_b32 s50, 0
	s_mov_b32 s51, 0
	s_mov_b32 s52, 0
	v_mov_b32_e32 v3, v34
.LBB52_51:                              ;   Parent Loop BB52_15 Depth=1
                                        ; =>  This Inner Loop Header: Depth=2
	v_add_u32_e32 v20, s5, v42
	v_lshlrev_b64 v[12:13], 3, v[20:21]
	s_waitcnt vmcnt(0)
	v_mov_b32_e32 v4, s64
	v_add_u32_e32 v20, s5, v39
	v_add_co_u32_e64 v12, s[18:19], s33, v12
	v_lshlrev_b64 v[14:15], 3, v[20:21]
	v_addc_co_u32_e64 v13, s[18:19], v4, v13, s[18:19]
	v_add_u32_e32 v20, s5, v40
	v_add_co_u32_e64 v14, s[18:19], s33, v14
	v_lshlrev_b64 v[30:31], 3, v[20:21]
	v_addc_co_u32_e64 v15, s[18:19], v4, v15, s[18:19]
	global_load_dwordx2 v[12:13], v[12:13], off
	v_add_u32_e32 v20, s5, v41
	global_load_dwordx2 v[14:15], v[14:15], off
	v_add_co_u32_e64 v30, s[18:19], s33, v30
	v_lshlrev_b64 v[32:33], 3, v[20:21]
	v_addc_co_u32_e64 v31, s[18:19], v4, v31, s[18:19]
	global_load_dwordx2 v[30:31], v[30:31], off
	v_add_co_u32_e64 v32, s[18:19], s33, v32
	v_addc_co_u32_e64 v33, s[18:19], v4, v33, s[18:19]
	global_load_dwordx2 v[32:33], v[32:33], off
	v_mov_b32_e32 v11, v21
	v_mov_b32_e32 v9, v21
	;; [unrolled: 1-line block ×3, first 2 shown]
	v_add_u32_e32 v3, s12, v3
	v_cmp_le_u32_e32 vcc, s13, v3
	s_add_i32 s5, s5, s72
	s_waitcnt vmcnt(3)
	v_xor_b32_e32 v13, 0x80000000, v13
	v_and_b32_e32 v48, v12, v26
	v_and_b32_e32 v49, v13, v27
	v_lshrrev_b64 v[12:13], s8, v[12:13]
	s_waitcnt vmcnt(2)
	v_xor_b32_e32 v15, 0x80000000, v15
	v_and_b32_e32 v20, 3, v12
	v_cmp_eq_u64_e64 s[18:19], v[48:49], v[28:29]
	v_lshrrev_b64 v[12:13], s8, v[14:15]
	v_cmp_eq_u64_e64 s[22:23], 0, v[20:21]
	s_waitcnt vmcnt(1)
	v_xor_b32_e32 v31, 0x80000000, v31
	v_and_b32_e32 v10, 3, v12
	v_cmp_eq_u64_e64 s[24:25], 1, v[20:21]
	s_and_b64 s[14:15], s[18:19], s[22:23]
	s_waitcnt vmcnt(0)
	v_xor_b32_e32 v33, 0x80000000, v33
	v_lshrrev_b64 v[12:13], s8, v[30:31]
	v_cmp_eq_u64_e64 s[26:27], 2, v[20:21]
	v_cmp_eq_u64_e64 s[34:35], 0, v[10:11]
	;; [unrolled: 1-line block ×5, first 2 shown]
	v_cndmask_b32_e64 v10, 0, 1, s[14:15]
	s_and_b64 s[14:15], s[18:19], s[24:25]
	v_and_b32_e32 v50, v14, v26
	v_and_b32_e32 v51, v15, v27
	v_cmp_eq_u64_e64 s[28:29], 3, v[20:21]
	v_and_b32_e32 v8, 3, v12
	v_lshrrev_b64 v[12:13], s8, v[32:33]
	v_cndmask_b32_e64 v11, 0, 1, s[14:15]
	s_and_b64 s[14:15], s[18:19], s[26:27]
	v_cmp_eq_u64_e64 s[20:21], v[50:51], v[28:29]
	v_cndmask_b32_e64 v13, 0, 1, s[14:15]
	s_and_b64 s[14:15], s[18:19], s[28:29]
	v_cndmask_b32_e64 v20, 0, 1, s[14:15]
	s_and_b64 s[14:15], s[20:21], s[34:35]
	v_cmp_eq_u64_e64 s[22:23], 0, v[8:9]
	v_cmp_eq_u64_e64 s[24:25], 1, v[8:9]
	;; [unrolled: 1-line block ×4, first 2 shown]
	v_cndmask_b32_e64 v8, 0, 1, s[14:15]
	s_and_b64 s[14:15], s[20:21], s[36:37]
	v_and_b32_e32 v48, v30, v26
	v_and_b32_e32 v49, v31, v27
	v_cndmask_b32_e64 v9, 0, 1, s[14:15]
	s_and_b64 s[14:15], s[20:21], s[38:39]
	v_cmp_eq_u64_e64 s[30:31], v[48:49], v[28:29]
	v_cmp_ne_u32_e64 s[42:43], 0, v10
	v_cndmask_b32_e64 v10, 0, 1, s[14:15]
	s_and_b64 s[14:15], s[20:21], s[40:41]
	v_and_b32_e32 v4, 3, v12
	v_cmp_ne_u32_e64 s[34:35], 0, v11
	v_cndmask_b32_e64 v11, 0, 1, s[14:15]
	s_and_b64 s[14:15], s[30:31], s[22:23]
	v_cmp_eq_u64_e64 s[20:21], 0, v[4:5]
	v_cmp_eq_u64_e64 s[40:41], 1, v[4:5]
	;; [unrolled: 1-line block ×4, first 2 shown]
	v_cndmask_b32_e64 v4, 0, 1, s[14:15]
	s_and_b64 s[14:15], s[30:31], s[24:25]
	v_and_b32_e32 v14, v32, v26
	v_and_b32_e32 v15, v33, v27
	v_cndmask_b32_e64 v5, 0, 1, s[14:15]
	s_and_b64 s[14:15], s[30:31], s[26:27]
	v_cmp_eq_u64_e64 s[18:19], v[14:15], v[28:29]
	s_bcnt1_i32_b64 s53, s[42:43]
	v_cmp_ne_u32_e64 s[42:43], 0, v8
	v_cndmask_b32_e64 v8, 0, 1, s[14:15]
	s_and_b64 s[14:15], s[30:31], s[28:29]
	v_cmp_ne_u32_e64 s[22:23], 0, v9
	v_cndmask_b32_e64 v9, 0, 1, s[14:15]
	s_and_b64 s[14:15], s[18:19], s[20:21]
	;; [unrolled: 3-line block ×3, first 2 shown]
	v_cmp_ne_u32_e64 s[36:37], 0, v13
	v_cmp_ne_u32_e64 s[38:39], 0, v20
	;; [unrolled: 1-line block ×3, first 2 shown]
	v_cndmask_b32_e64 v5, 0, 1, s[14:15]
	s_and_b64 s[14:15], s[18:19], s[44:45]
	s_bcnt1_i32_b64 s34, s[34:35]
	s_bcnt1_i32_b64 s35, s[36:37]
	v_cmp_ne_u32_e64 s[24:25], 0, v10
	s_bcnt1_i32_b64 s36, s[38:39]
	v_cmp_ne_u32_e64 s[26:27], 0, v11
	;; [unrolled: 2-line block ×3, first 2 shown]
	v_cndmask_b32_e64 v8, 0, 1, s[14:15]
	s_and_b64 s[14:15], s[18:19], s[46:47]
	s_bcnt1_i32_b64 s30, s[42:43]
	s_add_i32 s31, s52, s53
	s_add_i32 s34, s51, s34
	s_bcnt1_i32_b64 s38, s[24:25]
	s_add_i32 s35, s50, s35
	s_bcnt1_i32_b64 s26, s[26:27]
	v_cmp_ne_u32_e64 s[24:25], 0, v9
	v_cndmask_b32_e64 v9, 0, 1, s[14:15]
	s_add_i32 s9, s9, s36
	s_bcnt1_i32_b64 s14, s[28:29]
	v_cmp_ne_u32_e64 s[18:19], 0, v4
	s_add_i32 s15, s31, s30
	s_bcnt1_i32_b64 s27, s[20:21]
	v_cmp_ne_u32_e64 s[20:21], 0, v5
	;; [unrolled: 3-line block ×4, first 2 shown]
	s_add_i32 s9, s9, s26
	s_bcnt1_i32_b64 s18, s[18:19]
	s_add_i32 s14, s15, s14
	s_bcnt1_i32_b64 s15, s[20:21]
	;; [unrolled: 2-line block ×4, first 2 shown]
	s_add_i32 s9, s9, s31
	s_add_i32 s52, s14, s18
	;; [unrolled: 1-line block ×5, first 2 shown]
	s_or_b64 s[48:49], vcc, s[48:49]
	v_mov_b32_e32 v8, s52
	v_mov_b32_e32 v9, s51
	;; [unrolled: 1-line block ×4, first 2 shown]
	s_andn2_b64 exec, exec, s[48:49]
	s_cbranch_execnz .LBB52_51
; %bb.52:                               ;   in Loop: Header=BB52_15 Depth=1
	s_or_b64 exec, exec, s[48:49]
.LBB52_53:                              ;   in Loop: Header=BB52_15 Depth=1
	s_or_b64 exec, exec, s[16:17]
	s_waitcnt vmcnt(0)
	v_pk_mov_b32 v[4:5], 0, 0
	s_mov_b64 s[8:9], exec
	v_readlane_b32 s14, v59, 44
	v_readlane_b32 s15, v59, 45
	s_and_b64 s[14:15], s[8:9], s[14:15]
	s_mov_b64 exec, s[14:15]
	s_cbranch_execz .LBB52_55
; %bb.54:                               ;   in Loop: Header=BB52_15 Depth=1
	global_load_dwordx2 v[4:5], v[24:25], off
.LBB52_55:                              ;   in Loop: Header=BB52_15 Depth=1
	s_or_b64 exec, exec, s[8:9]
	s_mov_b64 s[8:9], 0
	s_mov_b64 s[16:17], 0
	s_mov_b64 s[20:21], exec
	v_readlane_b32 s14, v59, 44
	v_readlane_b32 s15, v59, 45
	s_and_b64 s[14:15], s[20:21], s[14:15]
	s_mov_b64 exec, s[14:15]
	s_cbranch_execz .LBB52_62
; %bb.56:                               ;   in Loop: Header=BB52_15 Depth=1
	s_and_b32 s5, s11, 0xfe
	v_mov_b32_e32 v12, v43
	v_mov_b32_e32 v3, v38
	s_branch .LBB52_58
.LBB52_57:                              ;   in Loop: Header=BB52_58 Depth=2
	s_or_b64 exec, exec, s[22:23]
	s_waitcnt vmcnt(0)
	v_xor_b32_e32 v5, 0x80000000, v5
	v_and_b32_e32 v31, v5, v27
	v_and_b32_e32 v30, v4, v26
	v_lshrrev_b64 v[4:5], s5, v[4:5]
	s_and_b64 s[14:15], exec, vcc
	v_and_b32_e32 v20, 3, v4
	s_or_b64 s[16:17], s[14:15], s[16:17]
	v_cmp_eq_u64_e32 vcc, v[30:31], v[28:29]
	v_cmp_eq_u64_e64 s[18:19], 0, v[20:21]
	s_and_b64 s[14:15], vcc, s[18:19]
	v_cndmask_b32_e64 v4, 0, 1, s[14:15]
	v_cmp_ne_u32_e64 s[18:19], 0, v4
	s_bcnt1_i32_b64 s14, s[18:19]
	v_cmp_eq_u64_e64 s[18:19], 1, v[20:21]
	v_add_u32_e32 v8, s14, v8
	s_and_b64 s[14:15], vcc, s[18:19]
	v_cndmask_b32_e64 v4, 0, 1, s[14:15]
	v_cmp_ne_u32_e64 s[18:19], 0, v4
	s_bcnt1_i32_b64 s14, s[18:19]
	v_cmp_eq_u64_e64 s[18:19], 2, v[20:21]
	v_add_u32_e32 v9, s14, v9
	;; [unrolled: 6-line block ×3, first 2 shown]
	s_and_b64 s[14:15], vcc, s[18:19]
	v_cndmask_b32_e64 v4, 0, 1, s[14:15]
	v_cmp_ne_u32_e32 vcc, 0, v4
	s_bcnt1_i32_b64 s14, vcc
	v_add_u32_e32 v11, s14, v11
	v_add_u32_e32 v12, s78, v12
	v_pk_mov_b32 v[4:5], v[14:15], v[14:15] op_sel:[0,1]
	s_andn2_b64 exec, exec, s[16:17]
	s_cbranch_execz .LBB52_61
.LBB52_58:                              ;   Parent Loop BB52_15 Depth=1
                                        ; =>  This Inner Loop Header: Depth=2
	v_add_u32_e32 v3, s66, v3
	v_cmp_gt_u32_e64 s[18:19], s60, v3
	v_cmp_le_u32_e32 vcc, s60, v3
	v_pk_mov_b32 v[14:15], 0, 0
	s_and_saveexec_b64 s[22:23], s[18:19]
	s_cbranch_execz .LBB52_57
; %bb.59:                               ;   in Loop: Header=BB52_58 Depth=2
	v_mov_b32_e32 v13, v21
	v_lshlrev_b64 v[14:15], 3, v[12:13]
	v_mov_b32_e32 v13, s64
	v_add_co_u32_e64 v14, s[18:19], s33, v14
	v_addc_co_u32_e64 v15, s[18:19], v13, v15, s[18:19]
	global_load_dwordx2 v[14:15], v[14:15], off
	s_branch .LBB52_57
.LBB52_60:                              ;   in Loop: Header=BB52_15 Depth=1
	s_mov_b64 s[16:17], 0
                                        ; implicit-def: $vgpr11
	s_cbranch_execnz .LBB52_63
	s_branch .LBB52_72
.LBB52_61:                              ;   in Loop: Header=BB52_15 Depth=1
	s_or_b64 exec, exec, s[16:17]
	s_mov_b64 s[16:17], exec
.LBB52_62:                              ;   in Loop: Header=BB52_15 Depth=1
	s_or_b64 exec, exec, s[20:21]
	s_and_b64 vcc, exec, s[8:9]
	s_cbranch_vccz .LBB52_72
.LBB52_63:                              ;   in Loop: Header=BB52_15 Depth=1
	v_readlane_b32 s5, v59, 41
	s_mul_hi_u32 s5, s4, s5
	s_mul_i32 s5, s5, s12
	s_sub_i32 s5, s4, s5
	s_sub_i32 s8, s5, s12
	s_cmp_ge_u32 s5, s12
	s_cselect_b32 s5, s8, s5
	s_sub_i32 s8, s5, s12
	s_cmp_ge_u32 s5, s12
	s_cselect_b32 s5, s8, s5
	s_sub_i32 s5, s4, s5
	v_cmp_gt_u32_e32 vcc, s5, v34
	s_mov_b32 s63, 0
	v_mov_b32_e32 v8, 0
	v_mov_b32_e32 v9, 0
	;; [unrolled: 1-line block ×4, first 2 shown]
	s_and_saveexec_b64 s[8:9], vcc
	s_cbranch_execz .LBB52_67
; %bb.64:                               ;   in Loop: Header=BB52_15 Depth=1
	s_and_b32 s74, s11, 0xfe
	s_mov_b64 s[76:77], 0
	v_mov_b32_e32 v3, v44
	s_mov_b32 s75, 0
	s_mov_b32 s14, 0
	;; [unrolled: 1-line block ×3, first 2 shown]
	v_mov_b32_e32 v48, v34
.LBB52_65:                              ;   Parent Loop BB52_15 Depth=1
                                        ; =>  This Inner Loop Header: Depth=2
	ds_read_b128 v[12:15], v3
	ds_read_b128 v[8:11], v3 offset:16
	s_waitcnt vmcnt(0)
	v_mov_b32_e32 v5, v21
	v_mov_b32_e32 v31, v21
	;; [unrolled: 1-line block ×3, first 2 shown]
	s_waitcnt lgkmcnt(1)
	v_xor_b32_e32 v13, 0x80000000, v13
	v_xor_b32_e32 v15, 0x80000000, v15
	v_and_b32_e32 v50, v12, v26
	v_and_b32_e32 v51, v13, v27
	v_lshrrev_b64 v[12:13], s74, v[12:13]
	s_waitcnt lgkmcnt(0)
	v_xor_b32_e32 v9, 0x80000000, v9
	v_and_b32_e32 v52, v14, v26
	v_and_b32_e32 v53, v15, v27
	v_lshrrev_b64 v[14:15], s74, v[14:15]
	v_and_b32_e32 v20, 3, v12
	v_xor_b32_e32 v11, 0x80000000, v11
	v_and_b32_e32 v54, v8, v26
	v_and_b32_e32 v55, v9, v27
	v_lshrrev_b64 v[8:9], s74, v[8:9]
	v_cmp_eq_u64_e64 s[18:19], v[50:51], v[28:29]
	v_and_b32_e32 v4, 3, v14
	v_cmp_eq_u64_e64 s[26:27], 0, v[20:21]
	v_and_b32_e32 v56, v10, v26
	v_and_b32_e32 v57, v11, v27
	v_lshrrev_b64 v[10:11], s74, v[10:11]
	v_cmp_eq_u64_e64 s[20:21], v[52:53], v[28:29]
	v_and_b32_e32 v30, 3, v8
	v_cmp_eq_u64_e64 s[28:29], 0, v[4:5]
	s_and_b64 s[26:27], s[18:19], s[26:27]
	v_cmp_eq_u64_e64 s[22:23], v[54:55], v[28:29]
	v_and_b32_e32 v32, 3, v10
	v_cmp_eq_u64_e64 s[30:31], 0, v[30:31]
	v_cmp_eq_u64_e64 s[38:39], 1, v[4:5]
	;; [unrolled: 1-line block ×4, first 2 shown]
	v_cndmask_b32_e64 v4, 0, 1, s[26:27]
	s_and_b64 s[26:27], s[20:21], s[28:29]
	v_cmp_eq_u64_e64 s[24:25], v[56:57], v[28:29]
	v_cmp_eq_u64_e64 s[34:35], 0, v[32:33]
	v_cndmask_b32_e64 v5, 0, 1, s[26:27]
	s_and_b64 s[26:27], s[22:23], s[30:31]
	v_cmp_eq_u64_e64 s[36:37], 1, v[20:21]
	v_cndmask_b32_e64 v8, 0, 1, s[26:27]
	s_and_b64 s[26:27], s[24:25], s[34:35]
	v_cndmask_b32_e64 v9, 0, 1, s[26:27]
	s_and_b64 s[26:27], s[18:19], s[36:37]
	v_cmp_eq_u64_e64 s[40:41], 1, v[30:31]
	v_cndmask_b32_e64 v10, 0, 1, s[26:27]
	s_and_b64 s[26:27], s[20:21], s[38:39]
	v_cmp_eq_u64_e64 s[42:43], 1, v[32:33]
	;; [unrolled: 3-line block ×3, first 2 shown]
	v_cmp_eq_u64_e64 s[52:53], 3, v[20:21]
	v_cndmask_b32_e64 v12, 0, 1, s[26:27]
	s_and_b64 s[26:27], s[24:25], s[42:43]
	v_cndmask_b32_e64 v13, 0, 1, s[26:27]
	s_and_b64 s[26:27], s[18:19], s[44:45]
	s_and_b64 s[18:19], s[18:19], s[52:53]
	v_cmp_eq_u64_e64 s[48:49], 2, v[30:31]
	v_cmp_eq_u64_e64 s[56:57], 3, v[30:31]
	v_cndmask_b32_e64 v14, 0, 1, s[26:27]
	s_and_b64 s[26:27], s[20:21], s[46:47]
	v_cndmask_b32_e64 v31, 0, 1, s[18:19]
	s_and_b64 s[18:19], s[20:21], s[54:55]
	v_cmp_eq_u64_e64 s[50:51], 2, v[32:33]
	v_cmp_eq_u64_e64 s[58:59], 3, v[32:33]
	v_cndmask_b32_e64 v15, 0, 1, s[26:27]
	s_and_b64 s[26:27], s[22:23], s[48:49]
	v_cndmask_b32_e64 v32, 0, 1, s[18:19]
	s_and_b64 s[18:19], s[22:23], s[56:57]
	;; [unrolled: 2-line block ×4, first 2 shown]
	v_cndmask_b32_e64 v30, 0, 1, s[26:27]
	v_cndmask_b32_e64 v49, 0, 1, s[18:19]
	v_cmp_ne_u32_e64 s[18:19], 0, v4
	v_cmp_ne_u32_e64 s[20:21], 0, v5
	;; [unrolled: 1-line block ×11, first 2 shown]
	s_bcnt1_i32_b64 s18, s[18:19]
	s_bcnt1_i32_b64 s19, s[20:21]
	s_bcnt1_i32_b64 s20, s[22:23]
	s_bcnt1_i32_b64 s21, s[24:25]
	s_bcnt1_i32_b64 s22, s[26:27]
	s_bcnt1_i32_b64 s24, s[30:31]
	s_bcnt1_i32_b64 s26, s[36:37]
	s_bcnt1_i32_b64 s30, s[44:45]
	v_cmp_ne_u32_e64 s[34:35], 0, v13
	v_cmp_ne_u32_e64 s[40:41], 0, v20
	v_cmp_ne_u32_e64 s[48:49], 0, v33
	s_bcnt1_i32_b64 s23, s[28:29]
	s_bcnt1_i32_b64 s27, s[38:39]
	;; [unrolled: 1-line block ×3, first 2 shown]
	s_add_i32 s15, s15, s18
	s_add_i32 s14, s14, s22
	;; [unrolled: 1-line block ×4, first 2 shown]
	v_cmp_ne_u32_e64 s[42:43], 0, v30
	v_cmp_ne_u32_e64 s[50:51], 0, v49
	s_bcnt1_i32_b64 s25, s[34:35]
	s_bcnt1_i32_b64 s28, s[40:41]
	;; [unrolled: 1-line block ×3, first 2 shown]
	s_add_i32 s15, s15, s19
	s_add_i32 s14, s14, s23
	;; [unrolled: 1-line block ×4, first 2 shown]
	v_add_u32_e32 v48, s12, v48
	s_bcnt1_i32_b64 s29, s[42:43]
	s_bcnt1_i32_b64 s35, s[50:51]
	s_add_i32 s15, s15, s20
	s_add_i32 s14, s14, s24
	;; [unrolled: 1-line block ×4, first 2 shown]
	v_cmp_le_u32_e32 vcc, s5, v48
	s_add_i32 s15, s15, s21
	s_add_i32 s14, s14, s25
	;; [unrolled: 1-line block ×4, first 2 shown]
	v_add_u32_e32 v3, s73, v3
	s_or_b64 s[76:77], vcc, s[76:77]
	v_mov_b32_e32 v8, s15
	v_mov_b32_e32 v9, s14
	;; [unrolled: 1-line block ×4, first 2 shown]
	s_andn2_b64 exec, exec, s[76:77]
	s_cbranch_execnz .LBB52_65
; %bb.66:                               ;   in Loop: Header=BB52_15 Depth=1
	s_or_b64 exec, exec, s[76:77]
.LBB52_67:                              ;   in Loop: Header=BB52_15 Depth=1
	s_or_b64 exec, exec, s[8:9]
	v_add_u32_e32 v3, s5, v0
	v_cmp_gt_u32_e32 vcc, s4, v3
	s_and_saveexec_b64 s[8:9], vcc
	s_cbranch_execz .LBB52_71
; %bb.68:                               ;   in Loop: Header=BB52_15 Depth=1
	s_and_b32 s5, s11, 0xfe
	s_waitcnt vmcnt(0)
	v_lshlrev_b32_e32 v4, 3, v3
	s_mov_b64 s[28:29], 0
.LBB52_69:                              ;   Parent Loop BB52_15 Depth=1
                                        ; =>  This Inner Loop Header: Depth=2
	ds_read_b64 v[12:13], v4
	v_add_u32_e32 v3, s66, v3
	v_cmp_le_u32_e32 vcc, s4, v3
	v_add_u32_e32 v4, s10, v4
	s_waitcnt lgkmcnt(0)
	v_xor_b32_e32 v13, 0x80000000, v13
	v_and_b32_e32 v14, v12, v26
	v_and_b32_e32 v15, v13, v27
	v_lshrrev_b64 v[12:13], s5, v[12:13]
	v_and_b32_e32 v20, 3, v12
	v_cmp_eq_u64_e64 s[18:19], v[14:15], v[28:29]
	v_cmp_eq_u64_e64 s[20:21], 0, v[20:21]
	;; [unrolled: 1-line block ×3, first 2 shown]
	s_and_b64 s[14:15], s[18:19], s[20:21]
	v_cmp_eq_u64_e64 s[24:25], 2, v[20:21]
	v_cndmask_b32_e64 v5, 0, 1, s[14:15]
	s_and_b64 s[14:15], s[18:19], s[22:23]
	v_cmp_eq_u64_e64 s[26:27], 3, v[20:21]
	v_cndmask_b32_e64 v12, 0, 1, s[14:15]
	s_and_b64 s[14:15], s[18:19], s[24:25]
	v_cndmask_b32_e64 v13, 0, 1, s[14:15]
	s_and_b64 s[14:15], s[18:19], s[26:27]
	v_cndmask_b32_e64 v14, 0, 1, s[14:15]
	v_cmp_ne_u32_e64 s[18:19], 0, v5
	v_cmp_ne_u32_e64 s[20:21], 0, v12
	;; [unrolled: 1-line block ×4, first 2 shown]
	s_bcnt1_i32_b64 s14, s[18:19]
	s_bcnt1_i32_b64 s15, s[20:21]
	;; [unrolled: 1-line block ×4, first 2 shown]
	v_add_u32_e32 v8, s14, v8
	v_add_u32_e32 v9, s15, v9
	;; [unrolled: 1-line block ×3, first 2 shown]
	s_or_b64 s[28:29], vcc, s[28:29]
	v_add_u32_e32 v11, s19, v11
	s_andn2_b64 exec, exec, s[28:29]
	s_cbranch_execnz .LBB52_69
; %bb.70:                               ;   in Loop: Header=BB52_15 Depth=1
	s_or_b64 exec, exec, s[28:29]
	s_or_b64 s[16:17], s[16:17], exec
.LBB52_71:                              ;   in Loop: Header=BB52_15 Depth=1
	s_or_b64 exec, exec, s[8:9]
.LBB52_72:                              ;   in Loop: Header=BB52_15 Depth=1
	s_and_saveexec_b64 s[8:9], s[16:17]
	s_or_b64 exec, exec, s[8:9]
	s_lshl_b32 s4, s62, 6
	s_and_saveexec_b64 s[8:9], s[0:1]
	s_cbranch_execz .LBB52_74
; %bb.73:                               ;   in Loop: Header=BB52_15 Depth=1
	v_or_b32_e32 v3, s4, v35
	v_lshlrev_b32_e32 v3, 2, v3
	ds_write_b128 v3, v[8:11] offset:3072
.LBB52_74:                              ;   in Loop: Header=BB52_15 Depth=1
	s_or_b64 exec, exec, s[8:9]
	s_waitcnt lgkmcnt(0)
	s_barrier
	s_mov_b64 s[8:9], exec
	v_readlane_b32 s14, v59, 16
	v_readlane_b32 s15, v59, 17
	s_and_b64 s[14:15], s[8:9], s[14:15]
	s_mov_b64 exec, s[14:15]
	s_cbranch_execz .LBB52_88
; %bb.75:                               ;   in Loop: Header=BB52_15 Depth=1
	v_readlane_b32 s14, v59, 20
	v_readlane_b32 s15, v59, 21
	v_add_u32_e32 v3, s4, v1
	s_andn2_b64 vcc, exec, s[14:15]
	s_waitcnt vmcnt(0)
	v_mov_b32_e32 v4, 0
	s_cbranch_vccnz .LBB52_87
; %bb.76:                               ;   in Loop: Header=BB52_15 Depth=1
	v_readlane_b32 s14, v59, 25
	v_readlane_b32 s15, v59, 26
	s_mov_b32 s5, 0
	s_and_b64 vcc, exec, s[14:15]
	v_mov_b32_e32 v4, 0
	s_cbranch_vccz .LBB52_80
; %bb.77:                               ;   in Loop: Header=BB52_15 Depth=1
	v_readlane_b32 s14, v59, 31
	v_readlane_b32 s16, v59, 10
	;; [unrolled: 1-line block ×3, first 2 shown]
	v_lshl_add_u32 v8, v3, 2, v46
	v_readlane_b32 s17, v59, 11
	s_andn2_b64 vcc, exec, s[14:15]
	s_cbranch_vccnz .LBB52_81
; %bb.78:                               ;   in Loop: Header=BB52_15 Depth=1
	v_writelane_b32 v59, s16, 10
	v_writelane_b32 v59, s17, 11
	s_mov_b32 s17, 1
	s_mov_b32 s16, 0
	v_mov_b32_e32 v4, 0
	v_readlane_b32 s5, v59, 33
	v_mov_b32_e32 v5, 0
.LBB52_79:                              ;   Parent Loop BB52_15 Depth=1
                                        ; =>  This Inner Loop Header: Depth=2
	v_lshl_add_u32 v9, s16, 4, v8
	v_lshl_add_u32 v20, s17, 4, v8
	ds_read2_b32 v[10:11], v9 offset1:8
	ds_read2_b32 v[12:13], v20 offset1:8
	ds_read2_b32 v[14:15], v9 offset0:16 offset1:24
	ds_read2_b32 v[30:31], v20 offset0:16 offset1:24
	ds_read2_b32 v[32:33], v9 offset0:32 offset1:40
	ds_read2_b32 v[48:49], v20 offset0:32 offset1:40
	ds_read2_b32 v[50:51], v9 offset0:48 offset1:56
	ds_read2_b32 v[52:53], v20 offset0:48 offset1:56
	s_waitcnt lgkmcnt(7)
	v_add3_u32 v4, v10, v4, v11
	s_waitcnt lgkmcnt(6)
	v_add3_u32 v5, v12, v5, v13
	;; [unrolled: 2-line block ×3, first 2 shown]
	v_add3_u32 v4, v14, v4, v15
	s_add_i32 s17, s17, 16
	s_add_i32 s16, s16, 16
	s_add_i32 s5, s5, -8
	s_waitcnt lgkmcnt(3)
	v_add3_u32 v4, v32, v4, v33
	s_waitcnt lgkmcnt(2)
	v_add3_u32 v5, v48, v5, v49
	s_cmp_lg_u32 s5, 0
	s_waitcnt lgkmcnt(0)
	v_add3_u32 v5, v52, v5, v53
	v_add3_u32 v4, v50, v4, v51
	s_cbranch_scc1 .LBB52_79
	s_branch .LBB52_82
.LBB52_80:                              ;   in Loop: Header=BB52_15 Depth=1
	s_cbranch_execnz .LBB52_85
	s_branch .LBB52_87
.LBB52_81:                              ;   in Loop: Header=BB52_15 Depth=1
	s_mov_b32 s14, s16
	s_mov_b32 s17, s16
	v_writelane_b32 v59, s14, 10
	v_pk_mov_b32 v[4:5], s[16:17], s[16:17] op_sel:[0,1]
	s_mov_b32 s17, 1
	v_writelane_b32 v59, s15, 11
.LBB52_82:                              ;   in Loop: Header=BB52_15 Depth=1
	v_readlane_b32 s14, v59, 35
	v_readlane_b32 s15, v59, 36
	s_andn2_b64 vcc, exec, s[14:15]
	v_readlane_b32 s5, v59, 34
	s_cbranch_vccnz .LBB52_84
.LBB52_83:                              ;   Parent Loop BB52_15 Depth=1
                                        ; =>  This Inner Loop Header: Depth=2
	v_lshl_add_u32 v9, s16, 4, v8
	v_lshl_add_u32 v10, s17, 4, v8
	ds_read_b32 v10, v10
	ds_read_b32 v9, v9
	s_add_i32 s17, s17, 2
	s_add_i32 s16, s16, 2
	s_add_i32 s5, s5, -1
	s_cmp_lg_u32 s5, 0
	s_waitcnt lgkmcnt(1)
	v_add_u32_e32 v5, v10, v5
	s_waitcnt lgkmcnt(0)
	v_add_u32_e32 v4, v9, v4
	s_cbranch_scc1 .LBB52_83
.LBB52_84:                              ;   in Loop: Header=BB52_15 Depth=1
	v_readlane_b32 s16, v59, 39
	v_add_u32_e32 v4, v4, v5
	v_readlane_b32 s5, v59, 38
	v_readlane_b32 s17, v59, 40
	s_and_b64 vcc, exec, s[16:17]
	s_cbranch_vccz .LBB52_87
.LBB52_85:                              ;   in Loop: Header=BB52_15 Depth=1
	s_lshl_b32 s14, s62, 8
	s_lshl_b32 s15, s5, 4
	s_add_i32 s14, s14, s15
	v_add_u32_e32 v5, s14, v45
	v_readlane_b32 s14, v59, 37
	s_sub_i32 s5, s14, s5
.LBB52_86:                              ;   Parent Loop BB52_15 Depth=1
                                        ; =>  This Inner Loop Header: Depth=2
	ds_read_b32 v8, v5
	s_add_i32 s5, s5, -1
	v_add_u32_e32 v5, 16, v5
	s_cmp_eq_u32 s5, 0
	s_waitcnt lgkmcnt(0)
	v_add_u32_e32 v4, v8, v4
	s_cbranch_scc0 .LBB52_86
.LBB52_87:                              ;   in Loop: Header=BB52_15 Depth=1
	v_lshlrev_b32_e32 v3, 2, v3
	ds_write_b32 v3, v4 offset:3072
.LBB52_88:                              ;   in Loop: Header=BB52_15 Depth=1
	s_or_b64 exec, exec, s[8:9]
	s_lshl_b32 s4, s4, 2
	v_mov_b32_e32 v3, s4
	s_waitcnt lgkmcnt(0)
	s_barrier
	ds_read_b128 v[8:11], v3 offset:3072
	s_and_b32 s5, s11, 0xfe
	v_readlane_b32 s8, v59, 14
	s_lshl_b64 s[22:23], 3, s5
	v_readlane_b32 s9, v59, 15
	s_waitcnt lgkmcnt(0)
	v_readfirstlane_b32 s63, v8
	v_readfirstlane_b32 s4, v9
	;; [unrolled: 1-line block ×4, first 2 shown]
	s_not_b64 s[24:25], s[22:23]
	s_andn2_b64 vcc, exec, s[8:9]
	v_cmp_eq_u32_e64 s[18:19], 1, v47
	s_cbranch_vccnz .LBB52_101
; %bb.89:                               ;   in Loop: Header=BB52_15 Depth=1
	s_cmp_eq_u32 s63, 1
	s_cselect_b64 s[8:9], -1, 0
	s_and_b64 s[16:17], s[8:9], s[18:19]
	s_mov_b64 s[40:41], -1
	v_pk_mov_b32 v[12:13], v[28:29], v[28:29] op_sel:[0,1]
	v_pk_mov_b32 v[14:15], v[26:27], v[26:27] op_sel:[0,1]
	;; [unrolled: 1-line block ×3, first 2 shown]
                                        ; implicit-def: $sgpr26_sgpr27
                                        ; implicit-def: $sgpr34_sgpr35
                                        ; implicit-def: $sgpr30_sgpr31
	s_and_saveexec_b64 s[8:9], s[16:17]
	s_cbranch_execz .LBB52_117
; %bb.90:                               ;   in Loop: Header=BB52_15 Depth=1
	ds_read_b32 v3, v21 offset:4096
	s_waitcnt lgkmcnt(0)
	s_barrier
	v_readfirstlane_b32 s14, v3
	s_mov_b64 s[20:21], exec
	v_readlane_b32 s26, v59, 29
	v_readlane_b32 s27, v59, 30
	s_and_b64 s[26:27], s[20:21], s[26:27]
	s_mov_b64 exec, s[26:27]
	s_cbranch_execz .LBB52_92
; %bb.91:                               ;   in Loop: Header=BB52_15 Depth=1
	v_mov_b32_e32 v20, v21
	ds_write_b64 v37, v[20:21]
.LBB52_92:                              ;   in Loop: Header=BB52_15 Depth=1
	s_or_b64 exec, exec, s[20:21]
	v_and_b32_e32 v13, s25, v29
	v_and_b32_e32 v12, s24, v28
	v_or_b32_e32 v15, s23, v27
	v_or_b32_e32 v14, s22, v26
	s_cmp_eq_u32 s14, 0
	s_waitcnt lgkmcnt(0)
	s_barrier
	s_cbranch_scc1 .LBB52_103
; %bb.93:                               ;   in Loop: Header=BB52_15 Depth=1
	v_readlane_b32 s15, v59, 22
	s_add_i32 s15, s14, s15
	v_readlane_b32 s20, v59, 46
	s_mul_hi_u32 s20, s15, s20
	s_mul_i32 s20, s20, s66
	s_sub_i32 s20, s15, s20
	s_sub_i32 s21, s20, s66
	s_cmp_ge_u32 s20, s66
	s_cselect_b32 s20, s21, s20
	s_sub_i32 s21, s20, s66
	s_cmp_ge_u32 s20, s66
	s_cselect_b32 s20, s21, s20
	s_sub_i32 s15, s15, s20
	v_cmp_gt_u32_e32 vcc, s15, v0
	s_mov_b64 s[28:29], 0
                                        ; implicit-def: $vgpr10_vgpr11
	s_and_saveexec_b64 s[20:21], vcc
	s_cbranch_execz .LBB52_105
; %bb.94:                               ;   in Loop: Header=BB52_15 Depth=1
	v_mov_b32_e32 v20, v36
	v_mov_b32_e32 v30, v0
                                        ; implicit-def: $sgpr26_sgpr27
	s_branch .LBB52_96
.LBB52_95:                              ;   in Loop: Header=BB52_96 Depth=2
	s_or_b64 exec, exec, s[30:31]
	s_waitcnt lgkmcnt(0)
	s_barrier
	ds_read_b128 v[8:11], v21 offset:3072
	v_add_u32_e32 v30, s66, v30
	v_cmp_le_u32_e32 vcc, s15, v30
	v_add_u32_e32 v20, s10, v20
	s_waitcnt lgkmcnt(0)
	v_readfirstlane_b32 s31, v9
	v_readfirstlane_b32 s30, v8
	s_cmp_lg_u64 s[30:31], 0
	s_cselect_b64 s[30:31], -1, 0
	s_or_b64 s[34:35], vcc, s[30:31]
	s_and_b64 s[34:35], exec, s[34:35]
	s_or_b64 s[28:29], s[34:35], s[28:29]
	s_andn2_b64 s[26:27], s[26:27], exec
	s_and_b64 s[30:31], s[30:31], exec
	s_or_b64 s[26:27], s[26:27], s[30:31]
	s_barrier
	s_andn2_b64 exec, exec, s[28:29]
	s_cbranch_execz .LBB52_104
.LBB52_96:                              ;   Parent Loop BB52_15 Depth=1
                                        ; =>  This Inner Loop Header: Depth=2
	v_cmp_gt_u32_e32 vcc, s14, v30
	s_waitcnt vmcnt(0)
	v_pk_mov_b32 v[4:5], 0, 0
	s_and_saveexec_b64 s[30:31], vcc
	s_cbranch_execz .LBB52_98
; %bb.97:                               ;   in Loop: Header=BB52_96 Depth=2
	ds_read_b64 v[4:5], v20
.LBB52_98:                              ;   in Loop: Header=BB52_96 Depth=2
	s_or_b64 exec, exec, s[30:31]
	s_and_saveexec_b64 s[30:31], vcc
	s_cbranch_execz .LBB52_95
; %bb.99:                               ;   in Loop: Header=BB52_96 Depth=2
	s_waitcnt lgkmcnt(0)
	v_xor_b32_e32 v3, 0x80000000, v5
	v_and_b32_e32 v9, v3, v15
	v_and_b32_e32 v8, v4, v14
	v_cmp_eq_u64_e32 vcc, v[8:9], v[12:13]
	s_and_b64 exec, exec, vcc
	s_cbranch_execz .LBB52_95
; %bb.100:                              ;   in Loop: Header=BB52_96 Depth=2
	v_mov_b32_e32 v3, v21
	ds_write_b128 v21, v[2:5] offset:3072
	s_branch .LBB52_95
.LBB52_101:                             ;   in Loop: Header=BB52_15 Depth=1
	s_mov_b64 s[28:29], 0
	s_mov_b64 s[20:21], 0
                                        ; implicit-def: $sgpr30_sgpr31
                                        ; implicit-def: $sgpr34_sgpr35
                                        ; implicit-def: $sgpr26_sgpr27
                                        ; implicit-def: $vgpr3
                                        ; implicit-def: $vgpr30
                                        ; implicit-def: $vgpr12_vgpr13
                                        ; implicit-def: $vgpr14_vgpr15
                                        ; implicit-def: $vgpr10_vgpr11
	s_cbranch_execnz .LBB52_253
.LBB52_102:                             ;   in Loop: Header=BB52_15 Depth=1
	s_mov_b64 s[36:37], s[26:27]
	s_mov_b64 s[38:39], s[26:27]
	s_and_saveexec_b64 s[8:9], s[28:29]
	s_cbranch_execnz .LBB52_415
	s_branch .LBB52_416
.LBB52_103:                             ;   in Loop: Header=BB52_15 Depth=1
	s_mov_b64 s[26:27], -1
	s_mov_b64 s[28:29], 0
                                        ; implicit-def: $sgpr30_sgpr31
                                        ; implicit-def: $vgpr10_vgpr11
	s_mov_b64 s[34:35], s[26:27]
	s_cbranch_execnz .LBB52_106
	s_branch .LBB52_116
.LBB52_104:                             ;   in Loop: Header=BB52_15 Depth=1
	s_or_b64 exec, exec, s[28:29]
	s_and_b64 s[28:29], s[26:27], exec
.LBB52_105:                             ;   in Loop: Header=BB52_15 Depth=1
	s_or_b64 exec, exec, s[20:21]
	s_mov_b64 s[30:31], -1
	s_mov_b64 s[26:27], 0
	s_mov_b64 s[34:35], s[26:27]
	s_branch .LBB52_116
.LBB52_106:                             ;   in Loop: Header=BB52_15 Depth=1
	s_mov_b64 s[28:29], 0
                                        ; implicit-def: $vgpr10_vgpr11
	s_mov_b64 s[26:27], exec
	v_readlane_b32 s14, v59, 47
	v_readlane_b32 s15, v59, 48
	s_and_b64 s[14:15], s[26:27], s[14:15]
	s_mov_b64 exec, s[14:15]
	s_cbranch_execz .LBB52_115
; %bb.107:                              ;   in Loop: Header=BB52_15 Depth=1
	s_mov_b64 s[30:31], 0
	v_mov_b32_e32 v20, v22
	v_mov_b32_e32 v30, v0
                                        ; implicit-def: $sgpr28_sgpr29
	s_branch .LBB52_109
.LBB52_108:                             ;   in Loop: Header=BB52_109 Depth=2
	s_or_b64 exec, exec, s[20:21]
	s_waitcnt lgkmcnt(0)
	s_barrier
	ds_read_b128 v[8:11], v21 offset:3072
	v_add_u32_e32 v30, s66, v30
	v_cmp_le_u32_e32 vcc, s6, v30
	v_add_u32_e32 v20, s78, v20
	s_waitcnt lgkmcnt(0)
	v_readfirstlane_b32 s15, v9
	v_readfirstlane_b32 s14, v8
	s_cmp_lg_u64 s[14:15], 0
	s_cselect_b64 s[14:15], -1, 0
	s_or_b64 s[20:21], vcc, s[14:15]
	s_and_b64 s[20:21], exec, s[20:21]
	s_or_b64 s[30:31], s[20:21], s[30:31]
	s_andn2_b64 s[20:21], s[28:29], exec
	s_and_b64 s[14:15], s[14:15], exec
	s_or_b64 s[28:29], s[20:21], s[14:15]
	s_barrier
	s_andn2_b64 exec, exec, s[30:31]
	s_cbranch_execz .LBB52_114
.LBB52_109:                             ;   Parent Loop BB52_15 Depth=1
                                        ; =>  This Inner Loop Header: Depth=2
	v_cmp_gt_u32_e32 vcc, s60, v30
	s_waitcnt vmcnt(0)
	v_pk_mov_b32 v[4:5], 0, 0
	s_and_saveexec_b64 s[34:35], vcc
	s_cbranch_execz .LBB52_111
; %bb.110:                              ;   in Loop: Header=BB52_109 Depth=2
	v_lshlrev_b64 v[4:5], 3, v[20:21]
	v_mov_b32_e32 v3, s64
	v_add_co_u32_e64 v4, s[20:21], s33, v4
	v_addc_co_u32_e64 v5, s[20:21], v3, v5, s[20:21]
	global_load_dwordx2 v[4:5], v[4:5], off
.LBB52_111:                             ;   in Loop: Header=BB52_109 Depth=2
	s_or_b64 exec, exec, s[34:35]
	s_and_saveexec_b64 s[20:21], vcc
	s_cbranch_execz .LBB52_108
; %bb.112:                              ;   in Loop: Header=BB52_109 Depth=2
	s_waitcnt vmcnt(0)
	v_xor_b32_e32 v3, 0x80000000, v5
	v_and_b32_e32 v9, v3, v15
	v_and_b32_e32 v8, v4, v14
	v_cmp_eq_u64_e32 vcc, v[8:9], v[12:13]
	s_and_b64 exec, exec, vcc
	s_cbranch_execz .LBB52_108
; %bb.113:                              ;   in Loop: Header=BB52_109 Depth=2
	v_mov_b32_e32 v3, v21
	ds_write_b128 v21, v[2:5] offset:3072
	s_branch .LBB52_108
.LBB52_114:                             ;   in Loop: Header=BB52_15 Depth=1
	s_or_b64 exec, exec, s[30:31]
	s_and_b64 s[28:29], s[28:29], exec
.LBB52_115:                             ;   in Loop: Header=BB52_15 Depth=1
	s_or_b64 exec, exec, s[26:27]
	s_mov_b64 s[34:35], -1
	s_mov_b64 s[26:27], 0
	s_mov_b64 s[30:31], 0
.LBB52_116:                             ;   in Loop: Header=BB52_15 Depth=1
	s_orn2_b64 s[40:41], s[28:29], exec
.LBB52_117:                             ;   in Loop: Header=BB52_15 Depth=1
	s_or_b64 exec, exec, s[8:9]
	s_mov_b64 s[36:37], 0
	s_mov_b64 s[28:29], 0
	;; [unrolled: 1-line block ×3, first 2 shown]
                                        ; implicit-def: $vgpr3
                                        ; implicit-def: $vgpr30
	s_and_saveexec_b64 s[38:39], s[40:41]
	s_cbranch_execz .LBB52_252
; %bb.118:                              ;   in Loop: Header=BB52_15 Depth=1
	s_xor_b64 s[14:15], s[16:17], -1
	v_mov_b32_e32 v30, 1
	v_mov_b32_e32 v3, 1
	s_and_saveexec_b64 s[8:9], s[14:15]
	s_cbranch_execz .LBB52_128
; %bb.119:                              ;   in Loop: Header=BB52_15 Depth=1
	v_cmp_ge_u32_e32 vcc, s63, v47
                                        ; implicit-def: $sgpr14
                                        ; implicit-def: $sgpr16_sgpr17
	s_and_saveexec_b64 s[20:21], vcc
	s_xor_b64 s[20:21], exec, s[20:21]
	s_cbranch_execz .LBB52_125
; %bb.120:                              ;   in Loop: Header=BB52_15 Depth=1
	ds_read_b32 v3, v21 offset:4096
	s_waitcnt lgkmcnt(0)
	v_cmp_ne_u32_e32 vcc, 0, v3
	s_cbranch_vccnz .LBB52_124
; %bb.121:                              ;   in Loop: Header=BB52_15 Depth=1
	s_mov_b64 s[16:17], exec
	v_readlane_b32 s14, v59, 5
	v_readlane_b32 s15, v59, 6
	s_and_b64 s[14:15], s[16:17], s[14:15]
	s_mov_b64 exec, s[14:15]
	s_cbranch_execz .LBB52_123
; %bb.122:                              ;   in Loop: Header=BB52_15 Depth=1
	v_mov_b32_e32 v3, s63
	ds_write_b32 v21, v3 offset:4100
.LBB52_123:                             ;   in Loop: Header=BB52_15 Depth=1
	s_or_b64 exec, exec, s[16:17]
	s_waitcnt lgkmcnt(0)
	s_barrier
.LBB52_124:                             ;   in Loop: Header=BB52_15 Depth=1
	v_and_b32_e32 v13, s25, v13
	v_and_b32_e32 v12, s24, v12
	v_or_b32_e32 v15, s23, v15
	v_or_b32_e32 v14, s22, v14
	s_mov_b64 s[16:17], 0
	s_mov_b32 s14, 8
.LBB52_125:                             ;   in Loop: Header=BB52_15 Depth=1
	s_or_saveexec_b64 s[20:21], s[20:21]
	v_mov_b32_e32 v3, s14
	v_mov_b32_e32 v30, v47
	s_xor_b64 exec, exec, s[20:21]
; %bb.126:                              ;   in Loop: Header=BB52_15 Depth=1
	v_subrev_u32_e32 v30, s63, v47
	v_mov_b32_e32 v3, 0
	s_or_b64 s[16:17], s[16:17], exec
; %bb.127:                              ;   in Loop: Header=BB52_15 Depth=1
	s_or_b64 exec, exec, s[20:21]
	s_and_b64 s[20:21], s[16:17], exec
.LBB52_128:                             ;   in Loop: Header=BB52_15 Depth=1
	s_or_b64 exec, exec, s[8:9]
	s_mov_b64 s[42:43], -1
                                        ; implicit-def: $sgpr8_sgpr9
                                        ; implicit-def: $sgpr16_sgpr17
                                        ; implicit-def: $sgpr40_sgpr41
	s_and_saveexec_b64 s[14:15], s[20:21]
	s_xor_b64 s[28:29], exec, s[14:15]
	s_cbranch_execz .LBB52_249
; %bb.129:                              ;   in Loop: Header=BB52_15 Depth=1
	s_cmp_eq_u32 s4, 1
	s_cselect_b64 s[8:9], -1, 0
	v_cmp_eq_u32_e32 vcc, 1, v30
	s_and_b64 s[16:17], s[8:9], vcc
	s_mov_b64 s[48:49], -1
                                        ; implicit-def: $sgpr40_sgpr41
                                        ; implicit-def: $sgpr44_sgpr45
                                        ; implicit-def: $sgpr42_sgpr43
	s_and_saveexec_b64 s[8:9], s[16:17]
	s_cbranch_execz .LBB52_155
; %bb.130:                              ;   in Loop: Header=BB52_15 Depth=1
	ds_read_b32 v3, v21 offset:4096
	s_waitcnt lgkmcnt(0)
	s_barrier
	v_readfirstlane_b32 s14, v3
	s_mov_b64 s[20:21], exec
	v_readlane_b32 s40, v59, 29
	v_readlane_b32 s41, v59, 30
	s_and_b64 s[40:41], s[20:21], s[40:41]
	s_mov_b64 exec, s[40:41]
	s_cbranch_execz .LBB52_132
; %bb.131:                              ;   in Loop: Header=BB52_15 Depth=1
	v_mov_b32_e32 v20, v21
	ds_write_b64 v37, v[20:21]
.LBB52_132:                             ;   in Loop: Header=BB52_15 Depth=1
	s_or_b64 exec, exec, s[20:21]
	s_lshl_b64 s[20:21], 1, s5
	v_and_b32_e32 v3, s25, v13
	s_waitcnt vmcnt(0)
	v_and_b32_e32 v4, s24, v12
	v_or_b32_e32 v13, s21, v3
	v_or_b32_e32 v12, s20, v4
	v_or_b32_e32 v15, s23, v15
	v_or_b32_e32 v14, s22, v14
	s_cmp_eq_u32 s14, 0
	s_waitcnt lgkmcnt(0)
	s_barrier
	s_cbranch_scc1 .LBB52_141
; %bb.133:                              ;   in Loop: Header=BB52_15 Depth=1
	v_readlane_b32 s15, v59, 22
	s_add_i32 s15, s14, s15
	v_readlane_b32 s20, v59, 46
	s_mul_hi_u32 s20, s15, s20
	s_mul_i32 s20, s20, s66
	s_sub_i32 s20, s15, s20
	s_sub_i32 s21, s20, s66
	s_cmp_ge_u32 s20, s66
	s_cselect_b32 s20, s21, s20
	s_sub_i32 s21, s20, s66
	s_cmp_ge_u32 s20, s66
	s_cselect_b32 s20, s21, s20
	s_sub_i32 s15, s15, s20
	v_cmp_gt_u32_e32 vcc, s15, v0
	s_mov_b64 s[46:47], 0
                                        ; implicit-def: $vgpr10_vgpr11
	s_and_saveexec_b64 s[20:21], vcc
	s_cbranch_execz .LBB52_143
; %bb.134:                              ;   in Loop: Header=BB52_15 Depth=1
	s_mov_b64 s[42:43], 0
	v_mov_b32_e32 v20, v36
	v_mov_b32_e32 v31, v0
                                        ; implicit-def: $sgpr40_sgpr41
	s_branch .LBB52_136
.LBB52_135:                             ;   in Loop: Header=BB52_136 Depth=2
	s_or_b64 exec, exec, s[44:45]
	s_waitcnt lgkmcnt(0)
	s_barrier
	ds_read_b128 v[8:11], v21 offset:3072
	v_add_u32_e32 v31, s66, v31
	v_cmp_le_u32_e32 vcc, s15, v31
	v_add_u32_e32 v20, s10, v20
	s_waitcnt lgkmcnt(0)
	v_readfirstlane_b32 s45, v9
	v_readfirstlane_b32 s44, v8
	s_cmp_lg_u64 s[44:45], 0
	s_cselect_b64 s[44:45], -1, 0
	s_or_b64 s[46:47], vcc, s[44:45]
	s_and_b64 s[46:47], exec, s[46:47]
	s_or_b64 s[42:43], s[46:47], s[42:43]
	s_andn2_b64 s[40:41], s[40:41], exec
	s_and_b64 s[44:45], s[44:45], exec
	s_or_b64 s[40:41], s[40:41], s[44:45]
	s_barrier
	s_andn2_b64 exec, exec, s[42:43]
	s_cbranch_execz .LBB52_142
.LBB52_136:                             ;   Parent Loop BB52_15 Depth=1
                                        ; =>  This Inner Loop Header: Depth=2
	v_cmp_gt_u32_e32 vcc, s14, v31
	v_pk_mov_b32 v[4:5], 0, 0
	s_and_saveexec_b64 s[44:45], vcc
	s_cbranch_execz .LBB52_138
; %bb.137:                              ;   in Loop: Header=BB52_136 Depth=2
	ds_read_b64 v[4:5], v20
.LBB52_138:                             ;   in Loop: Header=BB52_136 Depth=2
	s_or_b64 exec, exec, s[44:45]
	s_and_saveexec_b64 s[44:45], vcc
	s_cbranch_execz .LBB52_135
; %bb.139:                              ;   in Loop: Header=BB52_136 Depth=2
	s_waitcnt lgkmcnt(0)
	v_xor_b32_e32 v3, 0x80000000, v5
	v_and_b32_e32 v9, v3, v15
	v_and_b32_e32 v8, v4, v14
	v_cmp_eq_u64_e32 vcc, v[8:9], v[12:13]
	s_and_b64 exec, exec, vcc
	s_cbranch_execz .LBB52_135
; %bb.140:                              ;   in Loop: Header=BB52_136 Depth=2
	v_mov_b32_e32 v3, v21
	ds_write_b128 v21, v[2:5] offset:3072
	s_branch .LBB52_135
.LBB52_141:                             ;   in Loop: Header=BB52_15 Depth=1
	s_mov_b64 s[40:41], -1
	s_mov_b64 s[46:47], 0
                                        ; implicit-def: $sgpr42_sgpr43
                                        ; implicit-def: $vgpr10_vgpr11
	s_mov_b64 s[44:45], s[40:41]
	s_cbranch_execnz .LBB52_144
	s_branch .LBB52_154
.LBB52_142:                             ;   in Loop: Header=BB52_15 Depth=1
	s_or_b64 exec, exec, s[42:43]
	s_and_b64 s[46:47], s[40:41], exec
.LBB52_143:                             ;   in Loop: Header=BB52_15 Depth=1
	s_or_b64 exec, exec, s[20:21]
	s_mov_b64 s[42:43], -1
	s_mov_b64 s[40:41], 0
	s_mov_b64 s[44:45], s[40:41]
	s_branch .LBB52_154
.LBB52_144:                             ;   in Loop: Header=BB52_15 Depth=1
	s_mov_b64 s[46:47], 0
                                        ; implicit-def: $vgpr10_vgpr11
	s_mov_b64 s[40:41], exec
	v_readlane_b32 s14, v59, 47
	v_readlane_b32 s15, v59, 48
	s_and_b64 s[14:15], s[40:41], s[14:15]
	s_mov_b64 exec, s[14:15]
	s_cbranch_execz .LBB52_153
; %bb.145:                              ;   in Loop: Header=BB52_15 Depth=1
	s_mov_b64 s[44:45], 0
	v_mov_b32_e32 v20, v22
	v_mov_b32_e32 v31, v0
                                        ; implicit-def: $sgpr42_sgpr43
	s_branch .LBB52_147
.LBB52_146:                             ;   in Loop: Header=BB52_147 Depth=2
	s_or_b64 exec, exec, s[20:21]
	s_waitcnt lgkmcnt(0)
	s_barrier
	ds_read_b128 v[8:11], v21 offset:3072
	v_add_u32_e32 v31, s66, v31
	v_cmp_le_u32_e32 vcc, s6, v31
	v_add_u32_e32 v20, s78, v20
	s_waitcnt lgkmcnt(0)
	v_readfirstlane_b32 s15, v9
	v_readfirstlane_b32 s14, v8
	s_cmp_lg_u64 s[14:15], 0
	s_cselect_b64 s[14:15], -1, 0
	s_or_b64 s[20:21], vcc, s[14:15]
	s_and_b64 s[20:21], exec, s[20:21]
	s_or_b64 s[44:45], s[20:21], s[44:45]
	s_andn2_b64 s[20:21], s[42:43], exec
	s_and_b64 s[14:15], s[14:15], exec
	s_or_b64 s[42:43], s[20:21], s[14:15]
	s_barrier
	s_andn2_b64 exec, exec, s[44:45]
	s_cbranch_execz .LBB52_152
.LBB52_147:                             ;   Parent Loop BB52_15 Depth=1
                                        ; =>  This Inner Loop Header: Depth=2
	v_cmp_gt_u32_e32 vcc, s60, v31
	s_waitcnt vmcnt(0)
	v_pk_mov_b32 v[4:5], 0, 0
	s_and_saveexec_b64 s[46:47], vcc
	s_cbranch_execz .LBB52_149
; %bb.148:                              ;   in Loop: Header=BB52_147 Depth=2
	v_lshlrev_b64 v[4:5], 3, v[20:21]
	v_mov_b32_e32 v3, s64
	v_add_co_u32_e64 v4, s[20:21], s33, v4
	v_addc_co_u32_e64 v5, s[20:21], v3, v5, s[20:21]
	global_load_dwordx2 v[4:5], v[4:5], off
.LBB52_149:                             ;   in Loop: Header=BB52_147 Depth=2
	s_or_b64 exec, exec, s[46:47]
	s_and_saveexec_b64 s[20:21], vcc
	s_cbranch_execz .LBB52_146
; %bb.150:                              ;   in Loop: Header=BB52_147 Depth=2
	s_waitcnt vmcnt(0)
	v_xor_b32_e32 v3, 0x80000000, v5
	v_and_b32_e32 v9, v3, v15
	v_and_b32_e32 v8, v4, v14
	v_cmp_eq_u64_e32 vcc, v[8:9], v[12:13]
	s_and_b64 exec, exec, vcc
	s_cbranch_execz .LBB52_146
; %bb.151:                              ;   in Loop: Header=BB52_147 Depth=2
	v_mov_b32_e32 v3, v21
	ds_write_b128 v21, v[2:5] offset:3072
	s_branch .LBB52_146
.LBB52_152:                             ;   in Loop: Header=BB52_15 Depth=1
	s_or_b64 exec, exec, s[44:45]
	s_and_b64 s[46:47], s[42:43], exec
.LBB52_153:                             ;   in Loop: Header=BB52_15 Depth=1
	s_or_b64 exec, exec, s[40:41]
	s_mov_b64 s[44:45], -1
	s_mov_b64 s[40:41], 0
	s_mov_b64 s[42:43], 0
.LBB52_154:                             ;   in Loop: Header=BB52_15 Depth=1
	s_orn2_b64 s[48:49], s[46:47], exec
.LBB52_155:                             ;   in Loop: Header=BB52_15 Depth=1
	s_or_b64 exec, exec, s[8:9]
	s_mov_b64 s[20:21], 0
                                        ; implicit-def: $vgpr3
	s_and_saveexec_b64 s[46:47], s[48:49]
	s_cbranch_execz .LBB52_248
; %bb.156:                              ;   in Loop: Header=BB52_15 Depth=1
	s_xor_b64 s[14:15], s[16:17], -1
	s_mov_b64 s[52:53], 0
	v_mov_b32_e32 v31, 1
	v_mov_b32_e32 v3, 1
	s_and_saveexec_b64 s[8:9], s[14:15]
	s_cbranch_execz .LBB52_166
; %bb.157:                              ;   in Loop: Header=BB52_15 Depth=1
	v_cmp_ge_u32_e32 vcc, s4, v30
                                        ; implicit-def: $sgpr14
                                        ; implicit-def: $sgpr16_sgpr17
	s_and_saveexec_b64 s[20:21], vcc
	s_xor_b64 s[20:21], exec, s[20:21]
	s_cbranch_execz .LBB52_163
; %bb.158:                              ;   in Loop: Header=BB52_15 Depth=1
	ds_read_b32 v3, v21 offset:4096
	s_waitcnt lgkmcnt(0)
	v_cmp_ne_u32_e32 vcc, 0, v3
	s_cbranch_vccnz .LBB52_162
; %bb.159:                              ;   in Loop: Header=BB52_15 Depth=1
	s_mov_b64 s[16:17], exec
	v_readlane_b32 s14, v59, 5
	v_readlane_b32 s15, v59, 6
	s_and_b64 s[14:15], s[16:17], s[14:15]
	s_mov_b64 exec, s[14:15]
	s_cbranch_execz .LBB52_161
; %bb.160:                              ;   in Loop: Header=BB52_15 Depth=1
	v_mov_b32_e32 v3, s4
	ds_write_b32 v21, v3 offset:4100
.LBB52_161:                             ;   in Loop: Header=BB52_15 Depth=1
	s_or_b64 exec, exec, s[16:17]
	s_waitcnt lgkmcnt(0)
	s_barrier
.LBB52_162:                             ;   in Loop: Header=BB52_15 Depth=1
	s_lshl_b64 s[14:15], 1, s5
	v_and_b32_e32 v3, s25, v13
	s_waitcnt vmcnt(0)
	v_and_b32_e32 v4, s24, v12
	v_or_b32_e32 v13, s15, v3
	v_or_b32_e32 v12, s14, v4
	;; [unrolled: 1-line block ×4, first 2 shown]
	s_mov_b64 s[16:17], 0
	s_mov_b32 s14, 8
.LBB52_163:                             ;   in Loop: Header=BB52_15 Depth=1
	s_or_saveexec_b64 s[20:21], s[20:21]
	v_mov_b32_e32 v3, s14
	s_xor_b64 exec, exec, s[20:21]
; %bb.164:                              ;   in Loop: Header=BB52_15 Depth=1
	v_subrev_u32_e32 v30, s4, v30
	v_mov_b32_e32 v3, 0
	s_or_b64 s[16:17], s[16:17], exec
; %bb.165:                              ;   in Loop: Header=BB52_15 Depth=1
	s_or_b64 exec, exec, s[20:21]
	s_and_b64 s[52:53], s[16:17], exec
	v_mov_b32_e32 v31, v30
.LBB52_166:                             ;   in Loop: Header=BB52_15 Depth=1
	s_or_b64 exec, exec, s[8:9]
	s_mov_b64 s[8:9], -1
                                        ; implicit-def: $sgpr16_sgpr17
                                        ; implicit-def: $sgpr20_sgpr21
                                        ; implicit-def: $sgpr50_sgpr51
	s_and_saveexec_b64 s[48:49], s[52:53]
	s_cbranch_execz .LBB52_247
; %bb.167:                              ;   in Loop: Header=BB52_15 Depth=1
	s_cmp_eq_u32 s74, 1
	s_cselect_b64 s[8:9], -1, 0
	v_cmp_eq_u32_e32 vcc, 1, v31
	s_and_b64 s[16:17], s[8:9], vcc
	s_mov_b64 s[20:21], -1
                                        ; implicit-def: $sgpr50_sgpr51
                                        ; implicit-def: $sgpr54_sgpr55
                                        ; implicit-def: $sgpr52_sgpr53
	s_and_saveexec_b64 s[8:9], s[16:17]
	s_cbranch_execz .LBB52_193
; %bb.168:                              ;   in Loop: Header=BB52_15 Depth=1
	ds_read_b32 v3, v21 offset:4096
	s_waitcnt lgkmcnt(0)
	s_barrier
	v_readfirstlane_b32 s14, v3
	s_mov_b64 s[20:21], exec
	v_readlane_b32 s50, v59, 29
	v_readlane_b32 s51, v59, 30
	s_and_b64 s[50:51], s[20:21], s[50:51]
	s_mov_b64 exec, s[50:51]
	s_cbranch_execz .LBB52_170
; %bb.169:                              ;   in Loop: Header=BB52_15 Depth=1
	v_mov_b32_e32 v20, v21
	ds_write_b64 v37, v[20:21]
.LBB52_170:                             ;   in Loop: Header=BB52_15 Depth=1
	s_or_b64 exec, exec, s[20:21]
	s_lshl_b64 s[20:21], 2, s5
	v_and_b32_e32 v3, s25, v13
	s_waitcnt vmcnt(0)
	v_and_b32_e32 v4, s24, v12
	v_or_b32_e32 v13, s21, v3
	v_or_b32_e32 v12, s20, v4
	;; [unrolled: 1-line block ×4, first 2 shown]
	s_cmp_eq_u32 s14, 0
	s_waitcnt lgkmcnt(0)
	s_barrier
	s_cbranch_scc1 .LBB52_179
; %bb.171:                              ;   in Loop: Header=BB52_15 Depth=1
	v_readlane_b32 s15, v59, 22
	s_add_i32 s15, s14, s15
	v_readlane_b32 s20, v59, 46
	s_mul_hi_u32 s20, s15, s20
	s_mul_i32 s20, s20, s66
	s_sub_i32 s20, s15, s20
	s_sub_i32 s21, s20, s66
	s_cmp_ge_u32 s20, s66
	s_cselect_b32 s20, s21, s20
	s_sub_i32 s21, s20, s66
	s_cmp_ge_u32 s20, s66
	s_cselect_b32 s20, s21, s20
	s_sub_i32 s15, s15, s20
	v_cmp_gt_u32_e32 vcc, s15, v0
	s_mov_b64 s[56:57], 0
                                        ; implicit-def: $vgpr10_vgpr11
	s_and_saveexec_b64 s[20:21], vcc
	s_cbranch_execz .LBB52_181
; %bb.172:                              ;   in Loop: Header=BB52_15 Depth=1
	s_mov_b64 s[52:53], 0
	v_mov_b32_e32 v20, v36
	v_mov_b32_e32 v30, v0
                                        ; implicit-def: $sgpr50_sgpr51
	s_branch .LBB52_174
.LBB52_173:                             ;   in Loop: Header=BB52_174 Depth=2
	s_or_b64 exec, exec, s[54:55]
	s_waitcnt lgkmcnt(0)
	s_barrier
	ds_read_b128 v[8:11], v21 offset:3072
	v_add_u32_e32 v30, s66, v30
	v_cmp_le_u32_e32 vcc, s15, v30
	v_add_u32_e32 v20, s10, v20
	s_waitcnt lgkmcnt(0)
	v_readfirstlane_b32 s55, v9
	v_readfirstlane_b32 s54, v8
	s_cmp_lg_u64 s[54:55], 0
	s_cselect_b64 s[54:55], -1, 0
	s_or_b64 s[56:57], vcc, s[54:55]
	s_and_b64 s[56:57], exec, s[56:57]
	s_or_b64 s[52:53], s[56:57], s[52:53]
	s_andn2_b64 s[50:51], s[50:51], exec
	s_and_b64 s[54:55], s[54:55], exec
	s_or_b64 s[50:51], s[50:51], s[54:55]
	s_barrier
	s_andn2_b64 exec, exec, s[52:53]
	s_cbranch_execz .LBB52_180
.LBB52_174:                             ;   Parent Loop BB52_15 Depth=1
                                        ; =>  This Inner Loop Header: Depth=2
	v_cmp_gt_u32_e32 vcc, s14, v30
	v_pk_mov_b32 v[4:5], 0, 0
	s_and_saveexec_b64 s[54:55], vcc
	s_cbranch_execz .LBB52_176
; %bb.175:                              ;   in Loop: Header=BB52_174 Depth=2
	ds_read_b64 v[4:5], v20
.LBB52_176:                             ;   in Loop: Header=BB52_174 Depth=2
	s_or_b64 exec, exec, s[54:55]
	s_and_saveexec_b64 s[54:55], vcc
	s_cbranch_execz .LBB52_173
; %bb.177:                              ;   in Loop: Header=BB52_174 Depth=2
	s_waitcnt lgkmcnt(0)
	v_xor_b32_e32 v3, 0x80000000, v5
	v_and_b32_e32 v9, v3, v15
	v_and_b32_e32 v8, v4, v14
	v_cmp_eq_u64_e32 vcc, v[8:9], v[12:13]
	s_and_b64 exec, exec, vcc
	s_cbranch_execz .LBB52_173
; %bb.178:                              ;   in Loop: Header=BB52_174 Depth=2
	v_mov_b32_e32 v3, v21
	ds_write_b128 v21, v[2:5] offset:3072
	s_branch .LBB52_173
.LBB52_179:                             ;   in Loop: Header=BB52_15 Depth=1
	s_mov_b64 s[50:51], -1
	s_mov_b64 s[56:57], 0
                                        ; implicit-def: $sgpr52_sgpr53
                                        ; implicit-def: $vgpr10_vgpr11
	s_mov_b64 s[54:55], s[50:51]
	s_cbranch_execnz .LBB52_182
	s_branch .LBB52_192
.LBB52_180:                             ;   in Loop: Header=BB52_15 Depth=1
	s_or_b64 exec, exec, s[52:53]
	s_and_b64 s[56:57], s[50:51], exec
.LBB52_181:                             ;   in Loop: Header=BB52_15 Depth=1
	s_or_b64 exec, exec, s[20:21]
	s_mov_b64 s[52:53], -1
	s_mov_b64 s[50:51], 0
	s_mov_b64 s[54:55], s[50:51]
	s_branch .LBB52_192
.LBB52_182:                             ;   in Loop: Header=BB52_15 Depth=1
	s_mov_b64 s[56:57], 0
                                        ; implicit-def: $vgpr10_vgpr11
	s_mov_b64 s[50:51], exec
	v_readlane_b32 s14, v59, 47
	v_readlane_b32 s15, v59, 48
	s_and_b64 s[14:15], s[50:51], s[14:15]
	s_mov_b64 exec, s[14:15]
	s_cbranch_execz .LBB52_191
; %bb.183:                              ;   in Loop: Header=BB52_15 Depth=1
	s_mov_b64 s[54:55], 0
	v_mov_b32_e32 v20, v22
	v_mov_b32_e32 v30, v0
                                        ; implicit-def: $sgpr52_sgpr53
	s_branch .LBB52_185
.LBB52_184:                             ;   in Loop: Header=BB52_185 Depth=2
	s_or_b64 exec, exec, s[20:21]
	s_waitcnt lgkmcnt(0)
	s_barrier
	ds_read_b128 v[8:11], v21 offset:3072
	v_add_u32_e32 v30, s66, v30
	v_cmp_le_u32_e32 vcc, s6, v30
	v_add_u32_e32 v20, s78, v20
	s_waitcnt lgkmcnt(0)
	v_readfirstlane_b32 s15, v9
	v_readfirstlane_b32 s14, v8
	s_cmp_lg_u64 s[14:15], 0
	s_cselect_b64 s[14:15], -1, 0
	s_or_b64 s[20:21], vcc, s[14:15]
	s_and_b64 s[20:21], exec, s[20:21]
	s_or_b64 s[54:55], s[20:21], s[54:55]
	s_andn2_b64 s[20:21], s[52:53], exec
	s_and_b64 s[14:15], s[14:15], exec
	s_or_b64 s[52:53], s[20:21], s[14:15]
	s_barrier
	s_andn2_b64 exec, exec, s[54:55]
	s_cbranch_execz .LBB52_190
.LBB52_185:                             ;   Parent Loop BB52_15 Depth=1
                                        ; =>  This Inner Loop Header: Depth=2
	v_cmp_gt_u32_e32 vcc, s60, v30
	s_waitcnt vmcnt(0)
	v_pk_mov_b32 v[4:5], 0, 0
	s_and_saveexec_b64 s[56:57], vcc
	s_cbranch_execz .LBB52_187
; %bb.186:                              ;   in Loop: Header=BB52_185 Depth=2
	v_lshlrev_b64 v[4:5], 3, v[20:21]
	v_mov_b32_e32 v3, s64
	v_add_co_u32_e64 v4, s[20:21], s33, v4
	v_addc_co_u32_e64 v5, s[20:21], v3, v5, s[20:21]
	global_load_dwordx2 v[4:5], v[4:5], off
.LBB52_187:                             ;   in Loop: Header=BB52_185 Depth=2
	s_or_b64 exec, exec, s[56:57]
	s_and_saveexec_b64 s[20:21], vcc
	s_cbranch_execz .LBB52_184
; %bb.188:                              ;   in Loop: Header=BB52_185 Depth=2
	s_waitcnt vmcnt(0)
	v_xor_b32_e32 v3, 0x80000000, v5
	v_and_b32_e32 v9, v3, v15
	v_and_b32_e32 v8, v4, v14
	v_cmp_eq_u64_e32 vcc, v[8:9], v[12:13]
	s_and_b64 exec, exec, vcc
	s_cbranch_execz .LBB52_184
; %bb.189:                              ;   in Loop: Header=BB52_185 Depth=2
	v_mov_b32_e32 v3, v21
	ds_write_b128 v21, v[2:5] offset:3072
	s_branch .LBB52_184
.LBB52_190:                             ;   in Loop: Header=BB52_15 Depth=1
	s_or_b64 exec, exec, s[54:55]
	s_and_b64 s[56:57], s[52:53], exec
.LBB52_191:                             ;   in Loop: Header=BB52_15 Depth=1
	s_or_b64 exec, exec, s[50:51]
	s_mov_b64 s[54:55], -1
	s_mov_b64 s[50:51], 0
	s_mov_b64 s[52:53], 0
.LBB52_192:                             ;   in Loop: Header=BB52_15 Depth=1
	s_orn2_b64 s[20:21], s[56:57], exec
.LBB52_193:                             ;   in Loop: Header=BB52_15 Depth=1
	s_or_b64 exec, exec, s[8:9]
	s_mov_b64 s[8:9], 0
                                        ; implicit-def: $vgpr3
	s_and_saveexec_b64 s[56:57], s[20:21]
	s_cbranch_execz .LBB52_246
; %bb.194:                              ;   in Loop: Header=BB52_15 Depth=1
	s_xor_b64 s[14:15], s[16:17], -1
	s_mov_b64 s[76:77], 0
	v_mov_b32_e32 v30, 1
	v_mov_b32_e32 v3, 1
	s_and_saveexec_b64 s[8:9], s[14:15]
	s_cbranch_execz .LBB52_204
; %bb.195:                              ;   in Loop: Header=BB52_15 Depth=1
	v_cmp_ge_u32_e32 vcc, s74, v31
                                        ; implicit-def: $sgpr14
                                        ; implicit-def: $sgpr16_sgpr17
	s_and_saveexec_b64 s[20:21], vcc
	s_xor_b64 s[20:21], exec, s[20:21]
	s_cbranch_execz .LBB52_201
; %bb.196:                              ;   in Loop: Header=BB52_15 Depth=1
	ds_read_b32 v3, v21 offset:4096
	s_waitcnt lgkmcnt(0)
	v_cmp_ne_u32_e32 vcc, 0, v3
	s_cbranch_vccnz .LBB52_200
; %bb.197:                              ;   in Loop: Header=BB52_15 Depth=1
	s_mov_b64 s[16:17], exec
	v_readlane_b32 s14, v59, 5
	v_readlane_b32 s15, v59, 6
	s_and_b64 s[14:15], s[16:17], s[14:15]
	s_mov_b64 exec, s[14:15]
	s_cbranch_execz .LBB52_199
; %bb.198:                              ;   in Loop: Header=BB52_15 Depth=1
	v_mov_b32_e32 v3, s74
	ds_write_b32 v21, v3 offset:4100
.LBB52_199:                             ;   in Loop: Header=BB52_15 Depth=1
	s_or_b64 exec, exec, s[16:17]
	s_waitcnt lgkmcnt(0)
	s_barrier
.LBB52_200:                             ;   in Loop: Header=BB52_15 Depth=1
	s_lshl_b64 s[14:15], 2, s5
	v_and_b32_e32 v3, s25, v13
	s_waitcnt vmcnt(0)
	v_and_b32_e32 v4, s24, v12
	v_or_b32_e32 v13, s15, v3
	v_or_b32_e32 v12, s14, v4
	;; [unrolled: 1-line block ×4, first 2 shown]
	s_mov_b64 s[16:17], 0
	s_mov_b32 s14, 8
.LBB52_201:                             ;   in Loop: Header=BB52_15 Depth=1
	s_or_saveexec_b64 s[20:21], s[20:21]
	v_mov_b32_e32 v3, s14
	s_xor_b64 exec, exec, s[20:21]
; %bb.202:                              ;   in Loop: Header=BB52_15 Depth=1
	v_subrev_u32_e32 v31, s74, v31
	v_mov_b32_e32 v3, 0
	s_or_b64 s[16:17], s[16:17], exec
; %bb.203:                              ;   in Loop: Header=BB52_15 Depth=1
	s_or_b64 exec, exec, s[20:21]
	s_and_b64 s[76:77], s[16:17], exec
	v_mov_b32_e32 v30, v31
.LBB52_204:                             ;   in Loop: Header=BB52_15 Depth=1
	s_or_b64 exec, exec, s[8:9]
	s_mov_b64 s[8:9], -1
                                        ; implicit-def: $sgpr20_sgpr21
                                        ; implicit-def: $sgpr58_sgpr59
                                        ; implicit-def: $sgpr14_sgpr15
                                        ; kill: killed $sgpr14_sgpr15
	s_and_saveexec_b64 s[16:17], s[76:77]
	s_cbranch_execz .LBB52_245
; %bb.205:                              ;   in Loop: Header=BB52_15 Depth=1
	s_cmp_eq_u32 s75, 1
	s_cselect_b64 s[8:9], -1, 0
	v_cmp_eq_u32_e32 vcc, 1, v30
	s_mov_b64 s[76:77], -1
	s_and_b64 s[8:9], s[8:9], vcc
                                        ; implicit-def: $sgpr20_sgpr21
                                        ; implicit-def: $sgpr58_sgpr59
                                        ; implicit-def: $sgpr14_sgpr15
                                        ; kill: killed $sgpr14_sgpr15
	s_mov_b64 s[14:15], exec
	v_writelane_b32 v59, s8, 58
	v_writelane_b32 v59, s9, 59
	;; [unrolled: 1-line block ×3, first 2 shown]
	s_and_b64 s[8:9], s[14:15], s[8:9]
	v_writelane_b32 v59, s15, 61
                                        ; implicit-def: $vgpr58 : SGPR spill to VGPR lane
	s_mov_b64 exec, s[8:9]
	s_cbranch_execz .LBB52_232
; %bb.206:                              ;   in Loop: Header=BB52_15 Depth=1
	ds_read_b32 v3, v21 offset:4096
	s_waitcnt lgkmcnt(0)
	s_barrier
	v_readfirstlane_b32 s14, v3
	s_mov_b64 s[8:9], exec
	v_readlane_b32 s20, v59, 29
	v_readlane_b32 s21, v59, 30
	s_and_b64 s[20:21], s[8:9], s[20:21]
	s_mov_b64 exec, s[20:21]
	s_cbranch_execz .LBB52_208
; %bb.207:                              ;   in Loop: Header=BB52_15 Depth=1
	v_mov_b32_e32 v20, v21
	ds_write_b64 v37, v[20:21]
.LBB52_208:                             ;   in Loop: Header=BB52_15 Depth=1
	s_or_b64 exec, exec, s[8:9]
	v_or_b32_e32 v13, s23, v13
	v_or_b32_e32 v12, s22, v12
	;; [unrolled: 1-line block ×4, first 2 shown]
	s_cmp_eq_u32 s14, 0
	s_waitcnt lgkmcnt(0)
	s_barrier
	s_cbranch_scc1 .LBB52_217
; %bb.209:                              ;   in Loop: Header=BB52_15 Depth=1
	v_readlane_b32 s8, v59, 22
	s_add_i32 s8, s14, s8
	v_readlane_b32 s9, v59, 46
	s_mul_hi_u32 s9, s8, s9
	s_mul_i32 s9, s9, s66
	s_sub_i32 s9, s8, s9
	s_sub_i32 s15, s9, s66
	s_cmp_ge_u32 s9, s66
	s_cselect_b32 s9, s15, s9
	s_sub_i32 s15, s9, s66
	s_cmp_ge_u32 s9, s66
	s_cselect_b32 s9, s15, s9
	s_sub_i32 s15, s8, s9
	s_mov_b64 s[76:77], 0
	v_cmp_gt_u32_e32 vcc, s15, v0
                                        ; implicit-def: $vgpr10_vgpr11
	s_mov_b64 s[8:9], exec
	v_writelane_b32 v58, s8, 0
	v_writelane_b32 v58, s9, 1
	s_and_b64 s[8:9], s[8:9], vcc
	s_mov_b64 exec, s[8:9]
	s_cbranch_execz .LBB52_219
; %bb.210:                              ;   in Loop: Header=BB52_15 Depth=1
	v_mov_b32_e32 v20, v36
	v_mov_b32_e32 v31, v0
                                        ; implicit-def: $sgpr58_sgpr59
	s_branch .LBB52_212
.LBB52_211:                             ;   in Loop: Header=BB52_212 Depth=2
	s_or_b64 exec, exec, s[20:21]
	s_waitcnt lgkmcnt(0)
	s_barrier
	ds_read_b128 v[8:11], v21 offset:3072
	v_add_u32_e32 v31, s66, v31
	v_cmp_le_u32_e32 vcc, s15, v31
	v_add_u32_e32 v20, s10, v20
	s_waitcnt lgkmcnt(0)
	v_readfirstlane_b32 s9, v9
	v_readfirstlane_b32 s8, v8
	s_cmp_lg_u64 s[8:9], 0
	s_cselect_b64 s[8:9], -1, 0
	s_or_b64 s[20:21], vcc, s[8:9]
	s_and_b64 s[20:21], exec, s[20:21]
	s_or_b64 s[76:77], s[20:21], s[76:77]
	s_andn2_b64 s[20:21], s[58:59], exec
	s_and_b64 s[8:9], s[8:9], exec
	s_or_b64 s[58:59], s[20:21], s[8:9]
	s_barrier
	s_andn2_b64 exec, exec, s[76:77]
	s_cbranch_execz .LBB52_218
.LBB52_212:                             ;   Parent Loop BB52_15 Depth=1
                                        ; =>  This Inner Loop Header: Depth=2
	v_cmp_gt_u32_e32 vcc, s14, v31
	s_waitcnt vmcnt(0)
	v_pk_mov_b32 v[4:5], 0, 0
	s_and_saveexec_b64 s[8:9], vcc
	s_cbranch_execz .LBB52_214
; %bb.213:                              ;   in Loop: Header=BB52_212 Depth=2
	ds_read_b64 v[4:5], v20
.LBB52_214:                             ;   in Loop: Header=BB52_212 Depth=2
	s_or_b64 exec, exec, s[8:9]
	s_and_saveexec_b64 s[20:21], vcc
	s_cbranch_execz .LBB52_211
; %bb.215:                              ;   in Loop: Header=BB52_212 Depth=2
	s_waitcnt lgkmcnt(0)
	v_xor_b32_e32 v3, 0x80000000, v5
	v_and_b32_e32 v9, v3, v15
	v_and_b32_e32 v8, v4, v14
	v_cmp_eq_u64_e32 vcc, v[8:9], v[12:13]
	s_and_b64 exec, exec, vcc
	s_cbranch_execz .LBB52_211
; %bb.216:                              ;   in Loop: Header=BB52_212 Depth=2
	v_mov_b32_e32 v3, v21
	ds_write_b128 v21, v[2:5] offset:3072
	s_branch .LBB52_211
.LBB52_217:                             ;   in Loop: Header=BB52_15 Depth=1
	s_mov_b64 s[20:21], -1
	s_mov_b64 s[76:77], 0
                                        ; implicit-def: $sgpr8_sgpr9
                                        ; implicit-def: $vgpr10_vgpr11
	s_branch .LBB52_220
.LBB52_218:                             ;   in Loop: Header=BB52_15 Depth=1
	s_or_b64 exec, exec, s[76:77]
	s_and_b64 s[76:77], s[58:59], exec
.LBB52_219:                             ;   in Loop: Header=BB52_15 Depth=1
	v_readlane_b32 s8, v58, 0
	v_readlane_b32 s9, v58, 1
	s_or_b64 exec, exec, s[8:9]
	s_mov_b64 s[8:9], -1
	s_mov_b64 s[20:21], 0
.LBB52_220:                             ;   in Loop: Header=BB52_15 Depth=1
	s_and_b64 vcc, exec, s[20:21]
	s_mov_b64 s[58:59], s[20:21]
	s_cbranch_vccz .LBB52_231
; %bb.221:                              ;   in Loop: Header=BB52_15 Depth=1
	s_mov_b64 s[76:77], 0
                                        ; implicit-def: $vgpr10_vgpr11
	s_mov_b64 s[14:15], exec
	v_readlane_b32 s8, v59, 47
	v_readlane_b32 s9, v59, 48
	v_writelane_b32 v58, s14, 2
	s_and_b64 s[8:9], s[14:15], s[8:9]
	v_writelane_b32 v58, s15, 3
	s_mov_b64 exec, s[8:9]
	s_cbranch_execz .LBB52_230
; %bb.222:                              ;   in Loop: Header=BB52_15 Depth=1
	s_mov_b64 s[58:59], 0
	v_mov_b32_e32 v20, v22
	v_mov_b32_e32 v31, v0
                                        ; implicit-def: $sgpr76_sgpr77
	s_branch .LBB52_224
.LBB52_223:                             ;   in Loop: Header=BB52_224 Depth=2
	s_or_b64 exec, exec, s[20:21]
	s_waitcnt lgkmcnt(0)
	s_barrier
	ds_read_b128 v[8:11], v21 offset:3072
	v_add_u32_e32 v31, s66, v31
	v_cmp_le_u32_e32 vcc, s6, v31
	v_add_u32_e32 v20, s78, v20
	s_waitcnt lgkmcnt(0)
	v_readfirstlane_b32 s9, v9
	v_readfirstlane_b32 s8, v8
	s_cmp_lg_u64 s[8:9], 0
	s_cselect_b64 s[8:9], -1, 0
	s_or_b64 s[14:15], vcc, s[8:9]
	s_and_b64 s[14:15], exec, s[14:15]
	s_or_b64 s[58:59], s[14:15], s[58:59]
	s_andn2_b64 s[14:15], s[76:77], exec
	s_and_b64 s[8:9], s[8:9], exec
	s_or_b64 s[76:77], s[14:15], s[8:9]
	s_barrier
	s_andn2_b64 exec, exec, s[58:59]
	s_cbranch_execz .LBB52_229
.LBB52_224:                             ;   Parent Loop BB52_15 Depth=1
                                        ; =>  This Inner Loop Header: Depth=2
	v_cmp_gt_u32_e32 vcc, s60, v31
	s_waitcnt vmcnt(0)
	v_pk_mov_b32 v[4:5], 0, 0
	s_and_saveexec_b64 s[8:9], vcc
	s_cbranch_execz .LBB52_226
; %bb.225:                              ;   in Loop: Header=BB52_224 Depth=2
	v_lshlrev_b64 v[4:5], 3, v[20:21]
	v_mov_b32_e32 v3, s64
	v_add_co_u32_e64 v4, s[20:21], s33, v4
	v_addc_co_u32_e64 v5, s[20:21], v3, v5, s[20:21]
	global_load_dwordx2 v[4:5], v[4:5], off
.LBB52_226:                             ;   in Loop: Header=BB52_224 Depth=2
	s_or_b64 exec, exec, s[8:9]
	s_and_saveexec_b64 s[20:21], vcc
	s_cbranch_execz .LBB52_223
; %bb.227:                              ;   in Loop: Header=BB52_224 Depth=2
	s_waitcnt vmcnt(0)
	v_xor_b32_e32 v3, 0x80000000, v5
	v_and_b32_e32 v9, v3, v15
	v_and_b32_e32 v8, v4, v14
	v_cmp_eq_u64_e32 vcc, v[8:9], v[12:13]
	s_and_b64 exec, exec, vcc
	s_cbranch_execz .LBB52_223
; %bb.228:                              ;   in Loop: Header=BB52_224 Depth=2
	v_mov_b32_e32 v3, v21
	ds_write_b128 v21, v[2:5] offset:3072
	s_branch .LBB52_223
.LBB52_229:                             ;   in Loop: Header=BB52_15 Depth=1
	s_or_b64 exec, exec, s[58:59]
	s_and_b64 s[76:77], s[76:77], exec
.LBB52_230:                             ;   in Loop: Header=BB52_15 Depth=1
	v_readlane_b32 s8, v58, 2
	v_readlane_b32 s9, v58, 3
	s_or_b64 exec, exec, s[8:9]
	s_mov_b64 s[58:59], -1
	s_mov_b64 s[20:21], 0
	s_mov_b64 s[8:9], 0
.LBB52_231:                             ;   in Loop: Header=BB52_15 Depth=1
	v_writelane_b32 v59, s8, 62
	s_orn2_b64 s[76:77], s[76:77], exec
	v_writelane_b32 v59, s9, 63
.LBB52_232:                             ;   in Loop: Header=BB52_15 Depth=1
	v_readlane_b32 s8, v59, 60
	v_readlane_b32 s9, v59, 61
	s_or_b64 exec, exec, s[8:9]
	s_mov_b64 vcc, 0
                                        ; implicit-def: $vgpr3
                                        ; implicit-def: $vgpr4
	s_and_saveexec_b64 s[8:9], s[76:77]
	s_cbranch_execz .LBB52_244
; %bb.233:                              ;   in Loop: Header=BB52_15 Depth=1
	v_readlane_b32 s14, v59, 58
	v_readlane_b32 s15, v59, 59
	s_xor_b64 s[14:15], s[14:15], -1
	v_mov_b32_e32 v3, 1
	s_waitcnt vmcnt(0)
	v_mov_b32_e32 v4, 1
	s_and_saveexec_b64 s[76:77], s[14:15]
	s_cbranch_execz .LBB52_243
; %bb.234:                              ;   in Loop: Header=BB52_15 Depth=1
	v_cmp_ge_u32_e32 vcc, s75, v30
                                        ; implicit-def: $sgpr14
                                        ; kill: killed $sgpr14
	s_and_saveexec_b64 s[14:15], vcc
	s_xor_b64 s[14:15], exec, s[14:15]
	s_cbranch_execz .LBB52_240
; %bb.235:                              ;   in Loop: Header=BB52_15 Depth=1
	ds_read_b32 v3, v21 offset:4096
	s_waitcnt lgkmcnt(0)
	v_cmp_ne_u32_e32 vcc, 0, v3
	s_cbranch_vccnz .LBB52_239
; %bb.236:                              ;   in Loop: Header=BB52_15 Depth=1
	v_writelane_b32 v58, s14, 4
	v_writelane_b32 v58, s15, 5
	s_mov_b64 vcc, exec
	v_readlane_b32 s14, v59, 5
	v_readlane_b32 s15, v59, 6
	s_and_b64 s[14:15], vcc, s[14:15]
	s_mov_b64 exec, s[14:15]
	s_cbranch_execz .LBB52_238
; %bb.237:                              ;   in Loop: Header=BB52_15 Depth=1
	v_mov_b32_e32 v3, s75
	ds_write_b32 v21, v3 offset:4100
.LBB52_238:                             ;   in Loop: Header=BB52_15 Depth=1
	s_or_b64 exec, exec, vcc
	v_readlane_b32 s14, v58, 4
	v_readlane_b32 s15, v58, 5
	s_waitcnt lgkmcnt(0)
	s_barrier
.LBB52_239:                             ;   in Loop: Header=BB52_15 Depth=1
	v_or_b32_e32 v13, s23, v13
	v_or_b32_e32 v12, s22, v12
	;; [unrolled: 1-line block ×4, first 2 shown]
	s_mov_b32 vcc_lo, 8
	v_writelane_b32 v58, vcc_lo, 6
.LBB52_240:                             ;   in Loop: Header=BB52_15 Depth=1
	s_or_saveexec_b64 vcc, s[14:15]
	v_readlane_b32 s14, v58, 6
	v_mov_b32_e32 v3, s14
	s_xor_b64 exec, exec, vcc
; %bb.241:                              ;   in Loop: Header=BB52_15 Depth=1
	v_subrev_u32_e32 v30, s75, v30
	v_mov_b32_e32 v3, 8
; %bb.242:                              ;   in Loop: Header=BB52_15 Depth=1
	s_or_b64 exec, exec, vcc
	v_mov_b32_e32 v4, v30
.LBB52_243:                             ;   in Loop: Header=BB52_15 Depth=1
	s_or_b64 exec, exec, s[76:77]
	s_mov_b64 vcc, exec
.LBB52_244:                             ;   in Loop: Header=BB52_15 Depth=1
	s_or_b64 exec, exec, s[8:9]
	s_orn2_b64 s[8:9], vcc, exec
	s_waitcnt vmcnt(0)
	v_mov_b32_e32 v30, v4
.LBB52_245:                             ;   in Loop: Header=BB52_15 Depth=1
	s_or_b64 exec, exec, s[16:17]
	s_andn2_b64 s[14:15], s[50:51], exec
	s_and_b64 s[16:17], s[20:21], exec
	s_or_b64 s[50:51], s[14:15], s[16:17]
	s_andn2_b64 s[14:15], s[54:55], exec
	s_and_b64 s[16:17], s[58:59], exec
	s_or_b64 s[54:55], s[14:15], s[16:17]
	v_readlane_b32 s16, v59, 62
	v_readlane_b32 s17, v59, 63
	s_andn2_b64 s[14:15], s[52:53], exec
	s_and_b64 s[16:17], s[16:17], exec
	s_or_b64 s[52:53], s[14:15], s[16:17]
	s_and_b64 s[8:9], s[8:9], exec
	v_mov_b32_e32 v31, v30
.LBB52_246:                             ;   in Loop: Header=BB52_15 Depth=1
	s_or_b64 exec, exec, s[56:57]
	s_and_b64 s[50:51], s[50:51], exec
	s_and_b64 s[20:21], s[54:55], exec
	;; [unrolled: 1-line block ×3, first 2 shown]
	s_orn2_b64 s[8:9], s[8:9], exec
.LBB52_247:                             ;   in Loop: Header=BB52_15 Depth=1
	s_or_b64 exec, exec, s[48:49]
	s_andn2_b64 s[14:15], s[40:41], exec
	s_and_b64 s[40:41], s[50:51], exec
	s_or_b64 s[40:41], s[14:15], s[40:41]
	s_andn2_b64 s[14:15], s[44:45], exec
	s_and_b64 s[20:21], s[20:21], exec
	s_or_b64 s[44:45], s[14:15], s[20:21]
	s_andn2_b64 s[14:15], s[42:43], exec
	s_and_b64 s[16:17], s[16:17], exec
	s_or_b64 s[42:43], s[14:15], s[16:17]
	s_and_b64 s[20:21], s[8:9], exec
	v_mov_b32_e32 v30, v31
.LBB52_248:                             ;   in Loop: Header=BB52_15 Depth=1
	s_or_b64 exec, exec, s[46:47]
	s_and_b64 s[40:41], s[40:41], exec
	s_and_b64 s[16:17], s[44:45], exec
	;; [unrolled: 1-line block ×3, first 2 shown]
	s_orn2_b64 s[42:43], s[20:21], exec
.LBB52_249:                             ;   in Loop: Header=BB52_15 Depth=1
	s_or_b64 exec, exec, s[28:29]
	s_mov_b64 s[28:29], 0
	s_mov_b64 s[20:21], 0
	s_and_saveexec_b64 s[14:15], s[42:43]
	s_xor_b64 s[42:43], exec, s[14:15]
; %bb.250:                              ;   in Loop: Header=BB52_15 Depth=1
	v_cmp_eq_u32_e32 vcc, 8, v3
	v_cmp_ne_u32_e64 s[20:21], 8, v3
	s_andn2_b64 s[40:41], s[40:41], exec
	s_andn2_b64 s[16:17], s[16:17], exec
	;; [unrolled: 1-line block ×3, first 2 shown]
	s_and_b64 s[20:21], s[20:21], exec
	s_and_b64 s[28:29], vcc, exec
; %bb.251:                              ;   in Loop: Header=BB52_15 Depth=1
	s_or_b64 exec, exec, s[42:43]
	s_andn2_b64 s[14:15], s[26:27], exec
	s_and_b64 s[26:27], s[40:41], exec
	s_or_b64 s[26:27], s[14:15], s[26:27]
	s_andn2_b64 s[14:15], s[34:35], exec
	s_and_b64 s[16:17], s[16:17], exec
	s_or_b64 s[34:35], s[14:15], s[16:17]
	;; [unrolled: 3-line block ×3, first 2 shown]
	s_and_b64 s[20:21], s[20:21], exec
	s_and_b64 s[28:29], s[28:29], exec
.LBB52_252:                             ;   in Loop: Header=BB52_15 Depth=1
	s_or_b64 exec, exec, s[38:39]
	s_and_b64 vcc, exec, s[36:37]
	s_cbranch_vccz .LBB52_102
.LBB52_253:                             ;   in Loop: Header=BB52_15 Depth=1
	s_cmp_eq_u32 s75, 1
	s_cselect_b64 s[8:9], -1, 0
	s_and_b64 s[16:17], s[8:9], s[18:19]
	s_mov_b64 s[18:19], -1
                                        ; implicit-def: $sgpr36_sgpr37
                                        ; implicit-def: $sgpr38_sgpr39
                                        ; implicit-def: $sgpr26_sgpr27
	s_and_saveexec_b64 s[8:9], s[16:17]
	s_cbranch_execz .LBB52_279
; %bb.254:                              ;   in Loop: Header=BB52_15 Depth=1
	ds_read_b32 v3, v21 offset:4096
	s_waitcnt lgkmcnt(0)
	s_barrier
	v_readfirstlane_b32 s14, v3
	s_mov_b64 s[18:19], exec
	v_readlane_b32 s26, v59, 29
	v_readlane_b32 s27, v59, 30
	s_and_b64 s[26:27], s[18:19], s[26:27]
	s_mov_b64 exec, s[26:27]
	s_cbranch_execz .LBB52_256
; %bb.255:                              ;   in Loop: Header=BB52_15 Depth=1
	v_mov_b32_e32 v20, v21
	ds_write_b64 v37, v[20:21]
.LBB52_256:                             ;   in Loop: Header=BB52_15 Depth=1
	s_or_b64 exec, exec, s[18:19]
	v_or_b32_e32 v29, s23, v29
	v_or_b32_e32 v28, s22, v28
	;; [unrolled: 1-line block ×4, first 2 shown]
	s_cmp_eq_u32 s14, 0
	s_waitcnt lgkmcnt(0)
	s_barrier
	s_cbranch_scc1 .LBB52_265
; %bb.257:                              ;   in Loop: Header=BB52_15 Depth=1
	v_readlane_b32 s15, v59, 22
	s_add_i32 s15, s14, s15
	v_readlane_b32 s18, v59, 46
	s_mul_hi_u32 s18, s15, s18
	s_mul_i32 s18, s18, s66
	s_sub_i32 s18, s15, s18
	s_sub_i32 s19, s18, s66
	s_cmp_ge_u32 s18, s66
	s_cselect_b32 s18, s19, s18
	s_sub_i32 s19, s18, s66
	s_cmp_ge_u32 s18, s66
	s_cselect_b32 s18, s19, s18
	s_sub_i32 s15, s15, s18
	v_cmp_gt_u32_e32 vcc, s15, v0
	s_mov_b64 s[30:31], 0
                                        ; implicit-def: $vgpr6_vgpr7
	s_and_saveexec_b64 s[18:19], vcc
	s_cbranch_execz .LBB52_267
; %bb.258:                              ;   in Loop: Header=BB52_15 Depth=1
	v_mov_b32_e32 v8, v36
	v_mov_b32_e32 v9, v0
                                        ; implicit-def: $sgpr26_sgpr27
	s_branch .LBB52_260
.LBB52_259:                             ;   in Loop: Header=BB52_260 Depth=2
	s_or_b64 exec, exec, s[34:35]
	s_waitcnt lgkmcnt(0)
	s_barrier
	ds_read_b128 v[4:7], v21 offset:3072
	v_add_u32_e32 v9, s66, v9
	v_cmp_le_u32_e32 vcc, s15, v9
	v_add_u32_e32 v8, s10, v8
	s_waitcnt lgkmcnt(0)
	v_readfirstlane_b32 s35, v5
	v_readfirstlane_b32 s34, v4
	s_cmp_lg_u64 s[34:35], 0
	s_cselect_b64 s[34:35], -1, 0
	s_or_b64 s[36:37], vcc, s[34:35]
	s_and_b64 s[36:37], exec, s[36:37]
	s_or_b64 s[30:31], s[36:37], s[30:31]
	s_andn2_b64 s[26:27], s[26:27], exec
	s_and_b64 s[34:35], s[34:35], exec
	s_or_b64 s[26:27], s[26:27], s[34:35]
	s_barrier
	s_andn2_b64 exec, exec, s[30:31]
	s_cbranch_execz .LBB52_266
.LBB52_260:                             ;   Parent Loop BB52_15 Depth=1
                                        ; =>  This Inner Loop Header: Depth=2
	v_cmp_gt_u32_e32 vcc, s14, v9
	s_waitcnt vmcnt(0)
	v_pk_mov_b32 v[4:5], 0, 0
	s_and_saveexec_b64 s[34:35], vcc
	s_cbranch_execz .LBB52_262
; %bb.261:                              ;   in Loop: Header=BB52_260 Depth=2
	ds_read_b64 v[4:5], v8
.LBB52_262:                             ;   in Loop: Header=BB52_260 Depth=2
	s_or_b64 exec, exec, s[34:35]
	s_and_saveexec_b64 s[34:35], vcc
	s_cbranch_execz .LBB52_259
; %bb.263:                              ;   in Loop: Header=BB52_260 Depth=2
	s_waitcnt lgkmcnt(0)
	v_xor_b32_e32 v3, 0x80000000, v5
	v_and_b32_e32 v7, v3, v27
	v_and_b32_e32 v6, v4, v26
	v_cmp_eq_u64_e32 vcc, v[6:7], v[28:29]
	s_and_b64 exec, exec, vcc
	s_cbranch_execz .LBB52_259
; %bb.264:                              ;   in Loop: Header=BB52_260 Depth=2
	v_mov_b32_e32 v3, v21
	ds_write_b128 v21, v[2:5] offset:3072
	s_branch .LBB52_259
.LBB52_265:                             ;   in Loop: Header=BB52_15 Depth=1
	s_mov_b64 s[36:37], -1
	s_mov_b64 s[30:31], 0
                                        ; implicit-def: $sgpr38_sgpr39
                                        ; implicit-def: $vgpr6_vgpr7
	s_mov_b64 s[26:27], s[36:37]
	s_cbranch_execnz .LBB52_268
	s_branch .LBB52_278
.LBB52_266:                             ;   in Loop: Header=BB52_15 Depth=1
	s_or_b64 exec, exec, s[30:31]
	s_and_b64 s[30:31], s[26:27], exec
.LBB52_267:                             ;   in Loop: Header=BB52_15 Depth=1
	s_or_b64 exec, exec, s[18:19]
	s_mov_b64 s[36:37], 0
	s_mov_b64 s[38:39], -1
	s_mov_b64 s[26:27], s[36:37]
	s_branch .LBB52_278
.LBB52_268:                             ;   in Loop: Header=BB52_15 Depth=1
	s_mov_b64 s[30:31], 0
                                        ; implicit-def: $vgpr6_vgpr7
	s_mov_b64 s[26:27], exec
	v_readlane_b32 s14, v59, 47
	v_readlane_b32 s15, v59, 48
	s_and_b64 s[14:15], s[26:27], s[14:15]
	s_mov_b64 exec, s[14:15]
	s_cbranch_execz .LBB52_277
; %bb.269:                              ;   in Loop: Header=BB52_15 Depth=1
	s_mov_b64 s[34:35], 0
	v_mov_b32_e32 v20, v22
	v_mov_b32_e32 v8, v0
                                        ; implicit-def: $sgpr30_sgpr31
	s_branch .LBB52_271
.LBB52_270:                             ;   in Loop: Header=BB52_271 Depth=2
	s_or_b64 exec, exec, s[18:19]
	s_waitcnt lgkmcnt(0)
	s_barrier
	s_waitcnt vmcnt(0)
	ds_read_b128 v[4:7], v21 offset:3072
	v_add_u32_e32 v8, s66, v8
	v_cmp_le_u32_e32 vcc, s6, v8
	v_add_u32_e32 v20, s78, v20
	s_waitcnt lgkmcnt(0)
	v_readfirstlane_b32 s15, v5
	v_readfirstlane_b32 s14, v4
	s_cmp_lg_u64 s[14:15], 0
	s_cselect_b64 s[14:15], -1, 0
	s_or_b64 s[18:19], vcc, s[14:15]
	s_and_b64 s[18:19], exec, s[18:19]
	s_or_b64 s[34:35], s[18:19], s[34:35]
	s_andn2_b64 s[18:19], s[30:31], exec
	s_and_b64 s[14:15], s[14:15], exec
	s_or_b64 s[30:31], s[18:19], s[14:15]
	s_barrier
	s_andn2_b64 exec, exec, s[34:35]
	s_cbranch_execz .LBB52_276
.LBB52_271:                             ;   Parent Loop BB52_15 Depth=1
                                        ; =>  This Inner Loop Header: Depth=2
	v_cmp_gt_u32_e32 vcc, s60, v8
	s_waitcnt vmcnt(0)
	v_pk_mov_b32 v[4:5], 0, 0
	s_and_saveexec_b64 s[36:37], vcc
	s_cbranch_execz .LBB52_273
; %bb.272:                              ;   in Loop: Header=BB52_271 Depth=2
	v_lshlrev_b64 v[4:5], 3, v[20:21]
	v_mov_b32_e32 v3, s64
	v_add_co_u32_e64 v4, s[18:19], s33, v4
	v_addc_co_u32_e64 v5, s[18:19], v3, v5, s[18:19]
	global_load_dwordx2 v[4:5], v[4:5], off
.LBB52_273:                             ;   in Loop: Header=BB52_271 Depth=2
	s_or_b64 exec, exec, s[36:37]
	s_and_saveexec_b64 s[18:19], vcc
	s_cbranch_execz .LBB52_270
; %bb.274:                              ;   in Loop: Header=BB52_271 Depth=2
	s_waitcnt vmcnt(0)
	v_xor_b32_e32 v3, 0x80000000, v5
	v_and_b32_e32 v7, v3, v27
	v_and_b32_e32 v6, v4, v26
	v_cmp_eq_u64_e32 vcc, v[6:7], v[28:29]
	s_and_b64 exec, exec, vcc
	s_cbranch_execz .LBB52_270
; %bb.275:                              ;   in Loop: Header=BB52_271 Depth=2
	v_mov_b32_e32 v3, v21
	ds_write_b128 v21, v[2:5] offset:3072
	s_branch .LBB52_270
.LBB52_276:                             ;   in Loop: Header=BB52_15 Depth=1
	s_or_b64 exec, exec, s[34:35]
	s_and_b64 s[30:31], s[30:31], exec
.LBB52_277:                             ;   in Loop: Header=BB52_15 Depth=1
	s_or_b64 exec, exec, s[26:27]
	s_mov_b64 s[38:39], 0
	s_mov_b64 s[36:37], -1
	s_mov_b64 s[26:27], 0
.LBB52_278:                             ;   in Loop: Header=BB52_15 Depth=1
	s_orn2_b64 s[18:19], s[30:31], exec
.LBB52_279:                             ;   in Loop: Header=BB52_15 Depth=1
	s_or_b64 exec, exec, s[8:9]
                                        ; implicit-def: $vgpr3
                                        ; implicit-def: $vgpr30
                                        ; implicit-def: $vgpr12_vgpr13
                                        ; implicit-def: $vgpr14_vgpr15
                                        ; implicit-def: $vgpr10_vgpr11
	s_and_saveexec_b64 s[30:31], s[18:19]
	s_cbranch_execz .LBB52_414
; %bb.280:                              ;   in Loop: Header=BB52_15 Depth=1
	s_xor_b64 s[14:15], s[16:17], -1
	s_mov_b64 s[18:19], 0
	v_mov_b32_e32 v30, 1
	v_mov_b32_e32 v3, 1
	s_and_saveexec_b64 s[8:9], s[14:15]
	s_cbranch_execz .LBB52_290
; %bb.281:                              ;   in Loop: Header=BB52_15 Depth=1
	v_cmp_ge_u32_e32 vcc, s75, v47
                                        ; implicit-def: $sgpr14
                                        ; implicit-def: $sgpr16_sgpr17
	s_and_saveexec_b64 s[18:19], vcc
	s_xor_b64 s[18:19], exec, s[18:19]
	s_cbranch_execz .LBB52_287
; %bb.282:                              ;   in Loop: Header=BB52_15 Depth=1
	ds_read_b32 v3, v21 offset:4096
	s_waitcnt lgkmcnt(0)
	v_cmp_ne_u32_e32 vcc, 0, v3
	s_cbranch_vccnz .LBB52_286
; %bb.283:                              ;   in Loop: Header=BB52_15 Depth=1
	s_mov_b64 s[16:17], exec
	v_readlane_b32 s14, v59, 5
	v_readlane_b32 s15, v59, 6
	s_and_b64 s[14:15], s[16:17], s[14:15]
	s_mov_b64 exec, s[14:15]
	s_cbranch_execz .LBB52_285
; %bb.284:                              ;   in Loop: Header=BB52_15 Depth=1
	v_mov_b32_e32 v3, s75
	ds_write_b32 v21, v3 offset:4100
.LBB52_285:                             ;   in Loop: Header=BB52_15 Depth=1
	s_or_b64 exec, exec, s[16:17]
	s_waitcnt lgkmcnt(0)
	s_barrier
.LBB52_286:                             ;   in Loop: Header=BB52_15 Depth=1
	v_or_b32_e32 v29, s23, v29
	v_or_b32_e32 v28, s22, v28
	v_or_b32_e32 v27, s23, v27
	v_or_b32_e32 v26, s22, v26
	s_mov_b64 s[16:17], 0
	s_mov_b32 s14, 5
.LBB52_287:                             ;   in Loop: Header=BB52_15 Depth=1
	s_or_saveexec_b64 s[18:19], s[18:19]
	v_mov_b32_e32 v3, s14
	s_xor_b64 exec, exec, s[18:19]
; %bb.288:                              ;   in Loop: Header=BB52_15 Depth=1
	v_subrev_u32_e32 v47, s75, v47
	v_mov_b32_e32 v3, 0
	s_or_b64 s[16:17], s[16:17], exec
; %bb.289:                              ;   in Loop: Header=BB52_15 Depth=1
	s_or_b64 exec, exec, s[18:19]
	s_and_b64 s[18:19], s[16:17], exec
	v_mov_b32_e32 v30, v47
.LBB52_290:                             ;   in Loop: Header=BB52_15 Depth=1
	s_or_b64 exec, exec, s[8:9]
	s_mov_b64 s[42:43], -1
                                        ; implicit-def: $sgpr8_sgpr9
                                        ; implicit-def: $sgpr16_sgpr17
                                        ; implicit-def: $sgpr40_sgpr41
	s_and_saveexec_b64 s[14:15], s[18:19]
	s_xor_b64 s[34:35], exec, s[14:15]
	s_cbranch_execz .LBB52_411
; %bb.291:                              ;   in Loop: Header=BB52_15 Depth=1
	s_cmp_eq_u32 s74, 1
	s_cselect_b64 s[8:9], -1, 0
	v_cmp_eq_u32_e32 vcc, 1, v30
	s_and_b64 s[16:17], s[8:9], vcc
	s_mov_b64 s[48:49], -1
                                        ; implicit-def: $sgpr40_sgpr41
                                        ; implicit-def: $sgpr42_sgpr43
                                        ; implicit-def: $sgpr44_sgpr45
	s_and_saveexec_b64 s[8:9], s[16:17]
	s_cbranch_execz .LBB52_317
; %bb.292:                              ;   in Loop: Header=BB52_15 Depth=1
	ds_read_b32 v3, v21 offset:4096
	s_waitcnt lgkmcnt(0)
	s_barrier
	v_readfirstlane_b32 s14, v3
	s_mov_b64 s[18:19], exec
	v_readlane_b32 s40, v59, 29
	v_readlane_b32 s41, v59, 30
	s_and_b64 s[40:41], s[18:19], s[40:41]
	s_mov_b64 exec, s[40:41]
	s_cbranch_execz .LBB52_294
; %bb.293:                              ;   in Loop: Header=BB52_15 Depth=1
	v_mov_b32_e32 v20, v21
	ds_write_b64 v37, v[20:21]
.LBB52_294:                             ;   in Loop: Header=BB52_15 Depth=1
	s_or_b64 exec, exec, s[18:19]
	s_lshl_b64 s[18:19], 2, s5
	v_and_b32_e32 v3, s25, v29
	s_waitcnt vmcnt(0)
	v_and_b32_e32 v4, s24, v28
	v_or_b32_e32 v29, s19, v3
	v_or_b32_e32 v28, s18, v4
	;; [unrolled: 1-line block ×4, first 2 shown]
	s_cmp_eq_u32 s14, 0
	s_waitcnt lgkmcnt(0)
	s_barrier
	s_cbranch_scc1 .LBB52_303
; %bb.295:                              ;   in Loop: Header=BB52_15 Depth=1
	v_readlane_b32 s15, v59, 22
	s_add_i32 s15, s14, s15
	v_readlane_b32 s18, v59, 46
	s_mul_hi_u32 s18, s15, s18
	s_mul_i32 s18, s18, s66
	s_sub_i32 s18, s15, s18
	s_sub_i32 s19, s18, s66
	s_cmp_ge_u32 s18, s66
	s_cselect_b32 s18, s19, s18
	s_sub_i32 s19, s18, s66
	s_cmp_ge_u32 s18, s66
	s_cselect_b32 s18, s19, s18
	s_sub_i32 s15, s15, s18
	v_cmp_gt_u32_e32 vcc, s15, v0
	s_mov_b64 s[46:47], 0
                                        ; implicit-def: $vgpr6_vgpr7
	s_and_saveexec_b64 s[18:19], vcc
	s_cbranch_execz .LBB52_305
; %bb.296:                              ;   in Loop: Header=BB52_15 Depth=1
	s_mov_b64 s[42:43], 0
	v_mov_b32_e32 v8, v36
	v_mov_b32_e32 v9, v0
                                        ; implicit-def: $sgpr40_sgpr41
	s_branch .LBB52_298
.LBB52_297:                             ;   in Loop: Header=BB52_298 Depth=2
	s_or_b64 exec, exec, s[44:45]
	s_waitcnt lgkmcnt(0)
	s_barrier
	ds_read_b128 v[4:7], v21 offset:3072
	v_add_u32_e32 v9, s66, v9
	v_cmp_le_u32_e32 vcc, s15, v9
	v_add_u32_e32 v8, s10, v8
	s_waitcnt lgkmcnt(0)
	v_readfirstlane_b32 s45, v5
	v_readfirstlane_b32 s44, v4
	s_cmp_lg_u64 s[44:45], 0
	s_cselect_b64 s[44:45], -1, 0
	s_or_b64 s[46:47], vcc, s[44:45]
	s_and_b64 s[46:47], exec, s[46:47]
	s_or_b64 s[42:43], s[46:47], s[42:43]
	s_andn2_b64 s[40:41], s[40:41], exec
	s_and_b64 s[44:45], s[44:45], exec
	s_or_b64 s[40:41], s[40:41], s[44:45]
	s_barrier
	s_andn2_b64 exec, exec, s[42:43]
	s_cbranch_execz .LBB52_304
.LBB52_298:                             ;   Parent Loop BB52_15 Depth=1
                                        ; =>  This Inner Loop Header: Depth=2
	v_cmp_gt_u32_e32 vcc, s14, v9
	v_pk_mov_b32 v[4:5], 0, 0
	s_and_saveexec_b64 s[44:45], vcc
	s_cbranch_execz .LBB52_300
; %bb.299:                              ;   in Loop: Header=BB52_298 Depth=2
	ds_read_b64 v[4:5], v8
.LBB52_300:                             ;   in Loop: Header=BB52_298 Depth=2
	s_or_b64 exec, exec, s[44:45]
	s_and_saveexec_b64 s[44:45], vcc
	s_cbranch_execz .LBB52_297
; %bb.301:                              ;   in Loop: Header=BB52_298 Depth=2
	s_waitcnt lgkmcnt(0)
	v_xor_b32_e32 v3, 0x80000000, v5
	v_and_b32_e32 v7, v3, v27
	v_and_b32_e32 v6, v4, v26
	v_cmp_eq_u64_e32 vcc, v[6:7], v[28:29]
	s_and_b64 exec, exec, vcc
	s_cbranch_execz .LBB52_297
; %bb.302:                              ;   in Loop: Header=BB52_298 Depth=2
	v_mov_b32_e32 v3, v21
	ds_write_b128 v21, v[2:5] offset:3072
	s_branch .LBB52_297
.LBB52_303:                             ;   in Loop: Header=BB52_15 Depth=1
	s_mov_b64 s[40:41], -1
	s_mov_b64 s[46:47], 0
                                        ; implicit-def: $sgpr42_sgpr43
                                        ; implicit-def: $vgpr6_vgpr7
	s_mov_b64 s[44:45], s[40:41]
	s_cbranch_execnz .LBB52_306
	s_branch .LBB52_316
.LBB52_304:                             ;   in Loop: Header=BB52_15 Depth=1
	s_or_b64 exec, exec, s[42:43]
	s_and_b64 s[46:47], s[40:41], exec
.LBB52_305:                             ;   in Loop: Header=BB52_15 Depth=1
	s_or_b64 exec, exec, s[18:19]
	s_mov_b64 s[40:41], 0
	s_mov_b64 s[42:43], -1
	s_mov_b64 s[44:45], s[40:41]
	s_branch .LBB52_316
.LBB52_306:                             ;   in Loop: Header=BB52_15 Depth=1
	s_mov_b64 s[46:47], 0
                                        ; implicit-def: $vgpr6_vgpr7
	s_mov_b64 s[40:41], exec
	v_readlane_b32 s14, v59, 47
	v_readlane_b32 s15, v59, 48
	s_and_b64 s[14:15], s[40:41], s[14:15]
	s_mov_b64 exec, s[14:15]
	s_cbranch_execz .LBB52_315
; %bb.307:                              ;   in Loop: Header=BB52_15 Depth=1
	s_mov_b64 s[44:45], 0
	v_mov_b32_e32 v20, v22
	v_mov_b32_e32 v8, v0
                                        ; implicit-def: $sgpr42_sgpr43
	s_branch .LBB52_309
.LBB52_308:                             ;   in Loop: Header=BB52_309 Depth=2
	s_or_b64 exec, exec, s[18:19]
	s_waitcnt lgkmcnt(0)
	s_barrier
	s_waitcnt vmcnt(0)
	ds_read_b128 v[4:7], v21 offset:3072
	v_add_u32_e32 v8, s66, v8
	v_cmp_le_u32_e32 vcc, s6, v8
	v_add_u32_e32 v20, s78, v20
	s_waitcnt lgkmcnt(0)
	v_readfirstlane_b32 s15, v5
	v_readfirstlane_b32 s14, v4
	s_cmp_lg_u64 s[14:15], 0
	s_cselect_b64 s[14:15], -1, 0
	s_or_b64 s[18:19], vcc, s[14:15]
	s_and_b64 s[18:19], exec, s[18:19]
	s_or_b64 s[44:45], s[18:19], s[44:45]
	s_andn2_b64 s[18:19], s[42:43], exec
	s_and_b64 s[14:15], s[14:15], exec
	s_or_b64 s[42:43], s[18:19], s[14:15]
	s_barrier
	s_andn2_b64 exec, exec, s[44:45]
	s_cbranch_execz .LBB52_314
.LBB52_309:                             ;   Parent Loop BB52_15 Depth=1
                                        ; =>  This Inner Loop Header: Depth=2
	v_cmp_gt_u32_e32 vcc, s60, v8
	v_pk_mov_b32 v[4:5], 0, 0
	s_and_saveexec_b64 s[46:47], vcc
	s_cbranch_execz .LBB52_311
; %bb.310:                              ;   in Loop: Header=BB52_309 Depth=2
	v_lshlrev_b64 v[4:5], 3, v[20:21]
	v_mov_b32_e32 v3, s64
	v_add_co_u32_e64 v4, s[18:19], s33, v4
	v_addc_co_u32_e64 v5, s[18:19], v3, v5, s[18:19]
	global_load_dwordx2 v[4:5], v[4:5], off
.LBB52_311:                             ;   in Loop: Header=BB52_309 Depth=2
	s_or_b64 exec, exec, s[46:47]
	s_and_saveexec_b64 s[18:19], vcc
	s_cbranch_execz .LBB52_308
; %bb.312:                              ;   in Loop: Header=BB52_309 Depth=2
	s_waitcnt vmcnt(0)
	v_xor_b32_e32 v3, 0x80000000, v5
	v_and_b32_e32 v7, v3, v27
	v_and_b32_e32 v6, v4, v26
	v_cmp_eq_u64_e32 vcc, v[6:7], v[28:29]
	s_and_b64 exec, exec, vcc
	s_cbranch_execz .LBB52_308
; %bb.313:                              ;   in Loop: Header=BB52_309 Depth=2
	v_mov_b32_e32 v3, v21
	ds_write_b128 v21, v[2:5] offset:3072
	s_branch .LBB52_308
.LBB52_314:                             ;   in Loop: Header=BB52_15 Depth=1
	s_or_b64 exec, exec, s[44:45]
	s_and_b64 s[46:47], s[42:43], exec
.LBB52_315:                             ;   in Loop: Header=BB52_15 Depth=1
	s_or_b64 exec, exec, s[40:41]
	s_mov_b64 s[42:43], 0
	s_mov_b64 s[40:41], -1
	s_mov_b64 s[44:45], 0
.LBB52_316:                             ;   in Loop: Header=BB52_15 Depth=1
	s_orn2_b64 s[48:49], s[46:47], exec
.LBB52_317:                             ;   in Loop: Header=BB52_15 Depth=1
	s_or_b64 exec, exec, s[8:9]
	s_mov_b64 s[18:19], 0
                                        ; implicit-def: $vgpr3
	s_and_saveexec_b64 s[46:47], s[48:49]
	s_cbranch_execz .LBB52_410
; %bb.318:                              ;   in Loop: Header=BB52_15 Depth=1
	s_xor_b64 s[14:15], s[16:17], -1
	s_mov_b64 s[52:53], 0
	v_mov_b32_e32 v8, 1
	v_mov_b32_e32 v3, 1
	s_and_saveexec_b64 s[8:9], s[14:15]
	s_cbranch_execz .LBB52_328
; %bb.319:                              ;   in Loop: Header=BB52_15 Depth=1
	v_cmp_ge_u32_e32 vcc, s74, v30
                                        ; implicit-def: $sgpr14
                                        ; implicit-def: $sgpr16_sgpr17
	s_and_saveexec_b64 s[18:19], vcc
	s_xor_b64 s[18:19], exec, s[18:19]
	s_cbranch_execz .LBB52_325
; %bb.320:                              ;   in Loop: Header=BB52_15 Depth=1
	ds_read_b32 v3, v21 offset:4096
	s_waitcnt lgkmcnt(0)
	v_cmp_ne_u32_e32 vcc, 0, v3
	s_cbranch_vccnz .LBB52_324
; %bb.321:                              ;   in Loop: Header=BB52_15 Depth=1
	s_mov_b64 s[16:17], exec
	v_readlane_b32 s14, v59, 5
	v_readlane_b32 s15, v59, 6
	s_and_b64 s[14:15], s[16:17], s[14:15]
	s_mov_b64 exec, s[14:15]
	s_cbranch_execz .LBB52_323
; %bb.322:                              ;   in Loop: Header=BB52_15 Depth=1
	v_mov_b32_e32 v3, s74
	ds_write_b32 v21, v3 offset:4100
.LBB52_323:                             ;   in Loop: Header=BB52_15 Depth=1
	s_or_b64 exec, exec, s[16:17]
	s_waitcnt lgkmcnt(0)
	s_barrier
.LBB52_324:                             ;   in Loop: Header=BB52_15 Depth=1
	s_lshl_b64 s[14:15], 2, s5
	v_and_b32_e32 v3, s25, v29
	s_waitcnt vmcnt(0)
	v_and_b32_e32 v4, s24, v28
	v_or_b32_e32 v29, s15, v3
	v_or_b32_e32 v28, s14, v4
	;; [unrolled: 1-line block ×4, first 2 shown]
	s_mov_b64 s[16:17], 0
	s_mov_b32 s14, 5
.LBB52_325:                             ;   in Loop: Header=BB52_15 Depth=1
	s_or_saveexec_b64 s[18:19], s[18:19]
	v_mov_b32_e32 v3, s14
	s_xor_b64 exec, exec, s[18:19]
; %bb.326:                              ;   in Loop: Header=BB52_15 Depth=1
	v_subrev_u32_e32 v30, s74, v30
	v_mov_b32_e32 v3, 0
	s_or_b64 s[16:17], s[16:17], exec
; %bb.327:                              ;   in Loop: Header=BB52_15 Depth=1
	s_or_b64 exec, exec, s[18:19]
	s_and_b64 s[52:53], s[16:17], exec
	v_mov_b32_e32 v8, v30
.LBB52_328:                             ;   in Loop: Header=BB52_15 Depth=1
	s_or_b64 exec, exec, s[8:9]
	s_mov_b64 s[8:9], -1
                                        ; implicit-def: $sgpr16_sgpr17
                                        ; implicit-def: $sgpr18_sgpr19
                                        ; implicit-def: $sgpr50_sgpr51
	s_and_saveexec_b64 s[48:49], s[52:53]
	s_cbranch_execz .LBB52_409
; %bb.329:                              ;   in Loop: Header=BB52_15 Depth=1
	s_cmp_eq_u32 s4, 1
	s_cselect_b64 s[8:9], -1, 0
	v_cmp_eq_u32_e32 vcc, 1, v8
	s_and_b64 s[16:17], s[8:9], vcc
	s_mov_b64 s[18:19], -1
                                        ; implicit-def: $sgpr50_sgpr51
                                        ; implicit-def: $sgpr52_sgpr53
                                        ; implicit-def: $sgpr54_sgpr55
	s_and_saveexec_b64 s[8:9], s[16:17]
	s_cbranch_execz .LBB52_355
; %bb.330:                              ;   in Loop: Header=BB52_15 Depth=1
	ds_read_b32 v3, v21 offset:4096
	s_waitcnt lgkmcnt(0)
	s_barrier
	v_readfirstlane_b32 s14, v3
	s_mov_b64 s[18:19], exec
	v_readlane_b32 s50, v59, 29
	v_readlane_b32 s51, v59, 30
	s_and_b64 s[50:51], s[18:19], s[50:51]
	s_mov_b64 exec, s[50:51]
	s_cbranch_execz .LBB52_332
; %bb.331:                              ;   in Loop: Header=BB52_15 Depth=1
	v_mov_b32_e32 v20, v21
	ds_write_b64 v37, v[20:21]
.LBB52_332:                             ;   in Loop: Header=BB52_15 Depth=1
	s_or_b64 exec, exec, s[18:19]
	s_lshl_b64 s[18:19], 1, s5
	v_and_b32_e32 v3, s25, v29
	s_waitcnt vmcnt(0)
	v_and_b32_e32 v4, s24, v28
	v_or_b32_e32 v29, s19, v3
	v_or_b32_e32 v28, s18, v4
	;; [unrolled: 1-line block ×4, first 2 shown]
	s_cmp_eq_u32 s14, 0
	s_waitcnt lgkmcnt(0)
	s_barrier
	s_cbranch_scc1 .LBB52_341
; %bb.333:                              ;   in Loop: Header=BB52_15 Depth=1
	v_readlane_b32 s15, v59, 22
	s_add_i32 s15, s14, s15
	v_readlane_b32 s18, v59, 46
	s_mul_hi_u32 s18, s15, s18
	s_mul_i32 s18, s18, s66
	s_sub_i32 s18, s15, s18
	s_sub_i32 s19, s18, s66
	s_cmp_ge_u32 s18, s66
	s_cselect_b32 s18, s19, s18
	s_sub_i32 s19, s18, s66
	s_cmp_ge_u32 s18, s66
	s_cselect_b32 s18, s19, s18
	s_sub_i32 s15, s15, s18
	v_cmp_gt_u32_e32 vcc, s15, v0
	s_mov_b64 s[56:57], 0
                                        ; implicit-def: $vgpr6_vgpr7
	s_and_saveexec_b64 s[18:19], vcc
	s_cbranch_execz .LBB52_343
; %bb.334:                              ;   in Loop: Header=BB52_15 Depth=1
	s_mov_b64 s[52:53], 0
	v_mov_b32_e32 v9, v36
	v_mov_b32_e32 v10, v0
                                        ; implicit-def: $sgpr50_sgpr51
	s_branch .LBB52_336
.LBB52_335:                             ;   in Loop: Header=BB52_336 Depth=2
	s_or_b64 exec, exec, s[54:55]
	s_waitcnt lgkmcnt(0)
	s_barrier
	ds_read_b128 v[4:7], v21 offset:3072
	v_add_u32_e32 v10, s66, v10
	v_cmp_le_u32_e32 vcc, s15, v10
	v_add_u32_e32 v9, s10, v9
	s_waitcnt lgkmcnt(0)
	v_readfirstlane_b32 s55, v5
	v_readfirstlane_b32 s54, v4
	s_cmp_lg_u64 s[54:55], 0
	s_cselect_b64 s[54:55], -1, 0
	s_or_b64 s[56:57], vcc, s[54:55]
	s_and_b64 s[56:57], exec, s[56:57]
	s_or_b64 s[52:53], s[56:57], s[52:53]
	s_andn2_b64 s[50:51], s[50:51], exec
	s_and_b64 s[54:55], s[54:55], exec
	s_or_b64 s[50:51], s[50:51], s[54:55]
	s_barrier
	s_andn2_b64 exec, exec, s[52:53]
	s_cbranch_execz .LBB52_342
.LBB52_336:                             ;   Parent Loop BB52_15 Depth=1
                                        ; =>  This Inner Loop Header: Depth=2
	v_cmp_gt_u32_e32 vcc, s14, v10
	v_pk_mov_b32 v[4:5], 0, 0
	s_and_saveexec_b64 s[54:55], vcc
	s_cbranch_execz .LBB52_338
; %bb.337:                              ;   in Loop: Header=BB52_336 Depth=2
	ds_read_b64 v[4:5], v9
.LBB52_338:                             ;   in Loop: Header=BB52_336 Depth=2
	s_or_b64 exec, exec, s[54:55]
	s_and_saveexec_b64 s[54:55], vcc
	s_cbranch_execz .LBB52_335
; %bb.339:                              ;   in Loop: Header=BB52_336 Depth=2
	s_waitcnt lgkmcnt(0)
	v_xor_b32_e32 v3, 0x80000000, v5
	v_and_b32_e32 v7, v3, v27
	v_and_b32_e32 v6, v4, v26
	v_cmp_eq_u64_e32 vcc, v[6:7], v[28:29]
	s_and_b64 exec, exec, vcc
	s_cbranch_execz .LBB52_335
; %bb.340:                              ;   in Loop: Header=BB52_336 Depth=2
	v_mov_b32_e32 v3, v21
	ds_write_b128 v21, v[2:5] offset:3072
	s_branch .LBB52_335
.LBB52_341:                             ;   in Loop: Header=BB52_15 Depth=1
	s_mov_b64 s[50:51], -1
	s_mov_b64 s[56:57], 0
                                        ; implicit-def: $sgpr52_sgpr53
                                        ; implicit-def: $vgpr6_vgpr7
	s_mov_b64 s[54:55], s[50:51]
	s_cbranch_execnz .LBB52_344
	s_branch .LBB52_354
.LBB52_342:                             ;   in Loop: Header=BB52_15 Depth=1
	s_or_b64 exec, exec, s[52:53]
	s_and_b64 s[56:57], s[50:51], exec
.LBB52_343:                             ;   in Loop: Header=BB52_15 Depth=1
	s_or_b64 exec, exec, s[18:19]
	s_mov_b64 s[50:51], 0
	s_mov_b64 s[52:53], -1
	s_mov_b64 s[54:55], s[50:51]
	s_branch .LBB52_354
.LBB52_344:                             ;   in Loop: Header=BB52_15 Depth=1
	s_mov_b64 s[56:57], 0
                                        ; implicit-def: $vgpr6_vgpr7
	s_mov_b64 s[50:51], exec
	v_readlane_b32 s14, v59, 47
	v_readlane_b32 s15, v59, 48
	s_and_b64 s[14:15], s[50:51], s[14:15]
	s_mov_b64 exec, s[14:15]
	s_cbranch_execz .LBB52_353
; %bb.345:                              ;   in Loop: Header=BB52_15 Depth=1
	s_mov_b64 s[54:55], 0
	v_mov_b32_e32 v20, v22
	v_mov_b32_e32 v9, v0
                                        ; implicit-def: $sgpr52_sgpr53
	s_branch .LBB52_347
.LBB52_346:                             ;   in Loop: Header=BB52_347 Depth=2
	s_or_b64 exec, exec, s[18:19]
	s_waitcnt lgkmcnt(0)
	s_barrier
	s_waitcnt vmcnt(0)
	ds_read_b128 v[4:7], v21 offset:3072
	v_add_u32_e32 v9, s66, v9
	v_cmp_le_u32_e32 vcc, s6, v9
	v_add_u32_e32 v20, s78, v20
	s_waitcnt lgkmcnt(0)
	v_readfirstlane_b32 s15, v5
	v_readfirstlane_b32 s14, v4
	s_cmp_lg_u64 s[14:15], 0
	s_cselect_b64 s[14:15], -1, 0
	s_or_b64 s[18:19], vcc, s[14:15]
	s_and_b64 s[18:19], exec, s[18:19]
	s_or_b64 s[54:55], s[18:19], s[54:55]
	s_andn2_b64 s[18:19], s[52:53], exec
	s_and_b64 s[14:15], s[14:15], exec
	s_or_b64 s[52:53], s[18:19], s[14:15]
	s_barrier
	s_andn2_b64 exec, exec, s[54:55]
	s_cbranch_execz .LBB52_352
.LBB52_347:                             ;   Parent Loop BB52_15 Depth=1
                                        ; =>  This Inner Loop Header: Depth=2
	v_cmp_gt_u32_e32 vcc, s60, v9
	v_pk_mov_b32 v[4:5], 0, 0
	s_and_saveexec_b64 s[56:57], vcc
	s_cbranch_execz .LBB52_349
; %bb.348:                              ;   in Loop: Header=BB52_347 Depth=2
	v_lshlrev_b64 v[4:5], 3, v[20:21]
	v_mov_b32_e32 v3, s64
	v_add_co_u32_e64 v4, s[18:19], s33, v4
	v_addc_co_u32_e64 v5, s[18:19], v3, v5, s[18:19]
	global_load_dwordx2 v[4:5], v[4:5], off
.LBB52_349:                             ;   in Loop: Header=BB52_347 Depth=2
	s_or_b64 exec, exec, s[56:57]
	s_and_saveexec_b64 s[18:19], vcc
	s_cbranch_execz .LBB52_346
; %bb.350:                              ;   in Loop: Header=BB52_347 Depth=2
	s_waitcnt vmcnt(0)
	v_xor_b32_e32 v3, 0x80000000, v5
	v_and_b32_e32 v7, v3, v27
	v_and_b32_e32 v6, v4, v26
	v_cmp_eq_u64_e32 vcc, v[6:7], v[28:29]
	s_and_b64 exec, exec, vcc
	s_cbranch_execz .LBB52_346
; %bb.351:                              ;   in Loop: Header=BB52_347 Depth=2
	v_mov_b32_e32 v3, v21
	ds_write_b128 v21, v[2:5] offset:3072
	s_branch .LBB52_346
.LBB52_352:                             ;   in Loop: Header=BB52_15 Depth=1
	s_or_b64 exec, exec, s[54:55]
	s_and_b64 s[56:57], s[52:53], exec
.LBB52_353:                             ;   in Loop: Header=BB52_15 Depth=1
	s_or_b64 exec, exec, s[50:51]
	s_mov_b64 s[52:53], 0
	s_mov_b64 s[50:51], -1
	s_mov_b64 s[54:55], 0
.LBB52_354:                             ;   in Loop: Header=BB52_15 Depth=1
	s_orn2_b64 s[18:19], s[56:57], exec
.LBB52_355:                             ;   in Loop: Header=BB52_15 Depth=1
	s_or_b64 exec, exec, s[8:9]
	s_mov_b64 s[8:9], 0
                                        ; implicit-def: $vgpr3
	s_and_saveexec_b64 s[56:57], s[18:19]
	s_cbranch_execz .LBB52_408
; %bb.356:                              ;   in Loop: Header=BB52_15 Depth=1
	s_xor_b64 s[14:15], s[16:17], -1
	s_mov_b64 s[76:77], 0
	v_mov_b32_e32 v9, 1
	v_mov_b32_e32 v3, 1
	s_and_saveexec_b64 s[8:9], s[14:15]
	s_cbranch_execz .LBB52_366
; %bb.357:                              ;   in Loop: Header=BB52_15 Depth=1
	v_cmp_ge_u32_e32 vcc, s4, v8
                                        ; implicit-def: $sgpr14
                                        ; implicit-def: $sgpr16_sgpr17
	s_and_saveexec_b64 s[18:19], vcc
	s_xor_b64 s[18:19], exec, s[18:19]
	s_cbranch_execz .LBB52_363
; %bb.358:                              ;   in Loop: Header=BB52_15 Depth=1
	ds_read_b32 v3, v21 offset:4096
	s_waitcnt lgkmcnt(0)
	v_cmp_ne_u32_e32 vcc, 0, v3
	s_cbranch_vccnz .LBB52_362
; %bb.359:                              ;   in Loop: Header=BB52_15 Depth=1
	s_mov_b64 s[16:17], exec
	v_readlane_b32 s14, v59, 5
	v_readlane_b32 s15, v59, 6
	s_and_b64 s[14:15], s[16:17], s[14:15]
	s_mov_b64 exec, s[14:15]
	s_cbranch_execz .LBB52_361
; %bb.360:                              ;   in Loop: Header=BB52_15 Depth=1
	v_mov_b32_e32 v3, s4
	ds_write_b32 v21, v3 offset:4100
.LBB52_361:                             ;   in Loop: Header=BB52_15 Depth=1
	s_or_b64 exec, exec, s[16:17]
	s_waitcnt lgkmcnt(0)
	s_barrier
.LBB52_362:                             ;   in Loop: Header=BB52_15 Depth=1
	s_lshl_b64 s[14:15], 1, s5
	v_and_b32_e32 v3, s25, v29
	s_waitcnt vmcnt(0)
	v_and_b32_e32 v4, s24, v28
	v_or_b32_e32 v29, s15, v3
	v_or_b32_e32 v28, s14, v4
	;; [unrolled: 1-line block ×4, first 2 shown]
	s_mov_b64 s[16:17], 0
	s_mov_b32 s14, 5
.LBB52_363:                             ;   in Loop: Header=BB52_15 Depth=1
	s_or_saveexec_b64 s[18:19], s[18:19]
	v_mov_b32_e32 v3, s14
	s_xor_b64 exec, exec, s[18:19]
; %bb.364:                              ;   in Loop: Header=BB52_15 Depth=1
	v_subrev_u32_e32 v8, s4, v8
	v_mov_b32_e32 v3, 0
	s_or_b64 s[16:17], s[16:17], exec
; %bb.365:                              ;   in Loop: Header=BB52_15 Depth=1
	s_or_b64 exec, exec, s[18:19]
	s_and_b64 s[76:77], s[16:17], exec
	v_mov_b32_e32 v9, v8
.LBB52_366:                             ;   in Loop: Header=BB52_15 Depth=1
	s_or_b64 exec, exec, s[8:9]
	s_mov_b64 s[8:9], -1
                                        ; implicit-def: $sgpr18_sgpr19
                                        ; implicit-def: $sgpr4_sgpr5
                                        ; kill: killed $sgpr4_sgpr5
                                        ; implicit-def: $sgpr58_sgpr59
	s_and_saveexec_b64 s[16:17], s[76:77]
	s_cbranch_execz .LBB52_407
; %bb.367:                              ;   in Loop: Header=BB52_15 Depth=1
	s_cmp_eq_u32 s63, 1
	s_cselect_b64 s[4:5], -1, 0
	v_cmp_eq_u32_e32 vcc, 1, v9
	s_and_b64 s[74:75], s[4:5], vcc
	s_mov_b64 s[76:77], -1
                                        ; implicit-def: $sgpr18_sgpr19
                                        ; implicit-def: $sgpr4_sgpr5
                                        ; kill: killed $sgpr4_sgpr5
                                        ; implicit-def: $sgpr58_sgpr59
	s_and_saveexec_b64 s[14:15], s[74:75]
	s_cbranch_execz .LBB52_394
; %bb.368:                              ;   in Loop: Header=BB52_15 Depth=1
	ds_read_b32 v3, v21 offset:4096
	v_writelane_b32 v59, s14, 52
	v_writelane_b32 v59, s15, 53
	s_waitcnt lgkmcnt(0)
	s_barrier
	v_readfirstlane_b32 s4, v3
	s_mov_b64 s[8:9], exec
	v_readlane_b32 s14, v59, 29
	v_readlane_b32 s15, v59, 30
	s_and_b64 s[14:15], s[8:9], s[14:15]
	s_mov_b64 exec, s[14:15]
	s_cbranch_execz .LBB52_370
; %bb.369:                              ;   in Loop: Header=BB52_15 Depth=1
	v_mov_b32_e32 v20, v21
	ds_write_b64 v37, v[20:21]
.LBB52_370:                             ;   in Loop: Header=BB52_15 Depth=1
	s_or_b64 exec, exec, s[8:9]
	v_and_b32_e32 v29, s25, v29
	v_and_b32_e32 v28, s24, v28
	v_or_b32_e32 v27, s23, v27
	v_or_b32_e32 v26, s22, v26
	s_cmp_eq_u32 s4, 0
	s_waitcnt lgkmcnt(0)
	s_barrier
	s_cbranch_scc1 .LBB52_379
; %bb.371:                              ;   in Loop: Header=BB52_15 Depth=1
	v_readlane_b32 s5, v59, 22
	s_add_i32 s5, s4, s5
	v_readlane_b32 s8, v59, 46
	s_mul_hi_u32 s8, s5, s8
	s_mul_i32 s8, s8, s66
	s_sub_i32 s8, s5, s8
	s_sub_i32 s9, s8, s66
	s_cmp_ge_u32 s8, s66
	s_cselect_b32 s8, s9, s8
	s_sub_i32 s9, s8, s66
	s_cmp_ge_u32 s8, s66
	s_cselect_b32 s8, s9, s8
	s_sub_i32 s5, s5, s8
	s_mov_b64 s[76:77], 0
	v_cmp_gt_u32_e32 vcc, s5, v0
                                        ; implicit-def: $vgpr6_vgpr7
	s_mov_b64 s[8:9], exec
	v_writelane_b32 v59, s8, 54
	v_writelane_b32 v59, s9, 55
	s_and_b64 s[8:9], s[8:9], vcc
	s_mov_b64 exec, s[8:9]
	s_cbranch_execz .LBB52_381
; %bb.372:                              ;   in Loop: Header=BB52_15 Depth=1
	v_mov_b32_e32 v8, v36
	v_mov_b32_e32 v10, v0
                                        ; implicit-def: $sgpr58_sgpr59
	s_branch .LBB52_374
.LBB52_373:                             ;   in Loop: Header=BB52_374 Depth=2
	s_or_b64 exec, exec, s[18:19]
	s_waitcnt lgkmcnt(0)
	s_barrier
	ds_read_b128 v[4:7], v21 offset:3072
	v_add_u32_e32 v10, s66, v10
	v_cmp_le_u32_e32 vcc, s5, v10
	v_add_u32_e32 v8, s10, v8
	s_waitcnt lgkmcnt(0)
	v_readfirstlane_b32 s9, v5
	v_readfirstlane_b32 s8, v4
	s_cmp_lg_u64 s[8:9], 0
	s_cselect_b64 s[8:9], -1, 0
	s_or_b64 s[14:15], vcc, s[8:9]
	s_and_b64 s[14:15], exec, s[14:15]
	s_or_b64 s[76:77], s[14:15], s[76:77]
	s_andn2_b64 s[14:15], s[58:59], exec
	s_and_b64 s[8:9], s[8:9], exec
	s_or_b64 s[58:59], s[14:15], s[8:9]
	s_barrier
	s_andn2_b64 exec, exec, s[76:77]
	s_cbranch_execz .LBB52_380
.LBB52_374:                             ;   Parent Loop BB52_15 Depth=1
                                        ; =>  This Inner Loop Header: Depth=2
	v_cmp_gt_u32_e32 vcc, s4, v10
	s_waitcnt vmcnt(0)
	v_pk_mov_b32 v[4:5], 0, 0
	s_and_saveexec_b64 s[8:9], vcc
	s_cbranch_execz .LBB52_376
; %bb.375:                              ;   in Loop: Header=BB52_374 Depth=2
	ds_read_b64 v[4:5], v8
.LBB52_376:                             ;   in Loop: Header=BB52_374 Depth=2
	s_or_b64 exec, exec, s[8:9]
	s_and_saveexec_b64 s[18:19], vcc
	s_cbranch_execz .LBB52_373
; %bb.377:                              ;   in Loop: Header=BB52_374 Depth=2
	s_waitcnt lgkmcnt(0)
	v_xor_b32_e32 v3, 0x80000000, v5
	v_and_b32_e32 v7, v3, v27
	v_and_b32_e32 v6, v4, v26
	v_cmp_eq_u64_e32 vcc, v[6:7], v[28:29]
	s_and_b64 exec, exec, vcc
	s_cbranch_execz .LBB52_373
; %bb.378:                              ;   in Loop: Header=BB52_374 Depth=2
	v_mov_b32_e32 v3, v21
	ds_write_b128 v21, v[2:5] offset:3072
	s_branch .LBB52_373
.LBB52_379:                             ;   in Loop: Header=BB52_15 Depth=1
	v_readlane_b32 s14, v59, 52
	s_mov_b64 s[18:19], -1
	s_mov_b64 s[76:77], 0
                                        ; implicit-def: $sgpr4_sgpr5
                                        ; implicit-def: $vgpr6_vgpr7
	v_readlane_b32 s15, v59, 53
	s_branch .LBB52_382
.LBB52_380:                             ;   in Loop: Header=BB52_15 Depth=1
	s_or_b64 exec, exec, s[76:77]
	s_and_b64 s[76:77], s[58:59], exec
.LBB52_381:                             ;   in Loop: Header=BB52_15 Depth=1
	v_readlane_b32 s4, v59, 54
	v_readlane_b32 s5, v59, 55
	s_or_b64 exec, exec, s[4:5]
	v_readlane_b32 s14, v59, 52
	v_readlane_b32 s15, v59, 53
	s_mov_b64 s[18:19], 0
	s_mov_b64 s[4:5], -1
.LBB52_382:                             ;   in Loop: Header=BB52_15 Depth=1
	s_and_b64 vcc, exec, s[18:19]
	s_mov_b64 s[58:59], s[18:19]
	s_cbranch_vccz .LBB52_393
; %bb.383:                              ;   in Loop: Header=BB52_15 Depth=1
	s_mov_b64 s[76:77], 0
                                        ; implicit-def: $vgpr6_vgpr7
	s_mov_b64 s[8:9], exec
	v_readlane_b32 s4, v59, 47
	v_readlane_b32 s5, v59, 48
	v_writelane_b32 v59, s8, 56
	s_and_b64 s[4:5], s[8:9], s[4:5]
	v_writelane_b32 v59, s9, 57
	s_mov_b64 exec, s[4:5]
	s_cbranch_execz .LBB52_392
; %bb.384:                              ;   in Loop: Header=BB52_15 Depth=1
	s_mov_b64 s[58:59], 0
	v_mov_b32_e32 v20, v22
	v_mov_b32_e32 v8, v0
                                        ; implicit-def: $sgpr76_sgpr77
	s_branch .LBB52_386
.LBB52_385:                             ;   in Loop: Header=BB52_386 Depth=2
	s_or_b64 exec, exec, s[18:19]
	s_waitcnt lgkmcnt(0)
	s_barrier
	s_waitcnt vmcnt(0)
	ds_read_b128 v[4:7], v21 offset:3072
	v_add_u32_e32 v8, s66, v8
	v_cmp_le_u32_e32 vcc, s6, v8
	v_add_u32_e32 v20, s78, v20
	s_waitcnt lgkmcnt(0)
	v_readfirstlane_b32 s5, v5
	v_readfirstlane_b32 s4, v4
	s_cmp_lg_u64 s[4:5], 0
	s_cselect_b64 s[4:5], -1, 0
	s_or_b64 s[8:9], vcc, s[4:5]
	s_and_b64 s[8:9], exec, s[8:9]
	s_or_b64 s[58:59], s[8:9], s[58:59]
	s_andn2_b64 s[8:9], s[76:77], exec
	s_and_b64 s[4:5], s[4:5], exec
	s_or_b64 s[76:77], s[8:9], s[4:5]
	s_barrier
	s_andn2_b64 exec, exec, s[58:59]
	s_cbranch_execz .LBB52_391
.LBB52_386:                             ;   Parent Loop BB52_15 Depth=1
                                        ; =>  This Inner Loop Header: Depth=2
	v_cmp_gt_u32_e32 vcc, s60, v8
	s_waitcnt vmcnt(0)
	v_pk_mov_b32 v[4:5], 0, 0
	s_and_saveexec_b64 s[8:9], vcc
	s_cbranch_execz .LBB52_388
; %bb.387:                              ;   in Loop: Header=BB52_386 Depth=2
	v_lshlrev_b64 v[4:5], 3, v[20:21]
	v_mov_b32_e32 v3, s64
	v_add_co_u32_e64 v4, s[18:19], s33, v4
	v_addc_co_u32_e64 v5, s[18:19], v3, v5, s[18:19]
	global_load_dwordx2 v[4:5], v[4:5], off
.LBB52_388:                             ;   in Loop: Header=BB52_386 Depth=2
	s_or_b64 exec, exec, s[8:9]
	s_and_saveexec_b64 s[18:19], vcc
	s_cbranch_execz .LBB52_385
; %bb.389:                              ;   in Loop: Header=BB52_386 Depth=2
	s_waitcnt vmcnt(0)
	v_xor_b32_e32 v3, 0x80000000, v5
	v_and_b32_e32 v7, v3, v27
	v_and_b32_e32 v6, v4, v26
	v_cmp_eq_u64_e32 vcc, v[6:7], v[28:29]
	s_and_b64 exec, exec, vcc
	s_cbranch_execz .LBB52_385
; %bb.390:                              ;   in Loop: Header=BB52_386 Depth=2
	v_mov_b32_e32 v3, v21
	ds_write_b128 v21, v[2:5] offset:3072
	s_branch .LBB52_385
.LBB52_391:                             ;   in Loop: Header=BB52_15 Depth=1
	s_or_b64 exec, exec, s[58:59]
	s_and_b64 s[76:77], s[76:77], exec
.LBB52_392:                             ;   in Loop: Header=BB52_15 Depth=1
	v_readlane_b32 s4, v59, 56
	v_readlane_b32 s5, v59, 57
	s_or_b64 exec, exec, s[4:5]
	s_mov_b64 s[4:5], 0
	s_mov_b64 s[18:19], -1
	s_mov_b64 s[58:59], 0
.LBB52_393:                             ;   in Loop: Header=BB52_15 Depth=1
	v_writelane_b32 v59, s4, 50
	s_orn2_b64 s[76:77], s[76:77], exec
	v_writelane_b32 v59, s5, 51
.LBB52_394:                             ;   in Loop: Header=BB52_15 Depth=1
	s_or_b64 exec, exec, s[14:15]
	s_mov_b64 vcc, 0
                                        ; implicit-def: $vgpr3
                                        ; implicit-def: $vgpr4
	s_and_saveexec_b64 s[8:9], s[76:77]
	s_cbranch_execz .LBB52_406
; %bb.395:                              ;   in Loop: Header=BB52_15 Depth=1
	s_xor_b64 s[4:5], s[74:75], -1
	v_mov_b32_e32 v3, 1
	s_waitcnt vmcnt(0)
	v_mov_b32_e32 v4, 1
	s_and_saveexec_b64 s[76:77], s[4:5]
	s_cbranch_execz .LBB52_405
; %bb.396:                              ;   in Loop: Header=BB52_15 Depth=1
	v_cmp_ge_u32_e32 vcc, s63, v9
                                        ; implicit-def: $sgpr4
	s_and_saveexec_b64 s[14:15], vcc
	s_xor_b64 s[14:15], exec, s[14:15]
	s_cbranch_execz .LBB52_402
; %bb.397:                              ;   in Loop: Header=BB52_15 Depth=1
	ds_read_b32 v3, v21 offset:4096
	s_waitcnt lgkmcnt(0)
	v_cmp_ne_u32_e32 vcc, 0, v3
	s_cbranch_vccnz .LBB52_401
; %bb.398:                              ;   in Loop: Header=BB52_15 Depth=1
	s_mov_b64 vcc, exec
	v_readlane_b32 s4, v59, 5
	v_readlane_b32 s5, v59, 6
	s_and_b64 s[4:5], vcc, s[4:5]
	s_mov_b64 exec, s[4:5]
	s_cbranch_execz .LBB52_400
; %bb.399:                              ;   in Loop: Header=BB52_15 Depth=1
	v_mov_b32_e32 v3, s63
	ds_write_b32 v21, v3 offset:4100
.LBB52_400:                             ;   in Loop: Header=BB52_15 Depth=1
	s_or_b64 exec, exec, vcc
	s_waitcnt lgkmcnt(0)
	s_barrier
.LBB52_401:                             ;   in Loop: Header=BB52_15 Depth=1
	v_and_b32_e32 v29, s25, v29
	v_and_b32_e32 v28, s24, v28
	v_or_b32_e32 v27, s23, v27
	v_or_b32_e32 v26, s22, v26
	s_mov_b32 s4, 5
.LBB52_402:                             ;   in Loop: Header=BB52_15 Depth=1
	s_or_saveexec_b64 s[22:23], s[14:15]
	v_mov_b32_e32 v3, s4
	s_xor_b64 exec, exec, s[22:23]
; %bb.403:                              ;   in Loop: Header=BB52_15 Depth=1
	v_subrev_u32_e32 v9, s63, v9
	v_mov_b32_e32 v3, 5
; %bb.404:                              ;   in Loop: Header=BB52_15 Depth=1
	s_or_b64 exec, exec, s[22:23]
	v_mov_b32_e32 v4, v9
.LBB52_405:                             ;   in Loop: Header=BB52_15 Depth=1
	s_or_b64 exec, exec, s[76:77]
	s_mov_b64 vcc, exec
.LBB52_406:                             ;   in Loop: Header=BB52_15 Depth=1
	s_or_b64 exec, exec, s[8:9]
	s_orn2_b64 s[8:9], vcc, exec
	s_waitcnt vmcnt(0)
	v_mov_b32_e32 v9, v4
.LBB52_407:                             ;   in Loop: Header=BB52_15 Depth=1
	s_or_b64 exec, exec, s[16:17]
	s_andn2_b64 s[4:5], s[50:51], exec
	s_and_b64 s[14:15], s[18:19], exec
	s_or_b64 s[50:51], s[4:5], s[14:15]
	v_readlane_b32 s14, v59, 50
	v_readlane_b32 s15, v59, 51
	s_andn2_b64 s[4:5], s[52:53], exec
	s_and_b64 s[14:15], s[14:15], exec
	s_or_b64 s[52:53], s[4:5], s[14:15]
	s_andn2_b64 s[4:5], s[54:55], exec
	s_and_b64 s[14:15], s[58:59], exec
	s_or_b64 s[54:55], s[4:5], s[14:15]
	s_and_b64 s[8:9], s[8:9], exec
	v_mov_b32_e32 v8, v9
.LBB52_408:                             ;   in Loop: Header=BB52_15 Depth=1
	s_or_b64 exec, exec, s[56:57]
	s_and_b64 s[50:51], s[50:51], exec
	s_and_b64 s[18:19], s[52:53], exec
	;; [unrolled: 1-line block ×3, first 2 shown]
	s_orn2_b64 s[8:9], s[8:9], exec
.LBB52_409:                             ;   in Loop: Header=BB52_15 Depth=1
	s_or_b64 exec, exec, s[48:49]
	s_andn2_b64 s[4:5], s[40:41], exec
	s_and_b64 s[14:15], s[50:51], exec
	s_or_b64 s[40:41], s[4:5], s[14:15]
	s_andn2_b64 s[4:5], s[42:43], exec
	s_and_b64 s[14:15], s[18:19], exec
	s_or_b64 s[42:43], s[4:5], s[14:15]
	;; [unrolled: 3-line block ×3, first 2 shown]
	s_and_b64 s[18:19], s[8:9], exec
	v_mov_b32_e32 v30, v8
.LBB52_410:                             ;   in Loop: Header=BB52_15 Depth=1
	s_or_b64 exec, exec, s[46:47]
	s_and_b64 s[40:41], s[40:41], exec
	s_and_b64 s[16:17], s[42:43], exec
	;; [unrolled: 1-line block ×3, first 2 shown]
	s_orn2_b64 s[42:43], s[18:19], exec
.LBB52_411:                             ;   in Loop: Header=BB52_15 Depth=1
	s_or_b64 exec, exec, s[34:35]
	s_mov_b64 s[18:19], s[28:29]
	s_mov_b64 s[22:23], s[20:21]
	s_and_saveexec_b64 s[24:25], s[42:43]
; %bb.412:                              ;   in Loop: Header=BB52_15 Depth=1
	v_cmp_ne_u32_e64 s[18:19], 5, v3
	v_cmp_eq_u32_e32 vcc, 5, v3
	s_andn2_b64 s[4:5], s[20:21], exec
	s_and_b64 s[14:15], s[18:19], exec
	s_or_b64 s[22:23], s[4:5], s[14:15]
	s_andn2_b64 s[4:5], s[28:29], exec
	s_and_b64 s[14:15], vcc, exec
	s_andn2_b64 s[40:41], s[40:41], exec
	s_andn2_b64 s[16:17], s[16:17], exec
	s_andn2_b64 s[8:9], s[8:9], exec
	s_or_b64 s[18:19], s[4:5], s[14:15]
; %bb.413:                              ;   in Loop: Header=BB52_15 Depth=1
	s_or_b64 exec, exec, s[24:25]
	s_andn2_b64 s[4:5], s[36:37], exec
	s_and_b64 s[14:15], s[40:41], exec
	s_or_b64 s[36:37], s[4:5], s[14:15]
	s_andn2_b64 s[4:5], s[38:39], exec
	s_and_b64 s[14:15], s[16:17], exec
	s_or_b64 s[38:39], s[4:5], s[14:15]
	;; [unrolled: 3-line block ×5, first 2 shown]
	v_pk_mov_b32 v[12:13], v[28:29], v[28:29] op_sel:[0,1]
	v_pk_mov_b32 v[14:15], v[26:27], v[26:27] op_sel:[0,1]
	;; [unrolled: 1-line block ×3, first 2 shown]
.LBB52_414:                             ;   in Loop: Header=BB52_15 Depth=1
	s_or_b64 exec, exec, s[30:31]
	s_mov_b64 s[34:35], s[26:27]
	s_mov_b64 s[30:31], s[26:27]
	s_and_saveexec_b64 s[8:9], s[28:29]
.LBB52_415:                             ;   in Loop: Header=BB52_15 Depth=1
	v_mov_b32_e32 v3, 0
	s_andn2_b64 s[26:27], s[26:27], exec
	s_andn2_b64 s[36:37], s[36:37], exec
	;; [unrolled: 1-line block ×5, first 2 shown]
	s_or_b64 s[20:21], s[20:21], exec
.LBB52_416:                             ;   in Loop: Header=BB52_15 Depth=1
	s_or_b64 exec, exec, s[8:9]
	s_andn2_b64 s[4:5], s[82:83], exec
	s_and_b64 s[8:9], s[26:27], exec
	s_or_b64 s[82:83], s[4:5], s[8:9]
	s_andn2_b64 s[4:5], s[80:81], exec
	s_and_b64 s[8:9], s[36:37], exec
	s_or_b64 s[80:81], s[4:5], s[8:9]
	;; [unrolled: 3-line block ×4, first 2 shown]
	s_andn2_b64 s[4:5], s[84:85], exec
	s_and_b64 s[8:9], s[30:31], exec
	s_mov_b64 s[16:17], -1
	s_or_b64 s[84:85], s[4:5], s[8:9]
                                        ; implicit-def: $vgpr26_vgpr27
                                        ; implicit-def: $vgpr28_vgpr29
                                        ; implicit-def: $vgpr47
                                        ; implicit-def: $vgpr6_vgpr7
	s_and_saveexec_b64 s[4:5], s[20:21]
	s_xor_b64 s[8:9], exec, s[4:5]
	s_cbranch_execz .LBB52_14
; %bb.417:                              ;   in Loop: Header=BB52_15 Depth=1
	v_cmp_eq_u32_e32 vcc, 0, v3
	s_mov_b64 s[18:19], -1
	s_and_saveexec_b64 s[20:21], vcc
	s_cbranch_execz .LBB52_13
; %bb.418:                              ;   in Loop: Header=BB52_15 Depth=1
	s_xor_b32 s62, s62, 1
	s_add_i32 s14, s11, -2
	s_cmp_eq_u32 s11, 0
	s_cselect_b64 s[4:5], -1, 0
	s_xor_b64 s[18:19], exec, -1
	s_orn2_b64 s[16:17], s[4:5], exec
	s_mov_b32 s11, s14
	s_branch .LBB52_13
.LBB52_419:
	s_or_b64 exec, exec, s[90:91]
	s_xor_b64 s[8:9], s[2:3], -1
	s_xor_b64 s[18:19], s[70:71], -1
	;; [unrolled: 1-line block ×5, first 2 shown]
	s_mov_b64 s[12:13], 0
	s_and_saveexec_b64 s[10:11], s[4:5]
	s_xor_b64 s[10:11], exec, s[10:11]
	s_cbranch_execnz .LBB52_424
; %bb.420:
	s_andn2_saveexec_b64 s[0:1], s[10:11]
	s_cbranch_execnz .LBB52_443
.LBB52_421:
	s_or_b64 exec, exec, s[0:1]
	s_and_saveexec_b64 s[0:1], s[12:13]
.LBB52_422:
	; divergent unreachable
.LBB52_423:
	s_endpgm
.LBB52_424:
	s_mov_b64 s[14:15], 0
	s_and_saveexec_b64 s[4:5], s[16:17]
	s_xor_b64 s[12:13], exec, s[4:5]
	s_cbranch_execz .LBB52_441
; %bb.425:
	s_mov_b64 s[16:17], 0
	s_and_saveexec_b64 s[4:5], s[18:19]
	s_xor_b64 s[14:15], exec, s[4:5]
	s_cbranch_execz .LBB52_439
; %bb.426:
	;; [unrolled: 5-line block ×3, first 2 shown]
	s_and_saveexec_b64 s[4:5], s[2:3]
	s_xor_b64 s[2:3], exec, s[4:5]
; %bb.428:
	v_xor_b32_e32 v13, 0x80000000, v13
	v_pk_mov_b32 v[10:11], v[12:13], v[12:13] op_sel:[0,1]
; %bb.429:
	s_or_b64 exec, exec, s[2:3]
	s_mov_b64 s[2:3], exec
	v_readlane_b32 s4, v59, 5
	v_readlane_b32 s5, v59, 6
	;; [unrolled: 1-line block ×4, first 2 shown]
	s_and_b64 s[4:5], s[2:3], s[4:5]
	v_readlane_b32 s9, v59, 8
	v_readlane_b32 s20, v59, 49
	;; [unrolled: 1-line block ×3, first 2 shown]
	s_mov_b64 exec, s[4:5]
	s_cbranch_execz .LBB52_431
; %bb.430:
	v_mov_b32_e32 v1, 0
	ds_write_b32 v1, v1 offset:4108
.LBB52_431:
	s_or_b64 exec, exec, s[2:3]
	v_pk_mov_b32 v[8:9], 0, 0
	s_waitcnt lgkmcnt(0)
	s_barrier
	s_mov_b64 s[2:3], exec
	v_readlane_b32 s4, v59, 27
	v_readlane_b32 s5, v59, 28
	s_and_b64 s[4:5], s[2:3], s[4:5]
	s_mov_b64 exec, s[4:5]
	s_cbranch_execz .LBB52_433
; %bb.432:
	global_load_dwordx2 v[8:9], v[18:19], off
.LBB52_433:
	s_or_b64 exec, exec, s[2:3]
	v_readlane_b32 s2, v59, 0
	v_readlane_b32 s3, v59, 9
	s_mul_i32 s2, s2, s7
	s_mul_i32 s3, s3, s79
	s_add_i32 s40, s60, 63
	s_add_i32 s2, s2, s65
	;; [unrolled: 1-line block ×3, first 2 shown]
	s_mov_b32 s3, 0
	s_andn2_b32 s40, s40, 63
	s_lshl_b64 s[6:7], s[2:3], 3
	v_readlane_b32 s18, v59, 1
	s_load_dword s45, s[8:9], 0x1c8
	s_load_dword s46, s[8:9], 0x2a8
	v_readlane_b32 s19, v59, 2
	s_add_u32 s41, s18, s6
	s_mov_b32 s5, s3
	s_addc_u32 s42, s19, s7
	s_lshl_b64 s[2:3], s[4:5], 3
	v_readlane_b32 s4, v59, 3
	v_readlane_b32 s5, v59, 4
	s_add_u32 s43, s4, s2
	v_add_u32_e32 v1, s66, v0
	s_addc_u32 s44, s5, s3
	v_cmp_gt_u32_e32 vcc, s40, v0
	s_mov_b64 s[18:19], -1
	s_mov_b64 s[2:3], 0
	v_mul_lo_u32 v2, s20, v1
	s_mov_b64 s[4:5], 0
	s_and_saveexec_b64 s[8:9], vcc
	s_cbranch_execnz .LBB52_444
; %bb.434:
	s_or_b64 exec, exec, s[8:9]
	s_and_saveexec_b64 s[8:9], s[18:19]
	s_cbranch_execnz .LBB52_459
.LBB52_435:
	s_or_b64 exec, exec, s[8:9]
	s_and_saveexec_b64 s[0:1], s[4:5]
	s_xor_b64 s[0:1], exec, s[0:1]
	s_cbranch_execnz .LBB52_481
.LBB52_436:
	s_or_b64 exec, exec, s[0:1]
	s_and_b64 s[18:19], s[2:3], exec
.LBB52_437:
	s_andn2_saveexec_b64 s[0:1], s[16:17]
	s_cbranch_execnz .LBB52_484
.LBB52_438:
	s_or_b64 exec, exec, s[0:1]
	s_and_b64 s[16:17], s[18:19], exec
.LBB52_439:
	s_andn2_saveexec_b64 s[0:1], s[14:15]
	s_cbranch_execnz .LBB52_483
.LBB52_440:
	s_or_b64 exec, exec, s[0:1]
	s_and_b64 s[14:15], s[16:17], exec
.LBB52_441:
	s_andn2_saveexec_b64 s[0:1], s[12:13]
	s_cbranch_execnz .LBB52_482
.LBB52_442:
	s_or_b64 exec, exec, s[0:1]
	s_and_b64 s[12:13], s[14:15], exec
	s_andn2_saveexec_b64 s[0:1], s[10:11]
	s_cbranch_execz .LBB52_421
.LBB52_443:
	s_or_b64 s[12:13], s[12:13], exec
	s_trap 2
	s_or_b64 exec, exec, s[0:1]
	s_and_saveexec_b64 s[0:1], s[12:13]
	s_cbranch_execnz .LBB52_422
	s_branch .LBB52_423
.LBB52_444:
	s_waitcnt vmcnt(0)
	v_xor_b32_e32 v5, 0x80000000, v11
	v_mov_b32_e32 v4, v10
	v_mul_lo_u32 v6, s20, v1
	s_mov_b64 s[18:19], 0
	v_mov_b32_e32 v7, 0
	v_mov_b32_e32 v14, v0
                                        ; implicit-def: $sgpr20_sgpr21
                                        ; implicit-def: $vgpr3
	s_branch .LBB52_446
.LBB52_445:                             ;   in Loop: Header=BB52_446 Depth=1
	s_or_b64 exec, exec, s[22:23]
	s_xor_b64 s[6:7], s[26:27], -1
	s_and_b64 s[4:5], exec, s[4:5]
	s_or_b64 s[18:19], s[4:5], s[18:19]
	s_andn2_b64 s[4:5], s[20:21], exec
	s_and_b64 s[6:7], s[6:7], exec
	s_or_b64 s[20:21], s[4:5], s[6:7]
	s_waitcnt vmcnt(0)
	v_pk_mov_b32 v[8:9], v[12:13], v[12:13] op_sel:[0,1]
	v_mov_b32_e32 v14, v1
	s_andn2_b64 exec, exec, s[18:19]
	s_cbranch_execz .LBB52_458
.LBB52_446:                             ; =>This Inner Loop Header: Depth=1
	v_add_u32_e32 v1, s66, v14
	v_cmp_gt_u32_e32 vcc, s60, v1
	v_pk_mov_b32 v[12:13], 0, 0
	s_and_saveexec_b64 s[4:5], vcc
	s_cbranch_execz .LBB52_448
; %bb.447:                              ;   in Loop: Header=BB52_446 Depth=1
	v_lshlrev_b64 v[12:13], 3, v[6:7]
	v_mov_b32_e32 v15, s64
	v_add_co_u32_e32 v12, vcc, s33, v12
	v_addc_co_u32_e32 v13, vcc, v15, v13, vcc
	global_load_dwordx2 v[12:13], v[12:13], off
.LBB52_448:                             ;   in Loop: Header=BB52_446 Depth=1
	s_or_b64 exec, exec, s[4:5]
	v_xor_b32_e32 v21, 0x80000000, v9
	v_mov_b32_e32 v20, v8
	v_cmp_gt_u64_e64 s[4:5], v[20:21], v[4:5]
	v_cndmask_b32_e64 v15, 0, 1, s[4:5]
	v_cmp_lt_u64_e64 s[4:5], v[20:21], v[4:5]
	v_cndmask_b32_e64 v20, 0, 1, s[4:5]
	v_cndmask_b32_e64 v15, v20, v15, s[30:31]
	v_and_b32_e32 v15, 1, v15
	v_cmp_gt_u32_e32 vcc, s60, v14
	v_cmp_eq_u32_e64 s[4:5], 1, v15
	s_and_b64 s[24:25], vcc, s[4:5]
	v_cndmask_b32_e64 v15, 0, 1, s[24:25]
	v_cmp_ne_u32_e32 vcc, 0, v15
	s_cmp_lg_u64 vcc, 0
	s_cselect_b64 s[4:5], -1, 0
	s_and_b64 s[4:5], s[0:1], s[4:5]
	s_and_saveexec_b64 s[22:23], s[4:5]
	s_cbranch_execz .LBB52_452
; %bb.449:                              ;   in Loop: Header=BB52_446 Depth=1
	s_mov_b64 s[28:29], exec
	s_waitcnt lgkmcnt(0)
	v_mbcnt_lo_u32_b32 v3, s28, 0
	v_mbcnt_hi_u32_b32 v3, s29, v3
	s_bcnt1_i32_b64 s6, vcc
	v_cmp_eq_u32_e64 s[4:5], 0, v3
                                        ; implicit-def: $vgpr15
	s_and_saveexec_b64 s[26:27], s[4:5]
	s_cbranch_execz .LBB52_451
; %bb.450:                              ;   in Loop: Header=BB52_446 Depth=1
	s_bcnt1_i32_b64 s4, s[28:29]
	s_mul_i32 s4, s6, s4
	v_mov_b32_e32 v15, s4
	ds_add_rtn_u32 v15, v7, v15 offset:4108
.LBB52_451:                             ;   in Loop: Header=BB52_446 Depth=1
	s_or_b64 exec, exec, s[26:27]
	s_waitcnt lgkmcnt(0)
	v_readfirstlane_b32 s4, v15
	v_mov_b32_e32 v15, s4
	v_mad_u32_u24 v3, s6, v3, v15
.LBB52_452:                             ;   in Loop: Header=BB52_446 Depth=1
	s_or_b64 exec, exec, s[22:23]
	s_waitcnt lgkmcnt(0)
	ds_bpermute_b32 v3, v23, v3
	s_mov_b64 s[4:5], -1
	s_mov_b64 s[28:29], -1
                                        ; implicit-def: $sgpr26_sgpr27
	s_and_saveexec_b64 s[22:23], s[24:25]
	s_cbranch_execz .LBB52_456
; %bb.453:                              ;   in Loop: Header=BB52_446 Depth=1
	v_and_b32_e32 v20, vcc_lo, v16
	v_and_b32_e32 v15, vcc_hi, v17
	v_bcnt_u32_b32 v20, v20, 0
	v_bcnt_u32_b32 v15, v15, v20
	s_waitcnt lgkmcnt(0)
	v_add_u32_e32 v15, v3, v15
	v_cmp_gt_u32_e32 vcc, s61, v15
	s_mov_b64 s[24:25], 0
	s_and_saveexec_b64 s[26:27], vcc
	s_cbranch_execz .LBB52_455
; %bb.454:                              ;   in Loop: Header=BB52_446 Depth=1
	v_mul_lo_u32 v20, v15, s45
	v_mov_b32_e32 v21, v7
	v_lshlrev_b64 v[20:21], 3, v[20:21]
	v_mul_lo_u32 v24, v15, s46
	v_mov_b32_e32 v15, s42
	v_add_co_u32_e32 v20, vcc, s41, v20
	v_addc_co_u32_e32 v21, vcc, v15, v21, vcc
	v_mov_b32_e32 v25, v7
	global_store_dwordx2 v[20:21], v[8:9], off
	v_lshlrev_b64 v[8:9], 3, v[24:25]
	v_mov_b32_e32 v20, s44
	v_add_co_u32_e32 v8, vcc, s43, v8
	s_mov_b64 s[24:25], exec
	v_mov_b32_e32 v15, v7
	v_addc_co_u32_e32 v9, vcc, v20, v9, vcc
	global_store_dwordx2 v[8:9], v[14:15], off
.LBB52_455:                             ;   in Loop: Header=BB52_446 Depth=1
	s_or_b64 exec, exec, s[26:27]
	s_mov_b64 s[26:27], -1
	s_orn2_b64 s[28:29], s[24:25], exec
.LBB52_456:                             ;   in Loop: Header=BB52_446 Depth=1
	s_or_b64 exec, exec, s[22:23]
	s_and_saveexec_b64 s[22:23], s[28:29]
	s_cbranch_execz .LBB52_445
; %bb.457:                              ;   in Loop: Header=BB52_446 Depth=1
	v_cmp_le_u32_e32 vcc, s40, v1
	v_add_u32_e32 v6, s78, v6
	s_andn2_b64 s[26:27], s[26:27], exec
	s_orn2_b64 s[4:5], vcc, exec
	s_branch .LBB52_445
.LBB52_458:
	s_or_b64 exec, exec, s[18:19]
	s_mov_b64 s[4:5], exec
	s_orn2_b64 s[18:19], s[20:21], exec
	s_or_b64 exec, exec, s[8:9]
	s_and_saveexec_b64 s[8:9], s[18:19]
	s_cbranch_execz .LBB52_435
.LBB52_459:
	s_waitcnt vmcnt(0)
	v_pk_mov_b32 v[4:5], 0, 0
	s_waitcnt lgkmcnt(0)
	s_barrier
	s_mov_b64 s[2:3], exec
	v_readlane_b32 s6, v59, 27
	v_readlane_b32 s7, v59, 28
	s_and_b64 s[6:7], s[2:3], s[6:7]
	s_mov_b64 exec, s[6:7]
	s_cbranch_execz .LBB52_461
; %bb.460:
	global_load_dwordx2 v[4:5], v[18:19], off
.LBB52_461:
	s_or_b64 exec, exec, s[2:3]
	s_mov_b64 s[6:7], 0
	v_mov_b32_e32 v3, 0
                                        ; implicit-def: $sgpr18_sgpr19
                                        ; implicit-def: $sgpr20_sgpr21
                                        ; implicit-def: $sgpr22_sgpr23
                                        ; implicit-def: $vgpr8
	s_branch .LBB52_464
.LBB52_462:                             ;   in Loop: Header=BB52_464 Depth=1
	s_or_b64 exec, exec, s[28:29]
	s_andn2_b64 s[22:23], s[22:23], exec
	s_and_b64 s[26:27], s[34:35], exec
	s_andn2_b64 s[20:21], s[20:21], exec
	s_and_b64 s[2:3], s[2:3], exec
	s_or_b64 s[22:23], s[22:23], s[26:27]
	s_or_b64 s[20:21], s[20:21], s[2:3]
	v_mov_b32_e32 v0, v9
.LBB52_463:                             ;   in Loop: Header=BB52_464 Depth=1
	s_or_b64 exec, exec, s[24:25]
	s_xor_b64 s[2:3], s[22:23], -1
	s_and_b64 s[24:25], exec, s[20:21]
	s_or_b64 s[6:7], s[24:25], s[6:7]
	s_andn2_b64 s[18:19], s[18:19], exec
	s_and_b64 s[2:3], s[2:3], exec
	s_or_b64 s[18:19], s[18:19], s[2:3]
	s_andn2_b64 exec, exec, s[6:7]
	s_cbranch_execz .LBB52_479
.LBB52_464:                             ; =>This Inner Loop Header: Depth=1
	v_cmp_gt_u32_e32 vcc, s40, v0
	s_or_b64 s[22:23], s[22:23], exec
	s_or_b64 s[20:21], s[20:21], exec
	s_and_saveexec_b64 s[24:25], vcc
	s_cbranch_execz .LBB52_463
; %bb.465:                              ;   in Loop: Header=BB52_464 Depth=1
	v_add_u32_e32 v9, s66, v0
	v_cmp_gt_u32_e32 vcc, s60, v9
	v_pk_mov_b32 v[6:7], 0, 0
	s_and_saveexec_b64 s[2:3], vcc
	s_cbranch_execz .LBB52_467
; %bb.466:                              ;   in Loop: Header=BB52_464 Depth=1
	v_lshlrev_b64 v[6:7], 3, v[2:3]
	v_mov_b32_e32 v1, s64
	v_add_co_u32_e32 v6, vcc, s33, v6
	v_addc_co_u32_e32 v7, vcc, v1, v7, vcc
	global_load_dwordx2 v[6:7], v[6:7], off
.LBB52_467:                             ;   in Loop: Header=BB52_464 Depth=1
	s_or_b64 exec, exec, s[2:3]
	v_cmp_gt_u32_e32 vcc, s60, v0
	s_waitcnt vmcnt(0)
	v_cmp_eq_u64_e64 s[2:3], v[4:5], v[10:11]
	s_and_b64 s[28:29], vcc, s[2:3]
	v_cndmask_b32_e64 v1, 0, 1, s[28:29]
	v_cmp_ne_u32_e32 vcc, 0, v1
	s_cmp_lg_u64 vcc, 0
	s_cselect_b64 s[2:3], -1, 0
	s_and_b64 s[2:3], s[0:1], s[2:3]
	s_and_saveexec_b64 s[26:27], s[2:3]
	s_cbranch_execz .LBB52_471
; %bb.468:                              ;   in Loop: Header=BB52_464 Depth=1
	s_mov_b64 s[34:35], exec
	v_mbcnt_lo_u32_b32 v1, s34, 0
	v_mbcnt_hi_u32_b32 v1, s35, v1
	s_bcnt1_i32_b64 s36, vcc
	v_cmp_eq_u32_e64 s[2:3], 0, v1
                                        ; implicit-def: $vgpr8
	s_and_saveexec_b64 s[30:31], s[2:3]
	s_cbranch_execz .LBB52_470
; %bb.469:                              ;   in Loop: Header=BB52_464 Depth=1
	s_bcnt1_i32_b64 s2, s[34:35]
	s_mul_i32 s2, s36, s2
	v_mov_b32_e32 v8, s2
	ds_add_rtn_u32 v8, v3, v8 offset:4108
.LBB52_470:                             ;   in Loop: Header=BB52_464 Depth=1
	s_or_b64 exec, exec, s[30:31]
	s_waitcnt lgkmcnt(0)
	v_readfirstlane_b32 s2, v8
	v_mov_b32_e32 v8, s2
	v_mad_u32_u24 v8, s36, v1, v8
.LBB52_471:                             ;   in Loop: Header=BB52_464 Depth=1
	s_or_b64 exec, exec, s[26:27]
	ds_bpermute_b32 v8, v23, v8
	s_cmp_eq_u64 vcc, 0
	s_cselect_b64 s[26:27], -1, 0
	s_mov_b64 s[30:31], -1
	s_mov_b64 s[34:35], -1
	s_waitcnt lgkmcnt(0)
	v_cmp_gt_u32_e64 s[2:3], s61, v8
	s_or_b64 s[26:27], s[26:27], s[2:3]
	v_cndmask_b32_e64 v5, v5, v7, s[26:27]
	s_and_b64 s[36:37], s[28:29], s[26:27]
	v_cndmask_b32_e64 v4, v4, v6, s[26:27]
	s_mov_b64 s[2:3], -1
	s_and_saveexec_b64 s[28:29], s[36:37]
	s_cbranch_execz .LBB52_477
; %bb.472:                              ;   in Loop: Header=BB52_464 Depth=1
	v_and_b32_e32 v4, vcc_lo, v16
	v_and_b32_e32 v1, vcc_hi, v17
	v_bcnt_u32_b32 v4, v4, 0
	v_bcnt_u32_b32 v1, v1, v4
	v_sub_u32_e32 v4, s61, v8
	v_cmp_le_u32_e64 s[30:31], v4, v1
	v_cmp_gt_u32_e32 vcc, v4, v1
	s_mov_b64 s[36:37], -1
	s_and_saveexec_b64 s[34:35], vcc
	s_cbranch_execz .LBB52_476
; %bb.473:                              ;   in Loop: Header=BB52_464 Depth=1
	v_add_u32_e32 v1, v8, v1
	v_cmp_gt_u32_e32 vcc, s61, v1
	s_mov_b64 s[38:39], s[30:31]
	s_and_saveexec_b64 s[36:37], vcc
	s_cbranch_execz .LBB52_475
; %bb.474:                              ;   in Loop: Header=BB52_464 Depth=1
	v_mul_lo_u32 v4, v1, s45
	v_mov_b32_e32 v5, v3
	v_lshlrev_b64 v[4:5], 3, v[4:5]
	v_mul_lo_u32 v12, v1, s46
	v_mov_b32_e32 v1, s42
	v_add_co_u32_e32 v4, vcc, s41, v4
	v_addc_co_u32_e32 v5, vcc, v1, v5, vcc
	v_mov_b32_e32 v13, v3
	global_store_dwordx2 v[4:5], v[10:11], off
	v_lshlrev_b64 v[4:5], 3, v[12:13]
	v_mov_b32_e32 v12, s44
	v_add_co_u32_e32 v4, vcc, s43, v4
	v_mov_b32_e32 v1, v3
	v_addc_co_u32_e32 v5, vcc, v12, v5, vcc
	s_or_b64 s[38:39], s[30:31], exec
	global_store_dwordx2 v[4:5], v[0:1], off
.LBB52_475:                             ;   in Loop: Header=BB52_464 Depth=1
	s_or_b64 exec, exec, s[36:37]
	s_andn2_b64 s[30:31], s[30:31], exec
	s_and_b64 s[38:39], s[38:39], exec
	s_xor_b64 s[36:37], exec, -1
	s_or_b64 s[30:31], s[30:31], s[38:39]
.LBB52_476:                             ;   in Loop: Header=BB52_464 Depth=1
	s_or_b64 exec, exec, s[34:35]
	s_orn2_b64 s[34:35], s[36:37], exec
	s_or_b64 s[26:27], s[26:27], exec
	s_orn2_b64 s[30:31], s[30:31], exec
	v_pk_mov_b32 v[4:5], v[6:7], v[6:7] op_sel:[0,1]
.LBB52_477:                             ;   in Loop: Header=BB52_464 Depth=1
	s_or_b64 exec, exec, s[28:29]
	s_and_saveexec_b64 s[28:29], s[30:31]
	s_cbranch_execz .LBB52_462
; %bb.478:                              ;   in Loop: Header=BB52_464 Depth=1
	s_xor_b64 s[2:3], s[26:27], -1
	v_add_u32_e32 v2, s78, v2
	s_or_b64 s[34:35], s[34:35], exec
	s_orn2_b64 s[2:3], s[2:3], exec
	s_branch .LBB52_462
.LBB52_479:
	s_or_b64 exec, exec, s[6:7]
	s_mov_b64 s[0:1], 0
	s_and_saveexec_b64 s[2:3], s[18:19]
	s_xor_b64 s[2:3], exec, s[2:3]
	s_cbranch_execnz .LBB52_485
.LBB52_480:
	s_or_b64 exec, exec, s[2:3]
	s_and_b64 s[2:3], s[0:1], exec
	s_andn2_b64 s[4:5], s[4:5], exec
	s_or_b64 exec, exec, s[8:9]
	s_and_saveexec_b64 s[0:1], s[4:5]
	s_xor_b64 s[0:1], exec, s[0:1]
	s_cbranch_execz .LBB52_436
.LBB52_481:
	s_or_b64 s[2:3], s[2:3], exec
	s_trap 2
	s_branch .LBB52_436
.LBB52_482:
	s_or_b64 s[14:15], s[14:15], exec
	s_trap 2
	s_branch .LBB52_442
.LBB52_483:
	s_or_b64 s[16:17], s[16:17], exec
	s_trap 2
	s_branch .LBB52_440
.LBB52_484:
	s_trap 2
	s_or_b64 s[18:19], s[18:19], exec
	s_branch .LBB52_438
.LBB52_485:
	s_mov_b64 s[0:1], exec
	s_trap 2
	s_branch .LBB52_480
	.section	.rodata,"a",@progbits
	.p2align	6, 0x0
	.amdhsa_kernel _ZN2at6native6sbtopk10gatherTopKIljLin1ELb0EEEvNS_4cuda6detail10TensorInfoIKT_T0_EES8_S8_bS8_S8_NS5_IS6_S8_EES8_NS5_IlS8_EES8_PS6_
		.amdhsa_group_segment_fixed_size 4112
		.amdhsa_private_segment_fixed_size 0
		.amdhsa_kernarg_size 952
		.amdhsa_user_sgpr_count 6
		.amdhsa_user_sgpr_private_segment_buffer 1
		.amdhsa_user_sgpr_dispatch_ptr 0
		.amdhsa_user_sgpr_queue_ptr 0
		.amdhsa_user_sgpr_kernarg_segment_ptr 1
		.amdhsa_user_sgpr_dispatch_id 0
		.amdhsa_user_sgpr_flat_scratch_init 0
		.amdhsa_user_sgpr_kernarg_preload_length 0
		.amdhsa_user_sgpr_kernarg_preload_offset 0
		.amdhsa_user_sgpr_private_segment_size 0
		.amdhsa_uses_dynamic_stack 0
		.amdhsa_system_sgpr_private_segment_wavefront_offset 0
		.amdhsa_system_sgpr_workgroup_id_x 1
		.amdhsa_system_sgpr_workgroup_id_y 1
		.amdhsa_system_sgpr_workgroup_id_z 1
		.amdhsa_system_sgpr_workgroup_info 0
		.amdhsa_system_vgpr_workitem_id 0
		.amdhsa_next_free_vgpr 60
		.amdhsa_next_free_sgpr 96
		.amdhsa_accum_offset 60
		.amdhsa_reserve_vcc 1
		.amdhsa_reserve_flat_scratch 0
		.amdhsa_float_round_mode_32 0
		.amdhsa_float_round_mode_16_64 0
		.amdhsa_float_denorm_mode_32 3
		.amdhsa_float_denorm_mode_16_64 3
		.amdhsa_dx10_clamp 1
		.amdhsa_ieee_mode 1
		.amdhsa_fp16_overflow 0
		.amdhsa_tg_split 0
		.amdhsa_exception_fp_ieee_invalid_op 0
		.amdhsa_exception_fp_denorm_src 0
		.amdhsa_exception_fp_ieee_div_zero 0
		.amdhsa_exception_fp_ieee_overflow 0
		.amdhsa_exception_fp_ieee_underflow 0
		.amdhsa_exception_fp_ieee_inexact 0
		.amdhsa_exception_int_div_zero 0
	.end_amdhsa_kernel
	.section	.text._ZN2at6native6sbtopk10gatherTopKIljLin1ELb0EEEvNS_4cuda6detail10TensorInfoIKT_T0_EES8_S8_bS8_S8_NS5_IS6_S8_EES8_NS5_IlS8_EES8_PS6_,"axG",@progbits,_ZN2at6native6sbtopk10gatherTopKIljLin1ELb0EEEvNS_4cuda6detail10TensorInfoIKT_T0_EES8_S8_bS8_S8_NS5_IS6_S8_EES8_NS5_IlS8_EES8_PS6_,comdat
.Lfunc_end52:
	.size	_ZN2at6native6sbtopk10gatherTopKIljLin1ELb0EEEvNS_4cuda6detail10TensorInfoIKT_T0_EES8_S8_bS8_S8_NS5_IS6_S8_EES8_NS5_IlS8_EES8_PS6_, .Lfunc_end52-_ZN2at6native6sbtopk10gatherTopKIljLin1ELb0EEEvNS_4cuda6detail10TensorInfoIKT_T0_EES8_S8_bS8_S8_NS5_IS6_S8_EES8_NS5_IlS8_EES8_PS6_
                                        ; -- End function
	.section	.AMDGPU.csdata,"",@progbits
; Kernel info:
; codeLenInByte = 17208
; NumSgprs: 100
; NumVgprs: 60
; NumAgprs: 0
; TotalNumVgprs: 60
; ScratchSize: 0
; MemoryBound: 0
; FloatMode: 240
; IeeeMode: 1
; LDSByteSize: 4112 bytes/workgroup (compile time only)
; SGPRBlocks: 12
; VGPRBlocks: 7
; NumSGPRsForWavesPerEU: 100
; NumVGPRsForWavesPerEU: 60
; AccumOffset: 60
; Occupancy: 8
; WaveLimiterHint : 1
; COMPUTE_PGM_RSRC2:SCRATCH_EN: 0
; COMPUTE_PGM_RSRC2:USER_SGPR: 6
; COMPUTE_PGM_RSRC2:TRAP_HANDLER: 0
; COMPUTE_PGM_RSRC2:TGID_X_EN: 1
; COMPUTE_PGM_RSRC2:TGID_Y_EN: 1
; COMPUTE_PGM_RSRC2:TGID_Z_EN: 1
; COMPUTE_PGM_RSRC2:TIDIG_COMP_CNT: 0
; COMPUTE_PGM_RSRC3_GFX90A:ACCUM_OFFSET: 14
; COMPUTE_PGM_RSRC3_GFX90A:TG_SPLIT: 0
	.section	.text._ZN2at6native6mbtopk23computeBlockDigitCountsIsjjLi1EEEvNS_4cuda6detail10TensorInfoIKT_T0_EEjPjjS8_iijT1_PSB_Ps,"axG",@progbits,_ZN2at6native6mbtopk23computeBlockDigitCountsIsjjLi1EEEvNS_4cuda6detail10TensorInfoIKT_T0_EEjPjjS8_iijT1_PSB_Ps,comdat
	.protected	_ZN2at6native6mbtopk23computeBlockDigitCountsIsjjLi1EEEvNS_4cuda6detail10TensorInfoIKT_T0_EEjPjjS8_iijT1_PSB_Ps ; -- Begin function _ZN2at6native6mbtopk23computeBlockDigitCountsIsjjLi1EEEvNS_4cuda6detail10TensorInfoIKT_T0_EEjPjjS8_iijT1_PSB_Ps
	.globl	_ZN2at6native6mbtopk23computeBlockDigitCountsIsjjLi1EEEvNS_4cuda6detail10TensorInfoIKT_T0_EEjPjjS8_iijT1_PSB_Ps
	.p2align	8
	.type	_ZN2at6native6mbtopk23computeBlockDigitCountsIsjjLi1EEEvNS_4cuda6detail10TensorInfoIKT_T0_EEjPjjS8_iijT1_PSB_Ps,@function
_ZN2at6native6mbtopk23computeBlockDigitCountsIsjjLi1EEEvNS_4cuda6detail10TensorInfoIKT_T0_EEjPjjS8_iijT1_PSB_Ps: ; @_ZN2at6native6mbtopk23computeBlockDigitCountsIsjjLi1EEEvNS_4cuda6detail10TensorInfoIKT_T0_EEjPjjS8_iijT1_PSB_Ps
; %bb.0:
	s_load_dwordx2 s[10:11], s[4:5], 0xf8
	s_load_dwordx4 s[12:15], s[4:5], 0xe8
	s_load_dwordx2 s[0:1], s[4:5], 0x110
	s_waitcnt lgkmcnt(0)
	v_cvt_f32_u32_e32 v1, s10
	s_sub_i32 s2, 0, s10
	s_mul_i32 s1, s1, s8
	s_add_i32 s1, s1, s7
	v_rcp_iflag_f32_e32 v1, v1
	s_mul_i32 s16, s1, s0
	s_add_i32 s16, s16, s6
	s_mov_b32 s7, 0
	v_mul_f32_e32 v1, 0x4f7ffffe, v1
	v_cvt_u32_f32_e32 v1, v1
	v_readfirstlane_b32 s0, v1
	s_mul_i32 s2, s2, s0
	s_mul_hi_u32 s1, s0, s2
	s_add_i32 s0, s0, s1
	s_mul_hi_u32 s0, s16, s0
	s_mul_i32 s1, s0, s10
	s_sub_i32 s1, s16, s1
	s_add_i32 s2, s0, 1
	s_sub_i32 s3, s1, s10
	s_cmp_ge_u32 s1, s10
	s_cselect_b32 s0, s2, s0
	s_cselect_b32 s1, s3, s1
	s_add_i32 s2, s0, 1
	s_cmp_ge_u32 s1, s10
	s_cselect_b32 s6, s2, s0
	s_cmp_ge_u32 s6, s12
	s_cbranch_scc1 .LBB53_29
; %bb.1:
	s_load_dwordx4 s[0:3], s[4:5], 0x100
	s_lshl_b64 s[8:9], s[6:7], 2
	s_movk_i32 s7, 0x100
	v_cmp_gt_u32_e32 vcc, s7, v0
	v_lshlrev_b32_e32 v1, 2, v0
	s_waitcnt lgkmcnt(0)
	s_add_u32 s0, s0, s8
	s_addc_u32 s1, s1, s9
	s_and_saveexec_b64 s[8:9], vcc
	s_cbranch_execz .LBB53_3
; %bb.2:
	v_mov_b32_e32 v2, 0
	ds_write_b32 v1, v2
.LBB53_3:
	s_or_b64 exec, exec, s[8:9]
	s_load_dword s8, s[4:5], 0xd8
	s_mul_i32 s7, s6, s10
	s_sub_i32 s7, s16, s7
	s_add_i32 s9, s7, 1
	s_mul_i32 s7, s15, s7
	s_lshl_b32 s17, s7, 8
	s_waitcnt lgkmcnt(0)
	s_sub_i32 s7, s8, s17
	s_add_u32 s7, s7, 0xff
	s_addc_u32 s12, 0, 0
	v_mov_b32_e32 v2, s7
	v_alignbit_b32 v2, s12, v2, 8
	s_cmp_lt_u32 s9, s10
	v_readfirstlane_b32 s7, v2
	s_cselect_b32 s15, s15, s7
	s_cmp_lt_i32 s15, 1
	s_mov_b32 s7, 0
	s_barrier
	s_cbranch_scc1 .LBB53_25
; %bb.4:
	s_load_dword s10, s[4:5], 0x6c
	s_load_dwordx2 s[18:19], s[4:5], 0x0
	s_load_dword s9, s[0:1], 0x0
	s_waitcnt lgkmcnt(0)
	s_mul_i32 s6, s10, s6
	s_lshl_b64 s[0:1], s[6:7], 1
	s_add_u32 s6, s18, s0
	s_addc_u32 s10, s19, s1
	s_and_b32 s12, s14, 0xff
	s_cmp_lt_u32 s15, 4
	s_cbranch_scc1 .LBB53_19
; %bb.5:
	v_add_u32_e32 v2, s17, v0
	v_add_u32_e32 v3, 0x200, v2
	;; [unrolled: 1-line block ×3, first 2 shown]
	v_mul_lo_u32 v6, s13, v3
	v_add_u32_e32 v3, 0x100, v2
	s_and_b32 s7, s15, 0x7ffffffc
	v_mul_lo_u32 v5, s13, v4
	s_lshl_b32 s14, s13, 10
	v_mul_lo_u32 v7, s13, v3
	v_mul_lo_u32 v8, s13, v2
	s_mov_b32 s18, 0
	v_mov_b32_e32 v3, 0
	v_mov_b32_e32 v9, 1
	s_mov_b32 s19, 0
	s_branch .LBB53_7
.LBB53_6:                               ;   in Loop: Header=BB53_7 Depth=1
	s_or_b64 exec, exec, s[4:5]
	s_add_i32 s19, s19, 4
	s_add_i32 s18, s18, s14
	s_cmp_eq_u32 s7, s19
	v_add_u32_e32 v4, 0x400, v4
	s_cbranch_scc1 .LBB53_19
.LBB53_7:                               ; =>This Inner Loop Header: Depth=1
	v_add_u32_e32 v2, 0xfffffd00, v4
	v_cmp_gt_u32_e64 s[0:1], s8, v2
	s_and_saveexec_b64 s[4:5], s[0:1]
	s_cbranch_execz .LBB53_10
; %bb.8:                                ;   in Loop: Header=BB53_7 Depth=1
	v_add_u32_e32 v2, s18, v8
	v_lshlrev_b64 v[10:11], 1, v[2:3]
	v_mov_b32_e32 v2, s10
	v_add_co_u32_e64 v10, s[0:1], s6, v10
	v_addc_co_u32_e64 v11, s[0:1], v2, v11, s[0:1]
	global_load_sshort v2, v[10:11], off
	s_waitcnt vmcnt(0)
	v_add_u32_e32 v2, 0x8000, v2
	v_xor_b32_e32 v10, s9, v2
	v_and_b32_e32 v10, s11, v10
	v_cmp_eq_u32_e64 s[0:1], 0, v10
	s_and_b64 exec, exec, s[0:1]
	s_cbranch_execz .LBB53_10
; %bb.9:                                ;   in Loop: Header=BB53_7 Depth=1
	v_bfe_u32 v2, v2, s12, 8
	v_lshlrev_b32_e32 v2, 2, v2
	ds_add_u32 v2, v9
.LBB53_10:                              ;   in Loop: Header=BB53_7 Depth=1
	s_or_b64 exec, exec, s[4:5]
	v_add_u32_e32 v2, 0xfffffe00, v4
	v_cmp_gt_u32_e64 s[0:1], s8, v2
	s_and_saveexec_b64 s[4:5], s[0:1]
	s_cbranch_execz .LBB53_13
; %bb.11:                               ;   in Loop: Header=BB53_7 Depth=1
	v_add_u32_e32 v2, s18, v7
	v_lshlrev_b64 v[10:11], 1, v[2:3]
	v_mov_b32_e32 v2, s10
	v_add_co_u32_e64 v10, s[0:1], s6, v10
	v_addc_co_u32_e64 v11, s[0:1], v2, v11, s[0:1]
	global_load_sshort v2, v[10:11], off
	s_waitcnt vmcnt(0)
	v_add_u32_e32 v2, 0x8000, v2
	v_xor_b32_e32 v10, s9, v2
	v_and_b32_e32 v10, s11, v10
	v_cmp_eq_u32_e64 s[0:1], 0, v10
	s_and_b64 exec, exec, s[0:1]
	s_cbranch_execz .LBB53_13
; %bb.12:                               ;   in Loop: Header=BB53_7 Depth=1
	v_bfe_u32 v2, v2, s12, 8
	v_lshlrev_b32_e32 v2, 2, v2
	ds_add_u32 v2, v9
.LBB53_13:                              ;   in Loop: Header=BB53_7 Depth=1
	s_or_b64 exec, exec, s[4:5]
	v_add_u32_e32 v2, 0xffffff00, v4
	v_cmp_gt_u32_e64 s[0:1], s8, v2
	s_and_saveexec_b64 s[4:5], s[0:1]
	s_cbranch_execz .LBB53_16
; %bb.14:                               ;   in Loop: Header=BB53_7 Depth=1
	v_add_u32_e32 v2, s18, v6
	v_lshlrev_b64 v[10:11], 1, v[2:3]
	v_mov_b32_e32 v2, s10
	v_add_co_u32_e64 v10, s[0:1], s6, v10
	v_addc_co_u32_e64 v11, s[0:1], v2, v11, s[0:1]
	global_load_sshort v2, v[10:11], off
	s_waitcnt vmcnt(0)
	v_add_u32_e32 v2, 0x8000, v2
	v_xor_b32_e32 v10, s9, v2
	v_and_b32_e32 v10, s11, v10
	v_cmp_eq_u32_e64 s[0:1], 0, v10
	s_and_b64 exec, exec, s[0:1]
	s_cbranch_execz .LBB53_16
; %bb.15:                               ;   in Loop: Header=BB53_7 Depth=1
	v_bfe_u32 v2, v2, s12, 8
	v_lshlrev_b32_e32 v2, 2, v2
	ds_add_u32 v2, v9
.LBB53_16:                              ;   in Loop: Header=BB53_7 Depth=1
	s_or_b64 exec, exec, s[4:5]
	v_cmp_gt_u32_e64 s[0:1], s8, v4
	s_and_saveexec_b64 s[4:5], s[0:1]
	s_cbranch_execz .LBB53_6
; %bb.17:                               ;   in Loop: Header=BB53_7 Depth=1
	v_add_u32_e32 v2, s18, v5
	v_lshlrev_b64 v[10:11], 1, v[2:3]
	v_mov_b32_e32 v2, s10
	v_add_co_u32_e64 v10, s[0:1], s6, v10
	v_addc_co_u32_e64 v11, s[0:1], v2, v11, s[0:1]
	global_load_sshort v2, v[10:11], off
	s_waitcnt vmcnt(0)
	v_add_u32_e32 v2, 0x8000, v2
	v_xor_b32_e32 v10, s9, v2
	v_and_b32_e32 v10, s11, v10
	v_cmp_eq_u32_e64 s[0:1], 0, v10
	s_and_b64 exec, exec, s[0:1]
	s_cbranch_execz .LBB53_6
; %bb.18:                               ;   in Loop: Header=BB53_7 Depth=1
	v_bfe_u32 v2, v2, s12, 8
	v_lshlrev_b32_e32 v2, 2, v2
	ds_add_u32 v2, v9
	s_branch .LBB53_6
.LBB53_19:
	s_and_b32 s14, s15, 3
	s_cmp_eq_u32 s14, 0
	s_cbranch_scc1 .LBB53_25
; %bb.20:
	s_lshl_b32 s0, s7, 8
	s_add_i32 s0, s0, s17
	v_add_u32_e32 v4, s0, v0
	v_mul_lo_u32 v2, s13, v4
	s_lshl_b32 s7, s13, 8
	v_mov_b32_e32 v3, 0
	v_mov_b32_e32 v5, 1
	s_branch .LBB53_22
.LBB53_21:                              ;   in Loop: Header=BB53_22 Depth=1
	s_or_b64 exec, exec, s[4:5]
	s_add_i32 s14, s14, -1
	v_add_u32_e32 v2, s7, v2
	s_cmp_lg_u32 s14, 0
	v_add_u32_e32 v4, 0x100, v4
	s_cbranch_scc0 .LBB53_25
.LBB53_22:                              ; =>This Inner Loop Header: Depth=1
	v_cmp_gt_u32_e64 s[0:1], s8, v4
	s_and_saveexec_b64 s[4:5], s[0:1]
	s_cbranch_execz .LBB53_21
; %bb.23:                               ;   in Loop: Header=BB53_22 Depth=1
	v_lshlrev_b64 v[6:7], 1, v[2:3]
	v_mov_b32_e32 v8, s10
	v_add_co_u32_e64 v6, s[0:1], s6, v6
	v_addc_co_u32_e64 v7, s[0:1], v8, v7, s[0:1]
	global_load_sshort v6, v[6:7], off
	s_waitcnt vmcnt(0)
	v_add_u32_e32 v6, 0x8000, v6
	v_xor_b32_e32 v7, s9, v6
	v_and_b32_e32 v7, s11, v7
	v_cmp_eq_u32_e64 s[0:1], 0, v7
	s_and_b64 exec, exec, s[0:1]
	s_cbranch_execz .LBB53_21
; %bb.24:                               ;   in Loop: Header=BB53_22 Depth=1
	v_bfe_u32 v6, v6, s12, 8
	v_lshlrev_b32_e32 v6, 2, v6
	ds_add_u32 v6, v5
	s_branch .LBB53_21
.LBB53_25:
	v_mov_b32_e32 v2, 0
	s_waitcnt lgkmcnt(0)
	s_barrier
	s_and_saveexec_b64 s[0:1], vcc
	s_cbranch_execz .LBB53_27
; %bb.26:
	ds_read_b32 v2, v1
.LBB53_27:
	s_or_b64 exec, exec, s[0:1]
	s_and_saveexec_b64 s[0:1], vcc
	s_cbranch_execz .LBB53_29
; %bb.28:
	v_lshl_or_b32 v0, s16, 8, v0
	v_mov_b32_e32 v1, 0
	v_lshlrev_b64 v[0:1], 1, v[0:1]
	v_mov_b32_e32 v3, s3
	v_add_co_u32_e32 v0, vcc, s2, v0
	v_addc_co_u32_e32 v1, vcc, v3, v1, vcc
	s_waitcnt lgkmcnt(0)
	global_store_short v[0:1], v2, off
.LBB53_29:
	s_endpgm
	.section	.rodata,"a",@progbits
	.p2align	6, 0x0
	.amdhsa_kernel _ZN2at6native6mbtopk23computeBlockDigitCountsIsjjLi1EEEvNS_4cuda6detail10TensorInfoIKT_T0_EEjPjjS8_iijT1_PSB_Ps
		.amdhsa_group_segment_fixed_size 1024
		.amdhsa_private_segment_fixed_size 0
		.amdhsa_kernarg_size 528
		.amdhsa_user_sgpr_count 6
		.amdhsa_user_sgpr_private_segment_buffer 1
		.amdhsa_user_sgpr_dispatch_ptr 0
		.amdhsa_user_sgpr_queue_ptr 0
		.amdhsa_user_sgpr_kernarg_segment_ptr 1
		.amdhsa_user_sgpr_dispatch_id 0
		.amdhsa_user_sgpr_flat_scratch_init 0
		.amdhsa_user_sgpr_kernarg_preload_length 0
		.amdhsa_user_sgpr_kernarg_preload_offset 0
		.amdhsa_user_sgpr_private_segment_size 0
		.amdhsa_uses_dynamic_stack 0
		.amdhsa_system_sgpr_private_segment_wavefront_offset 0
		.amdhsa_system_sgpr_workgroup_id_x 1
		.amdhsa_system_sgpr_workgroup_id_y 1
		.amdhsa_system_sgpr_workgroup_id_z 1
		.amdhsa_system_sgpr_workgroup_info 0
		.amdhsa_system_vgpr_workitem_id 0
		.amdhsa_next_free_vgpr 12
		.amdhsa_next_free_sgpr 20
		.amdhsa_accum_offset 12
		.amdhsa_reserve_vcc 1
		.amdhsa_reserve_flat_scratch 0
		.amdhsa_float_round_mode_32 0
		.amdhsa_float_round_mode_16_64 0
		.amdhsa_float_denorm_mode_32 3
		.amdhsa_float_denorm_mode_16_64 3
		.amdhsa_dx10_clamp 1
		.amdhsa_ieee_mode 1
		.amdhsa_fp16_overflow 0
		.amdhsa_tg_split 0
		.amdhsa_exception_fp_ieee_invalid_op 0
		.amdhsa_exception_fp_denorm_src 0
		.amdhsa_exception_fp_ieee_div_zero 0
		.amdhsa_exception_fp_ieee_overflow 0
		.amdhsa_exception_fp_ieee_underflow 0
		.amdhsa_exception_fp_ieee_inexact 0
		.amdhsa_exception_int_div_zero 0
	.end_amdhsa_kernel
	.section	.text._ZN2at6native6mbtopk23computeBlockDigitCountsIsjjLi1EEEvNS_4cuda6detail10TensorInfoIKT_T0_EEjPjjS8_iijT1_PSB_Ps,"axG",@progbits,_ZN2at6native6mbtopk23computeBlockDigitCountsIsjjLi1EEEvNS_4cuda6detail10TensorInfoIKT_T0_EEjPjjS8_iijT1_PSB_Ps,comdat
.Lfunc_end53:
	.size	_ZN2at6native6mbtopk23computeBlockDigitCountsIsjjLi1EEEvNS_4cuda6detail10TensorInfoIKT_T0_EEjPjjS8_iijT1_PSB_Ps, .Lfunc_end53-_ZN2at6native6mbtopk23computeBlockDigitCountsIsjjLi1EEEvNS_4cuda6detail10TensorInfoIKT_T0_EEjPjjS8_iijT1_PSB_Ps
                                        ; -- End function
	.section	.AMDGPU.csdata,"",@progbits
; Kernel info:
; codeLenInByte = 1232
; NumSgprs: 24
; NumVgprs: 12
; NumAgprs: 0
; TotalNumVgprs: 12
; ScratchSize: 0
; MemoryBound: 0
; FloatMode: 240
; IeeeMode: 1
; LDSByteSize: 1024 bytes/workgroup (compile time only)
; SGPRBlocks: 2
; VGPRBlocks: 1
; NumSGPRsForWavesPerEU: 24
; NumVGPRsForWavesPerEU: 12
; AccumOffset: 12
; Occupancy: 8
; WaveLimiterHint : 1
; COMPUTE_PGM_RSRC2:SCRATCH_EN: 0
; COMPUTE_PGM_RSRC2:USER_SGPR: 6
; COMPUTE_PGM_RSRC2:TRAP_HANDLER: 0
; COMPUTE_PGM_RSRC2:TGID_X_EN: 1
; COMPUTE_PGM_RSRC2:TGID_Y_EN: 1
; COMPUTE_PGM_RSRC2:TGID_Z_EN: 1
; COMPUTE_PGM_RSRC2:TIDIG_COMP_CNT: 0
; COMPUTE_PGM_RSRC3_GFX90A:ACCUM_OFFSET: 2
; COMPUTE_PGM_RSRC3_GFX90A:TG_SPLIT: 0
	.section	.text._ZN2at6native6mbtopk29computeBlockwiseWithinKCountsIjsEEvPT_PsPjjibS6_PT0_S6_S4_S6_j,"axG",@progbits,_ZN2at6native6mbtopk29computeBlockwiseWithinKCountsIjsEEvPT_PsPjjibS6_PT0_S6_S4_S6_j,comdat
	.protected	_ZN2at6native6mbtopk29computeBlockwiseWithinKCountsIjsEEvPT_PsPjjibS6_PT0_S6_S4_S6_j ; -- Begin function _ZN2at6native6mbtopk29computeBlockwiseWithinKCountsIjsEEvPT_PsPjjibS6_PT0_S6_S4_S6_j
	.globl	_ZN2at6native6mbtopk29computeBlockwiseWithinKCountsIjsEEvPT_PsPjjibS6_PT0_S6_S4_S6_j
	.p2align	8
	.type	_ZN2at6native6mbtopk29computeBlockwiseWithinKCountsIjsEEvPT_PsPjjibS6_PT0_S6_S4_S6_j,@function
_ZN2at6native6mbtopk29computeBlockwiseWithinKCountsIjsEEvPT_PsPjjibS6_PT0_S6_S4_S6_j: ; @_ZN2at6native6mbtopk29computeBlockwiseWithinKCountsIjsEEvPT_PsPjjibS6_PT0_S6_S4_S6_j
; %bb.0:
	s_load_dwordx4 s[16:19], s[4:5], 0x18
	s_load_dword s2, s[4:5], 0x50
	s_load_dwordx2 s[0:1], s[4:5], 0x58
	s_waitcnt lgkmcnt(0)
	v_cvt_f32_u32_e32 v1, s16
	s_mul_i32 s1, s1, s8
	s_add_i32 s1, s1, s7
	v_rcp_iflag_f32_e32 v1, v1
	s_mul_i32 s0, s1, s0
	s_add_i32 s6, s0, s6
	s_cmp_ge_u32 s6, s2
	v_mul_f32_e32 v1, 0x4f7ffffe, v1
	v_cvt_u32_f32_e32 v1, v1
	v_readfirstlane_b32 s0, v1
	s_cbranch_scc1 .LBB54_49
; %bb.1:
	s_sub_i32 s1, 0, s16
	s_mul_i32 s1, s1, s0
	s_mul_hi_u32 s1, s0, s1
	s_add_i32 s0, s0, s1
	s_mul_hi_u32 s2, s6, s0
	s_mul_i32 s3, s2, s16
	s_sub_i32 s3, s6, s3
	s_add_i32 s8, s2, 1
	s_sub_i32 s9, s3, s16
	s_cmp_ge_u32 s3, s16
	s_load_dwordx4 s[20:23], s[4:5], 0x0
	s_load_dwordx2 s[0:1], s[4:5], 0x10
	s_cselect_b32 s2, s8, s2
	s_cselect_b32 s3, s9, s3
	s_add_i32 s8, s2, 1
	s_mov_b32 s7, 0
	s_cmp_ge_u32 s3, s16
	s_cselect_b32 s26, s8, s2
	s_mov_b32 s27, s7
	s_lshl_b64 s[24:25], s[26:27], 2
	s_waitcnt lgkmcnt(0)
	s_add_u32 s0, s0, s24
	s_addc_u32 s1, s1, s25
	s_load_dword s19, s[0:1], 0x0
	s_movk_i32 s0, 0x100
	v_cmp_gt_u32_e64 s[0:1], s0, v0
	s_and_saveexec_b64 s[2:3], s[0:1]
	s_cbranch_execz .LBB54_17
; %bb.2:
	s_mul_i32 s8, s26, s16
	s_lshl_b32 s8, s8, 8
	s_mov_b32 s9, s7
	s_lshl_b64 s[12:13], s[8:9], 1
	s_add_u32 s8, s22, s12
	s_addc_u32 s9, s23, s13
	v_lshlrev_b32_e32 v4, 1, v0
	v_mov_b32_e32 v3, s9
	v_add_co_u32_e32 v2, vcc, s8, v4
	v_mov_b32_e32 v1, 0
	s_cmp_lt_u32 s16, 4
	v_addc_co_u32_e32 v3, vcc, 0, v3, vcc
	s_cbranch_scc1 .LBB54_7
; %bb.3:
	s_add_i32 s8, s16, -4
	s_mov_b32 s14, 0
	s_cmp_gt_u32 s8, 3
	v_mov_b32_e32 v1, 0
	s_cbranch_scc0 .LBB54_8
; %bb.4:
	s_lshr_b32 s8, s8, 2
	s_add_i32 s8, s8, 1
	s_and_b32 s10, s8, 0x7ffffffe
	s_add_u32 s12, s22, s12
	s_addc_u32 s13, s23, s13
	v_mov_b32_e32 v5, s13
	v_add_co_u32_e32 v4, vcc, s12, v4
	s_mov_b32 s9, 0
	v_addc_co_u32_e32 v5, vcc, 0, v5, vcc
	s_mov_b32 s11, s9
	v_add_co_u32_e32 v4, vcc, 0xe00, v4
	v_mov_b32_e32 v1, 0
	v_addc_co_u32_e32 v5, vcc, 0, v5, vcc
	s_mov_b64 s[12:13], s[10:11]
	v_mov_b32_e32 v6, 0
.LBB54_5:                               ; =>This Inner Loop Header: Depth=1
	global_load_sshort v7, v[4:5], off offset:-3584
	global_load_sshort v8, v[4:5], off offset:-3072
	;; [unrolled: 1-line block ×6, first 2 shown]
	global_load_sshort v13, v[4:5], off
	global_load_sshort v14, v[4:5], off offset:-2048
	s_add_u32 s12, s12, -2
	v_add_co_u32_e32 v4, vcc, 0x1000, v4
	s_addc_u32 s13, s13, -1
	v_addc_co_u32_e32 v5, vcc, 0, v5, vcc
	s_cmp_lg_u64 s[12:13], 0
	s_waitcnt vmcnt(6)
	v_add3_u32 v1, v1, v7, v8
	s_waitcnt vmcnt(3)
	v_add3_u32 v6, v6, v10, v11
	;; [unrolled: 2-line block ×4, first 2 shown]
	s_cbranch_scc1 .LBB54_5
; %bb.6:
	s_lshl_b64 s[12:13], s[10:11], 11
	s_lshl_b32 s14, s10, 2
	v_mov_b32_e32 v4, s13
	v_add_co_u32_e32 v2, vcc, s12, v2
	s_cmp_lg_u64 s[10:11], s[8:9]
	v_addc_co_u32_e32 v3, vcc, v3, v4, vcc
	v_add_u32_e32 v1, v1, v6
	s_cselect_b64 s[8:9], -1, 0
	s_and_b64 vcc, exec, s[8:9]
	s_cbranch_vccnz .LBB54_9
	s_branch .LBB54_10
.LBB54_7:
	s_mov_b32 s14, s7
	s_branch .LBB54_10
.LBB54_8:
	s_cbranch_execz .LBB54_10
.LBB54_9:                               ; =>This Inner Loop Header: Depth=1
	global_load_sshort v4, v[2:3], off
	global_load_sshort v5, v[2:3], off offset:512
	global_load_sshort v6, v[2:3], off offset:1024
	;; [unrolled: 1-line block ×3, first 2 shown]
	s_mov_b32 s8, s14
	v_add_co_u32_e32 v2, vcc, 0x800, v2
	s_add_i32 s14, s14, 4
	s_add_i32 s8, s8, 7
	v_addc_co_u32_e32 v3, vcc, 0, v3, vcc
	s_cmp_ge_u32 s8, s16
	s_waitcnt vmcnt(2)
	v_add3_u32 v1, v1, v4, v5
	s_waitcnt vmcnt(0)
	v_add3_u32 v1, v1, v6, v7
	s_cbranch_scc0 .LBB54_9
.LBB54_10:
	s_cmp_ge_u32 s14, s16
	s_cbranch_scc1 .LBB54_16
; %bb.11:
	s_not_b32 s8, s14
	s_add_i32 s8, s8, s16
	s_cmp_lg_u32 s8, 0
	s_cbranch_scc0 .LBB54_50
; %bb.12:
	s_add_u32 s8, s8, 1
	s_addc_u32 s9, 0, 0
	s_and_b32 s10, s8, -2
	s_mov_b32 s11, s9
	v_add_co_u32_e32 v4, vcc, 0x200, v2
	v_addc_co_u32_e32 v5, vcc, 0, v3, vcc
	v_mov_b32_e32 v6, 0
	s_mov_b64 s[12:13], s[10:11]
.LBB54_13:                              ; =>This Inner Loop Header: Depth=1
	global_load_sshort v7, v[4:5], off
	global_load_sshort v8, v[4:5], off offset:-512
	s_add_u32 s12, s12, -2
	v_add_co_u32_e32 v4, vcc, 0x400, v4
	s_addc_u32 s13, s13, -1
	v_addc_co_u32_e32 v5, vcc, 0, v5, vcc
	s_cmp_lg_u64 s[12:13], 0
	s_waitcnt vmcnt(1)
	v_add_u32_e32 v6, v6, v7
	s_waitcnt vmcnt(0)
	v_add_u32_e32 v1, v1, v8
	s_cbranch_scc1 .LBB54_13
; %bb.14:
	s_lshl_b64 s[12:13], s[10:11], 9
	s_add_i32 s14, s14, s10
	v_mov_b32_e32 v4, s13
	v_add_co_u32_e32 v2, vcc, s12, v2
	s_cmp_lg_u64 s[8:9], s[10:11]
	v_addc_co_u32_e32 v3, vcc, v3, v4, vcc
	v_add_u32_e32 v1, v1, v6
	s_cselect_b64 s[8:9], -1, 0
	s_and_b64 vcc, exec, s[8:9]
	s_cbranch_vccz .LBB54_16
.LBB54_15:                              ; =>This Inner Loop Header: Depth=1
	global_load_sshort v4, v[2:3], off
	v_add_co_u32_e32 v2, vcc, 0x200, v2
	s_add_i32 s14, s14, 1
	v_addc_co_u32_e32 v3, vcc, 0, v3, vcc
	s_cmp_lt_u32 s14, s16
	s_waitcnt vmcnt(0)
	v_add_u32_e32 v1, v1, v4
	s_cbranch_scc1 .LBB54_15
.LBB54_16:
	v_lshlrev_b32_e32 v2, 2, v0
	ds_write_b32 v2, v1 offset:1056
.LBB54_17:
	s_or_b64 exec, exec, s[2:3]
	v_mov_b32_e32 v3, 0
	s_waitcnt lgkmcnt(0)
	s_barrier
	s_and_saveexec_b64 s[2:3], s[0:1]
	s_cbranch_execz .LBB54_19
; %bb.18:
	v_lshlrev_b32_e32 v1, 2, v0
	ds_read_b32 v3, v1 offset:1056
.LBB54_19:
	s_or_b64 exec, exec, s[2:3]
	v_lshrrev_b32_e32 v1, 5, v0
	v_add_lshl_u32 v2, v1, v0, 2
	v_cmp_gt_u32_e64 s[2:3], 64, v0
	v_mbcnt_lo_u32_b32 v1, -1, 0
	s_waitcnt lgkmcnt(0)
	ds_write_b32 v2, v3
	s_waitcnt lgkmcnt(0)
	s_barrier
	s_and_saveexec_b64 s[8:9], s[2:3]
	s_cbranch_execz .LBB54_21
; %bb.20:
	v_lshlrev_b32_e32 v4, 2, v0
	v_lshrrev_b32_e32 v5, 3, v0
	v_add_lshl_u32 v8, v5, v4, 2
	ds_read2_b32 v[4:5], v8 offset1:1
	ds_read2_b32 v[6:7], v8 offset0:2 offset1:3
	v_mbcnt_hi_u32_b32 v9, -1, v1
	v_and_b32_e32 v10, 15, v9
	v_cmp_ne_u32_e32 vcc, 0, v10
	s_waitcnt lgkmcnt(1)
	v_add_u32_e32 v5, v5, v4
	s_waitcnt lgkmcnt(0)
	v_add3_u32 v5, v5, v6, v7
	v_bfe_i32 v7, v9, 4, 1
	s_nop 0
	v_mov_b32_dpp v6, v5 row_shr:1 row_mask:0xf bank_mask:0xf
	v_cndmask_b32_e32 v6, 0, v6, vcc
	v_add_u32_e32 v5, v6, v5
	v_cmp_lt_u32_e32 vcc, 1, v10
	; wave barrier
	s_nop 0
	v_mov_b32_dpp v6, v5 row_shr:2 row_mask:0xf bank_mask:0xf
	v_cndmask_b32_e32 v6, 0, v6, vcc
	v_add_u32_e32 v5, v5, v6
	v_cmp_lt_u32_e32 vcc, 3, v10
	s_nop 0
	v_mov_b32_dpp v6, v5 row_shr:4 row_mask:0xf bank_mask:0xf
	v_cndmask_b32_e32 v6, 0, v6, vcc
	v_add_u32_e32 v5, v5, v6
	v_cmp_lt_u32_e32 vcc, 7, v10
	s_nop 0
	v_mov_b32_dpp v6, v5 row_shr:8 row_mask:0xf bank_mask:0xf
	v_cndmask_b32_e32 v6, 0, v6, vcc
	v_add_u32_e32 v5, v5, v6
	v_cmp_lt_u32_e32 vcc, 31, v9
	s_nop 0
	v_mov_b32_dpp v6, v5 row_bcast:15 row_mask:0xf bank_mask:0xf
	v_and_b32_e32 v6, v7, v6
	v_add_u32_e32 v5, v5, v6
	v_and_b32_e32 v7, 64, v9
	s_nop 0
	v_mov_b32_dpp v6, v5 row_bcast:31 row_mask:0xf bank_mask:0xf
	v_cndmask_b32_e32 v6, 0, v6, vcc
	v_add_u32_e32 v5, v5, v6
	v_add_u32_e32 v6, -1, v9
	v_cmp_lt_i32_e32 vcc, v6, v7
	v_cndmask_b32_e32 v6, v6, v9, vcc
	v_lshlrev_b32_e32 v6, 2, v6
	ds_bpermute_b32 v5, v6, v5
	v_cmp_eq_u32_e32 vcc, 0, v0
	s_waitcnt lgkmcnt(0)
	v_add_u32_e32 v4, v5, v4
	v_cndmask_b32_e32 v3, v4, v3, vcc
	ds_write_b32 v8, v3
	; wave barrier
	ds_read2_b32 v[4:5], v8 offset0:1 offset1:2
	ds_read_b32 v6, v8 offset:12
	s_waitcnt lgkmcnt(1)
	v_add_u32_e32 v3, v4, v3
	v_add_u32_e32 v4, v5, v3
	ds_write2_b32 v8, v3, v4 offset0:1 offset1:2
	s_waitcnt lgkmcnt(1)
	v_add_u32_e32 v3, v6, v4
	ds_write_b32 v8, v3 offset:12
.LBB54_21:
	s_or_b64 exec, exec, s[8:9]
	s_waitcnt lgkmcnt(0)
	s_barrier
	ds_read_b32 v3, v2
	s_waitcnt lgkmcnt(0)
	s_barrier
	s_and_saveexec_b64 s[8:9], s[0:1]
	s_cbranch_execz .LBB54_23
; %bb.22:
	v_lshlrev_b32_e32 v2, 2, v0
	ds_write_b32 v2, v3 offset:1056
.LBB54_23:
	s_or_b64 exec, exec, s[8:9]
	s_load_dwordx8 s[8:15], s[4:5], 0x28
	s_load_dwordx2 s[28:29], s[4:5], 0x48
	s_waitcnt lgkmcnt(0)
	s_barrier
	s_and_saveexec_b64 s[4:5], s[0:1]
	s_cbranch_execz .LBB54_32
; %bb.24:
	v_cmp_ne_u32_e32 vcc, 0, v0
	v_mov_b32_e32 v2, 0
	s_and_saveexec_b64 s[0:1], vcc
	s_cbranch_execz .LBB54_26
; %bb.25:
	v_lshlrev_b32_e32 v2, 2, v0
	ds_read_b32 v2, v2 offset:1052
.LBB54_26:
	s_or_b64 exec, exec, s[0:1]
	s_waitcnt lgkmcnt(0)
	v_cmp_gt_u32_e32 vcc, s19, v2
	v_cmp_le_u32_e64 s[0:1], s19, v3
	s_and_b64 s[0:1], vcc, s[0:1]
	s_and_b64 exec, exec, s[0:1]
	s_cbranch_execz .LBB54_32
; %bb.27:
	s_add_u32 s0, s20, s24
	s_addc_u32 s1, s21, s25
	v_mov_b32_e32 v3, 0
	global_load_dword v4, v3, s[0:1]
	s_lshl_b32 s1, 0xff, s17
	v_not_b32_e32 v6, s1
	v_lshlrev_b32_e32 v5, s17, v0
	s_mul_i32 s0, s26, s16
	s_cmp_lg_u32 s6, s0
	s_waitcnt vmcnt(0)
	v_and_b32_e32 v4, v4, v6
	v_or_b32_e32 v4, v4, v5
	ds_write_b32 v3, v4 offset:2096
	s_cbranch_scc1 .LBB54_32
; %bb.28:
	s_add_u32 s0, s14, s24
	s_addc_u32 s1, s15, s25
	global_store_dword v3, v4, s[0:1]
	s_cmp_lt_i32 s17, 1
	s_mov_b64 s[0:1], -1
	s_cbranch_scc0 .LBB54_30
; %bb.29:
	s_lshl_b64 s[0:1], s[26:27], 1
	s_add_u32 s0, s10, s0
	v_xor_b32_e32 v3, 0xffff8000, v4
	s_addc_u32 s1, s11, s1
	v_mov_b32_e32 v4, 0
	global_store_short v4, v3, s[0:1]
	s_mov_b64 s[0:1], 0
.LBB54_30:
	s_andn2_b64 vcc, exec, s[0:1]
	s_cbranch_vccnz .LBB54_32
; %bb.31:
	s_add_u32 s0, s12, s24
	v_sub_u32_e32 v2, s19, v2
	s_addc_u32 s1, s13, s25
	v_mov_b32_e32 v3, 0
	global_store_dword v3, v2, s[0:1]
.LBB54_32:
	s_or_b64 exec, exec, s[4:5]
	v_mov_b32_e32 v2, 0
	s_waitcnt lgkmcnt(0)
	s_barrier
	ds_read_b32 v2, v2 offset:2096
	s_bitcmp0_b32 s18, 0
	s_waitcnt lgkmcnt(0)
	v_lshrrev_b32_e32 v2, s17, v2
	s_cbranch_scc0 .LBB54_34
; %bb.33:
	v_and_b32_e32 v3, 0xc0, v0
	v_cmp_lt_u32_sdwa s[4:5], v3, v2 src0_sel:DWORD src1_sel:BYTE_0
	v_cmp_lt_u32_sdwa s[12:13], v0, v2 src0_sel:DWORD src1_sel:BYTE_0
	s_and_b64 s[10:11], s[4:5], exec
	s_and_b64 s[4:5], s[12:13], exec
	s_cbranch_execz .LBB54_35
	s_branch .LBB54_36
.LBB54_34:
                                        ; implicit-def: $sgpr4_sgpr5
                                        ; implicit-def: $sgpr10_sgpr11
.LBB54_35:
	v_or_b32_e32 v3, 63, v0
	v_cmp_gt_u32_sdwa s[0:1], v3, v2 src0_sel:DWORD src1_sel:BYTE_0
	v_cmp_gt_u32_sdwa s[12:13], v0, v2 src0_sel:DWORD src1_sel:BYTE_0
	s_andn2_b64 s[4:5], s[4:5], exec
	s_and_b64 s[12:13], s[12:13], exec
	s_andn2_b64 s[10:11], s[10:11], exec
	s_and_b64 s[0:1], s[0:1], exec
	s_or_b64 s[4:5], s[4:5], s[12:13]
	s_or_b64 s[10:11], s[10:11], s[0:1]
.LBB54_36:
	v_mov_b32_e32 v2, 0
	s_and_saveexec_b64 s[0:1], s[10:11]
	s_cbranch_execz .LBB54_40
; %bb.37:
	v_mov_b32_e32 v2, 0
	s_and_saveexec_b64 s[10:11], s[4:5]
	s_cbranch_execz .LBB54_39
; %bb.38:
	s_lshl_b32 s4, s6, 8
	s_mov_b32 s5, 0
	s_lshl_b64 s[4:5], s[4:5], 1
	s_add_u32 s4, s22, s4
	s_addc_u32 s5, s23, s5
	v_lshlrev_b32_e32 v2, 1, v0
	global_load_sshort v2, v2, s[4:5]
.LBB54_39:
	s_or_b64 exec, exec, s[10:11]
	v_mbcnt_hi_u32_b32 v3, -1, v1
	v_and_b32_e32 v4, 63, v3
	v_cmp_gt_u32_e32 vcc, 32, v4
	v_cndmask_b32_e64 v5, 0, 1, vcc
	v_lshlrev_b32_e32 v5, 5, v5
	v_add_lshl_u32 v5, v5, v3, 2
	s_waitcnt vmcnt(0)
	ds_bpermute_b32 v5, v5, v2
	v_cmp_gt_u32_e32 vcc, 48, v4
	v_cndmask_b32_e64 v6, 0, 1, vcc
	v_lshlrev_b32_e32 v6, 4, v6
	v_cmp_gt_u32_e32 vcc, 56, v4
	s_waitcnt lgkmcnt(0)
	v_add_u32_e32 v2, v5, v2
	v_add_lshl_u32 v5, v6, v3, 2
	ds_bpermute_b32 v5, v5, v2
	v_cndmask_b32_e64 v6, 0, 1, vcc
	v_lshlrev_b32_e32 v6, 3, v6
	v_cmp_gt_u32_e32 vcc, 60, v4
	s_waitcnt lgkmcnt(0)
	v_add_u32_e32 v2, v5, v2
	v_add_lshl_u32 v5, v6, v3, 2
	ds_bpermute_b32 v5, v5, v2
	;; [unrolled: 7-line block ×3, first 2 shown]
	v_cndmask_b32_e64 v6, 0, 1, vcc
	v_lshlrev_b32_e32 v6, 1, v6
	v_cmp_ne_u32_e32 vcc, 63, v4
	s_waitcnt lgkmcnt(0)
	v_add_u32_e32 v2, v5, v2
	v_add_lshl_u32 v5, v6, v3, 2
	ds_bpermute_b32 v5, v5, v2
	v_addc_co_u32_e32 v3, vcc, 0, v3, vcc
	v_lshlrev_b32_e32 v3, 2, v3
	s_waitcnt lgkmcnt(0)
	v_add_u32_e32 v2, v5, v2
	ds_bpermute_b32 v3, v3, v2
	s_waitcnt lgkmcnt(0)
	v_add_u32_e32 v2, v3, v2
.LBB54_40:
	s_or_b64 exec, exec, s[0:1]
	v_and_b32_e32 v3, 63, v0
	v_cmp_eq_u32_e32 vcc, 0, v3
	s_and_saveexec_b64 s[0:1], vcc
	s_cbranch_execz .LBB54_42
; %bb.41:
	v_lshrrev_b32_e32 v3, 4, v0
	v_and_b32_e32 v3, 12, v3
	ds_write_b32 v3, v2 offset:2080
.LBB54_42:
	s_or_b64 exec, exec, s[0:1]
	s_waitcnt lgkmcnt(0)
	s_barrier
	s_and_saveexec_b64 s[0:1], s[2:3]
	s_cbranch_execz .LBB54_49
; %bb.43:
	v_cmp_gt_u32_e32 vcc, 4, v0
	v_mov_b32_e32 v2, 0
	s_and_saveexec_b64 s[0:1], vcc
	s_cbranch_execz .LBB54_45
; %bb.44:
	v_lshlrev_b32_e32 v2, 2, v0
	ds_read_b32 v2, v2 offset:2080
.LBB54_45:
	s_or_b64 exec, exec, s[0:1]
	v_mbcnt_hi_u32_b32 v1, -1, v1
	v_and_b32_e32 v3, 63, v1
	v_cmp_gt_u32_e32 vcc, 62, v3
	v_cndmask_b32_e64 v4, 0, 1, vcc
	v_lshlrev_b32_e32 v4, 1, v4
	v_add_lshl_u32 v4, v4, v1, 2
	s_waitcnt lgkmcnt(0)
	ds_bpermute_b32 v4, v4, v2
	v_cmp_ne_u32_e32 vcc, 63, v3
	v_addc_co_u32_e32 v3, vcc, 0, v1, vcc
	v_cmp_eq_u32_e32 vcc, 0, v0
	s_waitcnt lgkmcnt(0)
	v_add_u32_e32 v1, v4, v2
	v_lshlrev_b32_e32 v2, 2, v3
	ds_bpermute_b32 v2, v2, v1
	s_and_saveexec_b64 s[0:1], vcc
	s_cbranch_execz .LBB54_47
; %bb.46:
	s_lshl_b64 s[2:3], s[6:7], 2
	s_add_u32 s2, s8, s2
	s_addc_u32 s3, s9, s3
	v_mov_b32_e32 v3, 0
	global_load_dword v4, v3, s[2:3]
	s_waitcnt vmcnt(0) lgkmcnt(0)
	v_add3_u32 v1, v2, v1, v4
	global_store_dword v3, v1, s[2:3]
.LBB54_47:
	s_or_b64 exec, exec, s[0:1]
	v_or_b32_e32 v0, s17, v0
	v_cmp_eq_u32_e32 vcc, 0, v0
	s_and_b64 exec, exec, vcc
	s_cbranch_execz .LBB54_49
; %bb.48:
	v_mov_b32_e32 v0, 0
	ds_read_b32 v1, v0 offset:2096
	s_lshl_b32 s0, s6, 8
	s_mov_b32 s1, 0
	s_lshl_b64 s[0:1], s[0:1], 1
	s_add_u32 s0, s22, s0
	s_waitcnt lgkmcnt(1)
	v_mov_b32_e32 v2, 1
	s_addc_u32 s1, s23, s1
	s_waitcnt lgkmcnt(0)
	v_lshlrev_b32_sdwa v1, v2, v1 dst_sel:DWORD dst_unused:UNUSED_PAD src0_sel:DWORD src1_sel:BYTE_0
	global_load_sshort v1, v1, s[0:1]
	s_lshl_b64 s[0:1], s[6:7], 2
	s_add_u32 s0, s28, s0
	s_addc_u32 s1, s29, s1
	s_waitcnt vmcnt(0)
	global_store_dword v0, v1, s[0:1]
.LBB54_49:
	s_endpgm
.LBB54_50:
	s_cbranch_execnz .LBB54_15
	s_branch .LBB54_16
	.section	.rodata,"a",@progbits
	.p2align	6, 0x0
	.amdhsa_kernel _ZN2at6native6mbtopk29computeBlockwiseWithinKCountsIjsEEvPT_PsPjjibS6_PT0_S6_S4_S6_j
		.amdhsa_group_segment_fixed_size 2100
		.amdhsa_private_segment_fixed_size 0
		.amdhsa_kernarg_size 344
		.amdhsa_user_sgpr_count 6
		.amdhsa_user_sgpr_private_segment_buffer 1
		.amdhsa_user_sgpr_dispatch_ptr 0
		.amdhsa_user_sgpr_queue_ptr 0
		.amdhsa_user_sgpr_kernarg_segment_ptr 1
		.amdhsa_user_sgpr_dispatch_id 0
		.amdhsa_user_sgpr_flat_scratch_init 0
		.amdhsa_user_sgpr_kernarg_preload_length 0
		.amdhsa_user_sgpr_kernarg_preload_offset 0
		.amdhsa_user_sgpr_private_segment_size 0
		.amdhsa_uses_dynamic_stack 0
		.amdhsa_system_sgpr_private_segment_wavefront_offset 0
		.amdhsa_system_sgpr_workgroup_id_x 1
		.amdhsa_system_sgpr_workgroup_id_y 1
		.amdhsa_system_sgpr_workgroup_id_z 1
		.amdhsa_system_sgpr_workgroup_info 0
		.amdhsa_system_vgpr_workitem_id 0
		.amdhsa_next_free_vgpr 15
		.amdhsa_next_free_sgpr 30
		.amdhsa_accum_offset 16
		.amdhsa_reserve_vcc 1
		.amdhsa_reserve_flat_scratch 0
		.amdhsa_float_round_mode_32 0
		.amdhsa_float_round_mode_16_64 0
		.amdhsa_float_denorm_mode_32 3
		.amdhsa_float_denorm_mode_16_64 3
		.amdhsa_dx10_clamp 1
		.amdhsa_ieee_mode 1
		.amdhsa_fp16_overflow 0
		.amdhsa_tg_split 0
		.amdhsa_exception_fp_ieee_invalid_op 0
		.amdhsa_exception_fp_denorm_src 0
		.amdhsa_exception_fp_ieee_div_zero 0
		.amdhsa_exception_fp_ieee_overflow 0
		.amdhsa_exception_fp_ieee_underflow 0
		.amdhsa_exception_fp_ieee_inexact 0
		.amdhsa_exception_int_div_zero 0
	.end_amdhsa_kernel
	.section	.text._ZN2at6native6mbtopk29computeBlockwiseWithinKCountsIjsEEvPT_PsPjjibS6_PT0_S6_S4_S6_j,"axG",@progbits,_ZN2at6native6mbtopk29computeBlockwiseWithinKCountsIjsEEvPT_PsPjjibS6_PT0_S6_S4_S6_j,comdat
.Lfunc_end54:
	.size	_ZN2at6native6mbtopk29computeBlockwiseWithinKCountsIjsEEvPT_PsPjjibS6_PT0_S6_S4_S6_j, .Lfunc_end54-_ZN2at6native6mbtopk29computeBlockwiseWithinKCountsIjsEEvPT_PsPjjibS6_PT0_S6_S4_S6_j
                                        ; -- End function
	.section	.AMDGPU.csdata,"",@progbits
; Kernel info:
; codeLenInByte = 2324
; NumSgprs: 34
; NumVgprs: 15
; NumAgprs: 0
; TotalNumVgprs: 15
; ScratchSize: 0
; MemoryBound: 0
; FloatMode: 240
; IeeeMode: 1
; LDSByteSize: 2100 bytes/workgroup (compile time only)
; SGPRBlocks: 4
; VGPRBlocks: 1
; NumSGPRsForWavesPerEU: 34
; NumVGPRsForWavesPerEU: 15
; AccumOffset: 16
; Occupancy: 8
; WaveLimiterHint : 1
; COMPUTE_PGM_RSRC2:SCRATCH_EN: 0
; COMPUTE_PGM_RSRC2:USER_SGPR: 6
; COMPUTE_PGM_RSRC2:TRAP_HANDLER: 0
; COMPUTE_PGM_RSRC2:TGID_X_EN: 1
; COMPUTE_PGM_RSRC2:TGID_Y_EN: 1
; COMPUTE_PGM_RSRC2:TGID_Z_EN: 1
; COMPUTE_PGM_RSRC2:TIDIG_COMP_CNT: 0
; COMPUTE_PGM_RSRC3_GFX90A:ACCUM_OFFSET: 3
; COMPUTE_PGM_RSRC3_GFX90A:TG_SPLIT: 0
	.section	.text._ZN2at6native6mbtopk10gatherTopKIsjLi1EEEvNS_4cuda6detail10TensorInfoIKT_T0_EES8_S8_bjS8_NS5_IS6_S8_EES8_NS5_IlS8_EES8_jjPS6_PjSD_j,"axG",@progbits,_ZN2at6native6mbtopk10gatherTopKIsjLi1EEEvNS_4cuda6detail10TensorInfoIKT_T0_EES8_S8_bjS8_NS5_IS6_S8_EES8_NS5_IlS8_EES8_jjPS6_PjSD_j,comdat
	.protected	_ZN2at6native6mbtopk10gatherTopKIsjLi1EEEvNS_4cuda6detail10TensorInfoIKT_T0_EES8_S8_bjS8_NS5_IS6_S8_EES8_NS5_IlS8_EES8_jjPS6_PjSD_j ; -- Begin function _ZN2at6native6mbtopk10gatherTopKIsjLi1EEEvNS_4cuda6detail10TensorInfoIKT_T0_EES8_S8_bjS8_NS5_IS6_S8_EES8_NS5_IlS8_EES8_jjPS6_PjSD_j
	.globl	_ZN2at6native6mbtopk10gatherTopKIsjLi1EEEvNS_4cuda6detail10TensorInfoIKT_T0_EES8_S8_bjS8_NS5_IS6_S8_EES8_NS5_IlS8_EES8_jjPS6_PjSD_j
	.p2align	8
	.type	_ZN2at6native6mbtopk10gatherTopKIsjLi1EEEvNS_4cuda6detail10TensorInfoIKT_T0_EES8_S8_bjS8_NS5_IS6_S8_EES8_NS5_IlS8_EES8_jjPS6_PjSD_j,@function
_ZN2at6native6mbtopk10gatherTopKIsjLi1EEEvNS_4cuda6detail10TensorInfoIKT_T0_EES8_S8_bjS8_NS5_IS6_S8_EES8_NS5_IlS8_EES8_jjPS6_PjSD_j: ; @_ZN2at6native6mbtopk10gatherTopKIsjLi1EEEvNS_4cuda6detail10TensorInfoIKT_T0_EES8_S8_bjS8_NS5_IS6_S8_EES8_NS5_IlS8_EES8_jjPS6_PjSD_j
; %bb.0:
	s_load_dwordx2 s[0:1], s[4:5], 0x2d8
	s_load_dword s2, s[4:5], 0x2d0
	s_waitcnt lgkmcnt(0)
	s_mul_i32 s1, s1, s8
	s_add_i32 s1, s1, s7
	s_mul_i32 s0, s1, s0
	s_add_i32 s0, s0, s6
	s_cmp_ge_u32 s0, s2
	s_cbranch_scc1 .LBB55_40
; %bb.1:
	s_load_dwordx8 s[8:15], s[4:5], 0x2a8
	s_mov_b32 s7, 0
	s_waitcnt lgkmcnt(0)
	v_cvt_f32_u32_e32 v1, s10
	s_sub_i32 s1, 0, s10
	v_rcp_iflag_f32_e32 v1, v1
	v_mul_f32_e32 v1, 0x4f7ffffe, v1
	v_cvt_u32_f32_e32 v1, v1
	v_readfirstlane_b32 s2, v1
	s_mul_i32 s1, s1, s2
	s_mul_hi_u32 s1, s2, s1
	s_add_i32 s2, s2, s1
	s_mul_hi_u32 s1, s0, s2
	s_mul_i32 s2, s1, s10
	s_sub_i32 s2, s0, s2
	s_add_i32 s3, s1, 1
	s_sub_i32 s6, s2, s10
	s_cmp_ge_u32 s2, s10
	s_cselect_b32 s1, s3, s1
	s_cselect_b32 s2, s6, s2
	s_add_i32 s3, s1, 1
	s_cmp_ge_u32 s2, s10
	s_cselect_b32 s6, s3, s1
	s_mul_i32 s16, s6, s10
	s_lshl_b64 s[2:3], s[6:7], 1
	s_sub_i32 s11, s0, s16
	s_add_u32 s0, s12, s2
	s_addc_u32 s1, s13, s3
	v_mov_b32_e32 v1, 0
	global_load_ushort v5, v1, s[0:1]
	s_load_dwordx2 s[20:21], s[4:5], 0x1d0
	s_load_dwordx2 s[22:23], s[4:5], 0xf0
	s_load_dwordx2 s[24:25], s[4:5], 0x0
	v_cmp_ne_u32_e64 s[0:1], 0, v0
	v_cmp_eq_u32_e64 s[2:3], 0, v0
	s_and_saveexec_b64 s[12:13], s[2:3]
	s_cbranch_execz .LBB55_17
; %bb.2:
	s_load_dwordx2 s[26:27], s[4:5], 0x2c8
	s_mov_b32 s17, s7
	s_lshl_b64 s[28:29], s[16:17], 2
	s_add_u32 s16, s14, s28
	s_addc_u32 s17, s15, s29
	s_waitcnt lgkmcnt(0)
	s_add_u32 s18, s26, s28
	s_addc_u32 s19, s27, s29
	s_cmp_lt_u32 s10, 4
	s_cbranch_scc1 .LBB55_14
; %bb.3:
	s_mov_b32 s33, s7
	s_mov_b32 s34, s7
	;; [unrolled: 1-line block ×3, first 2 shown]
.LBB55_4:                               ; =>This Inner Loop Header: Depth=1
	s_add_u32 s16, s14, s28
	s_addc_u32 s17, s15, s29
	s_load_dwordx4 s[16:19], s[16:17], 0x0
	s_add_u32 s30, s26, s28
	s_addc_u32 s31, s27, s29
	s_cmp_ge_u32 s35, s11
	s_cbranch_scc0 .LBB55_11
; %bb.5:                                ;   in Loop: Header=BB55_4 Depth=1
	s_add_i32 s36, s35, 1
	s_cmp_ge_u32 s36, s11
	s_cbranch_scc0 .LBB55_12
.LBB55_6:                               ;   in Loop: Header=BB55_4 Depth=1
	s_add_i32 s36, s36, 1
	s_cmp_ge_u32 s36, s11
	s_cbranch_scc0 .LBB55_13
.LBB55_7:                               ;   in Loop: Header=BB55_4 Depth=1
	s_add_i32 s36, s36, 1
	s_cmp_ge_u32 s36, s11
	s_cbranch_scc1 .LBB55_9
.LBB55_8:                               ;   in Loop: Header=BB55_4 Depth=1
	s_load_dword s30, s[30:31], 0xc
	s_waitcnt lgkmcnt(0)
	s_add_i32 s7, s7, s19
	s_add_i32 s33, s30, s33
.LBB55_9:                               ;   in Loop: Header=BB55_4 Depth=1
	s_waitcnt lgkmcnt(0)
	s_add_i32 s16, s16, s34
	s_add_i32 s16, s16, s17
	;; [unrolled: 1-line block ×4, first 2 shown]
	s_add_u32 s14, s14, 16
	s_addc_u32 s15, s15, 0
	s_add_u32 s26, s26, 16
	s_addc_u32 s27, s27, 0
	s_add_i32 s31, s36, 4
	s_add_u32 s18, s26, s28
	s_addc_u32 s19, s27, s29
	s_add_u32 s16, s14, s28
	s_addc_u32 s17, s15, s29
	s_add_i32 s30, s36, 1
	s_cmp_ge_u32 s31, s10
	s_cbranch_scc1 .LBB55_15
; %bb.10:                               ;   in Loop: Header=BB55_4 Depth=1
	s_mov_b32 s35, s30
	s_branch .LBB55_4
.LBB55_11:                              ;   in Loop: Header=BB55_4 Depth=1
	s_load_dword s36, s[30:31], 0x0
	s_waitcnt lgkmcnt(0)
	s_add_i32 s7, s16, s7
	s_add_i32 s33, s36, s33
	;; [unrolled: 1-line block ×3, first 2 shown]
	s_cmp_ge_u32 s36, s11
	s_cbranch_scc1 .LBB55_6
.LBB55_12:                              ;   in Loop: Header=BB55_4 Depth=1
	s_load_dword s37, s[30:31], 0x4
	s_waitcnt lgkmcnt(0)
	s_add_i32 s7, s7, s17
	s_add_i32 s33, s37, s33
	;; [unrolled: 1-line block ×3, first 2 shown]
	s_cmp_ge_u32 s36, s11
	s_cbranch_scc1 .LBB55_7
.LBB55_13:                              ;   in Loop: Header=BB55_4 Depth=1
	s_load_dword s37, s[30:31], 0x8
	s_waitcnt lgkmcnt(0)
	s_add_i32 s7, s7, s18
	s_add_i32 s33, s37, s33
	;; [unrolled: 1-line block ×3, first 2 shown]
	s_cmp_ge_u32 s36, s11
	s_cbranch_scc0 .LBB55_8
	s_branch .LBB55_9
.LBB55_14:
	s_mov_b32 s33, 0
	s_mov_b32 s34, 0
	;; [unrolled: 1-line block ×3, first 2 shown]
	s_cmp_ge_u32 s14, s10
	s_cbranch_scc0 .LBB55_38
	s_branch .LBB55_16
.LBB55_15:
	s_add_i32 s14, s35, 4
	s_cmp_ge_u32 s14, s10
	s_cbranch_scc0 .LBB55_38
.LBB55_16:
	v_mov_b32_e32 v2, s33
	v_mov_b32_e32 v3, s34
	;; [unrolled: 1-line block ×4, first 2 shown]
	ds_write_b96 v1, v[2:4] offset:1056
.LBB55_17:
	s_or_b64 exec, exec, s[12:13]
	s_load_dword s7, s[4:5], 0x23c
	s_load_dword s16, s[4:5], 0x15c
	;; [unrolled: 1-line block ×3, first 2 shown]
	s_load_dwordx4 s[12:15], s[4:5], 0xd8
	s_mul_i32 s18, s9, s11
	s_lshl_b32 s26, s18, 8
	s_waitcnt lgkmcnt(0)
	s_add_i32 s15, s11, 1
	s_mov_b32 s11, 0
	s_sub_i32 s18, s12, s26
	s_add_u32 s18, s18, 0xff
	s_addc_u32 s19, 0, 0
	v_mov_b32_e32 v1, s18
	v_alignbit_b32 v1, s19, v1, 8
	s_cmp_lt_u32 s15, s10
	v_readfirstlane_b32 s10, v1
	s_cselect_b32 s9, s9, s10
	s_cmp_eq_u32 s9, 0
	s_barrier
	s_cbranch_scc1 .LBB55_40
; %bb.18:
	s_mul_i32 s10, s6, s17
	v_mov_b32_e32 v1, 0
	s_mul_i32 s18, s6, s16
	s_lshl_b64 s[16:17], s[10:11], 1
	ds_read_b96 v[2:4], v1 offset:1056
	s_add_u32 s15, s24, s16
	s_mov_b32 s19, s11
	s_addc_u32 s16, s25, s17
	s_lshl_b64 s[18:19], s[18:19], 1
	s_mul_i32 s6, s6, s7
	s_add_u32 s17, s22, s18
	s_mov_b32 s7, s11
	s_addc_u32 s18, s23, s19
	s_lshl_b64 s[6:7], s[6:7], 3
	s_add_u32 s19, s20, s6
	s_waitcnt lgkmcnt(0)
	v_add_u32_e32 v7, v2, v3
	v_lshrrev_b32_e32 v2, 5, v0
	s_addc_u32 s20, s21, s7
	v_add_lshl_u32 v8, v2, v0, 2
	v_lshlrev_b32_e32 v2, 2, v0
	v_lshrrev_b32_e32 v3, 3, v0
	s_bitcmp1_b32 s14, 0
	s_load_dword s10, s[4:5], 0xe8
	s_load_dword s14, s[4:5], 0x1c8
	v_add_lshl_u32 v9, v3, v2, 2
	v_add_u32_e32 v2, -1, v0
	v_lshrrev_b32_e32 v3, 5, v2
	v_add_lshl_u32 v10, v3, v2, 2
	v_mbcnt_lo_u32_b32 v3, -1, 0
	s_mov_b32 s21, 0x8000
	v_add_u32_e32 v2, s26, v0
	v_mbcnt_hi_u32_b32 v11, -1, v3
	s_waitcnt vmcnt(0)
	v_add_u32_sdwa v6, sext(v5), s21 dst_sel:DWORD dst_unused:UNUSED_PAD src0_sel:WORD_0 src1_sel:DWORD
	s_cselect_b64 s[6:7], -1, 0
	v_cmp_gt_u32_e64 s[4:5], 64, v0
	s_waitcnt lgkmcnt(0)
	v_mul_lo_u32 v0, s10, v2
	s_lshl_b32 s22, s10, 8
	v_and_b32_e32 v12, 15, v11
	v_bfe_i32 v13, v11, 4, 1
	v_add_u32_e32 v14, -1, v11
	v_and_b32_e32 v15, 64, v11
                                        ; implicit-def: $vgpr16
	s_branch .LBB55_21
.LBB55_19:                              ;   in Loop: Header=BB55_21 Depth=1
	s_or_b64 exec, exec, s[10:11]
	v_add_u32_e32 v7, v19, v7
.LBB55_20:                              ;   in Loop: Header=BB55_21 Depth=1
	s_add_i32 s9, s9, -1
	v_add_u32_e32 v4, v18, v4
	v_add_u32_e32 v0, s22, v0
	s_cmp_lg_u32 s9, 0
	v_add_u32_e32 v2, 0x100, v2
	s_cbranch_scc0 .LBB55_40
.LBB55_21:                              ; =>This Inner Loop Header: Depth=1
	v_cmp_gt_u32_e32 vcc, s12, v2
	v_mov_b32_e32 v3, 0
	v_mov_b32_e32 v17, 0
	s_and_saveexec_b64 s[10:11], vcc
	s_cbranch_execz .LBB55_23
; %bb.22:                               ;   in Loop: Header=BB55_21 Depth=1
	v_lshlrev_b64 v[16:17], 1, v[0:1]
	v_mov_b32_e32 v3, s16
	v_add_co_u32_e32 v16, vcc, s15, v16
	v_addc_co_u32_e32 v17, vcc, v3, v17, vcc
	global_load_ushort v16, v[16:17], off
	s_waitcnt vmcnt(0)
	v_add_u32_sdwa v3, sext(v16), s21 dst_sel:DWORD dst_unused:UNUSED_PAD src0_sel:WORD_0 src1_sel:DWORD
	v_cmp_gt_u32_e32 vcc, v3, v6
	v_cndmask_b32_e64 v17, 0, 1, vcc
	v_cmp_lt_u32_e32 vcc, v3, v6
	v_cndmask_b32_e64 v3, 0, 1, vcc
	v_cndmask_b32_e64 v3, v3, v17, s[6:7]
	v_cmp_eq_u16_e32 vcc, v16, v5
	v_and_b32_e32 v3, 1, v3
	v_cndmask_b32_e64 v17, 0, 1, vcc
.LBB55_23:                              ;   in Loop: Header=BB55_21 Depth=1
	s_or_b64 exec, exec, s[10:11]
	ds_write_b32 v8, v3
	s_waitcnt lgkmcnt(0)
	s_barrier
	s_and_saveexec_b64 s[10:11], s[4:5]
	s_cbranch_execz .LBB55_25
; %bb.24:                               ;   in Loop: Header=BB55_21 Depth=1
	ds_read2_b32 v[18:19], v9 offset1:1
	ds_read2_b32 v[20:21], v9 offset0:2 offset1:3
	v_cmp_ne_u32_e32 vcc, 0, v12
	; wave barrier
	s_waitcnt lgkmcnt(1)
	v_add_u32_e32 v19, v19, v18
	s_waitcnt lgkmcnt(0)
	v_add3_u32 v19, v19, v20, v21
	s_nop 1
	v_mov_b32_dpp v20, v19 row_shr:1 row_mask:0xf bank_mask:0xf
	v_cndmask_b32_e32 v20, 0, v20, vcc
	v_add_u32_e32 v19, v20, v19
	v_cmp_lt_u32_e32 vcc, 1, v12
	s_nop 0
	v_mov_b32_dpp v20, v19 row_shr:2 row_mask:0xf bank_mask:0xf
	v_cndmask_b32_e32 v20, 0, v20, vcc
	v_add_u32_e32 v19, v19, v20
	v_cmp_lt_u32_e32 vcc, 3, v12
	;; [unrolled: 5-line block ×4, first 2 shown]
	s_nop 0
	v_mov_b32_dpp v20, v19 row_bcast:15 row_mask:0xf bank_mask:0xf
	v_and_b32_e32 v20, v13, v20
	v_add_u32_e32 v19, v19, v20
	s_nop 1
	v_mov_b32_dpp v20, v19 row_bcast:31 row_mask:0xf bank_mask:0xf
	v_cndmask_b32_e32 v20, 0, v20, vcc
	v_cmp_lt_i32_e32 vcc, v14, v15
	v_add_u32_e32 v19, v19, v20
	v_cndmask_b32_e32 v20, v14, v11, vcc
	v_lshlrev_b32_e32 v20, 2, v20
	ds_bpermute_b32 v19, v20, v19
	s_waitcnt lgkmcnt(0)
	v_add_u32_e32 v18, v19, v18
	v_cndmask_b32_e64 v20, v18, v3, s[2:3]
	ds_write_b32 v9, v20
	; wave barrier
	ds_read2_b32 v[18:19], v9 offset0:1 offset1:2
	ds_read_b32 v21, v9 offset:12
	s_waitcnt lgkmcnt(1)
	v_add_u32_e32 v18, v18, v20
	v_add_u32_e32 v19, v19, v18
	ds_write2_b32 v9, v18, v19 offset0:1 offset1:2
	s_waitcnt lgkmcnt(1)
	v_add_u32_e32 v18, v21, v19
	ds_write_b32 v9, v18 offset:12
.LBB55_25:                              ;   in Loop: Header=BB55_21 Depth=1
	s_or_b64 exec, exec, s[10:11]
	v_mov_b32_e32 v19, 0
	s_waitcnt lgkmcnt(0)
	s_barrier
	s_and_saveexec_b64 s[10:11], s[0:1]
	s_cbranch_execz .LBB55_27
; %bb.26:                               ;   in Loop: Header=BB55_21 Depth=1
	ds_read_b32 v19, v10
.LBB55_27:                              ;   in Loop: Header=BB55_21 Depth=1
	s_or_b64 exec, exec, s[10:11]
	ds_read_b32 v18, v1 offset:1048
	v_cmp_ne_u32_e32 vcc, 0, v3
	s_waitcnt lgkmcnt(0)
	s_barrier
	s_and_saveexec_b64 s[10:11], vcc
	s_cbranch_execz .LBB55_29
; %bb.28:                               ;   in Loop: Header=BB55_21 Depth=1
	v_add_u32_e32 v19, v19, v4
	v_mul_lo_u32 v20, v19, s14
	v_mov_b32_e32 v21, v1
	v_lshlrev_b64 v[20:21], 1, v[20:21]
	v_mov_b32_e32 v3, s18
	v_add_co_u32_e32 v20, vcc, s17, v20
	v_addc_co_u32_e32 v21, vcc, v3, v21, vcc
	global_store_short v[20:21], v16, off
	v_mul_lo_u32 v20, v19, s8
	v_mov_b32_e32 v21, v1
	v_lshlrev_b64 v[20:21], 3, v[20:21]
	v_mov_b32_e32 v19, s20
	v_add_co_u32_e32 v20, vcc, s19, v20
	v_mov_b32_e32 v3, v1
	v_addc_co_u32_e32 v21, vcc, v19, v21, vcc
	global_store_dwordx2 v[20:21], v[2:3], off
.LBB55_29:                              ;   in Loop: Header=BB55_21 Depth=1
	s_or_b64 exec, exec, s[10:11]
	v_cmp_le_u32_e32 vcc, s13, v7
	s_cbranch_vccnz .LBB55_20
; %bb.30:                               ;   in Loop: Header=BB55_21 Depth=1
	ds_write_b32 v8, v17
	s_waitcnt lgkmcnt(0)
	s_barrier
	s_and_saveexec_b64 s[10:11], s[4:5]
	s_cbranch_execz .LBB55_32
; %bb.31:                               ;   in Loop: Header=BB55_21 Depth=1
	ds_read2_b32 v[20:21], v9 offset1:1
	ds_read2_b32 v[22:23], v9 offset0:2 offset1:3
	v_cmp_ne_u32_e32 vcc, 0, v12
	; wave barrier
	s_waitcnt lgkmcnt(1)
	v_add_u32_e32 v3, v21, v20
	s_waitcnt lgkmcnt(0)
	v_add3_u32 v3, v3, v22, v23
	s_nop 1
	v_mov_b32_dpp v19, v3 row_shr:1 row_mask:0xf bank_mask:0xf
	v_cndmask_b32_e32 v19, 0, v19, vcc
	v_add_u32_e32 v3, v19, v3
	v_cmp_lt_u32_e32 vcc, 1, v12
	s_nop 0
	v_mov_b32_dpp v19, v3 row_shr:2 row_mask:0xf bank_mask:0xf
	v_cndmask_b32_e32 v19, 0, v19, vcc
	v_add_u32_e32 v3, v3, v19
	v_cmp_lt_u32_e32 vcc, 3, v12
	;; [unrolled: 5-line block ×4, first 2 shown]
	s_nop 0
	v_mov_b32_dpp v19, v3 row_bcast:15 row_mask:0xf bank_mask:0xf
	v_and_b32_e32 v19, v13, v19
	v_add_u32_e32 v3, v3, v19
	s_nop 1
	v_mov_b32_dpp v19, v3 row_bcast:31 row_mask:0xf bank_mask:0xf
	v_cndmask_b32_e32 v19, 0, v19, vcc
	v_cmp_lt_i32_e32 vcc, v14, v15
	v_add_u32_e32 v3, v3, v19
	v_cndmask_b32_e32 v19, v14, v11, vcc
	v_lshlrev_b32_e32 v19, 2, v19
	ds_bpermute_b32 v3, v19, v3
	s_waitcnt lgkmcnt(0)
	v_add_u32_e32 v3, v3, v20
	v_cndmask_b32_e64 v3, v3, v17, s[2:3]
	ds_write_b32 v9, v3
	; wave barrier
	ds_read2_b32 v[20:21], v9 offset0:1 offset1:2
	ds_read_b32 v19, v9 offset:12
	s_waitcnt lgkmcnt(1)
	v_add_u32_e32 v3, v20, v3
	v_add_u32_e32 v20, v21, v3
	ds_write2_b32 v9, v3, v20 offset0:1 offset1:2
	s_waitcnt lgkmcnt(1)
	v_add_u32_e32 v3, v19, v20
	ds_write_b32 v9, v3 offset:12
.LBB55_32:                              ;   in Loop: Header=BB55_21 Depth=1
	s_or_b64 exec, exec, s[10:11]
	v_mov_b32_e32 v3, 0
	s_waitcnt lgkmcnt(0)
	s_barrier
	s_and_saveexec_b64 s[10:11], s[0:1]
	s_cbranch_execz .LBB55_34
; %bb.33:                               ;   in Loop: Header=BB55_21 Depth=1
	ds_read_b32 v3, v10
.LBB55_34:                              ;   in Loop: Header=BB55_21 Depth=1
	s_or_b64 exec, exec, s[10:11]
	ds_read_b32 v19, v1 offset:1048
	v_cmp_ne_u32_e32 vcc, 0, v17
	s_waitcnt lgkmcnt(0)
	s_barrier
	s_and_saveexec_b64 s[10:11], vcc
	s_cbranch_execz .LBB55_19
; %bb.35:                               ;   in Loop: Header=BB55_21 Depth=1
	v_add_u32_e32 v17, v3, v7
	v_cmp_gt_u32_e32 vcc, s13, v17
	s_and_b64 exec, exec, vcc
	s_cbranch_execz .LBB55_19
; %bb.36:                               ;   in Loop: Header=BB55_21 Depth=1
	v_mul_lo_u32 v20, v17, s14
	v_mov_b32_e32 v21, v1
	v_lshlrev_b64 v[20:21], 1, v[20:21]
	v_mov_b32_e32 v3, s18
	v_add_co_u32_e32 v20, vcc, s17, v20
	v_addc_co_u32_e32 v21, vcc, v3, v21, vcc
	global_store_short v[20:21], v16, off
	v_mul_lo_u32 v20, v17, s8
	v_mov_b32_e32 v21, v1
	v_lshlrev_b64 v[20:21], 3, v[20:21]
	v_mov_b32_e32 v17, s20
	v_add_co_u32_e32 v20, vcc, s19, v20
	v_mov_b32_e32 v3, v1
	v_addc_co_u32_e32 v21, vcc, v17, v21, vcc
	global_store_dwordx2 v[20:21], v[2:3], off
	s_branch .LBB55_19
.LBB55_37:                              ;   in Loop: Header=BB55_38 Depth=1
	s_add_u32 s16, s16, 4
	s_addc_u32 s17, s17, 0
	s_waitcnt lgkmcnt(0)
	s_add_i32 s34, s15, s34
	s_add_u32 s18, s18, 4
	s_addc_u32 s19, s19, 0
	s_add_i32 s14, s14, 1
	s_cmp_lt_u32 s14, s10
	s_cbranch_scc0 .LBB55_16
.LBB55_38:                              ; =>This Inner Loop Header: Depth=1
	s_load_dword s15, s[16:17], 0x0
	s_cmp_ge_u32 s14, s11
	s_cbranch_scc1 .LBB55_37
; %bb.39:                               ;   in Loop: Header=BB55_38 Depth=1
	s_load_dword s26, s[18:19], 0x0
	s_waitcnt lgkmcnt(0)
	s_add_i32 s7, s15, s7
	s_add_i32 s33, s26, s33
	s_branch .LBB55_37
.LBB55_40:
	s_endpgm
	.section	.rodata,"a",@progbits
	.p2align	6, 0x0
	.amdhsa_kernel _ZN2at6native6mbtopk10gatherTopKIsjLi1EEEvNS_4cuda6detail10TensorInfoIKT_T0_EES8_S8_bjS8_NS5_IS6_S8_EES8_NS5_IlS8_EES8_jjPS6_PjSD_j
		.amdhsa_group_segment_fixed_size 1068
		.amdhsa_private_segment_fixed_size 0
		.amdhsa_kernarg_size 984
		.amdhsa_user_sgpr_count 6
		.amdhsa_user_sgpr_private_segment_buffer 1
		.amdhsa_user_sgpr_dispatch_ptr 0
		.amdhsa_user_sgpr_queue_ptr 0
		.amdhsa_user_sgpr_kernarg_segment_ptr 1
		.amdhsa_user_sgpr_dispatch_id 0
		.amdhsa_user_sgpr_flat_scratch_init 0
		.amdhsa_user_sgpr_kernarg_preload_length 0
		.amdhsa_user_sgpr_kernarg_preload_offset 0
		.amdhsa_user_sgpr_private_segment_size 0
		.amdhsa_uses_dynamic_stack 0
		.amdhsa_system_sgpr_private_segment_wavefront_offset 0
		.amdhsa_system_sgpr_workgroup_id_x 1
		.amdhsa_system_sgpr_workgroup_id_y 1
		.amdhsa_system_sgpr_workgroup_id_z 1
		.amdhsa_system_sgpr_workgroup_info 0
		.amdhsa_system_vgpr_workitem_id 0
		.amdhsa_next_free_vgpr 24
		.amdhsa_next_free_sgpr 38
		.amdhsa_accum_offset 24
		.amdhsa_reserve_vcc 1
		.amdhsa_reserve_flat_scratch 0
		.amdhsa_float_round_mode_32 0
		.amdhsa_float_round_mode_16_64 0
		.amdhsa_float_denorm_mode_32 3
		.amdhsa_float_denorm_mode_16_64 3
		.amdhsa_dx10_clamp 1
		.amdhsa_ieee_mode 1
		.amdhsa_fp16_overflow 0
		.amdhsa_tg_split 0
		.amdhsa_exception_fp_ieee_invalid_op 0
		.amdhsa_exception_fp_denorm_src 0
		.amdhsa_exception_fp_ieee_div_zero 0
		.amdhsa_exception_fp_ieee_overflow 0
		.amdhsa_exception_fp_ieee_underflow 0
		.amdhsa_exception_fp_ieee_inexact 0
		.amdhsa_exception_int_div_zero 0
	.end_amdhsa_kernel
	.section	.text._ZN2at6native6mbtopk10gatherTopKIsjLi1EEEvNS_4cuda6detail10TensorInfoIKT_T0_EES8_S8_bjS8_NS5_IS6_S8_EES8_NS5_IlS8_EES8_jjPS6_PjSD_j,"axG",@progbits,_ZN2at6native6mbtopk10gatherTopKIsjLi1EEEvNS_4cuda6detail10TensorInfoIKT_T0_EES8_S8_bjS8_NS5_IS6_S8_EES8_NS5_IlS8_EES8_jjPS6_PjSD_j,comdat
.Lfunc_end55:
	.size	_ZN2at6native6mbtopk10gatherTopKIsjLi1EEEvNS_4cuda6detail10TensorInfoIKT_T0_EES8_S8_bjS8_NS5_IS6_S8_EES8_NS5_IlS8_EES8_jjPS6_PjSD_j, .Lfunc_end55-_ZN2at6native6mbtopk10gatherTopKIsjLi1EEEvNS_4cuda6detail10TensorInfoIKT_T0_EES8_S8_bjS8_NS5_IS6_S8_EES8_NS5_IlS8_EES8_jjPS6_PjSD_j
                                        ; -- End function
	.section	.AMDGPU.csdata,"",@progbits
; Kernel info:
; codeLenInByte = 2096
; NumSgprs: 42
; NumVgprs: 24
; NumAgprs: 0
; TotalNumVgprs: 24
; ScratchSize: 0
; MemoryBound: 0
; FloatMode: 240
; IeeeMode: 1
; LDSByteSize: 1068 bytes/workgroup (compile time only)
; SGPRBlocks: 5
; VGPRBlocks: 2
; NumSGPRsForWavesPerEU: 42
; NumVGPRsForWavesPerEU: 24
; AccumOffset: 24
; Occupancy: 8
; WaveLimiterHint : 1
; COMPUTE_PGM_RSRC2:SCRATCH_EN: 0
; COMPUTE_PGM_RSRC2:USER_SGPR: 6
; COMPUTE_PGM_RSRC2:TRAP_HANDLER: 0
; COMPUTE_PGM_RSRC2:TGID_X_EN: 1
; COMPUTE_PGM_RSRC2:TGID_Y_EN: 1
; COMPUTE_PGM_RSRC2:TGID_Z_EN: 1
; COMPUTE_PGM_RSRC2:TIDIG_COMP_CNT: 0
; COMPUTE_PGM_RSRC3_GFX90A:ACCUM_OFFSET: 5
; COMPUTE_PGM_RSRC3_GFX90A:TG_SPLIT: 0
	.section	.text._ZN2at6native6sbtopk10gatherTopKIsjLi1ELb0EEEvNS_4cuda6detail10TensorInfoIKT_T0_EES8_S8_bS8_S8_NS5_IS6_S8_EES8_NS5_IlS8_EES8_PS6_,"axG",@progbits,_ZN2at6native6sbtopk10gatherTopKIsjLi1ELb0EEEvNS_4cuda6detail10TensorInfoIKT_T0_EES8_S8_bS8_S8_NS5_IS6_S8_EES8_NS5_IlS8_EES8_PS6_,comdat
	.protected	_ZN2at6native6sbtopk10gatherTopKIsjLi1ELb0EEEvNS_4cuda6detail10TensorInfoIKT_T0_EES8_S8_bS8_S8_NS5_IS6_S8_EES8_NS5_IlS8_EES8_PS6_ ; -- Begin function _ZN2at6native6sbtopk10gatherTopKIsjLi1ELb0EEEvNS_4cuda6detail10TensorInfoIKT_T0_EES8_S8_bS8_S8_NS5_IS6_S8_EES8_NS5_IlS8_EES8_PS6_
	.globl	_ZN2at6native6sbtopk10gatherTopKIsjLi1ELb0EEEvNS_4cuda6detail10TensorInfoIKT_T0_EES8_S8_bS8_S8_NS5_IS6_S8_EES8_NS5_IlS8_EES8_PS6_
	.p2align	8
	.type	_ZN2at6native6sbtopk10gatherTopKIsjLi1ELb0EEEvNS_4cuda6detail10TensorInfoIKT_T0_EES8_S8_bS8_S8_NS5_IS6_S8_EES8_NS5_IlS8_EES8_PS6_,@function
_ZN2at6native6sbtopk10gatherTopKIsjLi1ELb0EEEvNS_4cuda6detail10TensorInfoIKT_T0_EES8_S8_bS8_S8_NS5_IS6_S8_EES8_NS5_IlS8_EES8_PS6_: ; @_ZN2at6native6sbtopk10gatherTopKIsjLi1ELb0EEEvNS_4cuda6detail10TensorInfoIKT_T0_EES8_S8_bS8_S8_NS5_IS6_S8_EES8_NS5_IlS8_EES8_PS6_
; %bb.0:
	s_load_dwordx2 s[10:11], s[4:5], 0x2b8
	s_load_dwordx4 s[60:63], s[4:5], 0xd8
	s_add_u32 s2, s4, 0x2b8
	s_addc_u32 s3, s5, 0
	s_waitcnt lgkmcnt(0)
	s_mul_i32 s0, s11, s8
	s_add_i32 s0, s0, s7
	s_mul_i32 s0, s0, s10
	s_add_i32 s14, s0, s6
	s_cmp_ge_u32 s14, s63
	s_cbranch_scc1 .LBB56_411
; %bb.1:
	s_load_dwordx2 s[0:1], s[4:5], 0x1d0
                                        ; implicit-def: $vgpr52 : SGPR spill to VGPR lane
	s_mov_b32 s16, 0
	v_cmp_eq_u32_e64 s[8:9], 0, v0
	s_waitcnt lgkmcnt(0)
	v_writelane_b32 v52, s0, 0
	v_writelane_b32 v52, s1, 1
	s_load_dwordx2 s[0:1], s[4:5], 0xf0
	s_waitcnt lgkmcnt(0)
	v_writelane_b32 v52, s0, 2
	v_writelane_b32 v52, s1, 3
	s_load_dword s11, s[4:5], 0xe8
	s_load_dword s7, s[4:5], 0x6c
	s_load_dwordx2 s[0:1], s[4:5], 0x0
	s_mov_b64 s[12:13], exec
	v_writelane_b32 v52, s8, 4
	v_writelane_b32 v52, s9, 5
	s_and_b64 s[8:9], s[12:13], s[8:9]
	s_mov_b64 exec, s[8:9]
	s_cbranch_execz .LBB56_3
; %bb.2:
	v_mov_b32_e32 v2, 0
	v_mov_b32_e32 v3, s60
	;; [unrolled: 1-line block ×3, first 2 shown]
	ds_write_b96 v2, v[2:4] offset:4096
.LBB56_3:
	s_or_b64 exec, exec, s[12:13]
	s_load_dword s8, s[4:5], 0x23c
	s_waitcnt lgkmcnt(0)
	s_barrier
	v_mbcnt_lo_u32_b32 v1, -1, 0
	v_writelane_b32 v52, s8, 6
	v_writelane_b32 v52, s4, 7
	;; [unrolled: 1-line block ×3, first 2 shown]
	s_load_dword s4, s[4:5], 0x15c
	s_mov_b32 s5, s16
	s_mov_b32 s8, 0
	v_mbcnt_hi_u32_b32 v1, -1, v1
	v_cmp_gt_u32_e32 vcc, 64, v0
	s_waitcnt lgkmcnt(0)
	v_writelane_b32 v52, s4, 9
	s_mul_i32 s4, s7, s14
	v_writelane_b32 v52, s14, 10
	s_lshl_b64 s[4:5], s[4:5], 1
	v_writelane_b32 v52, s8, 11
	s_add_u32 s33, s0, s4
	v_writelane_b32 v52, s9, 12
	s_addc_u32 s8, s1, s5
	s_load_dword s0, s[2:3], 0xc
	s_bitcmp1_b32 s62, 0
	s_cselect_b64 s[4:5], -1, 0
	v_writelane_b32 v52, s4, 13
	v_writelane_b32 v52, s5, 14
	s_xor_b64 s[4:5], s[4:5], -1
	v_writelane_b32 v52, s4, 15
	v_writelane_b32 v52, s5, 16
	s_waitcnt lgkmcnt(0)
	s_and_b32 s9, s0, 0xffff
	s_bfe_u32 s5, s0, 0xa0006
	v_cmp_gt_i32_e64 s[0:1], 4, v1
	s_lshl_b32 s73, s9, 2
	s_and_b64 s[0:1], vcc, s[0:1]
	v_writelane_b32 v52, s0, 17
	s_cmpk_gt_u32 s60, 0x600
	v_writelane_b32 v52, s1, 18
	s_cselect_b64 s[0:1], -1, 0
	v_writelane_b32 v52, s0, 19
	s_cmp_gt_u32 s9, 63
	v_writelane_b32 v52, s1, 20
	s_cselect_b64 s[0:1], -1, 0
	v_writelane_b32 v52, s0, 21
	v_writelane_b32 v52, s1, 22
	s_add_i32 s0, s9, -1
	s_add_i32 s4, s0, s60
	s_cmp_lt_u32 s6, s10
	v_writelane_b32 v52, s0, 23
	s_cselect_b32 s0, 12, 18
	s_add_u32 s0, s2, s0
	s_addc_u32 s1, s3, 0
	v_writelane_b32 v52, s0, 24
	s_add_i32 s2, s5, -2
	v_writelane_b32 v52, s1, 25
	s_lshr_b32 s0, s2, 1
	s_add_i32 s3, s0, 1
	s_cmpk_gt_u32 s9, 0x7f
	v_mov_b32_e32 v11, 0
	s_cselect_b64 s[0:1], -1, 0
	v_writelane_b32 v52, s0, 26
	v_mul_lo_u32 v12, v0, s11
	v_mov_b32_e32 v13, v11
	v_writelane_b32 v52, s1, 27
	v_lshlrev_b64 v[2:3], 1, v[12:13]
	v_cmp_gt_u32_e64 s[6:7], s60, v0
	v_mov_b32_e32 v17, s8
	v_add_co_u32_e32 v8, vcc, s33, v2
	v_writelane_b32 v52, s6, 28
	v_lshrrev_b32_e32 v2, 4, v0
	v_addc_co_u32_e32 v9, vcc, v17, v3, vcc
	v_writelane_b32 v52, s7, 29
	v_and_b32_e32 v18, 60, v2
	v_cmp_gt_u32_e64 s[6:7], 2, v0
	v_lshlrev_b64 v[2:3], v1, -1
	v_writelane_b32 v52, s6, 30
	v_not_b32_e32 v6, v2
	v_cvt_f32_u32_e32 v2, s73
	v_writelane_b32 v52, s7, 31
	s_and_b32 s6, s5, 0x3fe
	s_and_b32 s7, s3, 7
	s_cmp_gt_u32 s2, 13
	s_cselect_b64 s[12:13], -1, 0
	v_writelane_b32 v52, s12, 32
	v_rcp_iflag_f32_e32 v2, v2
	v_writelane_b32 v52, s13, 33
	s_and_b32 s2, s3, -8
	v_writelane_b32 v52, s2, 34
	s_cmp_lg_u32 s7, 0
	v_writelane_b32 v52, s7, 35
	s_cselect_b64 s[2:3], -1, 0
	v_writelane_b32 v52, s2, 36
	v_mul_f32_e32 v2, 0x4f7ffffe, v2
	v_writelane_b32 v52, s3, 37
	v_cvt_u32_f32_e32 v2, v2
	v_writelane_b32 v52, s5, 38
	s_cmp_lg_u32 s6, s5
	v_writelane_b32 v52, s6, 39
	s_cselect_b64 s[2:3], -1, 0
	v_writelane_b32 v52, s2, 40
	v_writelane_b32 v52, s3, 41
	s_sub_i32 s2, 0, s73
	v_readfirstlane_b32 s3, v2
	v_cvt_f32_u32_e32 v2, s9
	s_mul_i32 s2, s2, s3
	s_mul_hi_u32 s2, s3, s2
	s_add_i32 s2, s3, s2
	v_writelane_b32 v52, s2, 42
	s_mul_hi_u32 s2, s60, s2
	v_rcp_iflag_f32_e32 v5, v2
	s_mul_i32 s2, s2, s73
	s_sub_i32 s2, s60, s2
	s_sub_i32 s3, s2, s73
	s_cmp_ge_u32 s2, s73
	v_mul_f32_e32 v5, 0x4f7ffffe, v5
	s_cselect_b32 s2, s3, s2
	v_cvt_u32_f32_e32 v5, v5
	s_sub_i32 s3, s2, s73
	s_cmp_ge_u32 s2, s73
	s_cselect_b32 s2, s3, s2
	v_lshlrev_b32_e32 v16, 2, v0
	s_sub_i32 s7, s60, s2
	s_sub_i32 s3, 0, s9
	v_readfirstlane_b32 s5, v5
	v_cmp_gt_u32_e64 s[12:13], s7, v16
	s_mul_i32 s3, s3, s5
	v_writelane_b32 v52, s12, 43
	s_mul_hi_u32 s3, s5, s3
	v_writelane_b32 v52, s13, 44
	s_add_i32 s3, s5, s3
	v_writelane_b32 v52, s3, 45
	s_mul_hi_u32 s3, s4, s3
	s_mul_i32 s3, s3, s9
	s_sub_i32 s3, s4, s3
	s_sub_i32 s5, s3, s9
	v_add_u32_e32 v21, s7, v0
	s_cmp_ge_u32 s3, s9
	v_mul_lo_u32 v10, v21, s11
	s_cselect_b32 s3, s5, s3
	v_not_b32_e32 v7, v3
	v_lshlrev_b64 v[2:3], 1, v[10:11]
	s_sub_i32 s5, s3, s9
	v_add_co_u32_e32 v14, vcc, s33, v2
	s_cmp_ge_u32 s3, s9
	v_mul_lo_u32 v2, s11, v16
	s_cselect_b32 s3, s5, s3
	v_add_u32_e32 v22, s11, v2
	v_or_b32_e32 v2, 2, v16
	s_sub_i32 s74, s4, s3
	v_mul_lo_u32 v23, s11, v2
	v_or_b32_e32 v2, 3, v16
	s_add_i32 s3, s9, s60
	v_cmp_gt_u32_e64 s[4:5], s74, v0
	v_mul_lo_u32 v24, s11, v2
	v_add_u32_e32 v2, s3, v0
	v_lshlrev_b32_e32 v19, 1, v0
	v_lshlrev_b32_e32 v4, 2, v1
	v_mov_b32_e32 v10, s8
	v_writelane_b32 v52, s4, 46
	s_mul_i32 s72, s11, s9
	v_subrev_u32_e32 v2, s2, v2
	v_cmp_eq_u32_e64 s[0:1], 0, v1
	v_add_u32_e32 v20, 0xc00, v19
	v_and_b32_e32 v13, 0x100, v4
	v_cmp_gt_u32_e64 s[14:15], s60, v21
	v_addc_co_u32_e32 v15, vcc, v10, v3, vcc
	v_writelane_b32 v52, s5, 47
	s_lshl_b32 s75, s72, 2
	v_lshlrev_b32_e32 v25, 2, v12
	v_mul_lo_u32 v26, s11, v2
	v_lshlrev_b32_e32 v27, 3, v0
	s_lshl_b32 s4, s9, 3
	s_lshl_b32 s5, s9, 1
	v_or_b32_e32 v28, 0xc00, v4
	s_mov_b32 s13, 14
	s_mov_b64 s[86:87], 0
	v_mov_b32_e32 v34, s61
	s_mov_b32 s12, 0x8000
	v_mov_b32_e32 v29, 0xc00
	v_mov_b32_e32 v30, 0x5040100
	;; [unrolled: 1-line block ×3, first 2 shown]
	s_mov_b32 s6, 0
	v_mov_b32_e32 v32, 0
	v_mov_b32_e32 v31, 0
	v_writelane_b32 v52, s11, 48
                                        ; implicit-def: $sgpr88_sgpr89
                                        ; implicit-def: $sgpr90_sgpr91
                                        ; implicit-def: $sgpr92_sgpr93
                                        ; implicit-def: $sgpr94_sgpr95
                                        ; implicit-def: $sgpr64_sgpr65
                                        ; implicit-def: $sgpr66_sgpr67
                                        ; implicit-def: $sgpr2_sgpr3
                                        ; implicit-def: $sgpr80_sgpr81
                                        ; implicit-def: $sgpr82_sgpr83
                                        ; implicit-def: $sgpr84_sgpr85
	s_branch .LBB56_6
.LBB56_4:                               ;   in Loop: Header=BB56_6 Depth=1
	s_or_b64 exec, exec, s[22:23]
	s_andn2_b64 s[10:11], s[84:85], exec
	s_and_b64 s[20:21], s[20:21], exec
	s_or_b64 s[84:85], s[10:11], s[20:21]
	s_andn2_b64 s[82:83], s[82:83], exec
	s_andn2_b64 s[80:81], s[80:81], exec
	;; [unrolled: 1-line block ×4, first 2 shown]
	s_orn2_b64 s[18:19], s[18:19], exec
	v_mov_b32_e32 v31, v3
	v_mov_b32_e32 v32, v2
	v_mov_b32_e32 v34, v4
	v_mov_b32_e32 v33, v35
.LBB56_5:                               ;   in Loop: Header=BB56_6 Depth=1
	s_or_b64 exec, exec, s[16:17]
	s_and_b64 s[10:11], exec, s[18:19]
	s_or_b64 s[86:87], s[10:11], s[86:87]
	s_andn2_b64 s[10:11], s[64:65], exec
	s_and_b64 s[16:17], s[84:85], exec
	s_or_b64 s[64:65], s[10:11], s[16:17]
	s_andn2_b64 s[10:11], s[94:95], exec
	s_and_b64 s[16:17], s[82:83], exec
	s_or_b64 s[94:95], s[10:11], s[16:17]
	s_andn2_b64 s[10:11], s[92:93], exec
	s_and_b64 s[16:17], s[80:81], exec
	s_or_b64 s[92:93], s[10:11], s[16:17]
	s_andn2_b64 s[10:11], s[90:91], exec
	s_and_b64 s[16:17], s[2:3], exec
	s_or_b64 s[90:91], s[10:11], s[16:17]
	s_andn2_b64 s[10:11], s[88:89], exec
	s_and_b64 s[16:17], s[66:67], exec
	s_or_b64 s[88:89], s[10:11], s[16:17]
	s_andn2_b64 exec, exec, s[86:87]
	s_cbranch_execz .LBB56_407
.LBB56_6:                               ; =>This Loop Header: Depth=1
                                        ;     Child Loop BB56_11 Depth 2
                                        ;     Child Loop BB56_29 Depth 2
	;; [unrolled: 1-line block ×25, first 2 shown]
	ds_read_b64 v[2:3], v11 offset:4096
	s_waitcnt lgkmcnt(0)
	v_readfirstlane_b32 s10, v2
	s_cmp_lg_u32 s10, 0
	s_cbranch_scc1 .LBB56_36
; %bb.7:                                ;   in Loop: Header=BB56_6 Depth=1
	v_readlane_b32 s10, v52, 19
	v_readlane_b32 s11, v52, 20
	s_and_b64 vcc, exec, s[10:11]
	s_cbranch_vccz .LBB56_19
; %bb.8:                                ;   in Loop: Header=BB56_6 Depth=1
	s_movk_i32 s10, 0x601
	v_cmp_gt_u32_e32 vcc, s10, v3
	s_mov_b64 s[16:17], 0
	s_mov_b64 s[18:19], 0
	s_cbranch_vccz .LBB56_20
; %bb.9:                                ;   in Loop: Header=BB56_6 Depth=1
	v_readlane_b32 s10, v52, 24
	v_readlane_b32 s11, v52, 25
	s_nop 4
	global_load_ushort v2, v11, s[10:11]
	global_load_ushort v3, v[8:9], off
	v_readlane_b32 s10, v52, 48
	s_mov_b64 s[22:23], 0
	s_waitcnt vmcnt(1)
	v_add_u32_e32 v5, v0, v2
	v_mul_lo_u32 v4, s10, v2
	v_mul_lo_u32 v10, s10, v5
	v_mov_b32_e32 v5, v0
	s_branch .LBB56_11
.LBB56_10:                              ;   in Loop: Header=BB56_11 Depth=2
	s_or_b64 exec, exec, s[20:21]
	v_add_u32_e32 v10, v10, v4
	v_mov_b32_e32 v3, v35
	s_andn2_b64 exec, exec, s[22:23]
	s_cbranch_execz .LBB56_21
.LBB56_11:                              ;   Parent Loop BB56_6 Depth=1
                                        ; =>  This Inner Loop Header: Depth=2
	v_add_u32_e32 v5, v5, v2
	v_cmp_gt_u32_e64 s[18:19], s60, v5
	v_cmp_le_u32_e32 vcc, s60, v5
	s_waitcnt lgkmcnt(0)
	v_mov_b32_e32 v36, 0
	v_mov_b32_e32 v35, 0
	s_and_saveexec_b64 s[20:21], s[18:19]
	s_cbranch_execz .LBB56_13
; %bb.12:                               ;   in Loop: Header=BB56_11 Depth=2
	v_lshlrev_b64 v[38:39], 1, v[10:11]
	v_add_co_u32_e64 v38, s[18:19], s33, v38
	v_addc_co_u32_e64 v39, s[18:19], v17, v39, s[18:19]
	global_load_ushort v35, v[38:39], off
.LBB56_13:                              ;   in Loop: Header=BB56_11 Depth=2
	s_or_b64 exec, exec, s[20:21]
	s_waitcnt vmcnt(0)
	v_add_u32_sdwa v37, sext(v3), s12 dst_sel:DWORD dst_unused:UNUSED_PAD src0_sel:WORD_0 src1_sel:DWORD
	v_and_b32_e32 v37, v37, v31
	v_cmp_eq_u32_e64 s[18:19], v37, v32
	s_cmp_lg_u64 s[18:19], 0
	s_cselect_b64 s[10:11], -1, 0
	s_and_b64 s[10:11], s[0:1], s[10:11]
	s_and_saveexec_b64 s[24:25], s[10:11]
	s_cbranch_execz .LBB56_17
; %bb.14:                               ;   in Loop: Header=BB56_11 Depth=2
	s_mov_b64 s[28:29], exec
	v_mbcnt_lo_u32_b32 v36, s28, 0
	v_mbcnt_hi_u32_b32 v36, s29, v36
	s_bcnt1_i32_b64 s10, s[18:19]
	v_cmp_eq_u32_e64 s[20:21], 0, v36
                                        ; implicit-def: $vgpr37
	s_and_saveexec_b64 s[26:27], s[20:21]
	s_cbranch_execz .LBB56_16
; %bb.15:                               ;   in Loop: Header=BB56_11 Depth=2
	s_bcnt1_i32_b64 s11, s[28:29]
	s_mul_i32 s11, s10, s11
	v_mov_b32_e32 v37, s11
	ds_add_rtn_u32 v37, v11, v37 offset:4104
.LBB56_16:                              ;   in Loop: Header=BB56_11 Depth=2
	s_or_b64 exec, exec, s[26:27]
	s_waitcnt lgkmcnt(0)
	v_readfirstlane_b32 s11, v37
	v_mov_b32_e32 v37, s11
	v_mad_u32_u24 v36, s10, v36, v37
.LBB56_17:                              ;   in Loop: Header=BB56_11 Depth=2
	s_or_b64 exec, exec, s[24:25]
	ds_bpermute_b32 v36, v13, v36
	s_and_b64 s[10:11], exec, vcc
	s_or_b64 s[22:23], s[10:11], s[22:23]
	s_and_saveexec_b64 s[20:21], s[18:19]
	s_cbranch_execz .LBB56_10
; %bb.18:                               ;   in Loop: Header=BB56_11 Depth=2
	v_and_b32_e32 v38, s18, v6
	v_and_b32_e32 v37, s19, v7
	v_bcnt_u32_b32 v38, v38, 0
	v_bcnt_u32_b32 v37, v37, v38
	v_lshlrev_b32_e32 v37, 1, v37
	s_waitcnt lgkmcnt(0)
	v_lshl_add_u32 v36, v36, 1, v37
	ds_write_b16 v36, v3
	s_branch .LBB56_10
.LBB56_19:                              ;   in Loop: Header=BB56_6 Depth=1
	s_mov_b64 s[18:19], 0
                                        ; implicit-def: $sgpr10
	s_cbranch_execnz .LBB56_24
	s_branch .LBB56_34
.LBB56_20:                              ;   in Loop: Header=BB56_6 Depth=1
	s_mov_b32 s10, 0
	s_and_b64 vcc, exec, s[16:17]
	s_cbranch_vccnz .LBB56_24
	s_branch .LBB56_34
.LBB56_21:                              ;   in Loop: Header=BB56_6 Depth=1
	s_or_b64 exec, exec, s[22:23]
	s_waitcnt lgkmcnt(0)
	s_barrier
	s_mov_b64 s[18:19], exec
	v_readlane_b32 s10, v52, 4
	v_readlane_b32 s11, v52, 5
	s_and_b64 s[10:11], s[18:19], s[10:11]
	s_mov_b64 exec, s[10:11]
	s_cbranch_execz .LBB56_23
; %bb.22:                               ;   in Loop: Header=BB56_6 Depth=1
	ds_read_b32 v2, v11 offset:4104
	s_waitcnt lgkmcnt(0)
	ds_write_b32 v11, v2 offset:4096
.LBB56_23:                              ;   in Loop: Header=BB56_6 Depth=1
	s_or_b64 exec, exec, s[18:19]
	s_waitcnt lgkmcnt(0)
	s_barrier
	s_mov_b64 s[18:19], -1
	s_mov_b32 s10, 0
	s_and_b64 vcc, exec, s[16:17]
	s_cbranch_vccz .LBB56_34
.LBB56_24:                              ;   in Loop: Header=BB56_6 Depth=1
	v_mov_b32_e32 v2, 0
	s_mov_b64 s[16:17], exec
	v_readlane_b32 s10, v52, 28
	v_readlane_b32 s11, v52, 29
	s_and_b64 s[10:11], s[16:17], s[10:11]
	s_mov_b64 exec, s[10:11]
	s_cbranch_execz .LBB56_26
; %bb.25:                               ;   in Loop: Header=BB56_6 Depth=1
	global_load_ushort v2, v[8:9], off
.LBB56_26:                              ;   in Loop: Header=BB56_6 Depth=1
	s_or_b64 exec, exec, s[16:17]
	s_mov_b64 s[16:17], exec
	v_readlane_b32 s10, v52, 28
	v_readlane_b32 s11, v52, 29
	s_and_b64 s[10:11], s[16:17], s[10:11]
	s_mov_b64 exec, s[10:11]
	s_cbranch_execz .LBB56_31
; %bb.27:                               ;   in Loop: Header=BB56_6 Depth=1
	v_readlane_b32 s10, v52, 24
	v_readlane_b32 s11, v52, 25
	s_mov_b64 s[20:21], 0
	v_mov_b32_e32 v4, v19
	v_mov_b32_e32 v36, v0
	s_nop 1
	global_load_ushort v3, v11, s[10:11]
	v_readlane_b32 s10, v52, 48
	s_waitcnt vmcnt(0)
	v_add_u32_e32 v10, v0, v3
	v_lshlrev_b32_e32 v5, 1, v3
	v_mul_lo_u32 v35, s10, v3
	v_mul_lo_u32 v10, s10, v10
	s_branch .LBB56_29
.LBB56_28:                              ;   in Loop: Header=BB56_29 Depth=2
	s_or_b64 exec, exec, s[22:23]
	s_and_b64 s[10:11], exec, vcc
	s_or_b64 s[20:21], s[10:11], s[20:21]
	ds_write_b16 v4, v2
	v_add_u32_e32 v4, v4, v5
	v_add_u32_e32 v10, v10, v35
	s_waitcnt vmcnt(0)
	v_mov_b32_e32 v2, v37
	s_andn2_b64 exec, exec, s[20:21]
	s_cbranch_execz .LBB56_31
.LBB56_29:                              ;   Parent Loop BB56_6 Depth=1
                                        ; =>  This Inner Loop Header: Depth=2
	v_add_u32_e32 v36, v36, v3
	v_cmp_gt_u32_e64 s[18:19], s60, v36
	v_cmp_le_u32_e32 vcc, s60, v36
	v_mov_b32_e32 v37, 0
	s_and_saveexec_b64 s[22:23], s[18:19]
	s_cbranch_execz .LBB56_28
; %bb.30:                               ;   in Loop: Header=BB56_29 Depth=2
	v_lshlrev_b64 v[38:39], 1, v[10:11]
	v_mov_b32_e32 v37, s8
	v_add_co_u32_e64 v38, s[18:19], s33, v38
	v_addc_co_u32_e64 v39, s[18:19], v37, v39, s[18:19]
	global_load_ushort v37, v[38:39], off
	s_branch .LBB56_28
.LBB56_31:                              ;   in Loop: Header=BB56_6 Depth=1
	s_or_b64 exec, exec, s[16:17]
	s_waitcnt lgkmcnt(0)
	s_barrier
	s_mov_b64 s[16:17], exec
	v_readlane_b32 s10, v52, 4
	v_readlane_b32 s11, v52, 5
	s_and_b64 s[10:11], s[16:17], s[10:11]
	s_mov_b64 exec, s[10:11]
	s_cbranch_execz .LBB56_33
; %bb.32:                               ;   in Loop: Header=BB56_6 Depth=1
	s_waitcnt vmcnt(0)
	v_mov_b32_e32 v2, s60
	ds_write_b32 v11, v2 offset:4096
.LBB56_33:                              ;   in Loop: Header=BB56_6 Depth=1
	s_or_b64 exec, exec, s[16:17]
	s_mov_b64 s[18:19], -1
	s_waitcnt lgkmcnt(0)
	s_barrier
                                        ; implicit-def: $sgpr10
.LBB56_34:                              ;   in Loop: Header=BB56_6 Depth=1
	s_and_b64 vcc, exec, s[18:19]
	s_cbranch_vccz .LBB56_36
; %bb.35:                               ;   in Loop: Header=BB56_6 Depth=1
	s_waitcnt vmcnt(0)
	ds_read_b32 v2, v11 offset:4096
	s_waitcnt lgkmcnt(0)
	v_readfirstlane_b32 s10, v2
.LBB56_36:                              ;   in Loop: Header=BB56_6 Depth=1
	s_cmp_lt_i32 s10, 1
	s_cbranch_scc0 .LBB56_48
; %bb.37:                               ;   in Loop: Header=BB56_6 Depth=1
	s_waitcnt vmcnt(0)
	v_mov_b32_e32 v2, 0
	s_mov_b32 s11, 0
	v_mov_b32_e32 v3, 0
	v_mov_b32_e32 v4, v2
	;; [unrolled: 1-line block ×3, first 2 shown]
	s_mov_b64 s[48:49], exec
	v_readlane_b32 s16, v52, 43
	v_readlane_b32 s17, v52, 44
	s_and_b64 s[16:17], s[48:49], s[16:17]
	s_mov_b64 exec, s[16:17]
	s_cbranch_execz .LBB56_41
; %bb.38:                               ;   in Loop: Header=BB56_6 Depth=1
	s_and_b32 s16, s13, 0xfe
	s_mov_b64 s[50:51], 0
	s_mov_b32 s17, 0
	s_mov_b32 s52, 0
	s_mov_b32 s53, 0
	s_mov_b32 s54, 0
	v_mov_b32_e32 v35, v16
.LBB56_39:                              ;   Parent Loop BB56_6 Depth=1
                                        ; =>  This Inner Loop Header: Depth=2
	v_add_u32_e32 v10, s11, v25
	v_lshlrev_b64 v[2:3], 1, v[10:11]
	v_mov_b32_e32 v38, s8
	v_add_u32_e32 v10, s11, v22
	v_add_co_u32_e64 v2, s[18:19], s33, v2
	v_lshlrev_b64 v[4:5], 1, v[10:11]
	v_addc_co_u32_e64 v3, s[18:19], v38, v3, s[18:19]
	v_add_u32_e32 v10, s11, v23
	v_add_co_u32_e64 v4, s[18:19], s33, v4
	v_lshlrev_b64 v[36:37], 1, v[10:11]
	v_add_u32_e32 v10, s11, v24
	v_addc_co_u32_e64 v5, s[18:19], v38, v5, s[18:19]
	global_load_sshort v39, v[2:3], off
	v_lshlrev_b64 v[2:3], 1, v[10:11]
	global_load_sshort v10, v[4:5], off
	v_add_co_u32_e64 v4, s[18:19], s33, v36
	v_addc_co_u32_e64 v5, s[18:19], v38, v37, s[18:19]
	v_add_co_u32_e64 v2, s[18:19], s33, v2
	global_load_sshort v4, v[4:5], off
	v_addc_co_u32_e64 v3, s[18:19], v38, v3, s[18:19]
	global_load_sshort v2, v[2:3], off
	v_add_u32_e32 v35, s73, v35
	v_cmp_le_u32_e32 vcc, s7, v35
	s_add_i32 s11, s11, s75
	s_waitcnt vmcnt(3)
	v_add_u32_e32 v3, 0x8000, v39
	s_waitcnt vmcnt(2)
	v_add_u32_e32 v5, 0x8000, v10
	v_and_b32_e32 v10, v3, v31
	v_bfe_u32 v3, v3, s16, 2
	v_cmp_eq_u32_e64 s[18:19], v10, v32
	v_cmp_eq_u32_e64 s[20:21], 0, v3
	v_and_b32_e32 v10, v5, v31
	v_bfe_u32 v5, v5, s16, 2
	v_cmp_eq_u32_e64 s[22:23], 1, v3
	s_and_b64 s[20:21], s[18:19], s[20:21]
	s_waitcnt vmcnt(1)
	v_add_u32_e32 v4, 0x8000, v4
	v_cmp_eq_u32_e64 s[24:25], 2, v3
	v_cmp_eq_u32_e64 s[26:27], 3, v3
	;; [unrolled: 1-line block ×6, first 2 shown]
	v_cndmask_b32_e64 v5, 0, 1, s[20:21]
	s_and_b64 s[20:21], s[18:19], s[22:23]
	s_waitcnt vmcnt(0)
	v_add_u32_e32 v2, 0x8000, v2
	v_cmp_eq_u32_e64 s[28:29], v10, v32
	v_and_b32_e32 v3, v4, v31
	v_bfe_u32 v4, v4, s16, 2
	v_cndmask_b32_e64 v10, 0, 1, s[20:21]
	s_and_b64 s[20:21], s[18:19], s[24:25]
	s_and_b64 s[18:19], s[18:19], s[26:27]
	v_cndmask_b32_e64 v36, 0, 1, s[20:21]
	v_cndmask_b32_e64 v37, 0, 1, s[18:19]
	v_cmp_eq_u32_e64 s[18:19], v3, v32
	v_and_b32_e32 v3, v2, v31
	v_bfe_u32 v2, v2, s16, 2
	v_cmp_eq_u32_e64 s[20:21], 0, v4
	s_and_b64 s[30:31], s[28:29], s[30:31]
	s_and_b64 s[34:35], s[28:29], s[34:35]
	;; [unrolled: 1-line block ×4, first 2 shown]
	v_cmp_eq_u32_e64 s[22:23], 1, v4
	v_cmp_eq_u32_e64 s[24:25], 2, v4
	v_cmp_eq_u32_e64 s[26:27], 3, v4
	v_cmp_ne_u32_e64 s[40:41], 0, v5
	v_cndmask_b32_e64 v5, 0, 1, s[34:35]
	v_cmp_ne_u32_e64 s[34:35], 0, v36
	v_cndmask_b32_e64 v36, 0, 1, s[28:29]
	v_cmp_eq_u32_e64 s[28:29], v3, v32
	v_cmp_eq_u32_e64 s[38:39], 0, v2
	s_and_b64 s[20:21], s[18:19], s[20:21]
	v_cmp_eq_u32_e64 s[42:43], 1, v2
	v_cmp_eq_u32_e64 s[44:45], 2, v2
	v_cmp_eq_u32_e64 s[46:47], 3, v2
	v_cndmask_b32_e64 v2, 0, 1, s[20:21]
	s_and_b64 s[22:23], s[18:19], s[22:23]
	s_and_b64 s[24:25], s[18:19], s[24:25]
	;; [unrolled: 1-line block ×4, first 2 shown]
	v_cndmask_b32_e64 v4, 0, 1, s[30:31]
	v_cmp_ne_u32_e64 s[30:31], 0, v10
	v_cndmask_b32_e64 v10, 0, 1, s[36:37]
	v_cmp_ne_u32_e64 s[36:37], 0, v37
	v_cmp_ne_u32_e64 s[20:21], 0, v5
	v_cndmask_b32_e64 v3, 0, 1, s[22:23]
	v_cndmask_b32_e64 v5, 0, 1, s[18:19]
	v_cmp_ne_u32_e64 s[18:19], 0, v2
	v_cndmask_b32_e64 v2, 0, 1, s[26:27]
	s_and_b64 s[26:27], s[28:29], s[42:43]
	s_bcnt1_i32_b64 s55, s[40:41]
	v_cmp_ne_u32_e64 s[40:41], 0, v4
	s_bcnt1_i32_b64 s30, s[30:31]
	s_bcnt1_i32_b64 s31, s[34:35]
	v_cmp_ne_u32_e64 s[22:23], 0, v10
	v_cndmask_b32_e64 v4, 0, 1, s[24:25]
	s_bcnt1_i32_b64 s34, s[36:37]
	s_bcnt1_i32_b64 s37, s[20:21]
	v_cmp_ne_u32_e64 s[20:21], 0, v3
	v_cndmask_b32_e64 v3, 0, 1, s[26:27]
	s_and_b64 s[26:27], s[28:29], s[44:45]
	v_cmp_ne_u32_e64 s[24:25], 0, v36
	s_bcnt1_i32_b64 s38, s[22:23]
	v_cmp_ne_u32_e64 s[22:23], 0, v4
	v_cndmask_b32_e64 v4, 0, 1, s[26:27]
	s_and_b64 s[26:27], s[28:29], s[46:47]
	s_bcnt1_i32_b64 s35, s[40:41]
	s_add_i32 s36, s54, s55
	s_add_i32 s30, s53, s30
	;; [unrolled: 1-line block ×3, first 2 shown]
	s_bcnt1_i32_b64 s39, s[24:25]
	v_cmp_ne_u32_e64 s[24:25], 0, v5
	v_cndmask_b32_e64 v5, 0, 1, s[26:27]
	s_add_i32 s17, s17, s34
	s_bcnt1_i32_b64 s26, s[18:19]
	v_cmp_ne_u32_e64 s[18:19], 0, v2
	s_add_i32 s27, s36, s35
	s_bcnt1_i32_b64 s28, s[20:21]
	v_cmp_ne_u32_e64 s[20:21], 0, v3
	;; [unrolled: 3-line block ×4, first 2 shown]
	s_add_i32 s17, s17, s39
	s_bcnt1_i32_b64 s18, s[18:19]
	s_add_i32 s19, s27, s26
	s_bcnt1_i32_b64 s20, s[20:21]
	;; [unrolled: 2-line block ×4, first 2 shown]
	s_add_i32 s17, s17, s34
	s_add_i32 s54, s19, s18
	;; [unrolled: 1-line block ×5, first 2 shown]
	s_or_b64 s[50:51], vcc, s[50:51]
	v_mov_b32_e32 v2, s54
	v_mov_b32_e32 v3, s53
	v_mov_b32_e32 v4, s52
	v_mov_b32_e32 v5, s17
	s_andn2_b64 exec, exec, s[50:51]
	s_cbranch_execnz .LBB56_39
; %bb.40:                               ;   in Loop: Header=BB56_6 Depth=1
	s_or_b64 exec, exec, s[50:51]
.LBB56_41:                              ;   in Loop: Header=BB56_6 Depth=1
	s_or_b64 exec, exec, s[48:49]
	v_mov_b32_e32 v35, 0
	s_and_saveexec_b64 s[16:17], s[14:15]
	s_cbranch_execz .LBB56_43
; %bb.42:                               ;   in Loop: Header=BB56_6 Depth=1
	global_load_ushort v35, v[14:15], off
.LBB56_43:                              ;   in Loop: Header=BB56_6 Depth=1
	s_or_b64 exec, exec, s[16:17]
	s_mov_b64 s[16:17], 0
	s_mov_b64 s[76:77], 0
	s_and_saveexec_b64 s[20:21], s[14:15]
	s_cbranch_execz .LBB56_50
; %bb.44:                               ;   in Loop: Header=BB56_6 Depth=1
	s_and_b32 s11, s13, 0xfe
	s_mov_b64 s[22:23], 0
	v_mov_b32_e32 v10, v26
	v_mov_b32_e32 v36, v21
	s_branch .LBB56_46
.LBB56_45:                              ;   in Loop: Header=BB56_46 Depth=2
	s_or_b64 exec, exec, s[24:25]
	s_waitcnt vmcnt(0)
	v_add_u32_sdwa v35, sext(v35), s12 dst_sel:DWORD dst_unused:UNUSED_PAD src0_sel:WORD_0 src1_sel:DWORD
	s_and_b64 s[18:19], exec, vcc
	v_and_b32_e32 v38, v35, v31
	v_bfe_u32 v35, v35, s11, 2
	s_or_b64 s[22:23], s[18:19], s[22:23]
	v_cmp_eq_u32_e32 vcc, v38, v32
	v_cmp_eq_u32_e64 s[18:19], 0, v35
	s_and_b64 s[18:19], vcc, s[18:19]
	v_cndmask_b32_e64 v38, 0, 1, s[18:19]
	v_cmp_ne_u32_e64 s[18:19], 0, v38
	s_bcnt1_i32_b64 s18, s[18:19]
	v_add_u32_e32 v2, s18, v2
	v_cmp_eq_u32_e64 s[18:19], 1, v35
	s_and_b64 s[18:19], vcc, s[18:19]
	v_cndmask_b32_e64 v38, 0, 1, s[18:19]
	v_cmp_ne_u32_e64 s[18:19], 0, v38
	s_bcnt1_i32_b64 s18, s[18:19]
	v_add_u32_e32 v3, s18, v3
	;; [unrolled: 6-line block ×3, first 2 shown]
	v_cmp_eq_u32_e64 s[18:19], 3, v35
	s_and_b64 s[18:19], vcc, s[18:19]
	v_cndmask_b32_e64 v35, 0, 1, s[18:19]
	v_cmp_ne_u32_e32 vcc, 0, v35
	s_bcnt1_i32_b64 s18, vcc
	v_add_u32_e32 v5, s18, v5
	v_add_u32_e32 v10, s72, v10
	v_mov_b32_e32 v35, v37
	s_andn2_b64 exec, exec, s[22:23]
	s_cbranch_execz .LBB56_49
.LBB56_46:                              ;   Parent Loop BB56_6 Depth=1
                                        ; =>  This Inner Loop Header: Depth=2
	v_add_u32_e32 v36, s9, v36
	v_cmp_gt_u32_e64 s[18:19], s60, v36
	v_cmp_le_u32_e32 vcc, s60, v36
	v_mov_b32_e32 v37, 0
	s_and_saveexec_b64 s[24:25], s[18:19]
	s_cbranch_execz .LBB56_45
; %bb.47:                               ;   in Loop: Header=BB56_46 Depth=2
	v_lshlrev_b64 v[38:39], 1, v[10:11]
	v_mov_b32_e32 v37, s8
	v_add_co_u32_e64 v38, s[18:19], s33, v38
	v_addc_co_u32_e64 v39, s[18:19], v37, v39, s[18:19]
	global_load_ushort v37, v[38:39], off
	s_branch .LBB56_45
.LBB56_48:                              ;   in Loop: Header=BB56_6 Depth=1
	s_mov_b64 s[76:77], 0
                                        ; implicit-def: $vgpr5
	s_cbranch_execnz .LBB56_51
	s_branch .LBB56_60
.LBB56_49:                              ;   in Loop: Header=BB56_6 Depth=1
	s_or_b64 exec, exec, s[22:23]
	s_mov_b64 s[76:77], exec
.LBB56_50:                              ;   in Loop: Header=BB56_6 Depth=1
	s_or_b64 exec, exec, s[20:21]
	s_and_b64 vcc, exec, s[16:17]
	s_cbranch_vccz .LBB56_60
.LBB56_51:                              ;   in Loop: Header=BB56_6 Depth=1
	v_readlane_b32 s11, v52, 42
	s_mul_hi_u32 s11, s10, s11
	s_mul_i32 s11, s11, s73
	s_sub_i32 s11, s10, s11
	s_sub_i32 s16, s11, s73
	s_cmp_ge_u32 s11, s73
	s_cselect_b32 s11, s16, s11
	s_sub_i32 s16, s11, s73
	s_cmp_ge_u32 s11, s73
	s_cselect_b32 s11, s16, s11
	s_sub_i32 s11, s10, s11
	v_cmp_gt_u32_e32 vcc, s11, v16
	s_mov_b32 s63, 0
	s_waitcnt vmcnt(0)
	v_mov_b32_e32 v2, 0
	v_mov_b32_e32 v3, 0
	;; [unrolled: 1-line block ×4, first 2 shown]
	s_and_saveexec_b64 s[78:79], vcc
	s_cbranch_execz .LBB56_55
; %bb.52:                               ;   in Loop: Header=BB56_6 Depth=1
	s_and_b32 s62, s13, 0xfe
	s_mov_b64 s[16:17], 0
	v_mov_b32_e32 v10, v27
	s_mov_b32 s68, 0
	s_mov_b32 s69, 0
	;; [unrolled: 1-line block ×3, first 2 shown]
	v_mov_b32_e32 v35, v16
.LBB56_53:                              ;   Parent Loop BB56_6 Depth=1
                                        ; =>  This Inner Loop Header: Depth=2
	ds_read_b64 v[2:3], v10
	v_add_u32_e32 v35, s73, v35
	v_cmp_le_u32_e32 vcc, s11, v35
	v_add_u32_e32 v10, s4, v10
	s_waitcnt lgkmcnt(0)
	v_add_u32_sdwa v4, sext(v2), s12 dst_sel:DWORD dst_unused:UNUSED_PAD src0_sel:WORD_0 src1_sel:DWORD
	v_add_u32_sdwa v2, sext(v2), s12 dst_sel:DWORD dst_unused:UNUSED_PAD src0_sel:WORD_1 src1_sel:DWORD
	v_and_b32_e32 v36, v4, v31
	v_bfe_u32 v4, v4, s62, 2
	v_add_u32_sdwa v5, sext(v3), s12 dst_sel:DWORD dst_unused:UNUSED_PAD src0_sel:WORD_0 src1_sel:DWORD
	v_and_b32_e32 v37, v2, v31
	v_bfe_u32 v2, v2, s62, 2
	v_cmp_eq_u32_e64 s[18:19], v36, v32
	v_cmp_eq_u32_e64 s[26:27], 0, v4
	v_add_u32_sdwa v3, sext(v3), s12 dst_sel:DWORD dst_unused:UNUSED_PAD src0_sel:WORD_1 src1_sel:DWORD
	v_and_b32_e32 v38, v5, v31
	v_bfe_u32 v5, v5, s62, 2
	v_cmp_eq_u32_e64 s[20:21], v37, v32
	v_cmp_eq_u32_e64 s[28:29], 0, v2
	s_and_b64 s[26:27], s[18:19], s[26:27]
	v_and_b32_e32 v39, v3, v31
	v_bfe_u32 v3, v3, s62, 2
	v_cmp_eq_u32_e64 s[22:23], v38, v32
	v_cmp_eq_u32_e64 s[30:31], 0, v5
	;; [unrolled: 1-line block ×5, first 2 shown]
	v_cndmask_b32_e64 v2, 0, 1, s[26:27]
	s_and_b64 s[26:27], s[20:21], s[28:29]
	v_cmp_eq_u32_e64 s[24:25], v39, v32
	v_cmp_eq_u32_e64 s[34:35], 0, v3
	;; [unrolled: 1-line block ×5, first 2 shown]
	v_cndmask_b32_e64 v3, 0, 1, s[26:27]
	s_and_b64 s[26:27], s[22:23], s[30:31]
	v_cmp_eq_u32_e64 s[36:37], 1, v4
	v_cmp_eq_u32_e64 s[44:45], 2, v4
	;; [unrolled: 1-line block ×3, first 2 shown]
	v_cndmask_b32_e64 v4, 0, 1, s[26:27]
	s_and_b64 s[26:27], s[24:25], s[34:35]
	v_cmp_eq_u32_e64 s[40:41], 1, v5
	v_cmp_eq_u32_e64 s[48:49], 2, v5
	;; [unrolled: 1-line block ×3, first 2 shown]
	v_cndmask_b32_e64 v5, 0, 1, s[26:27]
	s_and_b64 s[26:27], s[18:19], s[36:37]
	v_cndmask_b32_e64 v36, 0, 1, s[26:27]
	s_and_b64 s[26:27], s[20:21], s[38:39]
	;; [unrolled: 2-line block ×5, first 2 shown]
	s_and_b64 s[18:19], s[18:19], s[52:53]
	v_cndmask_b32_e64 v40, 0, 1, s[26:27]
	s_and_b64 s[26:27], s[20:21], s[46:47]
	v_cndmask_b32_e64 v44, 0, 1, s[18:19]
	s_and_b64 s[18:19], s[20:21], s[54:55]
	v_cndmask_b32_e64 v41, 0, 1, s[26:27]
	s_and_b64 s[26:27], s[22:23], s[48:49]
	v_cndmask_b32_e64 v45, 0, 1, s[18:19]
	s_and_b64 s[18:19], s[22:23], s[56:57]
	v_cndmask_b32_e64 v42, 0, 1, s[26:27]
	s_and_b64 s[26:27], s[24:25], s[50:51]
	v_cndmask_b32_e64 v46, 0, 1, s[18:19]
	s_and_b64 s[18:19], s[24:25], s[58:59]
	v_cndmask_b32_e64 v43, 0, 1, s[26:27]
	v_cndmask_b32_e64 v47, 0, 1, s[18:19]
	v_cmp_ne_u32_e64 s[18:19], 0, v2
	v_cmp_ne_u32_e64 s[20:21], 0, v3
	;; [unrolled: 1-line block ×11, first 2 shown]
	s_bcnt1_i32_b64 s18, s[18:19]
	s_bcnt1_i32_b64 s19, s[20:21]
	;; [unrolled: 1-line block ×8, first 2 shown]
	v_cmp_ne_u32_e64 s[34:35], 0, v39
	v_cmp_ne_u32_e64 s[40:41], 0, v42
	;; [unrolled: 1-line block ×3, first 2 shown]
	s_bcnt1_i32_b64 s23, s[28:29]
	s_bcnt1_i32_b64 s27, s[38:39]
	;; [unrolled: 1-line block ×3, first 2 shown]
	s_add_i32 s18, s70, s18
	s_add_i32 s22, s69, s22
	;; [unrolled: 1-line block ×4, first 2 shown]
	v_cmp_ne_u32_e64 s[42:43], 0, v43
	v_cmp_ne_u32_e64 s[50:51], 0, v47
	s_bcnt1_i32_b64 s25, s[34:35]
	s_bcnt1_i32_b64 s28, s[40:41]
	;; [unrolled: 1-line block ×3, first 2 shown]
	s_add_i32 s18, s18, s19
	s_add_i32 s19, s22, s23
	;; [unrolled: 1-line block ×4, first 2 shown]
	s_bcnt1_i32_b64 s29, s[42:43]
	s_bcnt1_i32_b64 s35, s[50:51]
	s_add_i32 s18, s18, s20
	s_add_i32 s19, s19, s24
	;; [unrolled: 1-line block ×8, first 2 shown]
	s_or_b64 s[16:17], vcc, s[16:17]
	v_mov_b32_e32 v2, s70
	v_mov_b32_e32 v3, s69
	;; [unrolled: 1-line block ×4, first 2 shown]
	s_andn2_b64 exec, exec, s[16:17]
	s_cbranch_execnz .LBB56_53
; %bb.54:                               ;   in Loop: Header=BB56_6 Depth=1
	s_or_b64 exec, exec, s[16:17]
.LBB56_55:                              ;   in Loop: Header=BB56_6 Depth=1
	s_or_b64 exec, exec, s[78:79]
	v_add_u32_e32 v10, s11, v0
	v_cmp_gt_u32_e32 vcc, s10, v10
	s_and_saveexec_b64 s[16:17], vcc
	s_cbranch_execz .LBB56_59
; %bb.56:                               ;   in Loop: Header=BB56_6 Depth=1
	s_and_b32 s11, s13, 0xfe
	v_lshlrev_b32_e32 v35, 1, v10
	s_mov_b64 s[28:29], 0
.LBB56_57:                              ;   Parent Loop BB56_6 Depth=1
                                        ; =>  This Inner Loop Header: Depth=2
	ds_read_i16 v36, v35
	v_add_u32_e32 v10, s9, v10
	v_cmp_le_u32_e32 vcc, s10, v10
	v_add_u32_e32 v35, s5, v35
	s_waitcnt lgkmcnt(0)
	v_add_u32_e32 v36, 0x8000, v36
	v_and_b32_e32 v37, v36, v31
	v_bfe_u32 v36, v36, s11, 2
	v_cmp_eq_u32_e64 s[18:19], v37, v32
	v_cmp_eq_u32_e64 s[20:21], 0, v36
	v_cmp_eq_u32_e64 s[22:23], 1, v36
	s_and_b64 s[20:21], s[18:19], s[20:21]
	v_cmp_eq_u32_e64 s[24:25], 2, v36
	v_cmp_eq_u32_e64 s[26:27], 3, v36
	v_cndmask_b32_e64 v36, 0, 1, s[20:21]
	s_and_b64 s[20:21], s[18:19], s[22:23]
	v_cndmask_b32_e64 v37, 0, 1, s[20:21]
	s_and_b64 s[20:21], s[18:19], s[24:25]
	s_and_b64 s[18:19], s[18:19], s[26:27]
	v_cndmask_b32_e64 v38, 0, 1, s[20:21]
	v_cndmask_b32_e64 v39, 0, 1, s[18:19]
	v_cmp_ne_u32_e64 s[18:19], 0, v36
	v_cmp_ne_u32_e64 s[20:21], 0, v37
	;; [unrolled: 1-line block ×4, first 2 shown]
	s_bcnt1_i32_b64 s18, s[18:19]
	s_bcnt1_i32_b64 s19, s[20:21]
	s_bcnt1_i32_b64 s20, s[22:23]
	s_bcnt1_i32_b64 s21, s[24:25]
	v_add_u32_e32 v2, s18, v2
	v_add_u32_e32 v3, s19, v3
	;; [unrolled: 1-line block ×3, first 2 shown]
	s_or_b64 s[28:29], vcc, s[28:29]
	v_add_u32_e32 v5, s21, v5
	s_andn2_b64 exec, exec, s[28:29]
	s_cbranch_execnz .LBB56_57
; %bb.58:                               ;   in Loop: Header=BB56_6 Depth=1
	s_or_b64 exec, exec, s[28:29]
	s_or_b64 s[76:77], s[76:77], exec
.LBB56_59:                              ;   in Loop: Header=BB56_6 Depth=1
	s_or_b64 exec, exec, s[16:17]
.LBB56_60:                              ;   in Loop: Header=BB56_6 Depth=1
	s_and_saveexec_b64 s[16:17], s[76:77]
	s_or_b64 exec, exec, s[16:17]
	s_lshl_b32 s10, s6, 6
	s_and_saveexec_b64 s[16:17], s[0:1]
	s_cbranch_execz .LBB56_62
; %bb.61:                               ;   in Loop: Header=BB56_6 Depth=1
	v_or_b32_e32 v10, s10, v18
	v_lshlrev_b32_e32 v10, 2, v10
	s_waitcnt vmcnt(0)
	ds_write_b128 v10, v[2:5] offset:3072
.LBB56_62:                              ;   in Loop: Header=BB56_6 Depth=1
	s_or_b64 exec, exec, s[16:17]
	s_waitcnt lgkmcnt(0)
	s_barrier
	s_mov_b64 s[16:17], exec
	v_readlane_b32 s18, v52, 17
	v_readlane_b32 s19, v52, 18
	s_and_b64 s[18:19], s[16:17], s[18:19]
	s_mov_b64 exec, s[18:19]
	s_cbranch_execz .LBB56_76
; %bb.63:                               ;   in Loop: Header=BB56_6 Depth=1
	v_readlane_b32 s18, v52, 21
	v_readlane_b32 s19, v52, 22
	v_add_u32_e32 v4, s10, v1
	s_andn2_b64 vcc, exec, s[18:19]
	s_waitcnt vmcnt(0)
	v_mov_b32_e32 v2, 0
	s_cbranch_vccnz .LBB56_75
; %bb.64:                               ;   in Loop: Header=BB56_6 Depth=1
	v_readlane_b32 s18, v52, 26
	v_readlane_b32 s19, v52, 27
	s_mov_b32 s11, 0
	s_and_b64 vcc, exec, s[18:19]
	v_mov_b32_e32 v2, 0
	s_cbranch_vccz .LBB56_68
; %bb.65:                               ;   in Loop: Header=BB56_6 Depth=1
	v_readlane_b32 s20, v52, 32
	v_readlane_b32 s18, v52, 11
	;; [unrolled: 1-line block ×3, first 2 shown]
	v_lshl_add_u32 v5, v4, 2, v29
	v_readlane_b32 s19, v52, 12
	s_andn2_b64 vcc, exec, s[20:21]
	s_cbranch_vccnz .LBB56_69
; %bb.66:                               ;   in Loop: Header=BB56_6 Depth=1
	v_writelane_b32 v52, s18, 11
	v_writelane_b32 v52, s19, 12
	s_mov_b32 s19, 1
	s_mov_b32 s18, 0
	v_mov_b32_e32 v2, 0
	v_readlane_b32 s11, v52, 34
	v_mov_b32_e32 v3, 0
.LBB56_67:                              ;   Parent Loop BB56_6 Depth=1
                                        ; =>  This Inner Loop Header: Depth=2
	v_lshl_add_u32 v10, s18, 4, v5
	v_lshl_add_u32 v35, s19, 4, v5
	ds_read2_b32 v[36:37], v10 offset1:8
	ds_read2_b32 v[38:39], v35 offset1:8
	ds_read2_b32 v[40:41], v10 offset0:16 offset1:24
	ds_read2_b32 v[42:43], v35 offset0:16 offset1:24
	;; [unrolled: 1-line block ×6, first 2 shown]
	s_waitcnt lgkmcnt(7)
	v_add3_u32 v2, v36, v2, v37
	s_waitcnt lgkmcnt(6)
	v_add3_u32 v3, v38, v3, v39
	;; [unrolled: 2-line block ×3, first 2 shown]
	v_add3_u32 v2, v40, v2, v41
	s_add_i32 s19, s19, 16
	s_add_i32 s18, s18, 16
	s_add_i32 s11, s11, -8
	s_waitcnt lgkmcnt(3)
	v_add3_u32 v2, v44, v2, v45
	s_waitcnt lgkmcnt(2)
	v_add3_u32 v3, v46, v3, v47
	s_cmp_lg_u32 s11, 0
	s_waitcnt lgkmcnt(0)
	v_add3_u32 v3, v50, v3, v51
	v_add3_u32 v2, v48, v2, v49
	s_cbranch_scc1 .LBB56_67
	s_branch .LBB56_70
.LBB56_68:                              ;   in Loop: Header=BB56_6 Depth=1
	s_cbranch_execnz .LBB56_73
	s_branch .LBB56_75
.LBB56_69:                              ;   in Loop: Header=BB56_6 Depth=1
	s_mov_b32 s20, s18
	s_mov_b32 s19, s18
	v_writelane_b32 v52, s20, 11
	v_pk_mov_b32 v[2:3], s[18:19], s[18:19] op_sel:[0,1]
	s_mov_b32 s19, 1
	v_writelane_b32 v52, s21, 12
.LBB56_70:                              ;   in Loop: Header=BB56_6 Depth=1
	v_readlane_b32 s20, v52, 36
	v_readlane_b32 s21, v52, 37
	s_andn2_b64 vcc, exec, s[20:21]
	v_readlane_b32 s11, v52, 35
	s_cbranch_vccnz .LBB56_72
.LBB56_71:                              ;   Parent Loop BB56_6 Depth=1
                                        ; =>  This Inner Loop Header: Depth=2
	v_lshl_add_u32 v10, s18, 4, v5
	v_lshl_add_u32 v35, s19, 4, v5
	ds_read_b32 v35, v35
	ds_read_b32 v10, v10
	s_add_i32 s19, s19, 2
	s_add_i32 s18, s18, 2
	s_add_i32 s11, s11, -1
	s_cmp_lg_u32 s11, 0
	s_waitcnt lgkmcnt(1)
	v_add_u32_e32 v3, v35, v3
	s_waitcnt lgkmcnt(0)
	v_add_u32_e32 v2, v10, v2
	s_cbranch_scc1 .LBB56_71
.LBB56_72:                              ;   in Loop: Header=BB56_6 Depth=1
	v_readlane_b32 s18, v52, 40
	v_add_u32_e32 v2, v2, v3
	v_readlane_b32 s11, v52, 39
	v_readlane_b32 s19, v52, 41
	s_and_b64 vcc, exec, s[18:19]
	s_cbranch_vccz .LBB56_75
.LBB56_73:                              ;   in Loop: Header=BB56_6 Depth=1
	s_lshl_b32 s18, s6, 8
	s_lshl_b32 s19, s11, 4
	s_add_i32 s18, s18, s19
	v_add_u32_e32 v3, s18, v28
	v_readlane_b32 s18, v52, 38
	s_sub_i32 s11, s18, s11
.LBB56_74:                              ;   Parent Loop BB56_6 Depth=1
                                        ; =>  This Inner Loop Header: Depth=2
	ds_read_b32 v5, v3
	s_add_i32 s11, s11, -1
	v_add_u32_e32 v3, 16, v3
	s_cmp_eq_u32 s11, 0
	s_waitcnt lgkmcnt(0)
	v_add_u32_e32 v2, v5, v2
	s_cbranch_scc0 .LBB56_74
.LBB56_75:                              ;   in Loop: Header=BB56_6 Depth=1
	v_lshlrev_b32_e32 v3, 2, v4
	ds_write_b32 v3, v2 offset:3072
.LBB56_76:                              ;   in Loop: Header=BB56_6 Depth=1
	s_or_b64 exec, exec, s[16:17]
	s_lshl_b32 s10, s10, 2
	s_waitcnt vmcnt(0)
	v_mov_b32_e32 v2, s10
	s_waitcnt lgkmcnt(0)
	s_barrier
	ds_read_b128 v[2:5], v2 offset:3072
	s_and_b32 s62, s13, 0xfe
	v_readlane_b32 s16, v52, 15
	s_lshl_b32 s68, 3, s62
	v_readlane_b32 s17, v52, 16
	s_waitcnt lgkmcnt(0)
	v_readfirstlane_b32 s69, v2
	v_readfirstlane_b32 s11, v3
	;; [unrolled: 1-line block ×4, first 2 shown]
	s_not_b32 s10, s68
	s_andn2_b64 vcc, exec, s[16:17]
	v_cmp_eq_u32_e64 s[18:19], 1, v34
	s_cbranch_vccnz .LBB56_89
; %bb.77:                               ;   in Loop: Header=BB56_6 Depth=1
	s_cmp_eq_u32 s69, 1
	s_cselect_b64 s[16:17], -1, 0
	s_and_b64 s[36:37], s[16:17], s[18:19]
	s_mov_b64 s[16:17], -1
	v_mov_b32_e32 v2, v32
	v_mov_b32_e32 v3, v31
	;; [unrolled: 1-line block ×3, first 2 shown]
                                        ; implicit-def: $sgpr22_sgpr23
                                        ; implicit-def: $sgpr28_sgpr29
                                        ; implicit-def: $sgpr26_sgpr27
	s_and_saveexec_b64 s[24:25], s[36:37]
	s_cbranch_execz .LBB56_105
; %bb.78:                               ;   in Loop: Header=BB56_6 Depth=1
	ds_read_b32 v2, v11 offset:4096
	s_waitcnt lgkmcnt(0)
	s_barrier
	v_readfirstlane_b32 s28, v2
	s_mov_b64 s[16:17], exec
	v_readlane_b32 s20, v52, 30
	v_readlane_b32 s21, v52, 31
	s_and_b64 s[20:21], s[16:17], s[20:21]
	s_mov_b64 exec, s[20:21]
	s_cbranch_execz .LBB56_80
; %bb.79:                               ;   in Loop: Header=BB56_6 Depth=1
	ds_write_b16 v20, v11
.LBB56_80:                              ;   in Loop: Header=BB56_6 Depth=1
	s_or_b64 exec, exec, s[16:17]
	v_and_b32_e32 v2, s10, v32
	v_or_b32_e32 v3, s68, v31
	s_cmp_eq_u32 s28, 0
	s_waitcnt lgkmcnt(0)
	s_barrier
	s_cbranch_scc1 .LBB56_91
; %bb.81:                               ;   in Loop: Header=BB56_6 Depth=1
	v_readlane_b32 s16, v52, 23
	s_add_i32 s16, s28, s16
	v_readlane_b32 s17, v52, 45
	s_mul_hi_u32 s17, s16, s17
	s_mul_i32 s17, s17, s9
	s_sub_i32 s17, s16, s17
	s_sub_i32 s20, s17, s9
	s_cmp_ge_u32 s17, s9
	s_cselect_b32 s17, s20, s17
	s_sub_i32 s20, s17, s9
	s_cmp_ge_u32 s17, s9
	s_cselect_b32 s17, s20, s17
	s_sub_i32 s29, s16, s17
	v_cmp_gt_u32_e32 vcc, s29, v0
	s_mov_b64 s[16:17], 0
                                        ; implicit-def: $vgpr35
	s_and_saveexec_b64 s[22:23], vcc
	s_cbranch_execz .LBB56_93
; %bb.82:                               ;   in Loop: Header=BB56_6 Depth=1
	v_mov_b32_e32 v4, v19
	v_mov_b32_e32 v5, v0
                                        ; implicit-def: $sgpr26_sgpr27
	s_branch .LBB56_84
.LBB56_83:                              ;   in Loop: Header=BB56_84 Depth=2
	s_or_b64 exec, exec, s[20:21]
	s_waitcnt lgkmcnt(0)
	s_barrier
	ds_read_b32 v10, v11 offset:3072
	v_add_u32_e32 v5, s9, v5
	v_cmp_le_u32_e64 s[20:21], s29, v5
	v_add_u32_e32 v4, s5, v4
	s_waitcnt lgkmcnt(0)
	v_cmp_ne_u16_e32 vcc, 0, v10
	s_or_b64 s[20:21], s[20:21], vcc
	s_and_b64 s[20:21], exec, s[20:21]
	s_or_b64 s[16:17], s[20:21], s[16:17]
	s_andn2_b64 s[20:21], s[26:27], exec
	s_and_b64 s[26:27], vcc, exec
	s_or_b64 s[26:27], s[20:21], s[26:27]
	s_barrier
	s_andn2_b64 exec, exec, s[16:17]
	s_cbranch_execz .LBB56_92
.LBB56_84:                              ;   Parent Loop BB56_6 Depth=1
                                        ; =>  This Inner Loop Header: Depth=2
	v_cmp_gt_u32_e32 vcc, s28, v5
	v_mov_b32_e32 v10, 0
	s_and_saveexec_b64 s[20:21], vcc
	s_cbranch_execz .LBB56_86
; %bb.85:                               ;   in Loop: Header=BB56_84 Depth=2
	ds_read_u16 v10, v4
.LBB56_86:                              ;   in Loop: Header=BB56_84 Depth=2
	s_or_b64 exec, exec, s[20:21]
	s_and_saveexec_b64 s[20:21], vcc
	s_cbranch_execz .LBB56_83
; %bb.87:                               ;   in Loop: Header=BB56_84 Depth=2
	s_waitcnt lgkmcnt(0)
	v_add_u32_sdwa v35, sext(v10), s12 dst_sel:DWORD dst_unused:UNUSED_PAD src0_sel:WORD_0 src1_sel:DWORD
	v_and_b32_e32 v35, v35, v3
	v_cmp_eq_u32_e32 vcc, v35, v2
	s_and_b64 exec, exec, vcc
	s_cbranch_execz .LBB56_83
; %bb.88:                               ;   in Loop: Header=BB56_84 Depth=2
	v_perm_b32 v10, v10, 1, v30
	ds_write_b32 v11, v10 offset:3072
	s_branch .LBB56_83
.LBB56_89:                              ;   in Loop: Header=BB56_6 Depth=1
	s_mov_b64 s[24:25], 0
	s_mov_b64 s[20:21], 0
                                        ; implicit-def: $sgpr26_sgpr27
                                        ; implicit-def: $sgpr28_sgpr29
                                        ; implicit-def: $sgpr22_sgpr23
                                        ; implicit-def: $vgpr5
                                        ; implicit-def: $vgpr4
                                        ; implicit-def: $vgpr2
                                        ; implicit-def: $vgpr3
                                        ; implicit-def: $vgpr35
	s_cbranch_execnz .LBB56_241
.LBB56_90:                              ;   in Loop: Header=BB56_6 Depth=1
	s_mov_b64 s[30:31], s[22:23]
	s_mov_b64 s[34:35], s[22:23]
	s_and_saveexec_b64 s[16:17], s[24:25]
	s_cbranch_execnz .LBB56_403
	s_branch .LBB56_404
.LBB56_91:                              ;   in Loop: Header=BB56_6 Depth=1
	s_mov_b64 s[22:23], -1
	s_mov_b64 s[16:17], 0
                                        ; implicit-def: $sgpr26_sgpr27
                                        ; implicit-def: $vgpr35
	s_mov_b64 s[28:29], s[22:23]
	s_cbranch_execnz .LBB56_94
	s_branch .LBB56_104
.LBB56_92:                              ;   in Loop: Header=BB56_6 Depth=1
	s_or_b64 exec, exec, s[16:17]
	v_lshrrev_b32_e32 v35, 16, v10
	s_and_b64 s[16:17], s[26:27], exec
.LBB56_93:                              ;   in Loop: Header=BB56_6 Depth=1
	s_or_b64 exec, exec, s[22:23]
	s_mov_b64 s[26:27], -1
	s_mov_b64 s[22:23], 0
	s_mov_b64 s[28:29], s[22:23]
	s_branch .LBB56_104
.LBB56_94:                              ;   in Loop: Header=BB56_6 Depth=1
	s_mov_b64 s[16:17], 0
                                        ; implicit-def: $vgpr35
	s_mov_b64 s[22:23], exec
	v_readlane_b32 s20, v52, 46
	v_readlane_b32 s21, v52, 47
	s_and_b64 s[20:21], s[22:23], s[20:21]
	s_mov_b64 exec, s[20:21]
	s_cbranch_execz .LBB56_103
; %bb.95:                               ;   in Loop: Header=BB56_6 Depth=1
	v_mov_b32_e32 v10, v12
	v_mov_b32_e32 v4, v0
                                        ; implicit-def: $sgpr26_sgpr27
	s_branch .LBB56_97
.LBB56_96:                              ;   in Loop: Header=BB56_97 Depth=2
	s_or_b64 exec, exec, s[20:21]
	s_waitcnt lgkmcnt(0)
	s_barrier
	s_waitcnt vmcnt(0)
	ds_read_b32 v5, v11 offset:3072
	v_add_u32_e32 v4, s9, v4
	v_cmp_le_u32_e64 s[20:21], s74, v4
	v_add_u32_e32 v10, s72, v10
	s_waitcnt lgkmcnt(0)
	v_cmp_ne_u16_e32 vcc, 0, v5
	s_or_b64 s[20:21], s[20:21], vcc
	s_and_b64 s[20:21], exec, s[20:21]
	s_or_b64 s[16:17], s[20:21], s[16:17]
	s_andn2_b64 s[20:21], s[26:27], exec
	s_and_b64 s[26:27], vcc, exec
	s_or_b64 s[26:27], s[20:21], s[26:27]
	s_barrier
	s_andn2_b64 exec, exec, s[16:17]
	s_cbranch_execz .LBB56_102
.LBB56_97:                              ;   Parent Loop BB56_6 Depth=1
                                        ; =>  This Inner Loop Header: Depth=2
	v_cmp_gt_u32_e32 vcc, s60, v4
	v_mov_b32_e32 v5, 0
	s_and_saveexec_b64 s[28:29], vcc
	s_cbranch_execz .LBB56_99
; %bb.98:                               ;   in Loop: Header=BB56_97 Depth=2
	v_lshlrev_b64 v[36:37], 1, v[10:11]
	v_mov_b32_e32 v5, s8
	v_add_co_u32_e64 v36, s[20:21], s33, v36
	v_addc_co_u32_e64 v37, s[20:21], v5, v37, s[20:21]
	global_load_ushort v5, v[36:37], off
.LBB56_99:                              ;   in Loop: Header=BB56_97 Depth=2
	s_or_b64 exec, exec, s[28:29]
	s_and_saveexec_b64 s[20:21], vcc
	s_cbranch_execz .LBB56_96
; %bb.100:                              ;   in Loop: Header=BB56_97 Depth=2
	s_waitcnt vmcnt(0)
	v_add_u32_sdwa v35, sext(v5), s12 dst_sel:DWORD dst_unused:UNUSED_PAD src0_sel:WORD_0 src1_sel:DWORD
	v_and_b32_e32 v35, v35, v3
	v_cmp_eq_u32_e32 vcc, v35, v2
	s_and_b64 exec, exec, vcc
	s_cbranch_execz .LBB56_96
; %bb.101:                              ;   in Loop: Header=BB56_97 Depth=2
	v_perm_b32 v5, v5, 1, v30
	ds_write_b32 v11, v5 offset:3072
	s_branch .LBB56_96
.LBB56_102:                             ;   in Loop: Header=BB56_6 Depth=1
	s_or_b64 exec, exec, s[16:17]
	v_lshrrev_b32_e32 v35, 16, v5
	s_and_b64 s[16:17], s[26:27], exec
.LBB56_103:                             ;   in Loop: Header=BB56_6 Depth=1
	s_or_b64 exec, exec, s[22:23]
	s_mov_b64 s[28:29], -1
	s_mov_b64 s[22:23], 0
	s_mov_b64 s[26:27], 0
.LBB56_104:                             ;   in Loop: Header=BB56_6 Depth=1
	s_orn2_b64 s[16:17], s[16:17], exec
.LBB56_105:                             ;   in Loop: Header=BB56_6 Depth=1
	s_or_b64 exec, exec, s[24:25]
	s_mov_b64 s[30:31], 0
	s_mov_b64 s[24:25], 0
	;; [unrolled: 1-line block ×3, first 2 shown]
                                        ; implicit-def: $vgpr5
                                        ; implicit-def: $vgpr4
	s_and_saveexec_b64 s[34:35], s[16:17]
	s_cbranch_execz .LBB56_240
; %bb.106:                              ;   in Loop: Header=BB56_6 Depth=1
	s_xor_b64 s[24:25], s[36:37], -1
	v_mov_b32_e32 v4, 1
	v_mov_b32_e32 v5, 1
	s_and_saveexec_b64 s[16:17], s[24:25]
	s_cbranch_execz .LBB56_116
; %bb.107:                              ;   in Loop: Header=BB56_6 Depth=1
	v_cmp_ge_u32_e32 vcc, s69, v34
                                        ; implicit-def: $sgpr36
                                        ; implicit-def: $sgpr20_sgpr21
	s_and_saveexec_b64 s[24:25], vcc
	s_xor_b64 s[24:25], exec, s[24:25]
	s_cbranch_execz .LBB56_113
; %bb.108:                              ;   in Loop: Header=BB56_6 Depth=1
	ds_read_b32 v4, v11 offset:4096
	s_waitcnt lgkmcnt(0)
	v_cmp_ne_u32_e32 vcc, 0, v4
	s_cbranch_vccnz .LBB56_112
; %bb.109:                              ;   in Loop: Header=BB56_6 Depth=1
	s_mov_b64 s[20:21], exec
	v_readlane_b32 s36, v52, 4
	v_readlane_b32 s37, v52, 5
	s_and_b64 s[36:37], s[20:21], s[36:37]
	s_mov_b64 exec, s[36:37]
	s_cbranch_execz .LBB56_111
; %bb.110:                              ;   in Loop: Header=BB56_6 Depth=1
	v_mov_b32_e32 v4, s69
	ds_write_b32 v11, v4 offset:4100
.LBB56_111:                             ;   in Loop: Header=BB56_6 Depth=1
	s_or_b64 exec, exec, s[20:21]
	s_waitcnt lgkmcnt(0)
	s_barrier
.LBB56_112:                             ;   in Loop: Header=BB56_6 Depth=1
	v_and_b32_e32 v2, s10, v2
	v_or_b32_e32 v3, s68, v3
	s_mov_b64 s[20:21], 0
	s_mov_b32 s36, 8
.LBB56_113:                             ;   in Loop: Header=BB56_6 Depth=1
	s_or_saveexec_b64 s[24:25], s[24:25]
	v_mov_b32_e32 v5, s36
	v_mov_b32_e32 v4, v34
	s_xor_b64 exec, exec, s[24:25]
; %bb.114:                              ;   in Loop: Header=BB56_6 Depth=1
	v_subrev_u32_e32 v4, s69, v34
	v_mov_b32_e32 v5, 0
	s_or_b64 s[20:21], s[20:21], exec
; %bb.115:                              ;   in Loop: Header=BB56_6 Depth=1
	s_or_b64 exec, exec, s[24:25]
	s_and_b64 s[20:21], s[20:21], exec
.LBB56_116:                             ;   in Loop: Header=BB56_6 Depth=1
	s_or_b64 exec, exec, s[16:17]
	s_mov_b64 s[38:39], -1
                                        ; implicit-def: $sgpr16_sgpr17
                                        ; implicit-def: $sgpr36_sgpr37
                                        ; implicit-def: $sgpr42_sgpr43
	s_and_saveexec_b64 s[24:25], s[20:21]
	s_xor_b64 s[24:25], exec, s[24:25]
	s_cbranch_execz .LBB56_237
; %bb.117:                              ;   in Loop: Header=BB56_6 Depth=1
	s_cmp_eq_u32 s11, 1
	s_cselect_b64 s[16:17], -1, 0
	v_cmp_eq_u32_e32 vcc, 1, v4
	s_and_b64 s[44:45], s[16:17], vcc
	s_mov_b64 s[16:17], -1
                                        ; implicit-def: $sgpr36_sgpr37
                                        ; implicit-def: $sgpr40_sgpr41
                                        ; implicit-def: $sgpr38_sgpr39
	s_and_saveexec_b64 s[42:43], s[44:45]
	s_cbranch_execz .LBB56_143
; %bb.118:                              ;   in Loop: Header=BB56_6 Depth=1
	ds_read_b32 v5, v11 offset:4096
	s_waitcnt lgkmcnt(0)
	s_barrier
	v_readfirstlane_b32 s40, v5
	s_mov_b64 s[16:17], exec
	v_readlane_b32 s20, v52, 30
	v_readlane_b32 s21, v52, 31
	s_and_b64 s[20:21], s[16:17], s[20:21]
	s_mov_b64 exec, s[20:21]
	s_cbranch_execz .LBB56_120
; %bb.119:                              ;   in Loop: Header=BB56_6 Depth=1
	ds_write_b16 v20, v11
.LBB56_120:                             ;   in Loop: Header=BB56_6 Depth=1
	s_or_b64 exec, exec, s[16:17]
	v_and_b32_e32 v2, s10, v2
	v_lshl_or_b32 v2, 1, s62, v2
	v_or_b32_e32 v3, s68, v3
	s_cmp_eq_u32 s40, 0
	s_waitcnt lgkmcnt(0)
	s_barrier
	s_cbranch_scc1 .LBB56_129
; %bb.121:                              ;   in Loop: Header=BB56_6 Depth=1
	v_readlane_b32 s16, v52, 23
	s_add_i32 s16, s40, s16
	v_readlane_b32 s17, v52, 45
	s_mul_hi_u32 s17, s16, s17
	s_mul_i32 s17, s17, s9
	s_sub_i32 s17, s16, s17
	s_sub_i32 s20, s17, s9
	s_cmp_ge_u32 s17, s9
	s_cselect_b32 s17, s20, s17
	s_sub_i32 s20, s17, s9
	s_cmp_ge_u32 s17, s9
	s_cselect_b32 s17, s20, s17
	s_sub_i32 s41, s16, s17
	v_cmp_gt_u32_e32 vcc, s41, v0
	s_mov_b64 s[16:17], 0
                                        ; implicit-def: $vgpr35
	s_and_saveexec_b64 s[36:37], vcc
	s_cbranch_execz .LBB56_131
; %bb.122:                              ;   in Loop: Header=BB56_6 Depth=1
	v_mov_b32_e32 v5, v19
	v_mov_b32_e32 v10, v0
                                        ; implicit-def: $sgpr38_sgpr39
	s_branch .LBB56_124
.LBB56_123:                             ;   in Loop: Header=BB56_124 Depth=2
	s_or_b64 exec, exec, s[20:21]
	s_waitcnt lgkmcnt(0)
	s_barrier
	ds_read_b32 v35, v11 offset:3072
	v_add_u32_e32 v10, s9, v10
	v_cmp_le_u32_e64 s[20:21], s41, v10
	v_add_u32_e32 v5, s5, v5
	s_waitcnt lgkmcnt(0)
	v_cmp_ne_u16_e32 vcc, 0, v35
	s_or_b64 s[20:21], s[20:21], vcc
	s_and_b64 s[20:21], exec, s[20:21]
	s_or_b64 s[16:17], s[20:21], s[16:17]
	s_andn2_b64 s[20:21], s[38:39], exec
	s_and_b64 s[38:39], vcc, exec
	s_or_b64 s[38:39], s[20:21], s[38:39]
	s_barrier
	s_andn2_b64 exec, exec, s[16:17]
	s_cbranch_execz .LBB56_130
.LBB56_124:                             ;   Parent Loop BB56_6 Depth=1
                                        ; =>  This Inner Loop Header: Depth=2
	v_cmp_gt_u32_e32 vcc, s40, v10
	v_mov_b32_e32 v35, 0
	s_and_saveexec_b64 s[20:21], vcc
	s_cbranch_execz .LBB56_126
; %bb.125:                              ;   in Loop: Header=BB56_124 Depth=2
	ds_read_u16 v35, v5
.LBB56_126:                             ;   in Loop: Header=BB56_124 Depth=2
	s_or_b64 exec, exec, s[20:21]
	s_and_saveexec_b64 s[20:21], vcc
	s_cbranch_execz .LBB56_123
; %bb.127:                              ;   in Loop: Header=BB56_124 Depth=2
	s_waitcnt lgkmcnt(0)
	v_add_u32_sdwa v36, sext(v35), s12 dst_sel:DWORD dst_unused:UNUSED_PAD src0_sel:WORD_0 src1_sel:DWORD
	v_and_b32_e32 v36, v36, v3
	v_cmp_eq_u32_e32 vcc, v36, v2
	s_and_b64 exec, exec, vcc
	s_cbranch_execz .LBB56_123
; %bb.128:                              ;   in Loop: Header=BB56_124 Depth=2
	v_perm_b32 v35, v35, 1, v30
	ds_write_b32 v11, v35 offset:3072
	s_branch .LBB56_123
.LBB56_129:                             ;   in Loop: Header=BB56_6 Depth=1
	s_mov_b64 s[36:37], -1
	s_mov_b64 s[16:17], 0
                                        ; implicit-def: $sgpr38_sgpr39
                                        ; implicit-def: $vgpr35
	s_mov_b64 s[40:41], s[36:37]
	s_cbranch_execnz .LBB56_132
	s_branch .LBB56_142
.LBB56_130:                             ;   in Loop: Header=BB56_6 Depth=1
	s_or_b64 exec, exec, s[16:17]
	v_lshrrev_b32_e32 v35, 16, v35
	s_and_b64 s[16:17], s[38:39], exec
.LBB56_131:                             ;   in Loop: Header=BB56_6 Depth=1
	s_or_b64 exec, exec, s[36:37]
	s_mov_b64 s[38:39], -1
	s_mov_b64 s[36:37], 0
	s_mov_b64 s[40:41], s[36:37]
	s_branch .LBB56_142
.LBB56_132:                             ;   in Loop: Header=BB56_6 Depth=1
	s_mov_b64 s[16:17], 0
                                        ; implicit-def: $vgpr35
	s_mov_b64 s[36:37], exec
	v_readlane_b32 s20, v52, 46
	v_readlane_b32 s21, v52, 47
	s_and_b64 s[20:21], s[36:37], s[20:21]
	s_mov_b64 exec, s[20:21]
	s_cbranch_execz .LBB56_141
; %bb.133:                              ;   in Loop: Header=BB56_6 Depth=1
	v_mov_b32_e32 v10, v12
	v_mov_b32_e32 v5, v0
                                        ; implicit-def: $sgpr38_sgpr39
	s_branch .LBB56_135
.LBB56_134:                             ;   in Loop: Header=BB56_135 Depth=2
	s_or_b64 exec, exec, s[20:21]
	s_waitcnt lgkmcnt(0)
	s_barrier
	s_waitcnt vmcnt(0)
	ds_read_b32 v35, v11 offset:3072
	v_add_u32_e32 v5, s9, v5
	v_cmp_le_u32_e64 s[20:21], s74, v5
	v_add_u32_e32 v10, s72, v10
	s_waitcnt lgkmcnt(0)
	v_cmp_ne_u16_e32 vcc, 0, v35
	s_or_b64 s[20:21], s[20:21], vcc
	s_and_b64 s[20:21], exec, s[20:21]
	s_or_b64 s[16:17], s[20:21], s[16:17]
	s_andn2_b64 s[20:21], s[38:39], exec
	s_and_b64 s[38:39], vcc, exec
	s_or_b64 s[38:39], s[20:21], s[38:39]
	s_barrier
	s_andn2_b64 exec, exec, s[16:17]
	s_cbranch_execz .LBB56_140
.LBB56_135:                             ;   Parent Loop BB56_6 Depth=1
                                        ; =>  This Inner Loop Header: Depth=2
	v_cmp_gt_u32_e32 vcc, s60, v5
	v_mov_b32_e32 v35, 0
	s_and_saveexec_b64 s[40:41], vcc
	s_cbranch_execz .LBB56_137
; %bb.136:                              ;   in Loop: Header=BB56_135 Depth=2
	v_lshlrev_b64 v[36:37], 1, v[10:11]
	v_mov_b32_e32 v35, s8
	v_add_co_u32_e64 v36, s[20:21], s33, v36
	v_addc_co_u32_e64 v37, s[20:21], v35, v37, s[20:21]
	global_load_ushort v35, v[36:37], off
.LBB56_137:                             ;   in Loop: Header=BB56_135 Depth=2
	s_or_b64 exec, exec, s[40:41]
	s_and_saveexec_b64 s[20:21], vcc
	s_cbranch_execz .LBB56_134
; %bb.138:                              ;   in Loop: Header=BB56_135 Depth=2
	s_waitcnt vmcnt(0)
	v_add_u32_sdwa v36, sext(v35), s12 dst_sel:DWORD dst_unused:UNUSED_PAD src0_sel:WORD_0 src1_sel:DWORD
	v_and_b32_e32 v36, v36, v3
	v_cmp_eq_u32_e32 vcc, v36, v2
	s_and_b64 exec, exec, vcc
	s_cbranch_execz .LBB56_134
; %bb.139:                              ;   in Loop: Header=BB56_135 Depth=2
	v_perm_b32 v35, v35, 1, v30
	ds_write_b32 v11, v35 offset:3072
	s_branch .LBB56_134
.LBB56_140:                             ;   in Loop: Header=BB56_6 Depth=1
	s_or_b64 exec, exec, s[16:17]
	v_lshrrev_b32_e32 v35, 16, v35
	s_and_b64 s[16:17], s[38:39], exec
.LBB56_141:                             ;   in Loop: Header=BB56_6 Depth=1
	s_or_b64 exec, exec, s[36:37]
	s_mov_b64 s[40:41], -1
	s_mov_b64 s[36:37], 0
	s_mov_b64 s[38:39], 0
.LBB56_142:                             ;   in Loop: Header=BB56_6 Depth=1
	s_orn2_b64 s[16:17], s[16:17], exec
.LBB56_143:                             ;   in Loop: Header=BB56_6 Depth=1
	s_or_b64 exec, exec, s[42:43]
	s_mov_b64 s[20:21], 0
                                        ; implicit-def: $vgpr5
	s_and_saveexec_b64 s[42:43], s[16:17]
	s_cbranch_execz .LBB56_236
; %bb.144:                              ;   in Loop: Header=BB56_6 Depth=1
	s_xor_b64 s[20:21], s[44:45], -1
	s_mov_b64 s[48:49], 0
	v_mov_b32_e32 v36, 1
	v_mov_b32_e32 v5, 1
	s_and_saveexec_b64 s[16:17], s[20:21]
	s_cbranch_execz .LBB56_154
; %bb.145:                              ;   in Loop: Header=BB56_6 Depth=1
	v_cmp_ge_u32_e32 vcc, s11, v4
                                        ; implicit-def: $sgpr46
                                        ; implicit-def: $sgpr20_sgpr21
	s_and_saveexec_b64 s[44:45], vcc
	s_xor_b64 s[44:45], exec, s[44:45]
	s_cbranch_execz .LBB56_151
; %bb.146:                              ;   in Loop: Header=BB56_6 Depth=1
	ds_read_b32 v5, v11 offset:4096
	s_waitcnt lgkmcnt(0)
	v_cmp_ne_u32_e32 vcc, 0, v5
	s_cbranch_vccnz .LBB56_150
; %bb.147:                              ;   in Loop: Header=BB56_6 Depth=1
	s_mov_b64 s[20:21], exec
	v_readlane_b32 s46, v52, 4
	v_readlane_b32 s47, v52, 5
	s_and_b64 s[46:47], s[20:21], s[46:47]
	s_mov_b64 exec, s[46:47]
	s_cbranch_execz .LBB56_149
; %bb.148:                              ;   in Loop: Header=BB56_6 Depth=1
	v_mov_b32_e32 v5, s11
	ds_write_b32 v11, v5 offset:4100
.LBB56_149:                             ;   in Loop: Header=BB56_6 Depth=1
	s_or_b64 exec, exec, s[20:21]
	s_waitcnt lgkmcnt(0)
	s_barrier
.LBB56_150:                             ;   in Loop: Header=BB56_6 Depth=1
	v_and_b32_e32 v2, s10, v2
	v_lshl_or_b32 v2, 1, s62, v2
	v_or_b32_e32 v3, s68, v3
	s_mov_b64 s[20:21], 0
	s_mov_b32 s46, 8
.LBB56_151:                             ;   in Loop: Header=BB56_6 Depth=1
	s_or_saveexec_b64 s[44:45], s[44:45]
	v_mov_b32_e32 v5, s46
	s_xor_b64 exec, exec, s[44:45]
; %bb.152:                              ;   in Loop: Header=BB56_6 Depth=1
	v_subrev_u32_e32 v4, s11, v4
	v_mov_b32_e32 v5, 0
	s_or_b64 s[20:21], s[20:21], exec
; %bb.153:                              ;   in Loop: Header=BB56_6 Depth=1
	s_or_b64 exec, exec, s[44:45]
	s_and_b64 s[48:49], s[20:21], exec
	v_mov_b32_e32 v36, v4
.LBB56_154:                             ;   in Loop: Header=BB56_6 Depth=1
	s_or_b64 exec, exec, s[16:17]
	s_mov_b64 s[16:17], -1
                                        ; implicit-def: $sgpr20_sgpr21
                                        ; implicit-def: $sgpr46_sgpr47
                                        ; implicit-def: $sgpr52_sgpr53
	s_and_saveexec_b64 s[44:45], s[48:49]
	s_cbranch_execz .LBB56_235
; %bb.155:                              ;   in Loop: Header=BB56_6 Depth=1
	s_cmp_eq_u32 s63, 1
	s_cselect_b64 s[16:17], -1, 0
	v_cmp_eq_u32_e32 vcc, 1, v36
	s_and_b64 s[54:55], s[16:17], vcc
	s_mov_b64 s[20:21], -1
                                        ; implicit-def: $sgpr46_sgpr47
                                        ; implicit-def: $sgpr50_sgpr51
                                        ; implicit-def: $sgpr48_sgpr49
	s_and_saveexec_b64 s[52:53], s[54:55]
	s_cbranch_execz .LBB56_181
; %bb.156:                              ;   in Loop: Header=BB56_6 Depth=1
	ds_read_b32 v4, v11 offset:4096
	s_waitcnt lgkmcnt(0)
	s_barrier
	v_readfirstlane_b32 s50, v4
	s_mov_b64 s[16:17], exec
	v_readlane_b32 s20, v52, 30
	v_readlane_b32 s21, v52, 31
	s_and_b64 s[20:21], s[16:17], s[20:21]
	s_mov_b64 exec, s[20:21]
	s_cbranch_execz .LBB56_158
; %bb.157:                              ;   in Loop: Header=BB56_6 Depth=1
	ds_write_b16 v20, v11
.LBB56_158:                             ;   in Loop: Header=BB56_6 Depth=1
	s_or_b64 exec, exec, s[16:17]
	v_and_b32_e32 v2, s10, v2
	v_lshl_or_b32 v2, 2, s62, v2
	v_or_b32_e32 v3, s68, v3
	s_cmp_eq_u32 s50, 0
	s_waitcnt lgkmcnt(0)
	s_barrier
	s_cbranch_scc1 .LBB56_167
; %bb.159:                              ;   in Loop: Header=BB56_6 Depth=1
	v_readlane_b32 s16, v52, 23
	s_add_i32 s16, s50, s16
	v_readlane_b32 s17, v52, 45
	s_mul_hi_u32 s17, s16, s17
	s_mul_i32 s17, s17, s9
	s_sub_i32 s17, s16, s17
	s_sub_i32 s20, s17, s9
	s_cmp_ge_u32 s17, s9
	s_cselect_b32 s17, s20, s17
	s_sub_i32 s20, s17, s9
	s_cmp_ge_u32 s17, s9
	s_cselect_b32 s17, s20, s17
	s_sub_i32 s51, s16, s17
	v_cmp_gt_u32_e32 vcc, s51, v0
	s_mov_b64 s[16:17], 0
                                        ; implicit-def: $vgpr35
	s_and_saveexec_b64 s[46:47], vcc
	s_cbranch_execz .LBB56_169
; %bb.160:                              ;   in Loop: Header=BB56_6 Depth=1
	v_mov_b32_e32 v4, v19
	v_mov_b32_e32 v5, v0
                                        ; implicit-def: $sgpr48_sgpr49
	s_branch .LBB56_162
.LBB56_161:                             ;   in Loop: Header=BB56_162 Depth=2
	s_or_b64 exec, exec, s[20:21]
	s_waitcnt lgkmcnt(0)
	s_barrier
	ds_read_b32 v10, v11 offset:3072
	v_add_u32_e32 v5, s9, v5
	v_cmp_le_u32_e64 s[20:21], s51, v5
	v_add_u32_e32 v4, s5, v4
	s_waitcnt lgkmcnt(0)
	v_cmp_ne_u16_e32 vcc, 0, v10
	s_or_b64 s[20:21], s[20:21], vcc
	s_and_b64 s[20:21], exec, s[20:21]
	s_or_b64 s[16:17], s[20:21], s[16:17]
	s_andn2_b64 s[20:21], s[48:49], exec
	s_and_b64 s[48:49], vcc, exec
	s_or_b64 s[48:49], s[20:21], s[48:49]
	s_barrier
	s_andn2_b64 exec, exec, s[16:17]
	s_cbranch_execz .LBB56_168
.LBB56_162:                             ;   Parent Loop BB56_6 Depth=1
                                        ; =>  This Inner Loop Header: Depth=2
	v_cmp_gt_u32_e32 vcc, s50, v5
	v_mov_b32_e32 v10, 0
	s_and_saveexec_b64 s[20:21], vcc
	s_cbranch_execz .LBB56_164
; %bb.163:                              ;   in Loop: Header=BB56_162 Depth=2
	ds_read_u16 v10, v4
.LBB56_164:                             ;   in Loop: Header=BB56_162 Depth=2
	s_or_b64 exec, exec, s[20:21]
	s_and_saveexec_b64 s[20:21], vcc
	s_cbranch_execz .LBB56_161
; %bb.165:                              ;   in Loop: Header=BB56_162 Depth=2
	s_waitcnt lgkmcnt(0)
	v_add_u32_sdwa v35, sext(v10), s12 dst_sel:DWORD dst_unused:UNUSED_PAD src0_sel:WORD_0 src1_sel:DWORD
	v_and_b32_e32 v35, v35, v3
	v_cmp_eq_u32_e32 vcc, v35, v2
	s_and_b64 exec, exec, vcc
	s_cbranch_execz .LBB56_161
; %bb.166:                              ;   in Loop: Header=BB56_162 Depth=2
	v_perm_b32 v10, v10, 1, v30
	ds_write_b32 v11, v10 offset:3072
	s_branch .LBB56_161
.LBB56_167:                             ;   in Loop: Header=BB56_6 Depth=1
	s_mov_b64 s[46:47], -1
	s_mov_b64 s[16:17], 0
                                        ; implicit-def: $sgpr48_sgpr49
                                        ; implicit-def: $vgpr35
	s_mov_b64 s[50:51], s[46:47]
	s_cbranch_execnz .LBB56_170
	s_branch .LBB56_180
.LBB56_168:                             ;   in Loop: Header=BB56_6 Depth=1
	s_or_b64 exec, exec, s[16:17]
	v_lshrrev_b32_e32 v35, 16, v10
	s_and_b64 s[16:17], s[48:49], exec
.LBB56_169:                             ;   in Loop: Header=BB56_6 Depth=1
	s_or_b64 exec, exec, s[46:47]
	s_mov_b64 s[48:49], -1
	s_mov_b64 s[46:47], 0
	s_mov_b64 s[50:51], s[46:47]
	s_branch .LBB56_180
.LBB56_170:                             ;   in Loop: Header=BB56_6 Depth=1
	s_mov_b64 s[16:17], 0
                                        ; implicit-def: $vgpr35
	s_mov_b64 s[46:47], exec
	v_readlane_b32 s20, v52, 46
	v_readlane_b32 s21, v52, 47
	s_and_b64 s[20:21], s[46:47], s[20:21]
	s_mov_b64 exec, s[20:21]
	s_cbranch_execz .LBB56_179
; %bb.171:                              ;   in Loop: Header=BB56_6 Depth=1
	v_mov_b32_e32 v10, v12
	v_mov_b32_e32 v4, v0
                                        ; implicit-def: $sgpr48_sgpr49
	s_branch .LBB56_173
.LBB56_172:                             ;   in Loop: Header=BB56_173 Depth=2
	s_or_b64 exec, exec, s[20:21]
	s_waitcnt lgkmcnt(0)
	s_barrier
	s_waitcnt vmcnt(0)
	ds_read_b32 v5, v11 offset:3072
	v_add_u32_e32 v4, s9, v4
	v_cmp_le_u32_e64 s[20:21], s74, v4
	v_add_u32_e32 v10, s72, v10
	s_waitcnt lgkmcnt(0)
	v_cmp_ne_u16_e32 vcc, 0, v5
	s_or_b64 s[20:21], s[20:21], vcc
	s_and_b64 s[20:21], exec, s[20:21]
	s_or_b64 s[16:17], s[20:21], s[16:17]
	s_andn2_b64 s[20:21], s[48:49], exec
	s_and_b64 s[48:49], vcc, exec
	s_or_b64 s[48:49], s[20:21], s[48:49]
	s_barrier
	s_andn2_b64 exec, exec, s[16:17]
	s_cbranch_execz .LBB56_178
.LBB56_173:                             ;   Parent Loop BB56_6 Depth=1
                                        ; =>  This Inner Loop Header: Depth=2
	v_cmp_gt_u32_e32 vcc, s60, v4
	v_mov_b32_e32 v5, 0
	s_and_saveexec_b64 s[50:51], vcc
	s_cbranch_execz .LBB56_175
; %bb.174:                              ;   in Loop: Header=BB56_173 Depth=2
	v_lshlrev_b64 v[38:39], 1, v[10:11]
	v_mov_b32_e32 v5, s8
	v_add_co_u32_e64 v38, s[20:21], s33, v38
	v_addc_co_u32_e64 v39, s[20:21], v5, v39, s[20:21]
	global_load_ushort v5, v[38:39], off
.LBB56_175:                             ;   in Loop: Header=BB56_173 Depth=2
	s_or_b64 exec, exec, s[50:51]
	s_and_saveexec_b64 s[20:21], vcc
	s_cbranch_execz .LBB56_172
; %bb.176:                              ;   in Loop: Header=BB56_173 Depth=2
	s_waitcnt vmcnt(0)
	v_add_u32_sdwa v35, sext(v5), s12 dst_sel:DWORD dst_unused:UNUSED_PAD src0_sel:WORD_0 src1_sel:DWORD
	v_and_b32_e32 v35, v35, v3
	v_cmp_eq_u32_e32 vcc, v35, v2
	s_and_b64 exec, exec, vcc
	s_cbranch_execz .LBB56_172
; %bb.177:                              ;   in Loop: Header=BB56_173 Depth=2
	v_perm_b32 v5, v5, 1, v30
	ds_write_b32 v11, v5 offset:3072
	s_branch .LBB56_172
.LBB56_178:                             ;   in Loop: Header=BB56_6 Depth=1
	s_or_b64 exec, exec, s[16:17]
	v_lshrrev_b32_e32 v35, 16, v5
	s_and_b64 s[16:17], s[48:49], exec
.LBB56_179:                             ;   in Loop: Header=BB56_6 Depth=1
	s_or_b64 exec, exec, s[46:47]
	s_mov_b64 s[50:51], -1
	s_mov_b64 s[46:47], 0
	s_mov_b64 s[48:49], 0
.LBB56_180:                             ;   in Loop: Header=BB56_6 Depth=1
	s_orn2_b64 s[20:21], s[16:17], exec
.LBB56_181:                             ;   in Loop: Header=BB56_6 Depth=1
	s_or_b64 exec, exec, s[52:53]
	s_mov_b64 s[16:17], 0
                                        ; implicit-def: $vgpr5
	s_and_saveexec_b64 s[52:53], s[20:21]
	s_cbranch_execz .LBB56_234
; %bb.182:                              ;   in Loop: Header=BB56_6 Depth=1
	s_xor_b64 s[20:21], s[54:55], -1
	s_mov_b64 s[58:59], 0
	v_mov_b32_e32 v4, 1
	v_mov_b32_e32 v5, 1
	s_and_saveexec_b64 s[16:17], s[20:21]
	s_cbranch_execz .LBB56_192
; %bb.183:                              ;   in Loop: Header=BB56_6 Depth=1
	v_cmp_ge_u32_e32 vcc, s63, v36
                                        ; implicit-def: $sgpr56
                                        ; implicit-def: $sgpr20_sgpr21
	s_and_saveexec_b64 s[54:55], vcc
	s_xor_b64 s[54:55], exec, s[54:55]
	s_cbranch_execz .LBB56_189
; %bb.184:                              ;   in Loop: Header=BB56_6 Depth=1
	ds_read_b32 v4, v11 offset:4096
	s_waitcnt lgkmcnt(0)
	v_cmp_ne_u32_e32 vcc, 0, v4
	s_cbranch_vccnz .LBB56_188
; %bb.185:                              ;   in Loop: Header=BB56_6 Depth=1
	s_mov_b64 s[20:21], exec
	v_readlane_b32 s56, v52, 4
	v_readlane_b32 s57, v52, 5
	s_and_b64 s[56:57], s[20:21], s[56:57]
	s_mov_b64 exec, s[56:57]
	s_cbranch_execz .LBB56_187
; %bb.186:                              ;   in Loop: Header=BB56_6 Depth=1
	v_mov_b32_e32 v4, s63
	ds_write_b32 v11, v4 offset:4100
.LBB56_187:                             ;   in Loop: Header=BB56_6 Depth=1
	s_or_b64 exec, exec, s[20:21]
	s_waitcnt lgkmcnt(0)
	s_barrier
.LBB56_188:                             ;   in Loop: Header=BB56_6 Depth=1
	v_and_b32_e32 v2, s10, v2
	v_lshl_or_b32 v2, 2, s62, v2
	v_or_b32_e32 v3, s68, v3
	s_mov_b64 s[20:21], 0
	s_mov_b32 s56, 8
.LBB56_189:                             ;   in Loop: Header=BB56_6 Depth=1
	s_or_saveexec_b64 s[54:55], s[54:55]
	v_mov_b32_e32 v5, s56
	s_xor_b64 exec, exec, s[54:55]
; %bb.190:                              ;   in Loop: Header=BB56_6 Depth=1
	v_subrev_u32_e32 v36, s63, v36
	v_mov_b32_e32 v5, 0
	s_or_b64 s[20:21], s[20:21], exec
; %bb.191:                              ;   in Loop: Header=BB56_6 Depth=1
	s_or_b64 exec, exec, s[54:55]
	s_and_b64 s[58:59], s[20:21], exec
	v_mov_b32_e32 v4, v36
.LBB56_192:                             ;   in Loop: Header=BB56_6 Depth=1
	s_or_b64 exec, exec, s[16:17]
	s_mov_b64 s[56:57], -1
                                        ; implicit-def: $sgpr16_sgpr17
                                        ; implicit-def: $sgpr76_sgpr77
                                        ; implicit-def: $sgpr20_sgpr21
	s_and_saveexec_b64 s[54:55], s[58:59]
	s_cbranch_execz .LBB56_233
; %bb.193:                              ;   in Loop: Header=BB56_6 Depth=1
	s_cmp_eq_u32 s70, 1
	s_cselect_b64 s[16:17], -1, 0
	v_cmp_eq_u32_e32 vcc, 1, v4
	s_mov_b64 s[78:79], -1
	s_and_b64 s[56:57], s[16:17], vcc
                                        ; implicit-def: $sgpr16_sgpr17
                                        ; implicit-def: $sgpr76_sgpr77
                                        ; implicit-def: $sgpr20_sgpr21
	s_mov_b64 s[58:59], exec
	v_writelane_b32 v52, s56, 49
	v_writelane_b32 v52, s57, 50
	s_and_b64 s[56:57], s[58:59], s[56:57]
	s_mov_b64 exec, s[56:57]
	s_cbranch_execz .LBB56_220
; %bb.194:                              ;   in Loop: Header=BB56_6 Depth=1
	ds_read_b32 v5, v11 offset:4096
	s_waitcnt lgkmcnt(0)
	s_barrier
	v_readfirstlane_b32 s71, v5
	s_mov_b64 s[16:17], exec
	v_readlane_b32 s20, v52, 30
	v_readlane_b32 s21, v52, 31
	s_and_b64 s[20:21], s[16:17], s[20:21]
	s_mov_b64 exec, s[20:21]
	s_cbranch_execz .LBB56_196
; %bb.195:                              ;   in Loop: Header=BB56_6 Depth=1
	ds_write_b16 v20, v11
.LBB56_196:                             ;   in Loop: Header=BB56_6 Depth=1
	s_or_b64 exec, exec, s[16:17]
	v_or_b32_e32 v2, s68, v2
	v_or_b32_e32 v3, s68, v3
	s_cmp_eq_u32 s71, 0
	s_waitcnt lgkmcnt(0)
	s_barrier
	s_cbranch_scc1 .LBB56_205
; %bb.197:                              ;   in Loop: Header=BB56_6 Depth=1
	v_readlane_b32 s16, v52, 23
	s_add_i32 s16, s71, s16
	v_readlane_b32 s17, v52, 45
	s_mul_hi_u32 s17, s16, s17
	s_mul_i32 s17, s17, s9
	s_sub_i32 s17, s16, s17
	s_sub_i32 s20, s17, s9
	s_cmp_ge_u32 s17, s9
	s_cselect_b32 s17, s20, s17
	s_sub_i32 s20, s17, s9
	s_cmp_ge_u32 s17, s9
	s_cselect_b32 s17, s20, s17
	s_sub_i32 s56, s16, s17
	s_mov_b64 s[78:79], 0
	v_cmp_gt_u32_e32 vcc, s56, v0
                                        ; implicit-def: $vgpr35
	s_mov_b64 s[16:17], exec
	v_writelane_b32 v52, s16, 51
	s_and_b64 s[20:21], s[16:17], vcc
	v_writelane_b32 v52, s17, 52
	s_mov_b64 exec, s[20:21]
	s_cbranch_execz .LBB56_207
; %bb.198:                              ;   in Loop: Header=BB56_6 Depth=1
	s_mov_b64 s[76:77], 0
	v_mov_b32_e32 v5, v19
	v_mov_b32_e32 v10, v0
                                        ; implicit-def: $sgpr78_sgpr79
	s_branch .LBB56_200
.LBB56_199:                             ;   in Loop: Header=BB56_200 Depth=2
	s_or_b64 exec, exec, s[20:21]
	s_waitcnt lgkmcnt(0)
	s_barrier
	ds_read_b32 v35, v11 offset:3072
	v_add_u32_e32 v10, s9, v10
	v_cmp_le_u32_e64 s[20:21], s56, v10
	v_add_u32_e32 v5, s5, v5
	s_waitcnt lgkmcnt(0)
	v_cmp_ne_u16_e32 vcc, 0, v35
	s_or_b64 s[16:17], s[20:21], vcc
	s_and_b64 s[16:17], exec, s[16:17]
	s_or_b64 s[76:77], s[16:17], s[76:77]
	s_andn2_b64 s[16:17], s[78:79], exec
	s_and_b64 s[20:21], vcc, exec
	s_or_b64 s[78:79], s[16:17], s[20:21]
	s_barrier
	s_andn2_b64 exec, exec, s[76:77]
	s_cbranch_execz .LBB56_206
.LBB56_200:                             ;   Parent Loop BB56_6 Depth=1
                                        ; =>  This Inner Loop Header: Depth=2
	v_cmp_gt_u32_e32 vcc, s71, v10
	v_mov_b32_e32 v35, 0
	s_and_saveexec_b64 s[20:21], vcc
	s_cbranch_execz .LBB56_202
; %bb.201:                              ;   in Loop: Header=BB56_200 Depth=2
	ds_read_u16 v35, v5
.LBB56_202:                             ;   in Loop: Header=BB56_200 Depth=2
	s_or_b64 exec, exec, s[20:21]
	s_and_saveexec_b64 s[20:21], vcc
	s_cbranch_execz .LBB56_199
; %bb.203:                              ;   in Loop: Header=BB56_200 Depth=2
	s_waitcnt lgkmcnt(0)
	v_add_u32_sdwa v36, sext(v35), s12 dst_sel:DWORD dst_unused:UNUSED_PAD src0_sel:WORD_0 src1_sel:DWORD
	v_and_b32_e32 v36, v36, v3
	v_cmp_eq_u32_e32 vcc, v36, v2
	s_and_b64 exec, exec, vcc
	s_cbranch_execz .LBB56_199
; %bb.204:                              ;   in Loop: Header=BB56_200 Depth=2
	v_perm_b32 v35, v35, 1, v30
	ds_write_b32 v11, v35 offset:3072
	s_branch .LBB56_199
.LBB56_205:                             ;   in Loop: Header=BB56_6 Depth=1
	s_mov_b64 s[16:17], -1
	s_mov_b64 s[78:79], 0
                                        ; implicit-def: $sgpr20_sgpr21
                                        ; implicit-def: $vgpr35
	s_branch .LBB56_208
.LBB56_206:                             ;   in Loop: Header=BB56_6 Depth=1
	s_or_b64 exec, exec, s[76:77]
	v_lshrrev_b32_e32 v35, 16, v35
	s_and_b64 s[78:79], s[78:79], exec
.LBB56_207:                             ;   in Loop: Header=BB56_6 Depth=1
	v_readlane_b32 s16, v52, 51
	v_readlane_b32 s17, v52, 52
	s_or_b64 exec, exec, s[16:17]
	s_mov_b64 s[20:21], -1
	s_mov_b64 s[16:17], 0
.LBB56_208:                             ;   in Loop: Header=BB56_6 Depth=1
	s_and_b64 vcc, exec, s[16:17]
	s_mov_b64 s[76:77], s[16:17]
	s_cbranch_vccz .LBB56_219
; %bb.209:                              ;   in Loop: Header=BB56_6 Depth=1
	s_mov_b64 s[78:79], 0
                                        ; implicit-def: $vgpr35
	s_mov_b64 s[56:57], exec
	v_readlane_b32 s16, v52, 46
	v_readlane_b32 s17, v52, 47
	s_and_b64 s[16:17], s[56:57], s[16:17]
	s_mov_b64 exec, s[16:17]
	s_cbranch_execz .LBB56_218
; %bb.210:                              ;   in Loop: Header=BB56_6 Depth=1
	s_mov_b64 s[76:77], 0
	v_mov_b32_e32 v10, v12
	v_mov_b32_e32 v5, v0
                                        ; implicit-def: $sgpr78_sgpr79
	s_branch .LBB56_212
.LBB56_211:                             ;   in Loop: Header=BB56_212 Depth=2
	s_or_b64 exec, exec, s[16:17]
	s_waitcnt lgkmcnt(0)
	s_barrier
	s_waitcnt vmcnt(0)
	ds_read_b32 v35, v11 offset:3072
	v_add_u32_e32 v5, s9, v5
	v_cmp_le_u32_e64 s[20:21], s74, v5
	v_add_u32_e32 v10, s72, v10
	s_waitcnt lgkmcnt(0)
	v_cmp_ne_u16_e32 vcc, 0, v35
	s_or_b64 s[16:17], s[20:21], vcc
	s_and_b64 s[16:17], exec, s[16:17]
	s_or_b64 s[76:77], s[16:17], s[76:77]
	s_andn2_b64 s[16:17], s[78:79], exec
	s_and_b64 s[20:21], vcc, exec
	s_or_b64 s[78:79], s[16:17], s[20:21]
	s_barrier
	s_andn2_b64 exec, exec, s[76:77]
	s_cbranch_execz .LBB56_217
.LBB56_212:                             ;   Parent Loop BB56_6 Depth=1
                                        ; =>  This Inner Loop Header: Depth=2
	v_cmp_gt_u32_e32 vcc, s60, v5
	v_mov_b32_e32 v35, 0
	s_and_saveexec_b64 s[16:17], vcc
	s_cbranch_execz .LBB56_214
; %bb.213:                              ;   in Loop: Header=BB56_212 Depth=2
	v_lshlrev_b64 v[36:37], 1, v[10:11]
	v_mov_b32_e32 v35, s8
	v_add_co_u32_e64 v36, s[20:21], s33, v36
	v_addc_co_u32_e64 v37, s[20:21], v35, v37, s[20:21]
	global_load_ushort v35, v[36:37], off
.LBB56_214:                             ;   in Loop: Header=BB56_212 Depth=2
	s_or_b64 exec, exec, s[16:17]
	s_and_saveexec_b64 s[16:17], vcc
	s_cbranch_execz .LBB56_211
; %bb.215:                              ;   in Loop: Header=BB56_212 Depth=2
	s_waitcnt vmcnt(0)
	v_add_u32_sdwa v36, sext(v35), s12 dst_sel:DWORD dst_unused:UNUSED_PAD src0_sel:WORD_0 src1_sel:DWORD
	v_and_b32_e32 v36, v36, v3
	v_cmp_eq_u32_e32 vcc, v36, v2
	s_and_b64 exec, exec, vcc
	s_cbranch_execz .LBB56_211
; %bb.216:                              ;   in Loop: Header=BB56_212 Depth=2
	v_perm_b32 v35, v35, 1, v30
	ds_write_b32 v11, v35 offset:3072
	s_branch .LBB56_211
.LBB56_217:                             ;   in Loop: Header=BB56_6 Depth=1
	s_or_b64 exec, exec, s[76:77]
	v_lshrrev_b32_e32 v35, 16, v35
	s_and_b64 s[78:79], s[78:79], exec
.LBB56_218:                             ;   in Loop: Header=BB56_6 Depth=1
	s_or_b64 exec, exec, s[56:57]
	s_mov_b64 s[76:77], -1
	s_mov_b64 s[16:17], 0
	s_mov_b64 s[20:21], 0
.LBB56_219:                             ;   in Loop: Header=BB56_6 Depth=1
	s_orn2_b64 s[78:79], s[78:79], exec
.LBB56_220:                             ;   in Loop: Header=BB56_6 Depth=1
	s_or_b64 exec, exec, s[58:59]
	s_mov_b64 vcc, 0
                                        ; implicit-def: $vgpr5
                                        ; implicit-def: $vgpr10
	s_and_saveexec_b64 s[58:59], s[78:79]
	s_cbranch_execz .LBB56_232
; %bb.221:                              ;   in Loop: Header=BB56_6 Depth=1
	v_readlane_b32 s56, v52, 49
	v_readlane_b32 s57, v52, 50
	s_xor_b64 s[78:79], s[56:57], -1
	v_mov_b32_e32 v5, 1
	v_mov_b32_e32 v10, 1
	s_and_saveexec_b64 s[56:57], s[78:79]
	s_cbranch_execz .LBB56_231
; %bb.222:                              ;   in Loop: Header=BB56_6 Depth=1
	v_cmp_ge_u32_e32 vcc, s70, v4
                                        ; implicit-def: $sgpr71
	s_and_saveexec_b64 s[78:79], vcc
	s_xor_b64 s[78:79], exec, s[78:79]
	s_cbranch_execz .LBB56_228
; %bb.223:                              ;   in Loop: Header=BB56_6 Depth=1
	ds_read_b32 v5, v11 offset:4096
	s_waitcnt lgkmcnt(0)
	v_cmp_ne_u32_e32 vcc, 0, v5
	s_cbranch_vccnz .LBB56_227
; %bb.224:                              ;   in Loop: Header=BB56_6 Depth=1
	v_writelane_b32 v52, s78, 53
	v_writelane_b32 v52, s79, 54
	s_mov_b64 s[78:79], exec
	v_writelane_b32 v52, s78, 55
	v_writelane_b32 v52, s79, 56
	v_readlane_b32 vcc_lo, v52, 4
	v_readlane_b32 s78, v52, 55
	v_readlane_b32 vcc_hi, v52, 5
	v_readlane_b32 s79, v52, 56
	s_and_b64 vcc, s[78:79], vcc
	s_mov_b64 exec, vcc
	s_cbranch_execz .LBB56_226
; %bb.225:                              ;   in Loop: Header=BB56_6 Depth=1
	v_mov_b32_e32 v5, s70
	ds_write_b32 v11, v5 offset:4100
.LBB56_226:                             ;   in Loop: Header=BB56_6 Depth=1
	v_readlane_b32 vcc_lo, v52, 55
	v_readlane_b32 vcc_hi, v52, 56
	s_or_b64 exec, exec, vcc
	v_readlane_b32 s78, v52, 53
	v_readlane_b32 s79, v52, 54
	s_waitcnt lgkmcnt(0)
	s_barrier
.LBB56_227:                             ;   in Loop: Header=BB56_6 Depth=1
	v_or_b32_e32 v2, s68, v2
	v_or_b32_e32 v3, s68, v3
	s_mov_b32 s71, 8
.LBB56_228:                             ;   in Loop: Header=BB56_6 Depth=1
	s_or_saveexec_b64 s[78:79], s[78:79]
	v_mov_b32_e32 v5, s71
	s_xor_b64 exec, exec, s[78:79]
; %bb.229:                              ;   in Loop: Header=BB56_6 Depth=1
	v_subrev_u32_e32 v4, s70, v4
	v_mov_b32_e32 v5, 8
; %bb.230:                              ;   in Loop: Header=BB56_6 Depth=1
	s_or_b64 exec, exec, s[78:79]
	v_mov_b32_e32 v10, v4
.LBB56_231:                             ;   in Loop: Header=BB56_6 Depth=1
	s_or_b64 exec, exec, s[56:57]
	s_mov_b64 vcc, exec
.LBB56_232:                             ;   in Loop: Header=BB56_6 Depth=1
	s_or_b64 exec, exec, s[58:59]
	s_orn2_b64 s[56:57], vcc, exec
	v_mov_b32_e32 v4, v10
.LBB56_233:                             ;   in Loop: Header=BB56_6 Depth=1
	s_or_b64 exec, exec, s[54:55]
	s_andn2_b64 s[46:47], s[46:47], exec
	s_and_b64 s[16:17], s[16:17], exec
	s_or_b64 s[46:47], s[46:47], s[16:17]
	s_andn2_b64 s[16:17], s[50:51], exec
	s_and_b64 s[50:51], s[76:77], exec
	s_or_b64 s[50:51], s[16:17], s[50:51]
	;; [unrolled: 3-line block ×3, first 2 shown]
	s_and_b64 s[16:17], s[56:57], exec
	v_mov_b32_e32 v36, v4
.LBB56_234:                             ;   in Loop: Header=BB56_6 Depth=1
	s_or_b64 exec, exec, s[52:53]
	s_and_b64 s[52:53], s[46:47], exec
	s_and_b64 s[46:47], s[50:51], exec
	;; [unrolled: 1-line block ×3, first 2 shown]
	s_orn2_b64 s[16:17], s[16:17], exec
.LBB56_235:                             ;   in Loop: Header=BB56_6 Depth=1
	s_or_b64 exec, exec, s[44:45]
	s_andn2_b64 s[36:37], s[36:37], exec
	s_and_b64 s[44:45], s[52:53], exec
	s_or_b64 s[36:37], s[36:37], s[44:45]
	s_andn2_b64 s[40:41], s[40:41], exec
	s_and_b64 s[44:45], s[46:47], exec
	s_andn2_b64 s[38:39], s[38:39], exec
	s_and_b64 s[20:21], s[20:21], exec
	s_or_b64 s[40:41], s[40:41], s[44:45]
	s_or_b64 s[38:39], s[38:39], s[20:21]
	s_and_b64 s[20:21], s[16:17], exec
	v_mov_b32_e32 v4, v36
.LBB56_236:                             ;   in Loop: Header=BB56_6 Depth=1
	s_or_b64 exec, exec, s[42:43]
	s_and_b64 s[42:43], s[36:37], exec
	s_and_b64 s[36:37], s[40:41], exec
	;; [unrolled: 1-line block ×3, first 2 shown]
	s_orn2_b64 s[38:39], s[20:21], exec
.LBB56_237:                             ;   in Loop: Header=BB56_6 Depth=1
	s_or_b64 exec, exec, s[24:25]
	s_mov_b64 s[24:25], 0
	s_mov_b64 s[20:21], 0
	s_and_saveexec_b64 s[40:41], s[38:39]
	s_xor_b64 s[38:39], exec, s[40:41]
; %bb.238:                              ;   in Loop: Header=BB56_6 Depth=1
	v_cmp_eq_u32_e32 vcc, 8, v5
	v_cmp_ne_u32_e64 s[20:21], 8, v5
	s_andn2_b64 s[42:43], s[42:43], exec
	s_andn2_b64 s[36:37], s[36:37], exec
	;; [unrolled: 1-line block ×3, first 2 shown]
	s_and_b64 s[20:21], s[20:21], exec
	s_and_b64 s[24:25], vcc, exec
; %bb.239:                              ;   in Loop: Header=BB56_6 Depth=1
	s_or_b64 exec, exec, s[38:39]
	s_andn2_b64 s[22:23], s[22:23], exec
	s_and_b64 s[38:39], s[42:43], exec
	s_andn2_b64 s[28:29], s[28:29], exec
	s_and_b64 s[36:37], s[36:37], exec
	;; [unrolled: 2-line block ×3, first 2 shown]
	s_or_b64 s[22:23], s[22:23], s[38:39]
	s_or_b64 s[28:29], s[28:29], s[36:37]
	;; [unrolled: 1-line block ×3, first 2 shown]
	s_and_b64 s[20:21], s[20:21], exec
	s_and_b64 s[24:25], s[24:25], exec
.LBB56_240:                             ;   in Loop: Header=BB56_6 Depth=1
	s_or_b64 exec, exec, s[34:35]
	s_and_b64 vcc, exec, s[30:31]
	s_cbranch_vccz .LBB56_90
.LBB56_241:                             ;   in Loop: Header=BB56_6 Depth=1
	s_cmp_eq_u32 s70, 1
	s_cselect_b64 s[16:17], -1, 0
	s_and_b64 s[28:29], s[16:17], s[18:19]
	s_mov_b64 s[16:17], -1
                                        ; implicit-def: $sgpr30_sgpr31
                                        ; implicit-def: $sgpr34_sgpr35
                                        ; implicit-def: $sgpr22_sgpr23
	s_and_saveexec_b64 s[26:27], s[28:29]
	s_cbranch_execz .LBB56_267
; %bb.242:                              ;   in Loop: Header=BB56_6 Depth=1
	ds_read_b32 v2, v11 offset:4096
	s_waitcnt lgkmcnt(0)
	s_barrier
	v_readfirstlane_b32 s34, v2
	s_mov_b64 s[16:17], exec
	v_readlane_b32 s18, v52, 30
	v_readlane_b32 s19, v52, 31
	s_and_b64 s[18:19], s[16:17], s[18:19]
	s_mov_b64 exec, s[18:19]
	s_cbranch_execz .LBB56_244
; %bb.243:                              ;   in Loop: Header=BB56_6 Depth=1
	ds_write_b16 v20, v11
.LBB56_244:                             ;   in Loop: Header=BB56_6 Depth=1
	s_or_b64 exec, exec, s[16:17]
	v_or_b32_e32 v32, s68, v32
	v_or_b32_e32 v31, s68, v31
	s_cmp_eq_u32 s34, 0
	s_waitcnt lgkmcnt(0)
	s_barrier
	s_cbranch_scc1 .LBB56_253
; %bb.245:                              ;   in Loop: Header=BB56_6 Depth=1
	v_readlane_b32 s16, v52, 23
	s_add_i32 s16, s34, s16
	v_readlane_b32 s17, v52, 45
	s_mul_hi_u32 s17, s16, s17
	s_mul_i32 s17, s17, s9
	s_sub_i32 s17, s16, s17
	s_sub_i32 s18, s17, s9
	s_cmp_ge_u32 s17, s9
	s_cselect_b32 s17, s18, s17
	s_sub_i32 s18, s17, s9
	s_cmp_ge_u32 s17, s9
	s_cselect_b32 s17, s18, s17
	s_sub_i32 s35, s16, s17
	v_cmp_gt_u32_e32 vcc, s35, v0
	s_mov_b64 s[16:17], 0
                                        ; implicit-def: $vgpr33
	s_and_saveexec_b64 s[22:23], vcc
	s_cbranch_execz .LBB56_255
; %bb.246:                              ;   in Loop: Header=BB56_6 Depth=1
	v_mov_b32_e32 v2, v19
	v_mov_b32_e32 v3, v0
                                        ; implicit-def: $sgpr30_sgpr31
	s_branch .LBB56_248
.LBB56_247:                             ;   in Loop: Header=BB56_248 Depth=2
	s_or_b64 exec, exec, s[18:19]
	s_waitcnt lgkmcnt(0)
	s_barrier
	ds_read_b32 v4, v11 offset:3072
	v_add_u32_e32 v3, s9, v3
	v_cmp_le_u32_e64 s[18:19], s35, v3
	v_add_u32_e32 v2, s5, v2
	s_waitcnt lgkmcnt(0)
	v_cmp_ne_u16_e32 vcc, 0, v4
	s_or_b64 s[18:19], s[18:19], vcc
	s_and_b64 s[18:19], exec, s[18:19]
	s_or_b64 s[16:17], s[18:19], s[16:17]
	s_andn2_b64 s[18:19], s[30:31], exec
	s_and_b64 s[30:31], vcc, exec
	s_or_b64 s[30:31], s[18:19], s[30:31]
	s_barrier
	s_andn2_b64 exec, exec, s[16:17]
	s_cbranch_execz .LBB56_254
.LBB56_248:                             ;   Parent Loop BB56_6 Depth=1
                                        ; =>  This Inner Loop Header: Depth=2
	v_cmp_gt_u32_e32 vcc, s34, v3
	v_mov_b32_e32 v4, 0
	s_and_saveexec_b64 s[18:19], vcc
	s_cbranch_execz .LBB56_250
; %bb.249:                              ;   in Loop: Header=BB56_248 Depth=2
	ds_read_u16 v4, v2
.LBB56_250:                             ;   in Loop: Header=BB56_248 Depth=2
	s_or_b64 exec, exec, s[18:19]
	s_and_saveexec_b64 s[18:19], vcc
	s_cbranch_execz .LBB56_247
; %bb.251:                              ;   in Loop: Header=BB56_248 Depth=2
	s_waitcnt lgkmcnt(0)
	v_add_u32_sdwa v5, sext(v4), s12 dst_sel:DWORD dst_unused:UNUSED_PAD src0_sel:WORD_0 src1_sel:DWORD
	v_and_b32_e32 v5, v5, v31
	v_cmp_eq_u32_e32 vcc, v5, v32
	s_and_b64 exec, exec, vcc
	s_cbranch_execz .LBB56_247
; %bb.252:                              ;   in Loop: Header=BB56_248 Depth=2
	v_perm_b32 v4, v4, 1, v30
	ds_write_b32 v11, v4 offset:3072
	s_branch .LBB56_247
.LBB56_253:                             ;   in Loop: Header=BB56_6 Depth=1
	s_mov_b64 s[30:31], -1
	s_mov_b64 s[16:17], 0
                                        ; implicit-def: $sgpr34_sgpr35
                                        ; implicit-def: $vgpr33
	s_mov_b64 s[22:23], s[30:31]
	s_cbranch_execnz .LBB56_256
	s_branch .LBB56_266
.LBB56_254:                             ;   in Loop: Header=BB56_6 Depth=1
	s_or_b64 exec, exec, s[16:17]
	v_lshrrev_b32_e32 v33, 16, v4
	s_and_b64 s[16:17], s[30:31], exec
.LBB56_255:                             ;   in Loop: Header=BB56_6 Depth=1
	s_or_b64 exec, exec, s[22:23]
	s_mov_b64 s[30:31], 0
	s_mov_b64 s[34:35], -1
	s_mov_b64 s[22:23], s[30:31]
	s_branch .LBB56_266
.LBB56_256:                             ;   in Loop: Header=BB56_6 Depth=1
	s_mov_b64 s[16:17], 0
                                        ; implicit-def: $vgpr33
	s_mov_b64 s[22:23], exec
	v_readlane_b32 s18, v52, 46
	v_readlane_b32 s19, v52, 47
	s_and_b64 s[18:19], s[22:23], s[18:19]
	s_mov_b64 exec, s[18:19]
	s_cbranch_execz .LBB56_265
; %bb.257:                              ;   in Loop: Header=BB56_6 Depth=1
	v_mov_b32_e32 v10, v12
	v_mov_b32_e32 v2, v0
                                        ; implicit-def: $sgpr30_sgpr31
	s_branch .LBB56_259
.LBB56_258:                             ;   in Loop: Header=BB56_259 Depth=2
	s_or_b64 exec, exec, s[18:19]
	s_waitcnt lgkmcnt(0)
	s_barrier
	s_waitcnt vmcnt(0)
	ds_read_b32 v3, v11 offset:3072
	v_add_u32_e32 v2, s9, v2
	v_cmp_le_u32_e64 s[18:19], s74, v2
	v_add_u32_e32 v10, s72, v10
	s_waitcnt lgkmcnt(0)
	v_cmp_ne_u16_e32 vcc, 0, v3
	s_or_b64 s[18:19], s[18:19], vcc
	s_and_b64 s[18:19], exec, s[18:19]
	s_or_b64 s[16:17], s[18:19], s[16:17]
	s_andn2_b64 s[18:19], s[30:31], exec
	s_and_b64 s[30:31], vcc, exec
	s_or_b64 s[30:31], s[18:19], s[30:31]
	s_barrier
	s_andn2_b64 exec, exec, s[16:17]
	s_cbranch_execz .LBB56_264
.LBB56_259:                             ;   Parent Loop BB56_6 Depth=1
                                        ; =>  This Inner Loop Header: Depth=2
	v_cmp_gt_u32_e32 vcc, s60, v2
	v_mov_b32_e32 v3, 0
	s_and_saveexec_b64 s[34:35], vcc
	s_cbranch_execz .LBB56_261
; %bb.260:                              ;   in Loop: Header=BB56_259 Depth=2
	v_lshlrev_b64 v[4:5], 1, v[10:11]
	v_mov_b32_e32 v3, s8
	v_add_co_u32_e64 v4, s[18:19], s33, v4
	v_addc_co_u32_e64 v5, s[18:19], v3, v5, s[18:19]
	global_load_ushort v3, v[4:5], off
.LBB56_261:                             ;   in Loop: Header=BB56_259 Depth=2
	s_or_b64 exec, exec, s[34:35]
	s_and_saveexec_b64 s[18:19], vcc
	s_cbranch_execz .LBB56_258
; %bb.262:                              ;   in Loop: Header=BB56_259 Depth=2
	s_waitcnt vmcnt(0)
	v_add_u32_sdwa v4, sext(v3), s12 dst_sel:DWORD dst_unused:UNUSED_PAD src0_sel:WORD_0 src1_sel:DWORD
	v_and_b32_e32 v4, v4, v31
	v_cmp_eq_u32_e32 vcc, v4, v32
	s_and_b64 exec, exec, vcc
	s_cbranch_execz .LBB56_258
; %bb.263:                              ;   in Loop: Header=BB56_259 Depth=2
	v_perm_b32 v3, v3, 1, v30
	ds_write_b32 v11, v3 offset:3072
	s_branch .LBB56_258
.LBB56_264:                             ;   in Loop: Header=BB56_6 Depth=1
	s_or_b64 exec, exec, s[16:17]
	v_lshrrev_b32_e32 v33, 16, v3
	s_and_b64 s[16:17], s[30:31], exec
.LBB56_265:                             ;   in Loop: Header=BB56_6 Depth=1
	s_or_b64 exec, exec, s[22:23]
	s_mov_b64 s[34:35], 0
	s_mov_b64 s[30:31], -1
	s_mov_b64 s[22:23], 0
.LBB56_266:                             ;   in Loop: Header=BB56_6 Depth=1
	s_orn2_b64 s[16:17], s[16:17], exec
.LBB56_267:                             ;   in Loop: Header=BB56_6 Depth=1
	s_or_b64 exec, exec, s[26:27]
                                        ; implicit-def: $vgpr5
                                        ; implicit-def: $vgpr4
                                        ; implicit-def: $vgpr2
                                        ; implicit-def: $vgpr3
                                        ; implicit-def: $vgpr35
	s_and_saveexec_b64 s[26:27], s[16:17]
	s_cbranch_execz .LBB56_402
; %bb.268:                              ;   in Loop: Header=BB56_6 Depth=1
	s_xor_b64 s[28:29], s[28:29], -1
	s_mov_b64 s[18:19], 0
	v_mov_b32_e32 v4, 1
	v_mov_b32_e32 v5, 1
	s_and_saveexec_b64 s[16:17], s[28:29]
	s_cbranch_execz .LBB56_278
; %bb.269:                              ;   in Loop: Header=BB56_6 Depth=1
	v_cmp_ge_u32_e32 vcc, s70, v34
                                        ; implicit-def: $sgpr36
                                        ; implicit-def: $sgpr18_sgpr19
	s_and_saveexec_b64 s[28:29], vcc
	s_xor_b64 s[28:29], exec, s[28:29]
	s_cbranch_execz .LBB56_275
; %bb.270:                              ;   in Loop: Header=BB56_6 Depth=1
	ds_read_b32 v2, v11 offset:4096
	s_waitcnt lgkmcnt(0)
	v_cmp_ne_u32_e32 vcc, 0, v2
	s_cbranch_vccnz .LBB56_274
; %bb.271:                              ;   in Loop: Header=BB56_6 Depth=1
	s_mov_b64 s[18:19], exec
	v_readlane_b32 s36, v52, 4
	v_readlane_b32 s37, v52, 5
	s_and_b64 s[36:37], s[18:19], s[36:37]
	s_mov_b64 exec, s[36:37]
	s_cbranch_execz .LBB56_273
; %bb.272:                              ;   in Loop: Header=BB56_6 Depth=1
	v_mov_b32_e32 v2, s70
	ds_write_b32 v11, v2 offset:4100
.LBB56_273:                             ;   in Loop: Header=BB56_6 Depth=1
	s_or_b64 exec, exec, s[18:19]
	s_waitcnt lgkmcnt(0)
	s_barrier
.LBB56_274:                             ;   in Loop: Header=BB56_6 Depth=1
	v_or_b32_e32 v32, s68, v32
	v_or_b32_e32 v31, s68, v31
	s_mov_b64 s[18:19], 0
	s_mov_b32 s36, 5
.LBB56_275:                             ;   in Loop: Header=BB56_6 Depth=1
	s_or_saveexec_b64 s[28:29], s[28:29]
	v_mov_b32_e32 v5, s36
	s_xor_b64 exec, exec, s[28:29]
; %bb.276:                              ;   in Loop: Header=BB56_6 Depth=1
	v_subrev_u32_e32 v34, s70, v34
	v_mov_b32_e32 v5, 0
	s_or_b64 s[18:19], s[18:19], exec
; %bb.277:                              ;   in Loop: Header=BB56_6 Depth=1
	s_or_b64 exec, exec, s[28:29]
	s_and_b64 s[18:19], s[18:19], exec
	v_mov_b32_e32 v4, v34
.LBB56_278:                             ;   in Loop: Header=BB56_6 Depth=1
	s_or_b64 exec, exec, s[16:17]
	s_mov_b64 s[38:39], -1
                                        ; implicit-def: $sgpr16_sgpr17
                                        ; implicit-def: $sgpr36_sgpr37
                                        ; implicit-def: $sgpr42_sgpr43
	s_and_saveexec_b64 s[28:29], s[18:19]
	s_xor_b64 s[28:29], exec, s[28:29]
	s_cbranch_execz .LBB56_399
; %bb.279:                              ;   in Loop: Header=BB56_6 Depth=1
	s_cmp_eq_u32 s63, 1
	s_cselect_b64 s[16:17], -1, 0
	v_cmp_eq_u32_e32 vcc, 1, v4
	s_and_b64 s[44:45], s[16:17], vcc
	s_mov_b64 s[16:17], -1
                                        ; implicit-def: $sgpr36_sgpr37
                                        ; implicit-def: $sgpr38_sgpr39
                                        ; implicit-def: $sgpr40_sgpr41
	s_and_saveexec_b64 s[42:43], s[44:45]
	s_cbranch_execz .LBB56_305
; %bb.280:                              ;   in Loop: Header=BB56_6 Depth=1
	ds_read_b32 v2, v11 offset:4096
	s_waitcnt lgkmcnt(0)
	s_barrier
	v_readfirstlane_b32 s40, v2
	s_mov_b64 s[16:17], exec
	v_readlane_b32 s18, v52, 30
	v_readlane_b32 s19, v52, 31
	s_and_b64 s[18:19], s[16:17], s[18:19]
	s_mov_b64 exec, s[18:19]
	s_cbranch_execz .LBB56_282
; %bb.281:                              ;   in Loop: Header=BB56_6 Depth=1
	ds_write_b16 v20, v11
.LBB56_282:                             ;   in Loop: Header=BB56_6 Depth=1
	s_or_b64 exec, exec, s[16:17]
	v_and_b32_e32 v2, s10, v32
	v_lshl_or_b32 v32, 2, s62, v2
	v_or_b32_e32 v31, s68, v31
	s_cmp_eq_u32 s40, 0
	s_waitcnt lgkmcnt(0)
	s_barrier
	s_cbranch_scc1 .LBB56_291
; %bb.283:                              ;   in Loop: Header=BB56_6 Depth=1
	v_readlane_b32 s16, v52, 23
	s_add_i32 s16, s40, s16
	v_readlane_b32 s17, v52, 45
	s_mul_hi_u32 s17, s16, s17
	s_mul_i32 s17, s17, s9
	s_sub_i32 s17, s16, s17
	s_sub_i32 s18, s17, s9
	s_cmp_ge_u32 s17, s9
	s_cselect_b32 s17, s18, s17
	s_sub_i32 s18, s17, s9
	s_cmp_ge_u32 s17, s9
	s_cselect_b32 s17, s18, s17
	s_sub_i32 s41, s16, s17
	v_cmp_gt_u32_e32 vcc, s41, v0
	s_mov_b64 s[16:17], 0
                                        ; implicit-def: $vgpr33
	s_and_saveexec_b64 s[36:37], vcc
	s_cbranch_execz .LBB56_293
; %bb.284:                              ;   in Loop: Header=BB56_6 Depth=1
	v_mov_b32_e32 v2, v19
	v_mov_b32_e32 v3, v0
                                        ; implicit-def: $sgpr38_sgpr39
	s_branch .LBB56_286
.LBB56_285:                             ;   in Loop: Header=BB56_286 Depth=2
	s_or_b64 exec, exec, s[18:19]
	s_waitcnt lgkmcnt(0)
	s_barrier
	ds_read_b32 v5, v11 offset:3072
	v_add_u32_e32 v3, s9, v3
	v_cmp_le_u32_e64 s[18:19], s41, v3
	v_add_u32_e32 v2, s5, v2
	s_waitcnt lgkmcnt(0)
	v_cmp_ne_u16_e32 vcc, 0, v5
	s_or_b64 s[18:19], s[18:19], vcc
	s_and_b64 s[18:19], exec, s[18:19]
	s_or_b64 s[16:17], s[18:19], s[16:17]
	s_andn2_b64 s[18:19], s[38:39], exec
	s_and_b64 s[38:39], vcc, exec
	s_or_b64 s[38:39], s[18:19], s[38:39]
	s_barrier
	s_andn2_b64 exec, exec, s[16:17]
	s_cbranch_execz .LBB56_292
.LBB56_286:                             ;   Parent Loop BB56_6 Depth=1
                                        ; =>  This Inner Loop Header: Depth=2
	v_cmp_gt_u32_e32 vcc, s40, v3
	v_mov_b32_e32 v5, 0
	s_and_saveexec_b64 s[18:19], vcc
	s_cbranch_execz .LBB56_288
; %bb.287:                              ;   in Loop: Header=BB56_286 Depth=2
	ds_read_u16 v5, v2
.LBB56_288:                             ;   in Loop: Header=BB56_286 Depth=2
	s_or_b64 exec, exec, s[18:19]
	s_and_saveexec_b64 s[18:19], vcc
	s_cbranch_execz .LBB56_285
; %bb.289:                              ;   in Loop: Header=BB56_286 Depth=2
	s_waitcnt lgkmcnt(0)
	v_add_u32_sdwa v10, sext(v5), s12 dst_sel:DWORD dst_unused:UNUSED_PAD src0_sel:WORD_0 src1_sel:DWORD
	v_and_b32_e32 v10, v10, v31
	v_cmp_eq_u32_e32 vcc, v10, v32
	s_and_b64 exec, exec, vcc
	s_cbranch_execz .LBB56_285
; %bb.290:                              ;   in Loop: Header=BB56_286 Depth=2
	v_perm_b32 v5, v5, 1, v30
	ds_write_b32 v11, v5 offset:3072
	s_branch .LBB56_285
.LBB56_291:                             ;   in Loop: Header=BB56_6 Depth=1
	s_mov_b64 s[36:37], -1
	s_mov_b64 s[16:17], 0
                                        ; implicit-def: $sgpr38_sgpr39
                                        ; implicit-def: $vgpr33
	s_mov_b64 s[40:41], s[36:37]
	s_cbranch_execnz .LBB56_294
	s_branch .LBB56_304
.LBB56_292:                             ;   in Loop: Header=BB56_6 Depth=1
	s_or_b64 exec, exec, s[16:17]
	v_lshrrev_b32_e32 v33, 16, v5
	s_and_b64 s[16:17], s[38:39], exec
.LBB56_293:                             ;   in Loop: Header=BB56_6 Depth=1
	s_or_b64 exec, exec, s[36:37]
	s_mov_b64 s[36:37], 0
	s_mov_b64 s[38:39], -1
	s_mov_b64 s[40:41], s[36:37]
	s_branch .LBB56_304
.LBB56_294:                             ;   in Loop: Header=BB56_6 Depth=1
	s_mov_b64 s[16:17], 0
                                        ; implicit-def: $vgpr33
	s_mov_b64 s[36:37], exec
	v_readlane_b32 s18, v52, 46
	v_readlane_b32 s19, v52, 47
	s_and_b64 s[18:19], s[36:37], s[18:19]
	s_mov_b64 exec, s[18:19]
	s_cbranch_execz .LBB56_303
; %bb.295:                              ;   in Loop: Header=BB56_6 Depth=1
	v_mov_b32_e32 v10, v12
	v_mov_b32_e32 v2, v0
                                        ; implicit-def: $sgpr38_sgpr39
	s_branch .LBB56_297
.LBB56_296:                             ;   in Loop: Header=BB56_297 Depth=2
	s_or_b64 exec, exec, s[18:19]
	s_waitcnt lgkmcnt(0)
	s_barrier
	s_waitcnt vmcnt(0)
	ds_read_b32 v3, v11 offset:3072
	v_add_u32_e32 v2, s9, v2
	v_cmp_le_u32_e64 s[18:19], s74, v2
	v_add_u32_e32 v10, s72, v10
	s_waitcnt lgkmcnt(0)
	v_cmp_ne_u16_e32 vcc, 0, v3
	s_or_b64 s[18:19], s[18:19], vcc
	s_and_b64 s[18:19], exec, s[18:19]
	s_or_b64 s[16:17], s[18:19], s[16:17]
	s_andn2_b64 s[18:19], s[38:39], exec
	s_and_b64 s[38:39], vcc, exec
	s_or_b64 s[38:39], s[18:19], s[38:39]
	s_barrier
	s_andn2_b64 exec, exec, s[16:17]
	s_cbranch_execz .LBB56_302
.LBB56_297:                             ;   Parent Loop BB56_6 Depth=1
                                        ; =>  This Inner Loop Header: Depth=2
	v_cmp_gt_u32_e32 vcc, s60, v2
	v_mov_b32_e32 v3, 0
	s_and_saveexec_b64 s[40:41], vcc
	s_cbranch_execz .LBB56_299
; %bb.298:                              ;   in Loop: Header=BB56_297 Depth=2
	v_lshlrev_b64 v[34:35], 1, v[10:11]
	v_mov_b32_e32 v3, s8
	v_add_co_u32_e64 v34, s[18:19], s33, v34
	v_addc_co_u32_e64 v35, s[18:19], v3, v35, s[18:19]
	global_load_ushort v3, v[34:35], off
.LBB56_299:                             ;   in Loop: Header=BB56_297 Depth=2
	s_or_b64 exec, exec, s[40:41]
	s_and_saveexec_b64 s[18:19], vcc
	s_cbranch_execz .LBB56_296
; %bb.300:                              ;   in Loop: Header=BB56_297 Depth=2
	s_waitcnt vmcnt(0)
	v_add_u32_sdwa v5, sext(v3), s12 dst_sel:DWORD dst_unused:UNUSED_PAD src0_sel:WORD_0 src1_sel:DWORD
	v_and_b32_e32 v5, v5, v31
	v_cmp_eq_u32_e32 vcc, v5, v32
	s_and_b64 exec, exec, vcc
	s_cbranch_execz .LBB56_296
; %bb.301:                              ;   in Loop: Header=BB56_297 Depth=2
	v_perm_b32 v3, v3, 1, v30
	ds_write_b32 v11, v3 offset:3072
	s_branch .LBB56_296
.LBB56_302:                             ;   in Loop: Header=BB56_6 Depth=1
	s_or_b64 exec, exec, s[16:17]
	v_lshrrev_b32_e32 v33, 16, v3
	s_and_b64 s[16:17], s[38:39], exec
.LBB56_303:                             ;   in Loop: Header=BB56_6 Depth=1
	s_or_b64 exec, exec, s[36:37]
	s_mov_b64 s[38:39], 0
	s_mov_b64 s[36:37], -1
	s_mov_b64 s[40:41], 0
.LBB56_304:                             ;   in Loop: Header=BB56_6 Depth=1
	s_orn2_b64 s[16:17], s[16:17], exec
.LBB56_305:                             ;   in Loop: Header=BB56_6 Depth=1
	s_or_b64 exec, exec, s[42:43]
	s_mov_b64 s[18:19], 0
                                        ; implicit-def: $vgpr5
	s_and_saveexec_b64 s[42:43], s[16:17]
	s_cbranch_execz .LBB56_398
; %bb.306:                              ;   in Loop: Header=BB56_6 Depth=1
	s_xor_b64 s[18:19], s[44:45], -1
	s_mov_b64 s[48:49], 0
	v_mov_b32_e32 v2, 1
	v_mov_b32_e32 v5, 1
	s_and_saveexec_b64 s[16:17], s[18:19]
	s_cbranch_execz .LBB56_316
; %bb.307:                              ;   in Loop: Header=BB56_6 Depth=1
	v_cmp_ge_u32_e32 vcc, s63, v4
                                        ; implicit-def: $sgpr46
                                        ; implicit-def: $sgpr18_sgpr19
	s_and_saveexec_b64 s[44:45], vcc
	s_xor_b64 s[44:45], exec, s[44:45]
	s_cbranch_execz .LBB56_313
; %bb.308:                              ;   in Loop: Header=BB56_6 Depth=1
	ds_read_b32 v2, v11 offset:4096
	s_waitcnt lgkmcnt(0)
	v_cmp_ne_u32_e32 vcc, 0, v2
	s_cbranch_vccnz .LBB56_312
; %bb.309:                              ;   in Loop: Header=BB56_6 Depth=1
	s_mov_b64 s[18:19], exec
	v_readlane_b32 s46, v52, 4
	v_readlane_b32 s47, v52, 5
	s_and_b64 s[46:47], s[18:19], s[46:47]
	s_mov_b64 exec, s[46:47]
	s_cbranch_execz .LBB56_311
; %bb.310:                              ;   in Loop: Header=BB56_6 Depth=1
	v_mov_b32_e32 v2, s63
	ds_write_b32 v11, v2 offset:4100
.LBB56_311:                             ;   in Loop: Header=BB56_6 Depth=1
	s_or_b64 exec, exec, s[18:19]
	s_waitcnt lgkmcnt(0)
	s_barrier
.LBB56_312:                             ;   in Loop: Header=BB56_6 Depth=1
	v_and_b32_e32 v2, s10, v32
	v_lshl_or_b32 v32, 2, s62, v2
	v_or_b32_e32 v31, s68, v31
	s_mov_b64 s[18:19], 0
	s_mov_b32 s46, 5
.LBB56_313:                             ;   in Loop: Header=BB56_6 Depth=1
	s_or_saveexec_b64 s[44:45], s[44:45]
	v_mov_b32_e32 v5, s46
	s_xor_b64 exec, exec, s[44:45]
; %bb.314:                              ;   in Loop: Header=BB56_6 Depth=1
	v_subrev_u32_e32 v4, s63, v4
	v_mov_b32_e32 v5, 0
	s_or_b64 s[18:19], s[18:19], exec
; %bb.315:                              ;   in Loop: Header=BB56_6 Depth=1
	s_or_b64 exec, exec, s[44:45]
	s_and_b64 s[48:49], s[18:19], exec
	v_mov_b32_e32 v2, v4
.LBB56_316:                             ;   in Loop: Header=BB56_6 Depth=1
	s_or_b64 exec, exec, s[16:17]
	s_mov_b64 s[16:17], -1
                                        ; implicit-def: $sgpr18_sgpr19
                                        ; implicit-def: $sgpr46_sgpr47
                                        ; implicit-def: $sgpr52_sgpr53
	s_and_saveexec_b64 s[44:45], s[48:49]
	s_cbranch_execz .LBB56_397
; %bb.317:                              ;   in Loop: Header=BB56_6 Depth=1
	s_cmp_eq_u32 s11, 1
	s_cselect_b64 s[16:17], -1, 0
	v_cmp_eq_u32_e32 vcc, 1, v2
	s_and_b64 s[54:55], s[16:17], vcc
	s_mov_b64 s[18:19], -1
                                        ; implicit-def: $sgpr46_sgpr47
                                        ; implicit-def: $sgpr48_sgpr49
                                        ; implicit-def: $sgpr50_sgpr51
	s_and_saveexec_b64 s[52:53], s[54:55]
	s_cbranch_execz .LBB56_343
; %bb.318:                              ;   in Loop: Header=BB56_6 Depth=1
	ds_read_b32 v3, v11 offset:4096
	s_waitcnt lgkmcnt(0)
	s_barrier
	v_readfirstlane_b32 s50, v3
	s_mov_b64 s[16:17], exec
	v_readlane_b32 s18, v52, 30
	v_readlane_b32 s19, v52, 31
	s_and_b64 s[18:19], s[16:17], s[18:19]
	s_mov_b64 exec, s[18:19]
	s_cbranch_execz .LBB56_320
; %bb.319:                              ;   in Loop: Header=BB56_6 Depth=1
	ds_write_b16 v20, v11
.LBB56_320:                             ;   in Loop: Header=BB56_6 Depth=1
	s_or_b64 exec, exec, s[16:17]
	v_and_b32_e32 v3, s10, v32
	v_lshl_or_b32 v32, 1, s62, v3
	v_or_b32_e32 v31, s68, v31
	s_cmp_eq_u32 s50, 0
	s_waitcnt lgkmcnt(0)
	s_barrier
	s_cbranch_scc1 .LBB56_329
; %bb.321:                              ;   in Loop: Header=BB56_6 Depth=1
	v_readlane_b32 s16, v52, 23
	s_add_i32 s16, s50, s16
	v_readlane_b32 s17, v52, 45
	s_mul_hi_u32 s17, s16, s17
	s_mul_i32 s17, s17, s9
	s_sub_i32 s17, s16, s17
	s_sub_i32 s18, s17, s9
	s_cmp_ge_u32 s17, s9
	s_cselect_b32 s17, s18, s17
	s_sub_i32 s18, s17, s9
	s_cmp_ge_u32 s17, s9
	s_cselect_b32 s17, s18, s17
	s_sub_i32 s51, s16, s17
	v_cmp_gt_u32_e32 vcc, s51, v0
	s_mov_b64 s[16:17], 0
                                        ; implicit-def: $vgpr33
	s_and_saveexec_b64 s[46:47], vcc
	s_cbranch_execz .LBB56_331
; %bb.322:                              ;   in Loop: Header=BB56_6 Depth=1
	v_mov_b32_e32 v3, v19
	v_mov_b32_e32 v4, v0
                                        ; implicit-def: $sgpr48_sgpr49
	s_branch .LBB56_324
.LBB56_323:                             ;   in Loop: Header=BB56_324 Depth=2
	s_or_b64 exec, exec, s[18:19]
	s_waitcnt lgkmcnt(0)
	s_barrier
	ds_read_b32 v5, v11 offset:3072
	v_add_u32_e32 v4, s9, v4
	v_cmp_le_u32_e64 s[18:19], s51, v4
	v_add_u32_e32 v3, s5, v3
	s_waitcnt lgkmcnt(0)
	v_cmp_ne_u16_e32 vcc, 0, v5
	s_or_b64 s[18:19], s[18:19], vcc
	s_and_b64 s[18:19], exec, s[18:19]
	s_or_b64 s[16:17], s[18:19], s[16:17]
	s_andn2_b64 s[18:19], s[48:49], exec
	s_and_b64 s[48:49], vcc, exec
	s_or_b64 s[48:49], s[18:19], s[48:49]
	s_barrier
	s_andn2_b64 exec, exec, s[16:17]
	s_cbranch_execz .LBB56_330
.LBB56_324:                             ;   Parent Loop BB56_6 Depth=1
                                        ; =>  This Inner Loop Header: Depth=2
	v_cmp_gt_u32_e32 vcc, s50, v4
	v_mov_b32_e32 v5, 0
	s_and_saveexec_b64 s[18:19], vcc
	s_cbranch_execz .LBB56_326
; %bb.325:                              ;   in Loop: Header=BB56_324 Depth=2
	ds_read_u16 v5, v3
.LBB56_326:                             ;   in Loop: Header=BB56_324 Depth=2
	s_or_b64 exec, exec, s[18:19]
	s_and_saveexec_b64 s[18:19], vcc
	s_cbranch_execz .LBB56_323
; %bb.327:                              ;   in Loop: Header=BB56_324 Depth=2
	s_waitcnt lgkmcnt(0)
	v_add_u32_sdwa v10, sext(v5), s12 dst_sel:DWORD dst_unused:UNUSED_PAD src0_sel:WORD_0 src1_sel:DWORD
	v_and_b32_e32 v10, v10, v31
	v_cmp_eq_u32_e32 vcc, v10, v32
	s_and_b64 exec, exec, vcc
	s_cbranch_execz .LBB56_323
; %bb.328:                              ;   in Loop: Header=BB56_324 Depth=2
	v_perm_b32 v5, v5, 1, v30
	ds_write_b32 v11, v5 offset:3072
	s_branch .LBB56_323
.LBB56_329:                             ;   in Loop: Header=BB56_6 Depth=1
	s_mov_b64 s[46:47], -1
	s_mov_b64 s[16:17], 0
                                        ; implicit-def: $sgpr48_sgpr49
                                        ; implicit-def: $vgpr33
	s_mov_b64 s[50:51], s[46:47]
	s_cbranch_execnz .LBB56_332
	s_branch .LBB56_342
.LBB56_330:                             ;   in Loop: Header=BB56_6 Depth=1
	s_or_b64 exec, exec, s[16:17]
	v_lshrrev_b32_e32 v33, 16, v5
	s_and_b64 s[16:17], s[48:49], exec
.LBB56_331:                             ;   in Loop: Header=BB56_6 Depth=1
	s_or_b64 exec, exec, s[46:47]
	s_mov_b64 s[46:47], 0
	s_mov_b64 s[48:49], -1
	s_mov_b64 s[50:51], s[46:47]
	s_branch .LBB56_342
.LBB56_332:                             ;   in Loop: Header=BB56_6 Depth=1
	s_mov_b64 s[16:17], 0
                                        ; implicit-def: $vgpr33
	s_mov_b64 s[46:47], exec
	v_readlane_b32 s18, v52, 46
	v_readlane_b32 s19, v52, 47
	s_and_b64 s[18:19], s[46:47], s[18:19]
	s_mov_b64 exec, s[18:19]
	s_cbranch_execz .LBB56_341
; %bb.333:                              ;   in Loop: Header=BB56_6 Depth=1
	v_mov_b32_e32 v10, v12
	v_mov_b32_e32 v3, v0
                                        ; implicit-def: $sgpr48_sgpr49
	s_branch .LBB56_335
.LBB56_334:                             ;   in Loop: Header=BB56_335 Depth=2
	s_or_b64 exec, exec, s[18:19]
	s_waitcnt lgkmcnt(0)
	s_barrier
	s_waitcnt vmcnt(0)
	ds_read_b32 v4, v11 offset:3072
	v_add_u32_e32 v3, s9, v3
	v_cmp_le_u32_e64 s[18:19], s74, v3
	v_add_u32_e32 v10, s72, v10
	s_waitcnt lgkmcnt(0)
	v_cmp_ne_u16_e32 vcc, 0, v4
	s_or_b64 s[18:19], s[18:19], vcc
	s_and_b64 s[18:19], exec, s[18:19]
	s_or_b64 s[16:17], s[18:19], s[16:17]
	s_andn2_b64 s[18:19], s[48:49], exec
	s_and_b64 s[48:49], vcc, exec
	s_or_b64 s[48:49], s[18:19], s[48:49]
	s_barrier
	s_andn2_b64 exec, exec, s[16:17]
	s_cbranch_execz .LBB56_340
.LBB56_335:                             ;   Parent Loop BB56_6 Depth=1
                                        ; =>  This Inner Loop Header: Depth=2
	v_cmp_gt_u32_e32 vcc, s60, v3
	v_mov_b32_e32 v4, 0
	s_and_saveexec_b64 s[50:51], vcc
	s_cbranch_execz .LBB56_337
; %bb.336:                              ;   in Loop: Header=BB56_335 Depth=2
	v_lshlrev_b64 v[4:5], 1, v[10:11]
	v_mov_b32_e32 v33, s8
	v_add_co_u32_e64 v4, s[18:19], s33, v4
	v_addc_co_u32_e64 v5, s[18:19], v33, v5, s[18:19]
	global_load_ushort v4, v[4:5], off
.LBB56_337:                             ;   in Loop: Header=BB56_335 Depth=2
	s_or_b64 exec, exec, s[50:51]
	s_and_saveexec_b64 s[18:19], vcc
	s_cbranch_execz .LBB56_334
; %bb.338:                              ;   in Loop: Header=BB56_335 Depth=2
	s_waitcnt vmcnt(0)
	v_add_u32_sdwa v5, sext(v4), s12 dst_sel:DWORD dst_unused:UNUSED_PAD src0_sel:WORD_0 src1_sel:DWORD
	v_and_b32_e32 v5, v5, v31
	v_cmp_eq_u32_e32 vcc, v5, v32
	s_and_b64 exec, exec, vcc
	s_cbranch_execz .LBB56_334
; %bb.339:                              ;   in Loop: Header=BB56_335 Depth=2
	v_perm_b32 v4, v4, 1, v30
	ds_write_b32 v11, v4 offset:3072
	s_branch .LBB56_334
.LBB56_340:                             ;   in Loop: Header=BB56_6 Depth=1
	s_or_b64 exec, exec, s[16:17]
	v_lshrrev_b32_e32 v33, 16, v4
	s_and_b64 s[16:17], s[48:49], exec
.LBB56_341:                             ;   in Loop: Header=BB56_6 Depth=1
	s_or_b64 exec, exec, s[46:47]
	s_mov_b64 s[48:49], 0
	s_mov_b64 s[46:47], -1
	s_mov_b64 s[50:51], 0
.LBB56_342:                             ;   in Loop: Header=BB56_6 Depth=1
	s_orn2_b64 s[18:19], s[16:17], exec
.LBB56_343:                             ;   in Loop: Header=BB56_6 Depth=1
	s_or_b64 exec, exec, s[52:53]
	s_mov_b64 s[16:17], 0
                                        ; implicit-def: $vgpr5
	s_and_saveexec_b64 s[52:53], s[18:19]
	s_cbranch_execz .LBB56_396
; %bb.344:                              ;   in Loop: Header=BB56_6 Depth=1
	s_xor_b64 s[18:19], s[54:55], -1
	s_mov_b64 s[58:59], 0
	v_mov_b32_e32 v3, 1
	v_mov_b32_e32 v5, 1
	s_and_saveexec_b64 s[16:17], s[18:19]
	s_cbranch_execz .LBB56_354
; %bb.345:                              ;   in Loop: Header=BB56_6 Depth=1
	v_cmp_ge_u32_e32 vcc, s11, v2
                                        ; implicit-def: $sgpr56
                                        ; implicit-def: $sgpr18_sgpr19
	s_and_saveexec_b64 s[54:55], vcc
	s_xor_b64 s[54:55], exec, s[54:55]
	s_cbranch_execz .LBB56_351
; %bb.346:                              ;   in Loop: Header=BB56_6 Depth=1
	ds_read_b32 v3, v11 offset:4096
	s_waitcnt lgkmcnt(0)
	v_cmp_ne_u32_e32 vcc, 0, v3
	s_cbranch_vccnz .LBB56_350
; %bb.347:                              ;   in Loop: Header=BB56_6 Depth=1
	s_mov_b64 s[18:19], exec
	v_readlane_b32 s56, v52, 4
	v_readlane_b32 s57, v52, 5
	s_and_b64 s[56:57], s[18:19], s[56:57]
	s_mov_b64 exec, s[56:57]
	s_cbranch_execz .LBB56_349
; %bb.348:                              ;   in Loop: Header=BB56_6 Depth=1
	v_mov_b32_e32 v3, s11
	ds_write_b32 v11, v3 offset:4100
.LBB56_349:                             ;   in Loop: Header=BB56_6 Depth=1
	s_or_b64 exec, exec, s[18:19]
	s_waitcnt lgkmcnt(0)
	s_barrier
.LBB56_350:                             ;   in Loop: Header=BB56_6 Depth=1
	v_and_b32_e32 v3, s10, v32
	v_lshl_or_b32 v32, 1, s62, v3
	v_or_b32_e32 v31, s68, v31
	s_mov_b64 s[18:19], 0
	s_mov_b32 s56, 5
.LBB56_351:                             ;   in Loop: Header=BB56_6 Depth=1
	s_or_saveexec_b64 s[54:55], s[54:55]
	v_mov_b32_e32 v5, s56
	s_xor_b64 exec, exec, s[54:55]
; %bb.352:                              ;   in Loop: Header=BB56_6 Depth=1
	v_subrev_u32_e32 v2, s11, v2
	v_mov_b32_e32 v5, 0
	s_or_b64 s[18:19], s[18:19], exec
; %bb.353:                              ;   in Loop: Header=BB56_6 Depth=1
	s_or_b64 exec, exec, s[54:55]
	s_and_b64 s[58:59], s[18:19], exec
	v_mov_b32_e32 v3, v2
.LBB56_354:                             ;   in Loop: Header=BB56_6 Depth=1
	s_or_b64 exec, exec, s[16:17]
	s_mov_b64 s[56:57], -1
                                        ; implicit-def: $sgpr16_sgpr17
                                        ; implicit-def: $sgpr18_sgpr19
                                        ; implicit-def: $sgpr76_sgpr77
	s_and_saveexec_b64 s[54:55], s[58:59]
	s_cbranch_execz .LBB56_395
; %bb.355:                              ;   in Loop: Header=BB56_6 Depth=1
	s_cmp_eq_u32 s69, 1
	s_cselect_b64 s[16:17], -1, 0
	v_cmp_eq_u32_e32 vcc, 1, v3
	s_and_b64 s[56:57], s[16:17], vcc
	s_mov_b64 s[78:79], -1
                                        ; implicit-def: $sgpr16_sgpr17
                                        ; implicit-def: $sgpr18_sgpr19
                                        ; implicit-def: $sgpr76_sgpr77
	s_and_saveexec_b64 s[58:59], s[56:57]
	s_cbranch_execz .LBB56_382
; %bb.356:                              ;   in Loop: Header=BB56_6 Depth=1
	ds_read_b32 v2, v11 offset:4096
	s_waitcnt lgkmcnt(0)
	s_barrier
	v_readfirstlane_b32 s11, v2
	s_mov_b64 s[16:17], exec
	v_readlane_b32 s18, v52, 30
	v_readlane_b32 s19, v52, 31
	s_and_b64 s[18:19], s[16:17], s[18:19]
	s_mov_b64 exec, s[18:19]
	s_cbranch_execz .LBB56_358
; %bb.357:                              ;   in Loop: Header=BB56_6 Depth=1
	ds_write_b16 v20, v11
.LBB56_358:                             ;   in Loop: Header=BB56_6 Depth=1
	s_or_b64 exec, exec, s[16:17]
	v_and_b32_e32 v32, s10, v32
	v_or_b32_e32 v31, s68, v31
	s_cmp_eq_u32 s11, 0
	s_waitcnt lgkmcnt(0)
	s_barrier
	s_cbranch_scc1 .LBB56_367
; %bb.359:                              ;   in Loop: Header=BB56_6 Depth=1
	v_readlane_b32 s16, v52, 23
	s_add_i32 s16, s11, s16
	v_readlane_b32 s17, v52, 45
	s_mul_hi_u32 s17, s16, s17
	s_mul_i32 s17, s17, s9
	s_sub_i32 s17, s16, s17
	s_sub_i32 s18, s17, s9
	s_cmp_ge_u32 s17, s9
	s_cselect_b32 s17, s18, s17
	s_sub_i32 s18, s17, s9
	s_cmp_ge_u32 s17, s9
	s_cselect_b32 s17, s18, s17
	s_sub_i32 s62, s16, s17
	v_cmp_gt_u32_e32 vcc, s62, v0
	s_mov_b64 s[78:79], 0
                                        ; implicit-def: $vgpr33
	s_and_saveexec_b64 s[16:17], vcc
	s_cbranch_execz .LBB56_369
; %bb.360:                              ;   in Loop: Header=BB56_6 Depth=1
	s_mov_b64 s[76:77], 0
	v_mov_b32_e32 v2, v19
	v_mov_b32_e32 v4, v0
                                        ; implicit-def: $sgpr78_sgpr79
	s_branch .LBB56_362
.LBB56_361:                             ;   in Loop: Header=BB56_362 Depth=2
	s_or_b64 exec, exec, s[18:19]
	s_waitcnt lgkmcnt(0)
	s_barrier
	ds_read_b32 v5, v11 offset:3072
	v_add_u32_e32 v4, s9, v4
	v_cmp_le_u32_e64 s[18:19], s62, v4
	v_add_u32_e32 v2, s5, v2
	s_waitcnt lgkmcnt(0)
	v_cmp_ne_u16_e32 vcc, 0, v5
	s_or_b64 s[18:19], s[18:19], vcc
	s_and_b64 s[18:19], exec, s[18:19]
	s_or_b64 s[76:77], s[18:19], s[76:77]
	s_andn2_b64 s[18:19], s[78:79], exec
	s_and_b64 s[70:71], vcc, exec
	s_or_b64 s[78:79], s[18:19], s[70:71]
	s_barrier
	s_andn2_b64 exec, exec, s[76:77]
	s_cbranch_execz .LBB56_368
.LBB56_362:                             ;   Parent Loop BB56_6 Depth=1
                                        ; =>  This Inner Loop Header: Depth=2
	v_cmp_gt_u32_e32 vcc, s11, v4
	v_mov_b32_e32 v5, 0
	s_and_saveexec_b64 s[18:19], vcc
	s_cbranch_execz .LBB56_364
; %bb.363:                              ;   in Loop: Header=BB56_362 Depth=2
	ds_read_u16 v5, v2
.LBB56_364:                             ;   in Loop: Header=BB56_362 Depth=2
	s_or_b64 exec, exec, s[18:19]
	s_and_saveexec_b64 s[18:19], vcc
	s_cbranch_execz .LBB56_361
; %bb.365:                              ;   in Loop: Header=BB56_362 Depth=2
	s_waitcnt lgkmcnt(0)
	v_add_u32_sdwa v10, sext(v5), s12 dst_sel:DWORD dst_unused:UNUSED_PAD src0_sel:WORD_0 src1_sel:DWORD
	v_and_b32_e32 v10, v10, v31
	v_cmp_eq_u32_e32 vcc, v10, v32
	s_and_b64 exec, exec, vcc
	s_cbranch_execz .LBB56_361
; %bb.366:                              ;   in Loop: Header=BB56_362 Depth=2
	v_perm_b32 v5, v5, 1, v30
	ds_write_b32 v11, v5 offset:3072
	s_branch .LBB56_361
.LBB56_367:                             ;   in Loop: Header=BB56_6 Depth=1
	s_mov_b64 s[16:17], -1
	s_mov_b64 s[78:79], 0
                                        ; implicit-def: $sgpr18_sgpr19
                                        ; implicit-def: $vgpr33
	s_branch .LBB56_370
.LBB56_368:                             ;   in Loop: Header=BB56_6 Depth=1
	s_or_b64 exec, exec, s[76:77]
	v_lshrrev_b32_e32 v33, 16, v5
	s_and_b64 s[78:79], s[78:79], exec
.LBB56_369:                             ;   in Loop: Header=BB56_6 Depth=1
	s_or_b64 exec, exec, s[16:17]
	s_mov_b64 s[16:17], 0
	s_mov_b64 s[18:19], -1
.LBB56_370:                             ;   in Loop: Header=BB56_6 Depth=1
	s_and_b64 vcc, exec, s[16:17]
	s_mov_b64 s[76:77], s[16:17]
	s_cbranch_vccz .LBB56_381
; %bb.371:                              ;   in Loop: Header=BB56_6 Depth=1
	s_mov_b64 s[78:79], 0
                                        ; implicit-def: $vgpr33
	s_mov_b64 s[62:63], exec
	v_readlane_b32 s16, v52, 46
	v_readlane_b32 s17, v52, 47
	s_and_b64 s[16:17], s[62:63], s[16:17]
	s_mov_b64 exec, s[16:17]
	s_cbranch_execz .LBB56_380
; %bb.372:                              ;   in Loop: Header=BB56_6 Depth=1
	s_mov_b64 s[76:77], 0
	v_mov_b32_e32 v10, v12
	v_mov_b32_e32 v2, v0
                                        ; implicit-def: $sgpr78_sgpr79
	s_branch .LBB56_374
.LBB56_373:                             ;   in Loop: Header=BB56_374 Depth=2
	s_or_b64 exec, exec, s[16:17]
	s_waitcnt lgkmcnt(0)
	s_barrier
	s_waitcnt vmcnt(0)
	ds_read_b32 v4, v11 offset:3072
	v_add_u32_e32 v2, s9, v2
	v_cmp_le_u32_e64 s[18:19], s74, v2
	v_add_u32_e32 v10, s72, v10
	s_waitcnt lgkmcnt(0)
	v_cmp_ne_u16_e32 vcc, 0, v4
	s_or_b64 s[16:17], s[18:19], vcc
	s_and_b64 s[16:17], exec, s[16:17]
	s_or_b64 s[76:77], s[16:17], s[76:77]
	s_andn2_b64 s[16:17], s[78:79], exec
	s_and_b64 s[18:19], vcc, exec
	s_or_b64 s[78:79], s[16:17], s[18:19]
	s_barrier
	s_andn2_b64 exec, exec, s[76:77]
	s_cbranch_execz .LBB56_379
.LBB56_374:                             ;   Parent Loop BB56_6 Depth=1
                                        ; =>  This Inner Loop Header: Depth=2
	v_cmp_gt_u32_e32 vcc, s60, v2
	v_mov_b32_e32 v4, 0
	s_and_saveexec_b64 s[16:17], vcc
	s_cbranch_execz .LBB56_376
; %bb.375:                              ;   in Loop: Header=BB56_374 Depth=2
	v_lshlrev_b64 v[4:5], 1, v[10:11]
	v_mov_b32_e32 v33, s8
	v_add_co_u32_e64 v4, s[18:19], s33, v4
	v_addc_co_u32_e64 v5, s[18:19], v33, v5, s[18:19]
	global_load_ushort v4, v[4:5], off
.LBB56_376:                             ;   in Loop: Header=BB56_374 Depth=2
	s_or_b64 exec, exec, s[16:17]
	s_and_saveexec_b64 s[16:17], vcc
	s_cbranch_execz .LBB56_373
; %bb.377:                              ;   in Loop: Header=BB56_374 Depth=2
	s_waitcnt vmcnt(0)
	v_add_u32_sdwa v5, sext(v4), s12 dst_sel:DWORD dst_unused:UNUSED_PAD src0_sel:WORD_0 src1_sel:DWORD
	v_and_b32_e32 v5, v5, v31
	v_cmp_eq_u32_e32 vcc, v5, v32
	s_and_b64 exec, exec, vcc
	s_cbranch_execz .LBB56_373
; %bb.378:                              ;   in Loop: Header=BB56_374 Depth=2
	v_perm_b32 v4, v4, 1, v30
	ds_write_b32 v11, v4 offset:3072
	s_branch .LBB56_373
.LBB56_379:                             ;   in Loop: Header=BB56_6 Depth=1
	s_or_b64 exec, exec, s[76:77]
	v_lshrrev_b32_e32 v33, 16, v4
	s_and_b64 s[78:79], s[78:79], exec
.LBB56_380:                             ;   in Loop: Header=BB56_6 Depth=1
	s_or_b64 exec, exec, s[62:63]
	s_mov_b64 s[18:19], 0
	s_mov_b64 s[16:17], -1
	s_mov_b64 s[76:77], 0
.LBB56_381:                             ;   in Loop: Header=BB56_6 Depth=1
	s_orn2_b64 s[78:79], s[78:79], exec
.LBB56_382:                             ;   in Loop: Header=BB56_6 Depth=1
	s_or_b64 exec, exec, s[58:59]
	s_mov_b64 vcc, 0
                                        ; implicit-def: $vgpr5
                                        ; implicit-def: $vgpr2
	s_and_saveexec_b64 s[58:59], s[78:79]
	s_cbranch_execz .LBB56_394
; %bb.383:                              ;   in Loop: Header=BB56_6 Depth=1
	s_xor_b64 s[62:63], s[56:57], -1
	v_mov_b32_e32 v5, 1
	v_mov_b32_e32 v2, 1
	s_and_saveexec_b64 s[56:57], s[62:63]
	s_cbranch_execz .LBB56_393
; %bb.384:                              ;   in Loop: Header=BB56_6 Depth=1
	v_cmp_ge_u32_e32 vcc, s69, v3
                                        ; implicit-def: $sgpr11
	s_and_saveexec_b64 s[62:63], vcc
	s_xor_b64 s[78:79], exec, s[62:63]
	s_cbranch_execz .LBB56_390
; %bb.385:                              ;   in Loop: Header=BB56_6 Depth=1
	ds_read_b32 v2, v11 offset:4096
	s_waitcnt lgkmcnt(0)
	v_cmp_ne_u32_e32 vcc, 0, v2
	s_cbranch_vccnz .LBB56_389
; %bb.386:                              ;   in Loop: Header=BB56_6 Depth=1
	s_mov_b64 vcc, exec
	v_readlane_b32 s62, v52, 4
	v_readlane_b32 s63, v52, 5
	s_and_b64 s[62:63], vcc, s[62:63]
	s_mov_b64 exec, s[62:63]
	s_cbranch_execz .LBB56_388
; %bb.387:                              ;   in Loop: Header=BB56_6 Depth=1
	v_mov_b32_e32 v2, s69
	ds_write_b32 v11, v2 offset:4100
.LBB56_388:                             ;   in Loop: Header=BB56_6 Depth=1
	s_or_b64 exec, exec, vcc
	s_waitcnt lgkmcnt(0)
	s_barrier
.LBB56_389:                             ;   in Loop: Header=BB56_6 Depth=1
	v_and_b32_e32 v32, s10, v32
	v_or_b32_e32 v31, s68, v31
	s_mov_b32 s11, 5
.LBB56_390:                             ;   in Loop: Header=BB56_6 Depth=1
	s_or_saveexec_b64 s[78:79], s[78:79]
	v_mov_b32_e32 v5, s11
	s_xor_b64 exec, exec, s[78:79]
; %bb.391:                              ;   in Loop: Header=BB56_6 Depth=1
	v_subrev_u32_e32 v3, s69, v3
	v_mov_b32_e32 v5, 5
; %bb.392:                              ;   in Loop: Header=BB56_6 Depth=1
	s_or_b64 exec, exec, s[78:79]
	v_mov_b32_e32 v2, v3
.LBB56_393:                             ;   in Loop: Header=BB56_6 Depth=1
	s_or_b64 exec, exec, s[56:57]
	s_mov_b64 vcc, exec
.LBB56_394:                             ;   in Loop: Header=BB56_6 Depth=1
	s_or_b64 exec, exec, s[58:59]
	s_orn2_b64 s[56:57], vcc, exec
	v_mov_b32_e32 v3, v2
.LBB56_395:                             ;   in Loop: Header=BB56_6 Depth=1
	s_or_b64 exec, exec, s[54:55]
	s_andn2_b64 s[10:11], s[46:47], exec
	s_and_b64 s[16:17], s[16:17], exec
	s_or_b64 s[46:47], s[10:11], s[16:17]
	s_andn2_b64 s[10:11], s[48:49], exec
	s_and_b64 s[16:17], s[18:19], exec
	s_or_b64 s[48:49], s[10:11], s[16:17]
	;; [unrolled: 3-line block ×3, first 2 shown]
	s_and_b64 s[16:17], s[56:57], exec
	v_mov_b32_e32 v2, v3
.LBB56_396:                             ;   in Loop: Header=BB56_6 Depth=1
	s_or_b64 exec, exec, s[52:53]
	s_and_b64 s[52:53], s[46:47], exec
	s_and_b64 s[46:47], s[48:49], exec
	;; [unrolled: 1-line block ×3, first 2 shown]
	s_orn2_b64 s[16:17], s[16:17], exec
.LBB56_397:                             ;   in Loop: Header=BB56_6 Depth=1
	s_or_b64 exec, exec, s[44:45]
	s_andn2_b64 s[10:11], s[36:37], exec
	s_and_b64 s[36:37], s[52:53], exec
	s_or_b64 s[36:37], s[10:11], s[36:37]
	s_andn2_b64 s[10:11], s[38:39], exec
	s_and_b64 s[38:39], s[46:47], exec
	s_or_b64 s[38:39], s[10:11], s[38:39]
	;; [unrolled: 3-line block ×3, first 2 shown]
	s_and_b64 s[18:19], s[16:17], exec
	v_mov_b32_e32 v4, v2
.LBB56_398:                             ;   in Loop: Header=BB56_6 Depth=1
	s_or_b64 exec, exec, s[42:43]
	s_and_b64 s[42:43], s[36:37], exec
	s_and_b64 s[36:37], s[38:39], exec
	;; [unrolled: 1-line block ×3, first 2 shown]
	s_orn2_b64 s[38:39], s[18:19], exec
.LBB56_399:                             ;   in Loop: Header=BB56_6 Depth=1
	s_or_b64 exec, exec, s[28:29]
	s_mov_b64 s[18:19], s[24:25]
	s_mov_b64 s[28:29], s[20:21]
	s_and_saveexec_b64 s[40:41], s[38:39]
; %bb.400:                              ;   in Loop: Header=BB56_6 Depth=1
	v_cmp_ne_u32_e64 s[18:19], 5, v5
	v_cmp_eq_u32_e32 vcc, 5, v5
	s_andn2_b64 s[10:11], s[20:21], exec
	s_and_b64 s[18:19], s[18:19], exec
	s_or_b64 s[28:29], s[10:11], s[18:19]
	s_andn2_b64 s[10:11], s[24:25], exec
	s_and_b64 s[18:19], vcc, exec
	s_andn2_b64 s[42:43], s[42:43], exec
	s_andn2_b64 s[36:37], s[36:37], exec
	;; [unrolled: 1-line block ×3, first 2 shown]
	s_or_b64 s[18:19], s[10:11], s[18:19]
; %bb.401:                              ;   in Loop: Header=BB56_6 Depth=1
	s_or_b64 exec, exec, s[40:41]
	s_andn2_b64 s[10:11], s[30:31], exec
	s_and_b64 s[30:31], s[42:43], exec
	s_or_b64 s[30:31], s[10:11], s[30:31]
	s_andn2_b64 s[10:11], s[34:35], exec
	s_and_b64 s[34:35], s[36:37], exec
	s_or_b64 s[34:35], s[10:11], s[34:35]
	;; [unrolled: 3-line block ×5, first 2 shown]
	v_mov_b32_e32 v2, v32
	v_mov_b32_e32 v3, v31
	;; [unrolled: 1-line block ×3, first 2 shown]
.LBB56_402:                             ;   in Loop: Header=BB56_6 Depth=1
	s_or_b64 exec, exec, s[26:27]
	s_mov_b64 s[28:29], s[22:23]
	s_mov_b64 s[26:27], s[22:23]
	s_and_saveexec_b64 s[16:17], s[24:25]
.LBB56_403:                             ;   in Loop: Header=BB56_6 Depth=1
	v_mov_b32_e32 v5, 0
	s_andn2_b64 s[22:23], s[22:23], exec
	s_andn2_b64 s[30:31], s[30:31], exec
	;; [unrolled: 1-line block ×5, first 2 shown]
	s_or_b64 s[20:21], s[20:21], exec
.LBB56_404:                             ;   in Loop: Header=BB56_6 Depth=1
	s_or_b64 exec, exec, s[16:17]
	s_andn2_b64 s[10:11], s[84:85], exec
	s_and_b64 s[16:17], s[22:23], exec
	s_or_b64 s[84:85], s[10:11], s[16:17]
	s_andn2_b64 s[10:11], s[82:83], exec
	s_and_b64 s[16:17], s[30:31], exec
	s_or_b64 s[82:83], s[10:11], s[16:17]
	;; [unrolled: 3-line block ×4, first 2 shown]
	s_andn2_b64 s[10:11], s[66:67], exec
	s_and_b64 s[16:17], s[26:27], exec
	s_mov_b64 s[18:19], -1
	s_or_b64 s[66:67], s[10:11], s[16:17]
                                        ; implicit-def: $vgpr31
                                        ; implicit-def: $vgpr32
                                        ; implicit-def: $vgpr34
                                        ; implicit-def: $vgpr33
	s_and_saveexec_b64 s[10:11], s[20:21]
	s_xor_b64 s[16:17], exec, s[10:11]
	s_cbranch_execz .LBB56_5
; %bb.405:                              ;   in Loop: Header=BB56_6 Depth=1
	v_cmp_eq_u32_e32 vcc, 0, v5
	s_mov_b64 s[20:21], -1
	s_and_saveexec_b64 s[22:23], vcc
	s_cbranch_execz .LBB56_4
; %bb.406:                              ;   in Loop: Header=BB56_6 Depth=1
	s_xor_b32 s6, s6, 1
	s_add_i32 s24, s13, -2
	s_cmp_eq_u32 s13, 0
	s_cselect_b64 s[10:11], -1, 0
	s_xor_b64 s[20:21], exec, -1
	s_orn2_b64 s[18:19], s[10:11], exec
	s_mov_b32 s13, s24
	s_branch .LBB56_4
.LBB56_407:
	s_or_b64 exec, exec, s[86:87]
	s_xor_b64 s[16:17], s[94:95], -1
	s_xor_b64 s[20:21], s[92:93], -1
	;; [unrolled: 1-line block ×5, first 2 shown]
	s_mov_b64 s[12:13], 0
	s_and_saveexec_b64 s[6:7], s[4:5]
	s_xor_b64 s[10:11], exec, s[6:7]
	s_cbranch_execnz .LBB56_412
; %bb.408:
	s_andn2_saveexec_b64 s[0:1], s[10:11]
	s_cbranch_execnz .LBB56_431
.LBB56_409:
	s_or_b64 exec, exec, s[0:1]
	s_and_saveexec_b64 s[0:1], s[12:13]
.LBB56_410:
	; divergent unreachable
.LBB56_411:
	s_endpgm
.LBB56_412:
	s_mov_b64 s[14:15], 0
	s_and_saveexec_b64 s[4:5], s[18:19]
	s_xor_b64 s[12:13], exec, s[4:5]
	s_cbranch_execz .LBB56_429
; %bb.413:
	s_mov_b64 s[18:19], 0
	s_and_saveexec_b64 s[4:5], s[20:21]
	s_xor_b64 s[14:15], exec, s[4:5]
	s_cbranch_execz .LBB56_427
; %bb.414:
	s_and_saveexec_b64 s[4:5], s[16:17]
	s_xor_b64 s[16:17], exec, s[4:5]
	s_cbranch_execz .LBB56_425
; %bb.415:
	s_and_saveexec_b64 s[4:5], s[2:3]
	s_xor_b64 s[2:3], exec, s[4:5]
; %bb.416:
	v_xor_b32_e32 v35, 0xffff8000, v2
; %bb.417:
	s_or_b64 exec, exec, s[2:3]
	s_mov_b64 s[2:3], exec
	v_readlane_b32 s4, v52, 4
	v_readlane_b32 s5, v52, 5
	v_readlane_b32 s34, v52, 13
	s_and_b64 s[4:5], s[2:3], s[4:5]
	v_readlane_b32 s35, v52, 14
	v_readlane_b32 s20, v52, 48
	s_mov_b64 exec, s[4:5]
	s_cbranch_execz .LBB56_419
; %bb.418:
	v_mov_b32_e32 v1, 0
	ds_write_b32 v1, v1 offset:4108
.LBB56_419:
	s_or_b64 exec, exec, s[2:3]
	v_mov_b32_e32 v3, 0
	s_waitcnt lgkmcnt(0)
	s_barrier
	s_mov_b64 s[2:3], exec
	v_readlane_b32 s4, v52, 28
	v_readlane_b32 s5, v52, 29
	s_and_b64 s[4:5], s[2:3], s[4:5]
	s_mov_b64 exec, s[4:5]
	s_cbranch_execz .LBB56_421
; %bb.420:
	global_load_ushort v3, v[8:9], off
.LBB56_421:
	s_or_b64 exec, exec, s[2:3]
	v_readlane_b32 s3, v52, 10
	v_readlane_b32 s2, v52, 9
	;; [unrolled: 1-line block ×3, first 2 shown]
	s_add_i32 s42, s60, 63
	s_mul_i32 s2, s2, s3
	s_mul_i32 s4, s4, s3
	s_mov_b32 s3, 0
	s_andn2_b32 s42, s42, 63
	s_lshl_b64 s[6:7], s[2:3], 1
	v_readlane_b32 s18, v52, 2
	v_readlane_b32 s19, v52, 3
	s_add_u32 s43, s18, s6
	s_mov_b32 s5, s3
	s_addc_u32 s44, s19, s7
	s_lshl_b64 s[2:3], s[4:5], 3
	v_readlane_b32 s4, v52, 0
	v_readlane_b32 s5, v52, 1
	s_add_u32 s45, s4, s2
	s_addc_u32 s46, s5, s3
	v_readlane_b32 s2, v52, 7
	v_readlane_b32 s3, v52, 8
	s_load_dword s47, s[2:3], 0x1c8
	s_load_dword s48, s[2:3], 0x2a8
	v_add_u32_e32 v4, s9, v0
	v_cmp_gt_u32_e32 vcc, s42, v0
	s_mov_b64 s[18:19], -1
	s_mov_b64 s[2:3], 0
	v_mul_lo_u32 v2, s20, v4
	s_mov_b64 s[4:5], 0
	s_and_saveexec_b64 s[30:31], vcc
	s_cbranch_execnz .LBB56_432
; %bb.422:
	s_or_b64 exec, exec, s[30:31]
	s_and_saveexec_b64 s[40:41], s[18:19]
	s_cbranch_execnz .LBB56_447
.LBB56_423:
	s_or_b64 exec, exec, s[40:41]
	s_and_saveexec_b64 s[0:1], s[4:5]
	s_xor_b64 s[0:1], exec, s[0:1]
	s_cbranch_execnz .LBB56_469
.LBB56_424:
	s_or_b64 exec, exec, s[0:1]
	s_and_b64 s[18:19], s[2:3], exec
.LBB56_425:
	s_andn2_saveexec_b64 s[0:1], s[16:17]
	s_cbranch_execnz .LBB56_472
.LBB56_426:
	s_or_b64 exec, exec, s[0:1]
	s_and_b64 s[18:19], s[18:19], exec
.LBB56_427:
	s_andn2_saveexec_b64 s[0:1], s[14:15]
	s_cbranch_execnz .LBB56_471
.LBB56_428:
	s_or_b64 exec, exec, s[0:1]
	s_and_b64 s[14:15], s[18:19], exec
.LBB56_429:
	s_andn2_saveexec_b64 s[0:1], s[12:13]
	s_cbranch_execnz .LBB56_470
.LBB56_430:
	s_or_b64 exec, exec, s[0:1]
	s_and_b64 s[12:13], s[14:15], exec
	s_andn2_saveexec_b64 s[0:1], s[10:11]
	s_cbranch_execz .LBB56_409
.LBB56_431:
	s_or_b64 s[12:13], s[12:13], exec
	s_trap 2
	s_or_b64 exec, exec, s[0:1]
	s_and_saveexec_b64 s[0:1], s[12:13]
	s_cbranch_execnz .LBB56_410
	s_branch .LBB56_411
.LBB56_432:
	s_mov_b32 s6, 0x8000
	v_add_u32_sdwa v1, sext(v35), s6 dst_sel:DWORD dst_unused:UNUSED_PAD src0_sel:WORD_0 src1_sel:DWORD
	v_mul_lo_u32 v4, s20, v4
	s_mov_b64 s[18:19], 0
	v_mov_b32_e32 v5, 0
	v_mov_b32_e32 v10, v0
                                        ; implicit-def: $sgpr20_sgpr21
                                        ; implicit-def: $vgpr14
	s_branch .LBB56_434
.LBB56_433:                             ;   in Loop: Header=BB56_434 Depth=1
	s_or_b64 exec, exec, s[22:23]
	s_xor_b64 s[22:23], s[26:27], -1
	s_and_b64 s[4:5], exec, s[4:5]
	s_or_b64 s[18:19], s[4:5], s[18:19]
	s_andn2_b64 s[4:5], s[20:21], exec
	s_and_b64 s[20:21], s[22:23], exec
	s_or_b64 s[20:21], s[4:5], s[20:21]
	v_mov_b32_e32 v3, v15
	v_mov_b32_e32 v10, v12
	s_andn2_b64 exec, exec, s[18:19]
	s_cbranch_execz .LBB56_446
.LBB56_434:                             ; =>This Inner Loop Header: Depth=1
	v_add_u32_e32 v12, s9, v10
	v_cmp_gt_u32_e32 vcc, s60, v12
	v_mov_b32_e32 v15, 0
	s_and_saveexec_b64 s[4:5], vcc
	s_cbranch_execz .LBB56_436
; %bb.435:                              ;   in Loop: Header=BB56_434 Depth=1
	v_lshlrev_b64 v[16:17], 1, v[4:5]
	v_mov_b32_e32 v11, s8
	v_add_co_u32_e32 v16, vcc, s33, v16
	v_addc_co_u32_e32 v17, vcc, v11, v17, vcc
	global_load_ushort v15, v[16:17], off
.LBB56_436:                             ;   in Loop: Header=BB56_434 Depth=1
	s_or_b64 exec, exec, s[4:5]
	s_waitcnt vmcnt(0)
	v_add_u32_sdwa v11, sext(v3), s6 dst_sel:DWORD dst_unused:UNUSED_PAD src0_sel:WORD_0 src1_sel:DWORD
	v_cmp_gt_u32_e64 s[4:5], v11, v1
	v_cndmask_b32_e64 v16, 0, 1, s[4:5]
	v_cmp_lt_u32_e64 s[4:5], v11, v1
	v_cndmask_b32_e64 v11, 0, 1, s[4:5]
	v_cndmask_b32_e64 v11, v11, v16, s[34:35]
	v_and_b32_e32 v11, 1, v11
	v_cmp_gt_u32_e32 vcc, s60, v10
	v_cmp_eq_u32_e64 s[4:5], 1, v11
	s_and_b64 s[24:25], vcc, s[4:5]
	v_cndmask_b32_e64 v11, 0, 1, s[24:25]
	v_cmp_ne_u32_e32 vcc, 0, v11
	s_cmp_lg_u64 vcc, 0
	s_cselect_b64 s[4:5], -1, 0
	s_and_b64 s[4:5], s[0:1], s[4:5]
	s_and_saveexec_b64 s[22:23], s[4:5]
	s_cbranch_execz .LBB56_440
; %bb.437:                              ;   in Loop: Header=BB56_434 Depth=1
	s_mov_b64 s[28:29], exec
	v_mbcnt_lo_u32_b32 v11, s28, 0
	v_mbcnt_hi_u32_b32 v11, s29, v11
	s_bcnt1_i32_b64 s7, vcc
	v_cmp_eq_u32_e64 s[4:5], 0, v11
                                        ; implicit-def: $vgpr14
	s_and_saveexec_b64 s[26:27], s[4:5]
	s_cbranch_execz .LBB56_439
; %bb.438:                              ;   in Loop: Header=BB56_434 Depth=1
	s_bcnt1_i32_b64 s4, s[28:29]
	s_mul_i32 s4, s7, s4
	s_waitcnt lgkmcnt(0)
	v_mov_b32_e32 v14, s4
	ds_add_rtn_u32 v14, v5, v14 offset:4108
.LBB56_439:                             ;   in Loop: Header=BB56_434 Depth=1
	s_or_b64 exec, exec, s[26:27]
	s_waitcnt lgkmcnt(0)
	v_readfirstlane_b32 s4, v14
	v_mov_b32_e32 v14, s4
	v_mad_u32_u24 v14, s7, v11, v14
.LBB56_440:                             ;   in Loop: Header=BB56_434 Depth=1
	s_or_b64 exec, exec, s[22:23]
	s_waitcnt lgkmcnt(0)
	ds_bpermute_b32 v14, v13, v14
	s_mov_b64 s[4:5], -1
	s_mov_b64 s[28:29], -1
                                        ; implicit-def: $sgpr26_sgpr27
	s_and_saveexec_b64 s[22:23], s[24:25]
	s_cbranch_execz .LBB56_444
; %bb.441:                              ;   in Loop: Header=BB56_434 Depth=1
	v_and_b32_e32 v16, vcc_lo, v6
	v_and_b32_e32 v11, vcc_hi, v7
	v_bcnt_u32_b32 v16, v16, 0
	v_bcnt_u32_b32 v11, v11, v16
	s_waitcnt lgkmcnt(0)
	v_add_u32_e32 v11, v14, v11
	v_cmp_gt_u32_e32 vcc, s61, v11
	s_mov_b64 s[24:25], 0
	s_and_saveexec_b64 s[26:27], vcc
	s_cbranch_execz .LBB56_443
; %bb.442:                              ;   in Loop: Header=BB56_434 Depth=1
	v_mul_lo_u32 v16, v11, s47
	v_mov_b32_e32 v17, v5
	v_lshlrev_b64 v[16:17], 1, v[16:17]
	v_mul_lo_u32 v18, v11, s48
	v_mov_b32_e32 v11, s44
	v_add_co_u32_e32 v16, vcc, s43, v16
	v_addc_co_u32_e32 v17, vcc, v11, v17, vcc
	v_mov_b32_e32 v19, v5
	global_store_short v[16:17], v3, off
	v_lshlrev_b64 v[16:17], 3, v[18:19]
	v_mov_b32_e32 v3, s46
	v_add_co_u32_e32 v16, vcc, s45, v16
	s_mov_b64 s[24:25], exec
	v_mov_b32_e32 v11, v5
	v_addc_co_u32_e32 v17, vcc, v3, v17, vcc
	global_store_dwordx2 v[16:17], v[10:11], off
.LBB56_443:                             ;   in Loop: Header=BB56_434 Depth=1
	s_or_b64 exec, exec, s[26:27]
	s_mov_b64 s[26:27], -1
	s_orn2_b64 s[28:29], s[24:25], exec
.LBB56_444:                             ;   in Loop: Header=BB56_434 Depth=1
	s_or_b64 exec, exec, s[22:23]
	s_and_saveexec_b64 s[22:23], s[28:29]
	s_cbranch_execz .LBB56_433
; %bb.445:                              ;   in Loop: Header=BB56_434 Depth=1
	v_cmp_le_u32_e32 vcc, s42, v12
	v_add_u32_e32 v4, s72, v4
	s_andn2_b64 s[26:27], s[26:27], exec
	s_orn2_b64 s[4:5], vcc, exec
	s_branch .LBB56_433
.LBB56_446:
	s_or_b64 exec, exec, s[18:19]
	s_mov_b64 s[4:5], exec
	s_orn2_b64 s[18:19], s[20:21], exec
	s_or_b64 exec, exec, s[30:31]
	s_and_saveexec_b64 s[40:41], s[18:19]
	s_cbranch_execz .LBB56_423
.LBB56_447:
	s_waitcnt vmcnt(0)
	v_mov_b32_e32 v3, 0
	v_mov_b32_e32 v1, 0
	s_waitcnt lgkmcnt(0)
	s_barrier
	s_mov_b64 s[2:3], exec
	v_readlane_b32 s6, v52, 28
	v_readlane_b32 s7, v52, 29
	s_and_b64 s[6:7], s[2:3], s[6:7]
	s_mov_b64 exec, s[6:7]
	s_cbranch_execz .LBB56_449
; %bb.448:
	global_load_ushort v1, v[8:9], off
.LBB56_449:
	s_or_b64 exec, exec, s[2:3]
	s_mov_b64 s[18:19], 0
                                        ; implicit-def: $sgpr6_sgpr7
                                        ; implicit-def: $sgpr20_sgpr21
                                        ; implicit-def: $sgpr22_sgpr23
                                        ; implicit-def: $vgpr4
	s_branch .LBB56_452
.LBB56_450:                             ;   in Loop: Header=BB56_452 Depth=1
	s_or_b64 exec, exec, s[28:29]
	s_andn2_b64 s[2:3], s[22:23], exec
	s_and_b64 s[22:23], s[34:35], exec
	s_or_b64 s[22:23], s[2:3], s[22:23]
	s_andn2_b64 s[2:3], s[20:21], exec
	s_and_b64 s[20:21], s[26:27], exec
	s_or_b64 s[20:21], s[2:3], s[20:21]
	v_mov_b32_e32 v0, v5
.LBB56_451:                             ;   in Loop: Header=BB56_452 Depth=1
	s_or_b64 exec, exec, s[24:25]
	s_xor_b64 s[2:3], s[22:23], -1
	s_and_b64 s[24:25], exec, s[20:21]
	s_or_b64 s[18:19], s[24:25], s[18:19]
	s_andn2_b64 s[6:7], s[6:7], exec
	s_and_b64 s[2:3], s[2:3], exec
	s_or_b64 s[6:7], s[6:7], s[2:3]
	s_andn2_b64 exec, exec, s[18:19]
	s_cbranch_execz .LBB56_467
.LBB56_452:                             ; =>This Inner Loop Header: Depth=1
	v_cmp_gt_u32_e32 vcc, s42, v0
	s_or_b64 s[22:23], s[22:23], exec
	s_or_b64 s[20:21], s[20:21], exec
	s_and_saveexec_b64 s[24:25], vcc
	s_cbranch_execz .LBB56_451
; %bb.453:                              ;   in Loop: Header=BB56_452 Depth=1
	v_add_u32_e32 v5, s9, v0
	v_cmp_gt_u32_e32 vcc, s60, v5
	v_mov_b32_e32 v8, 0
	s_and_saveexec_b64 s[2:3], vcc
	s_cbranch_execz .LBB56_455
; %bb.454:                              ;   in Loop: Header=BB56_452 Depth=1
	v_lshlrev_b64 v[8:9], 1, v[2:3]
	v_mov_b32_e32 v10, s8
	v_add_co_u32_e32 v8, vcc, s33, v8
	v_addc_co_u32_e32 v9, vcc, v10, v9, vcc
	global_load_ushort v8, v[8:9], off
.LBB56_455:                             ;   in Loop: Header=BB56_452 Depth=1
	s_or_b64 exec, exec, s[2:3]
	v_cmp_gt_u32_e32 vcc, s60, v0
	s_waitcnt vmcnt(0)
	v_cmp_eq_u16_e64 s[2:3], v1, v35
	s_and_b64 s[28:29], vcc, s[2:3]
	v_cndmask_b32_e64 v9, 0, 1, s[28:29]
	v_cmp_ne_u32_e32 vcc, 0, v9
	s_cmp_lg_u64 vcc, 0
	s_cselect_b64 s[2:3], -1, 0
	s_and_b64 s[2:3], s[0:1], s[2:3]
	s_and_saveexec_b64 s[26:27], s[2:3]
	s_cbranch_execz .LBB56_459
; %bb.456:                              ;   in Loop: Header=BB56_452 Depth=1
	s_mov_b64 s[34:35], exec
	v_mbcnt_lo_u32_b32 v4, s34, 0
	v_mbcnt_hi_u32_b32 v4, s35, v4
	s_bcnt1_i32_b64 s36, vcc
	v_cmp_eq_u32_e64 s[2:3], 0, v4
                                        ; implicit-def: $vgpr9
	s_and_saveexec_b64 s[30:31], s[2:3]
	s_cbranch_execz .LBB56_458
; %bb.457:                              ;   in Loop: Header=BB56_452 Depth=1
	s_bcnt1_i32_b64 s2, s[34:35]
	s_mul_i32 s2, s36, s2
	v_mov_b32_e32 v9, s2
	ds_add_rtn_u32 v9, v3, v9 offset:4108
.LBB56_458:                             ;   in Loop: Header=BB56_452 Depth=1
	s_or_b64 exec, exec, s[30:31]
	s_waitcnt lgkmcnt(0)
	v_readfirstlane_b32 s2, v9
	v_mov_b32_e32 v9, s2
	v_mad_u32_u24 v4, s36, v4, v9
.LBB56_459:                             ;   in Loop: Header=BB56_452 Depth=1
	s_or_b64 exec, exec, s[26:27]
	ds_bpermute_b32 v4, v13, v4
	s_cmp_eq_u64 vcc, 0
	s_cselect_b64 s[30:31], -1, 0
	s_mov_b64 s[26:27], -1
	s_mov_b64 s[34:35], -1
	s_waitcnt lgkmcnt(0)
	v_cmp_gt_u32_e64 s[2:3], s61, v4
	s_or_b64 s[2:3], s[30:31], s[2:3]
	v_cndmask_b32_e64 v1, v1, v8, s[2:3]
	s_and_b64 s[36:37], s[28:29], s[2:3]
	s_mov_b64 s[30:31], -1
	s_and_saveexec_b64 s[28:29], s[36:37]
	s_cbranch_execz .LBB56_465
; %bb.460:                              ;   in Loop: Header=BB56_452 Depth=1
	v_and_b32_e32 v9, vcc_lo, v6
	v_and_b32_e32 v1, vcc_hi, v7
	v_bcnt_u32_b32 v9, v9, 0
	v_bcnt_u32_b32 v1, v1, v9
	v_sub_u32_e32 v9, s61, v4
	v_cmp_le_u32_e64 s[30:31], v9, v1
	v_cmp_gt_u32_e32 vcc, v9, v1
	s_mov_b64 s[36:37], -1
	s_and_saveexec_b64 s[34:35], vcc
	s_cbranch_execz .LBB56_464
; %bb.461:                              ;   in Loop: Header=BB56_452 Depth=1
	v_add_u32_e32 v1, v4, v1
	v_cmp_gt_u32_e32 vcc, s61, v1
	s_mov_b64 s[38:39], s[30:31]
	s_and_saveexec_b64 s[36:37], vcc
	s_cbranch_execz .LBB56_463
; %bb.462:                              ;   in Loop: Header=BB56_452 Depth=1
	v_mul_lo_u32 v10, v1, s47
	v_mov_b32_e32 v11, v3
	v_lshlrev_b64 v[10:11], 1, v[10:11]
	v_mul_lo_u32 v14, v1, s48
	v_mov_b32_e32 v1, s44
	v_add_co_u32_e32 v10, vcc, s43, v10
	v_addc_co_u32_e32 v11, vcc, v1, v11, vcc
	v_mov_b32_e32 v15, v3
	global_store_short v[10:11], v35, off
	v_lshlrev_b64 v[10:11], 3, v[14:15]
	v_mov_b32_e32 v9, s46
	v_add_co_u32_e32 v10, vcc, s45, v10
	v_mov_b32_e32 v1, v3
	v_addc_co_u32_e32 v11, vcc, v9, v11, vcc
	s_or_b64 s[38:39], s[30:31], exec
	global_store_dwordx2 v[10:11], v[0:1], off
.LBB56_463:                             ;   in Loop: Header=BB56_452 Depth=1
	s_or_b64 exec, exec, s[36:37]
	s_andn2_b64 s[30:31], s[30:31], exec
	s_and_b64 s[38:39], s[38:39], exec
	s_xor_b64 s[36:37], exec, -1
	s_or_b64 s[30:31], s[30:31], s[38:39]
.LBB56_464:                             ;   in Loop: Header=BB56_452 Depth=1
	s_or_b64 exec, exec, s[34:35]
	s_orn2_b64 s[34:35], s[36:37], exec
	s_or_b64 s[2:3], s[2:3], exec
	s_orn2_b64 s[30:31], s[30:31], exec
	v_mov_b32_e32 v1, v8
.LBB56_465:                             ;   in Loop: Header=BB56_452 Depth=1
	s_or_b64 exec, exec, s[28:29]
	s_and_saveexec_b64 s[28:29], s[30:31]
	s_cbranch_execz .LBB56_450
; %bb.466:                              ;   in Loop: Header=BB56_452 Depth=1
	s_xor_b64 s[2:3], s[2:3], -1
	v_add_u32_e32 v2, s72, v2
	s_or_b64 s[34:35], s[34:35], exec
	s_orn2_b64 s[26:27], s[2:3], exec
	s_branch .LBB56_450
.LBB56_467:
	s_or_b64 exec, exec, s[18:19]
	s_mov_b64 s[0:1], 0
	s_and_saveexec_b64 s[2:3], s[6:7]
	s_xor_b64 s[2:3], exec, s[2:3]
	s_cbranch_execnz .LBB56_473
.LBB56_468:
	s_or_b64 exec, exec, s[2:3]
	s_and_b64 s[2:3], s[0:1], exec
	s_andn2_b64 s[4:5], s[4:5], exec
	s_or_b64 exec, exec, s[40:41]
	s_and_saveexec_b64 s[0:1], s[4:5]
	s_xor_b64 s[0:1], exec, s[0:1]
	s_cbranch_execz .LBB56_424
.LBB56_469:
	s_or_b64 s[2:3], s[2:3], exec
	s_trap 2
	s_branch .LBB56_424
.LBB56_470:
	s_or_b64 s[14:15], s[14:15], exec
	s_trap 2
	s_branch .LBB56_430
.LBB56_471:
	s_or_b64 s[18:19], s[18:19], exec
	s_trap 2
	s_branch .LBB56_428
.LBB56_472:
	s_trap 2
	s_or_b64 s[18:19], s[18:19], exec
	s_branch .LBB56_426
.LBB56_473:
	s_mov_b64 s[0:1], exec
	s_trap 2
	s_branch .LBB56_468
	.section	.rodata,"a",@progbits
	.p2align	6, 0x0
	.amdhsa_kernel _ZN2at6native6sbtopk10gatherTopKIsjLi1ELb0EEEvNS_4cuda6detail10TensorInfoIKT_T0_EES8_S8_bS8_S8_NS5_IS6_S8_EES8_NS5_IlS8_EES8_PS6_
		.amdhsa_group_segment_fixed_size 4112
		.amdhsa_private_segment_fixed_size 0
		.amdhsa_kernarg_size 952
		.amdhsa_user_sgpr_count 6
		.amdhsa_user_sgpr_private_segment_buffer 1
		.amdhsa_user_sgpr_dispatch_ptr 0
		.amdhsa_user_sgpr_queue_ptr 0
		.amdhsa_user_sgpr_kernarg_segment_ptr 1
		.amdhsa_user_sgpr_dispatch_id 0
		.amdhsa_user_sgpr_flat_scratch_init 0
		.amdhsa_user_sgpr_kernarg_preload_length 0
		.amdhsa_user_sgpr_kernarg_preload_offset 0
		.amdhsa_user_sgpr_private_segment_size 0
		.amdhsa_uses_dynamic_stack 0
		.amdhsa_system_sgpr_private_segment_wavefront_offset 0
		.amdhsa_system_sgpr_workgroup_id_x 1
		.amdhsa_system_sgpr_workgroup_id_y 1
		.amdhsa_system_sgpr_workgroup_id_z 1
		.amdhsa_system_sgpr_workgroup_info 0
		.amdhsa_system_vgpr_workitem_id 0
		.amdhsa_next_free_vgpr 53
		.amdhsa_next_free_sgpr 96
		.amdhsa_accum_offset 56
		.amdhsa_reserve_vcc 1
		.amdhsa_reserve_flat_scratch 0
		.amdhsa_float_round_mode_32 0
		.amdhsa_float_round_mode_16_64 0
		.amdhsa_float_denorm_mode_32 3
		.amdhsa_float_denorm_mode_16_64 3
		.amdhsa_dx10_clamp 1
		.amdhsa_ieee_mode 1
		.amdhsa_fp16_overflow 0
		.amdhsa_tg_split 0
		.amdhsa_exception_fp_ieee_invalid_op 0
		.amdhsa_exception_fp_denorm_src 0
		.amdhsa_exception_fp_ieee_div_zero 0
		.amdhsa_exception_fp_ieee_overflow 0
		.amdhsa_exception_fp_ieee_underflow 0
		.amdhsa_exception_fp_ieee_inexact 0
		.amdhsa_exception_int_div_zero 0
	.end_amdhsa_kernel
	.section	.text._ZN2at6native6sbtopk10gatherTopKIsjLi1ELb0EEEvNS_4cuda6detail10TensorInfoIKT_T0_EES8_S8_bS8_S8_NS5_IS6_S8_EES8_NS5_IlS8_EES8_PS6_,"axG",@progbits,_ZN2at6native6sbtopk10gatherTopKIsjLi1ELb0EEEvNS_4cuda6detail10TensorInfoIKT_T0_EES8_S8_bS8_S8_NS5_IS6_S8_EES8_NS5_IlS8_EES8_PS6_,comdat
.Lfunc_end56:
	.size	_ZN2at6native6sbtopk10gatherTopKIsjLi1ELb0EEEvNS_4cuda6detail10TensorInfoIKT_T0_EES8_S8_bS8_S8_NS5_IS6_S8_EES8_NS5_IlS8_EES8_PS6_, .Lfunc_end56-_ZN2at6native6sbtopk10gatherTopKIsjLi1ELb0EEEvNS_4cuda6detail10TensorInfoIKT_T0_EES8_S8_bS8_S8_NS5_IS6_S8_EES8_NS5_IlS8_EES8_PS6_
                                        ; -- End function
	.section	.AMDGPU.csdata,"",@progbits
; Kernel info:
; codeLenInByte = 15556
; NumSgprs: 100
; NumVgprs: 53
; NumAgprs: 0
; TotalNumVgprs: 53
; ScratchSize: 0
; MemoryBound: 0
; FloatMode: 240
; IeeeMode: 1
; LDSByteSize: 4112 bytes/workgroup (compile time only)
; SGPRBlocks: 12
; VGPRBlocks: 6
; NumSGPRsForWavesPerEU: 100
; NumVGPRsForWavesPerEU: 53
; AccumOffset: 56
; Occupancy: 8
; WaveLimiterHint : 1
; COMPUTE_PGM_RSRC2:SCRATCH_EN: 0
; COMPUTE_PGM_RSRC2:USER_SGPR: 6
; COMPUTE_PGM_RSRC2:TRAP_HANDLER: 0
; COMPUTE_PGM_RSRC2:TGID_X_EN: 1
; COMPUTE_PGM_RSRC2:TGID_Y_EN: 1
; COMPUTE_PGM_RSRC2:TGID_Z_EN: 1
; COMPUTE_PGM_RSRC2:TIDIG_COMP_CNT: 0
; COMPUTE_PGM_RSRC3_GFX90A:ACCUM_OFFSET: 13
; COMPUTE_PGM_RSRC3_GFX90A:TG_SPLIT: 0
	.section	.text._ZN2at6native6mbtopk23computeBlockDigitCountsIsjjLi2EEEvNS_4cuda6detail10TensorInfoIKT_T0_EEjPjjS8_iijT1_PSB_Ps,"axG",@progbits,_ZN2at6native6mbtopk23computeBlockDigitCountsIsjjLi2EEEvNS_4cuda6detail10TensorInfoIKT_T0_EEjPjjS8_iijT1_PSB_Ps,comdat
	.protected	_ZN2at6native6mbtopk23computeBlockDigitCountsIsjjLi2EEEvNS_4cuda6detail10TensorInfoIKT_T0_EEjPjjS8_iijT1_PSB_Ps ; -- Begin function _ZN2at6native6mbtopk23computeBlockDigitCountsIsjjLi2EEEvNS_4cuda6detail10TensorInfoIKT_T0_EEjPjjS8_iijT1_PSB_Ps
	.globl	_ZN2at6native6mbtopk23computeBlockDigitCountsIsjjLi2EEEvNS_4cuda6detail10TensorInfoIKT_T0_EEjPjjS8_iijT1_PSB_Ps
	.p2align	8
	.type	_ZN2at6native6mbtopk23computeBlockDigitCountsIsjjLi2EEEvNS_4cuda6detail10TensorInfoIKT_T0_EEjPjjS8_iijT1_PSB_Ps,@function
_ZN2at6native6mbtopk23computeBlockDigitCountsIsjjLi2EEEvNS_4cuda6detail10TensorInfoIKT_T0_EEjPjjS8_iijT1_PSB_Ps: ; @_ZN2at6native6mbtopk23computeBlockDigitCountsIsjjLi2EEEvNS_4cuda6detail10TensorInfoIKT_T0_EEjPjjS8_iijT1_PSB_Ps
; %bb.0:
	s_load_dwordx2 s[10:11], s[4:5], 0xf8
	s_load_dwordx4 s[12:15], s[4:5], 0xe8
	s_load_dwordx2 s[0:1], s[4:5], 0x110
	s_waitcnt lgkmcnt(0)
	v_cvt_f32_u32_e32 v1, s10
	s_sub_i32 s2, 0, s10
	s_mul_i32 s1, s1, s8
	s_add_i32 s1, s1, s7
	v_rcp_iflag_f32_e32 v1, v1
	s_mul_i32 s16, s1, s0
	s_add_i32 s16, s16, s6
	s_mov_b32 s7, 0
	v_mul_f32_e32 v1, 0x4f7ffffe, v1
	v_cvt_u32_f32_e32 v1, v1
	v_readfirstlane_b32 s0, v1
	s_mul_i32 s2, s2, s0
	s_mul_hi_u32 s1, s0, s2
	s_add_i32 s0, s0, s1
	s_mul_hi_u32 s0, s16, s0
	s_mul_i32 s1, s0, s10
	s_sub_i32 s1, s16, s1
	s_add_i32 s2, s0, 1
	s_sub_i32 s3, s1, s10
	s_cmp_ge_u32 s1, s10
	s_cselect_b32 s0, s2, s0
	s_cselect_b32 s1, s3, s1
	s_add_i32 s2, s0, 1
	s_cmp_ge_u32 s1, s10
	s_cselect_b32 s6, s2, s0
	s_cmp_ge_u32 s6, s12
	s_cbranch_scc1 .LBB57_29
; %bb.1:
	s_load_dword s12, s[4:5], 0xc
	s_load_dwordx4 s[0:3], s[4:5], 0x100
	s_lshl_b64 s[8:9], s[6:7], 2
	s_movk_i32 s7, 0x100
	v_cmp_gt_u32_e32 vcc, s7, v0
	s_waitcnt lgkmcnt(0)
	v_cvt_f32_u32_e32 v1, s12
	s_add_u32 s0, s0, s8
	s_addc_u32 s1, s1, s9
	v_rcp_iflag_f32_e32 v1, v1
	v_mul_f32_e32 v1, 0x4f7ffffe, v1
	v_cvt_u32_f32_e32 v1, v1
	v_readfirstlane_b32 s18, v1
	v_lshlrev_b32_e32 v1, 2, v0
	s_and_saveexec_b64 s[8:9], vcc
	s_cbranch_execz .LBB57_3
; %bb.2:
	v_mov_b32_e32 v2, 0
	ds_write_b32 v1, v2
.LBB57_3:
	s_or_b64 exec, exec, s[8:9]
	s_load_dword s8, s[4:5], 0xd8
	s_mul_i32 s7, s6, s10
	s_sub_i32 s7, s16, s7
	s_add_i32 s9, s7, 1
	s_mul_i32 s7, s15, s7
	s_lshl_b32 s17, s7, 8
	s_waitcnt lgkmcnt(0)
	s_sub_i32 s7, s8, s17
	s_add_u32 s7, s7, 0xff
	s_addc_u32 s19, 0, 0
	v_mov_b32_e32 v2, s7
	v_alignbit_b32 v2, s19, v2, 8
	s_cmp_lt_u32 s9, s10
	v_readfirstlane_b32 s7, v2
	s_cselect_b32 s15, s15, s7
	s_cmp_lt_i32 s15, 1
	s_mov_b32 s7, 0
	s_barrier
	s_cbranch_scc1 .LBB57_25
; %bb.4:
	s_sub_i32 s9, 0, s12
	s_mul_i32 s9, s9, s18
	s_mul_hi_u32 s9, s18, s9
	s_add_i32 s9, s18, s9
	s_load_dwordx2 s[18:19], s[4:5], 0x6c
	s_load_dwordx2 s[20:21], s[4:5], 0x0
	s_mul_hi_u32 s4, s6, s9
	s_load_dword s9, s[0:1], 0x0
	s_mul_i32 s0, s4, s12
	s_sub_i32 s0, s6, s0
	s_add_i32 s1, s4, 1
	s_sub_i32 s5, s0, s12
	s_cmp_ge_u32 s0, s12
	s_cselect_b32 s1, s1, s4
	s_cselect_b32 s0, s5, s0
	s_add_i32 s4, s1, 1
	s_cmp_ge_u32 s0, s12
	s_cselect_b32 s0, s4, s1
	s_mul_i32 s1, s0, s12
	s_sub_i32 s1, s6, s1
	s_waitcnt lgkmcnt(0)
	s_mul_i32 s1, s1, s19
	s_mul_i32 s0, s0, s18
	s_add_i32 s6, s0, s1
	s_lshl_b64 s[0:1], s[6:7], 1
	s_add_u32 s6, s20, s0
	s_addc_u32 s10, s21, s1
	s_and_b32 s12, s14, 0xff
	s_cmp_lt_u32 s15, 4
	s_cbranch_scc1 .LBB57_19
; %bb.5:
	v_add_u32_e32 v2, s17, v0
	v_add_u32_e32 v3, 0x200, v2
	;; [unrolled: 1-line block ×3, first 2 shown]
	v_mul_lo_u32 v6, s13, v3
	v_add_u32_e32 v3, 0x100, v2
	s_and_b32 s7, s15, 0x7ffffffc
	v_mul_lo_u32 v5, s13, v4
	s_lshl_b32 s14, s13, 10
	v_mul_lo_u32 v7, s13, v3
	v_mul_lo_u32 v8, s13, v2
	s_mov_b32 s18, 0
	v_mov_b32_e32 v3, 0
	v_mov_b32_e32 v9, 1
	s_mov_b32 s19, 0
	s_branch .LBB57_7
.LBB57_6:                               ;   in Loop: Header=BB57_7 Depth=1
	s_or_b64 exec, exec, s[4:5]
	s_add_i32 s19, s19, 4
	s_add_i32 s18, s18, s14
	s_cmp_eq_u32 s7, s19
	v_add_u32_e32 v4, 0x400, v4
	s_cbranch_scc1 .LBB57_19
.LBB57_7:                               ; =>This Inner Loop Header: Depth=1
	v_add_u32_e32 v2, 0xfffffd00, v4
	v_cmp_gt_u32_e64 s[0:1], s8, v2
	s_and_saveexec_b64 s[4:5], s[0:1]
	s_cbranch_execz .LBB57_10
; %bb.8:                                ;   in Loop: Header=BB57_7 Depth=1
	v_add_u32_e32 v2, s18, v8
	v_lshlrev_b64 v[10:11], 1, v[2:3]
	v_mov_b32_e32 v2, s10
	v_add_co_u32_e64 v10, s[0:1], s6, v10
	v_addc_co_u32_e64 v11, s[0:1], v2, v11, s[0:1]
	global_load_sshort v2, v[10:11], off
	s_waitcnt vmcnt(0)
	v_add_u32_e32 v2, 0x8000, v2
	v_xor_b32_e32 v10, s9, v2
	v_and_b32_e32 v10, s11, v10
	v_cmp_eq_u32_e64 s[0:1], 0, v10
	s_and_b64 exec, exec, s[0:1]
	s_cbranch_execz .LBB57_10
; %bb.9:                                ;   in Loop: Header=BB57_7 Depth=1
	v_bfe_u32 v2, v2, s12, 8
	v_lshlrev_b32_e32 v2, 2, v2
	ds_add_u32 v2, v9
.LBB57_10:                              ;   in Loop: Header=BB57_7 Depth=1
	s_or_b64 exec, exec, s[4:5]
	v_add_u32_e32 v2, 0xfffffe00, v4
	v_cmp_gt_u32_e64 s[0:1], s8, v2
	s_and_saveexec_b64 s[4:5], s[0:1]
	s_cbranch_execz .LBB57_13
; %bb.11:                               ;   in Loop: Header=BB57_7 Depth=1
	v_add_u32_e32 v2, s18, v7
	v_lshlrev_b64 v[10:11], 1, v[2:3]
	v_mov_b32_e32 v2, s10
	v_add_co_u32_e64 v10, s[0:1], s6, v10
	v_addc_co_u32_e64 v11, s[0:1], v2, v11, s[0:1]
	global_load_sshort v2, v[10:11], off
	s_waitcnt vmcnt(0)
	v_add_u32_e32 v2, 0x8000, v2
	v_xor_b32_e32 v10, s9, v2
	v_and_b32_e32 v10, s11, v10
	v_cmp_eq_u32_e64 s[0:1], 0, v10
	s_and_b64 exec, exec, s[0:1]
	s_cbranch_execz .LBB57_13
; %bb.12:                               ;   in Loop: Header=BB57_7 Depth=1
	v_bfe_u32 v2, v2, s12, 8
	v_lshlrev_b32_e32 v2, 2, v2
	ds_add_u32 v2, v9
.LBB57_13:                              ;   in Loop: Header=BB57_7 Depth=1
	s_or_b64 exec, exec, s[4:5]
	v_add_u32_e32 v2, 0xffffff00, v4
	v_cmp_gt_u32_e64 s[0:1], s8, v2
	s_and_saveexec_b64 s[4:5], s[0:1]
	s_cbranch_execz .LBB57_16
; %bb.14:                               ;   in Loop: Header=BB57_7 Depth=1
	v_add_u32_e32 v2, s18, v6
	v_lshlrev_b64 v[10:11], 1, v[2:3]
	v_mov_b32_e32 v2, s10
	v_add_co_u32_e64 v10, s[0:1], s6, v10
	v_addc_co_u32_e64 v11, s[0:1], v2, v11, s[0:1]
	global_load_sshort v2, v[10:11], off
	s_waitcnt vmcnt(0)
	v_add_u32_e32 v2, 0x8000, v2
	v_xor_b32_e32 v10, s9, v2
	v_and_b32_e32 v10, s11, v10
	v_cmp_eq_u32_e64 s[0:1], 0, v10
	s_and_b64 exec, exec, s[0:1]
	s_cbranch_execz .LBB57_16
; %bb.15:                               ;   in Loop: Header=BB57_7 Depth=1
	v_bfe_u32 v2, v2, s12, 8
	v_lshlrev_b32_e32 v2, 2, v2
	ds_add_u32 v2, v9
.LBB57_16:                              ;   in Loop: Header=BB57_7 Depth=1
	s_or_b64 exec, exec, s[4:5]
	v_cmp_gt_u32_e64 s[0:1], s8, v4
	s_and_saveexec_b64 s[4:5], s[0:1]
	s_cbranch_execz .LBB57_6
; %bb.17:                               ;   in Loop: Header=BB57_7 Depth=1
	v_add_u32_e32 v2, s18, v5
	v_lshlrev_b64 v[10:11], 1, v[2:3]
	v_mov_b32_e32 v2, s10
	v_add_co_u32_e64 v10, s[0:1], s6, v10
	v_addc_co_u32_e64 v11, s[0:1], v2, v11, s[0:1]
	global_load_sshort v2, v[10:11], off
	s_waitcnt vmcnt(0)
	v_add_u32_e32 v2, 0x8000, v2
	v_xor_b32_e32 v10, s9, v2
	v_and_b32_e32 v10, s11, v10
	v_cmp_eq_u32_e64 s[0:1], 0, v10
	s_and_b64 exec, exec, s[0:1]
	s_cbranch_execz .LBB57_6
; %bb.18:                               ;   in Loop: Header=BB57_7 Depth=1
	v_bfe_u32 v2, v2, s12, 8
	v_lshlrev_b32_e32 v2, 2, v2
	ds_add_u32 v2, v9
	s_branch .LBB57_6
.LBB57_19:
	s_and_b32 s14, s15, 3
	s_cmp_eq_u32 s14, 0
	s_cbranch_scc1 .LBB57_25
; %bb.20:
	s_lshl_b32 s0, s7, 8
	s_add_i32 s0, s0, s17
	v_add_u32_e32 v4, s0, v0
	v_mul_lo_u32 v2, s13, v4
	s_lshl_b32 s7, s13, 8
	v_mov_b32_e32 v3, 0
	v_mov_b32_e32 v5, 1
	s_branch .LBB57_22
.LBB57_21:                              ;   in Loop: Header=BB57_22 Depth=1
	s_or_b64 exec, exec, s[4:5]
	s_add_i32 s14, s14, -1
	v_add_u32_e32 v2, s7, v2
	s_cmp_lg_u32 s14, 0
	v_add_u32_e32 v4, 0x100, v4
	s_cbranch_scc0 .LBB57_25
.LBB57_22:                              ; =>This Inner Loop Header: Depth=1
	v_cmp_gt_u32_e64 s[0:1], s8, v4
	s_and_saveexec_b64 s[4:5], s[0:1]
	s_cbranch_execz .LBB57_21
; %bb.23:                               ;   in Loop: Header=BB57_22 Depth=1
	v_lshlrev_b64 v[6:7], 1, v[2:3]
	v_mov_b32_e32 v8, s10
	v_add_co_u32_e64 v6, s[0:1], s6, v6
	v_addc_co_u32_e64 v7, s[0:1], v8, v7, s[0:1]
	global_load_sshort v6, v[6:7], off
	s_waitcnt vmcnt(0)
	v_add_u32_e32 v6, 0x8000, v6
	v_xor_b32_e32 v7, s9, v6
	v_and_b32_e32 v7, s11, v7
	v_cmp_eq_u32_e64 s[0:1], 0, v7
	s_and_b64 exec, exec, s[0:1]
	s_cbranch_execz .LBB57_21
; %bb.24:                               ;   in Loop: Header=BB57_22 Depth=1
	v_bfe_u32 v6, v6, s12, 8
	v_lshlrev_b32_e32 v6, 2, v6
	ds_add_u32 v6, v5
	s_branch .LBB57_21
.LBB57_25:
	v_mov_b32_e32 v2, 0
	s_waitcnt lgkmcnt(0)
	s_barrier
	s_and_saveexec_b64 s[0:1], vcc
	s_cbranch_execz .LBB57_27
; %bb.26:
	ds_read_b32 v2, v1
.LBB57_27:
	s_or_b64 exec, exec, s[0:1]
	s_and_saveexec_b64 s[0:1], vcc
	s_cbranch_execz .LBB57_29
; %bb.28:
	v_lshl_or_b32 v0, s16, 8, v0
	v_mov_b32_e32 v1, 0
	v_lshlrev_b64 v[0:1], 1, v[0:1]
	v_mov_b32_e32 v3, s3
	v_add_co_u32_e32 v0, vcc, s2, v0
	v_addc_co_u32_e32 v1, vcc, v3, v1, vcc
	s_waitcnt lgkmcnt(0)
	global_store_short v[0:1], v2, off
.LBB57_29:
	s_endpgm
	.section	.rodata,"a",@progbits
	.p2align	6, 0x0
	.amdhsa_kernel _ZN2at6native6mbtopk23computeBlockDigitCountsIsjjLi2EEEvNS_4cuda6detail10TensorInfoIKT_T0_EEjPjjS8_iijT1_PSB_Ps
		.amdhsa_group_segment_fixed_size 1024
		.amdhsa_private_segment_fixed_size 0
		.amdhsa_kernarg_size 528
		.amdhsa_user_sgpr_count 6
		.amdhsa_user_sgpr_private_segment_buffer 1
		.amdhsa_user_sgpr_dispatch_ptr 0
		.amdhsa_user_sgpr_queue_ptr 0
		.amdhsa_user_sgpr_kernarg_segment_ptr 1
		.amdhsa_user_sgpr_dispatch_id 0
		.amdhsa_user_sgpr_flat_scratch_init 0
		.amdhsa_user_sgpr_kernarg_preload_length 0
		.amdhsa_user_sgpr_kernarg_preload_offset 0
		.amdhsa_user_sgpr_private_segment_size 0
		.amdhsa_uses_dynamic_stack 0
		.amdhsa_system_sgpr_private_segment_wavefront_offset 0
		.amdhsa_system_sgpr_workgroup_id_x 1
		.amdhsa_system_sgpr_workgroup_id_y 1
		.amdhsa_system_sgpr_workgroup_id_z 1
		.amdhsa_system_sgpr_workgroup_info 0
		.amdhsa_system_vgpr_workitem_id 0
		.amdhsa_next_free_vgpr 12
		.amdhsa_next_free_sgpr 22
		.amdhsa_accum_offset 12
		.amdhsa_reserve_vcc 1
		.amdhsa_reserve_flat_scratch 0
		.amdhsa_float_round_mode_32 0
		.amdhsa_float_round_mode_16_64 0
		.amdhsa_float_denorm_mode_32 3
		.amdhsa_float_denorm_mode_16_64 3
		.amdhsa_dx10_clamp 1
		.amdhsa_ieee_mode 1
		.amdhsa_fp16_overflow 0
		.amdhsa_tg_split 0
		.amdhsa_exception_fp_ieee_invalid_op 0
		.amdhsa_exception_fp_denorm_src 0
		.amdhsa_exception_fp_ieee_div_zero 0
		.amdhsa_exception_fp_ieee_overflow 0
		.amdhsa_exception_fp_ieee_underflow 0
		.amdhsa_exception_fp_ieee_inexact 0
		.amdhsa_exception_int_div_zero 0
	.end_amdhsa_kernel
	.section	.text._ZN2at6native6mbtopk23computeBlockDigitCountsIsjjLi2EEEvNS_4cuda6detail10TensorInfoIKT_T0_EEjPjjS8_iijT1_PSB_Ps,"axG",@progbits,_ZN2at6native6mbtopk23computeBlockDigitCountsIsjjLi2EEEvNS_4cuda6detail10TensorInfoIKT_T0_EEjPjjS8_iijT1_PSB_Ps,comdat
.Lfunc_end57:
	.size	_ZN2at6native6mbtopk23computeBlockDigitCountsIsjjLi2EEEvNS_4cuda6detail10TensorInfoIKT_T0_EEjPjjS8_iijT1_PSB_Ps, .Lfunc_end57-_ZN2at6native6mbtopk23computeBlockDigitCountsIsjjLi2EEEvNS_4cuda6detail10TensorInfoIKT_T0_EEjPjjS8_iijT1_PSB_Ps
                                        ; -- End function
	.section	.AMDGPU.csdata,"",@progbits
; Kernel info:
; codeLenInByte = 1340
; NumSgprs: 26
; NumVgprs: 12
; NumAgprs: 0
; TotalNumVgprs: 12
; ScratchSize: 0
; MemoryBound: 0
; FloatMode: 240
; IeeeMode: 1
; LDSByteSize: 1024 bytes/workgroup (compile time only)
; SGPRBlocks: 3
; VGPRBlocks: 1
; NumSGPRsForWavesPerEU: 26
; NumVGPRsForWavesPerEU: 12
; AccumOffset: 12
; Occupancy: 8
; WaveLimiterHint : 1
; COMPUTE_PGM_RSRC2:SCRATCH_EN: 0
; COMPUTE_PGM_RSRC2:USER_SGPR: 6
; COMPUTE_PGM_RSRC2:TRAP_HANDLER: 0
; COMPUTE_PGM_RSRC2:TGID_X_EN: 1
; COMPUTE_PGM_RSRC2:TGID_Y_EN: 1
; COMPUTE_PGM_RSRC2:TGID_Z_EN: 1
; COMPUTE_PGM_RSRC2:TIDIG_COMP_CNT: 0
; COMPUTE_PGM_RSRC3_GFX90A:ACCUM_OFFSET: 2
; COMPUTE_PGM_RSRC3_GFX90A:TG_SPLIT: 0
	.section	.text._ZN2at6native6mbtopk10gatherTopKIsjLi2EEEvNS_4cuda6detail10TensorInfoIKT_T0_EES8_S8_bjS8_NS5_IS6_S8_EES8_NS5_IlS8_EES8_jjPS6_PjSD_j,"axG",@progbits,_ZN2at6native6mbtopk10gatherTopKIsjLi2EEEvNS_4cuda6detail10TensorInfoIKT_T0_EES8_S8_bjS8_NS5_IS6_S8_EES8_NS5_IlS8_EES8_jjPS6_PjSD_j,comdat
	.protected	_ZN2at6native6mbtopk10gatherTopKIsjLi2EEEvNS_4cuda6detail10TensorInfoIKT_T0_EES8_S8_bjS8_NS5_IS6_S8_EES8_NS5_IlS8_EES8_jjPS6_PjSD_j ; -- Begin function _ZN2at6native6mbtopk10gatherTopKIsjLi2EEEvNS_4cuda6detail10TensorInfoIKT_T0_EES8_S8_bjS8_NS5_IS6_S8_EES8_NS5_IlS8_EES8_jjPS6_PjSD_j
	.globl	_ZN2at6native6mbtopk10gatherTopKIsjLi2EEEvNS_4cuda6detail10TensorInfoIKT_T0_EES8_S8_bjS8_NS5_IS6_S8_EES8_NS5_IlS8_EES8_jjPS6_PjSD_j
	.p2align	8
	.type	_ZN2at6native6mbtopk10gatherTopKIsjLi2EEEvNS_4cuda6detail10TensorInfoIKT_T0_EES8_S8_bjS8_NS5_IS6_S8_EES8_NS5_IlS8_EES8_jjPS6_PjSD_j,@function
_ZN2at6native6mbtopk10gatherTopKIsjLi2EEEvNS_4cuda6detail10TensorInfoIKT_T0_EES8_S8_bjS8_NS5_IS6_S8_EES8_NS5_IlS8_EES8_jjPS6_PjSD_j: ; @_ZN2at6native6mbtopk10gatherTopKIsjLi2EEEvNS_4cuda6detail10TensorInfoIKT_T0_EES8_S8_bjS8_NS5_IS6_S8_EES8_NS5_IlS8_EES8_jjPS6_PjSD_j
; %bb.0:
	s_load_dwordx2 s[0:1], s[4:5], 0x2d8
	s_load_dword s2, s[4:5], 0x2d0
	s_waitcnt lgkmcnt(0)
	s_mul_i32 s1, s1, s8
	s_add_i32 s1, s1, s7
	s_mul_i32 s0, s1, s0
	s_add_i32 s0, s0, s6
	s_cmp_ge_u32 s0, s2
	s_cbranch_scc1 .LBB58_40
; %bb.1:
	s_load_dwordx8 s[8:15], s[4:5], 0x2a8
	s_load_dword s33, s[4:5], 0xc
	s_load_dword s40, s[4:5], 0xfc
	s_load_dwordx2 s[20:21], s[4:5], 0x1d0
	s_load_dword s41, s[4:5], 0x1dc
	s_waitcnt lgkmcnt(0)
	v_cvt_f32_u32_e32 v1, s10
	v_cvt_f32_u32_e32 v2, s33
	s_sub_i32 s1, 0, s10
	v_cvt_f32_u32_e32 v3, s40
	v_rcp_iflag_f32_e32 v1, v1
	v_rcp_iflag_f32_e32 v2, v2
	s_mov_b32 s7, 0
	v_mul_f32_e32 v1, 0x4f7ffffe, v1
	v_cvt_u32_f32_e32 v1, v1
	v_mul_f32_e32 v2, 0x4f7ffffe, v2
	v_cvt_u32_f32_e32 v2, v2
	v_readfirstlane_b32 s2, v1
	s_mul_i32 s1, s1, s2
	s_mul_hi_u32 s1, s2, s1
	s_add_i32 s2, s2, s1
	s_mul_hi_u32 s1, s0, s2
	s_mul_i32 s2, s1, s10
	v_rcp_iflag_f32_e32 v1, v3
	v_readfirstlane_b32 s3, v2
	s_sub_i32 s2, s0, s2
	v_cvt_f32_u32_e32 v2, s41
	s_add_i32 s6, s1, 1
	s_sub_i32 s11, s2, s10
	s_cmp_ge_u32 s2, s10
	s_cselect_b32 s1, s6, s1
	v_mul_f32_e32 v1, 0x4f7ffffe, v1
	s_cselect_b32 s2, s11, s2
	s_add_i32 s6, s1, 1
	v_cvt_u32_f32_e32 v1, v1
	v_rcp_iflag_f32_e32 v2, v2
	s_cmp_ge_u32 s2, s10
	s_cselect_b32 s6, s6, s1
	s_sub_i32 s1, 0, s33
	s_mul_i32 s16, s6, s10
	s_mul_i32 s1, s1, s3
	s_sub_i32 s11, s0, s16
	s_mul_hi_u32 s0, s3, s1
	v_readfirstlane_b32 s1, v1
	v_mul_f32_e32 v1, 0x4f7ffffe, v2
	v_cvt_u32_f32_e32 v1, v1
	s_add_i32 s3, s3, s0
	s_sub_i32 s0, 0, s40
	s_mul_i32 s0, s0, s1
	s_mul_hi_u32 s0, s1, s0
	s_add_i32 s2, s1, s0
	s_sub_i32 s0, 0, s41
	v_readfirstlane_b32 s1, v1
	s_mul_i32 s0, s0, s1
	s_mul_hi_u32 s0, s1, s0
	s_add_i32 s17, s1, s0
	s_lshl_b64 s[0:1], s[6:7], 1
	s_add_u32 s0, s12, s0
	s_addc_u32 s1, s13, s1
	v_mov_b32_e32 v1, 0
	global_load_ushort v5, v1, s[0:1]
	s_load_dwordx2 s[28:29], s[4:5], 0x15c
	s_load_dwordx2 s[22:23], s[4:5], 0xf0
	;; [unrolled: 1-line block ×5, first 2 shown]
	s_mul_hi_u32 s44, s6, s3
	s_mul_hi_u32 s43, s6, s2
	;; [unrolled: 1-line block ×3, first 2 shown]
	v_cmp_ne_u32_e64 s[0:1], 0, v0
	v_cmp_eq_u32_e64 s[2:3], 0, v0
	s_and_saveexec_b64 s[12:13], s[2:3]
	s_cbranch_execz .LBB58_17
; %bb.2:
	s_load_dwordx2 s[34:35], s[4:5], 0x2c8
	s_mov_b32 s17, s7
	s_lshl_b64 s[36:37], s[16:17], 2
	s_add_u32 s16, s14, s36
	s_addc_u32 s17, s15, s37
	s_waitcnt lgkmcnt(0)
	s_add_u32 s18, s34, s36
	s_addc_u32 s19, s35, s37
	s_cmp_lt_u32 s10, 4
	s_cbranch_scc1 .LBB58_14
; %bb.3:
	s_mov_b32 s45, s7
	s_mov_b32 s46, s7
	;; [unrolled: 1-line block ×3, first 2 shown]
.LBB58_4:                               ; =>This Inner Loop Header: Depth=1
	s_add_u32 s16, s14, s36
	s_addc_u32 s17, s15, s37
	s_load_dwordx4 s[16:19], s[16:17], 0x0
	s_add_u32 s38, s34, s36
	s_addc_u32 s39, s35, s37
	s_cmp_ge_u32 s47, s11
	s_cbranch_scc0 .LBB58_11
; %bb.5:                                ;   in Loop: Header=BB58_4 Depth=1
	s_add_i32 s48, s47, 1
	s_cmp_ge_u32 s48, s11
	s_cbranch_scc0 .LBB58_12
.LBB58_6:                               ;   in Loop: Header=BB58_4 Depth=1
	s_add_i32 s48, s48, 1
	s_cmp_ge_u32 s48, s11
	s_cbranch_scc0 .LBB58_13
.LBB58_7:                               ;   in Loop: Header=BB58_4 Depth=1
	s_add_i32 s48, s48, 1
	s_cmp_ge_u32 s48, s11
	s_cbranch_scc1 .LBB58_9
.LBB58_8:                               ;   in Loop: Header=BB58_4 Depth=1
	s_load_dword s38, s[38:39], 0xc
	s_waitcnt lgkmcnt(0)
	s_add_i32 s7, s7, s19
	s_add_i32 s45, s38, s45
.LBB58_9:                               ;   in Loop: Header=BB58_4 Depth=1
	s_waitcnt lgkmcnt(0)
	s_add_i32 s16, s16, s46
	s_add_i32 s16, s16, s17
	;; [unrolled: 1-line block ×4, first 2 shown]
	s_add_u32 s14, s14, 16
	s_addc_u32 s15, s15, 0
	s_add_u32 s34, s34, 16
	s_addc_u32 s35, s35, 0
	s_add_i32 s39, s48, 4
	s_add_u32 s18, s34, s36
	s_addc_u32 s19, s35, s37
	s_add_u32 s16, s14, s36
	s_addc_u32 s17, s15, s37
	s_add_i32 s38, s48, 1
	s_cmp_ge_u32 s39, s10
	s_cbranch_scc1 .LBB58_15
; %bb.10:                               ;   in Loop: Header=BB58_4 Depth=1
	s_mov_b32 s47, s38
	s_branch .LBB58_4
.LBB58_11:                              ;   in Loop: Header=BB58_4 Depth=1
	s_load_dword s48, s[38:39], 0x0
	s_waitcnt lgkmcnt(0)
	s_add_i32 s7, s16, s7
	s_add_i32 s45, s48, s45
	;; [unrolled: 1-line block ×3, first 2 shown]
	s_cmp_ge_u32 s48, s11
	s_cbranch_scc1 .LBB58_6
.LBB58_12:                              ;   in Loop: Header=BB58_4 Depth=1
	s_load_dword s49, s[38:39], 0x4
	s_waitcnt lgkmcnt(0)
	s_add_i32 s7, s7, s17
	s_add_i32 s45, s49, s45
	;; [unrolled: 1-line block ×3, first 2 shown]
	s_cmp_ge_u32 s48, s11
	s_cbranch_scc1 .LBB58_7
.LBB58_13:                              ;   in Loop: Header=BB58_4 Depth=1
	s_load_dword s49, s[38:39], 0x8
	s_waitcnt lgkmcnt(0)
	s_add_i32 s7, s7, s18
	s_add_i32 s45, s49, s45
	;; [unrolled: 1-line block ×3, first 2 shown]
	s_cmp_ge_u32 s48, s11
	s_cbranch_scc0 .LBB58_8
	s_branch .LBB58_9
.LBB58_14:
	s_mov_b32 s45, 0
	s_mov_b32 s46, 0
	;; [unrolled: 1-line block ×3, first 2 shown]
	s_cmp_ge_u32 s14, s10
	s_cbranch_scc0 .LBB58_38
	s_branch .LBB58_16
.LBB58_15:
	s_add_i32 s14, s47, 4
	s_cmp_ge_u32 s14, s10
	s_cbranch_scc0 .LBB58_38
.LBB58_16:
	v_mov_b32_e32 v2, s45
	v_mov_b32_e32 v3, s46
	;; [unrolled: 1-line block ×4, first 2 shown]
	ds_write_b96 v1, v[2:4] offset:1056
.LBB58_17:
	s_or_b64 exec, exec, s[12:13]
	s_load_dwordx4 s[12:15], s[4:5], 0xd8
	s_waitcnt lgkmcnt(0)
	s_mul_i32 s15, s9, s11
	s_lshl_b32 s34, s15, 8
	s_add_i32 s7, s11, 1
	s_mov_b32 s11, 0
	s_sub_i32 s15, s12, s34
	s_add_u32 s15, s15, 0xff
	s_addc_u32 s16, 0, 0
	v_mov_b32_e32 v1, s15
	v_alignbit_b32 v1, s16, v1, 8
	s_cmp_lt_u32 s7, s10
	v_readfirstlane_b32 s7, v1
	s_cselect_b32 s9, s9, s7
	s_cmp_eq_u32 s9, 0
	s_barrier
	s_cbranch_scc1 .LBB58_40
; %bb.18:
	s_mul_i32 s7, s44, s33
	s_sub_i32 s7, s6, s7
	s_add_i32 s10, s44, 1
	s_sub_i32 s15, s7, s33
	s_cmp_ge_u32 s7, s33
	s_cselect_b32 s10, s10, s44
	s_cselect_b32 s7, s15, s7
	s_add_i32 s15, s10, 1
	s_cmp_ge_u32 s7, s33
	s_cselect_b32 s7, s15, s10
	s_mul_i32 s10, s7, s33
	s_sub_i32 s10, s6, s10
	s_mul_i32 s10, s10, s31
	s_mul_i32 s7, s7, s30
	s_add_i32 s10, s7, s10
	s_mul_i32 s7, s43, s40
	s_sub_i32 s7, s6, s7
	s_add_i32 s15, s43, 1
	s_sub_i32 s16, s7, s40
	s_cmp_ge_u32 s7, s40
	s_cselect_b32 s15, s15, s43
	s_cselect_b32 s7, s16, s7
	s_add_i32 s16, s15, 1
	s_cmp_ge_u32 s7, s40
	s_cselect_b32 s7, s16, s15
	s_mul_i32 s15, s7, s40
	s_sub_i32 s15, s6, s15
	s_mul_i32 s15, s15, s29
	s_mul_i32 s7, s7, s28
	s_add_i32 s18, s7, s15
	s_mul_i32 s7, s42, s41
	s_sub_i32 s7, s6, s7
	s_add_i32 s15, s42, 1
	s_sub_i32 s16, s7, s41
	s_cmp_ge_u32 s7, s41
	s_cselect_b32 s15, s15, s42
	s_cselect_b32 s7, s16, s7
	s_add_i32 s16, s15, 1
	s_cmp_ge_u32 s7, s41
	s_cselect_b32 s7, s16, s15
	s_mul_i32 s15, s7, s41
	s_sub_i32 s6, s6, s15
	s_mul_i32 s6, s6, s27
	s_mul_i32 s7, s7, s26
	v_mov_b32_e32 v1, 0
	s_add_i32 s6, s7, s6
	s_lshl_b64 s[16:17], s[10:11], 1
	ds_read_b96 v[2:4], v1 offset:1056
	s_add_u32 s15, s24, s16
	s_mov_b32 s19, s11
	s_addc_u32 s16, s25, s17
	s_lshl_b64 s[18:19], s[18:19], 1
	s_add_u32 s17, s22, s18
	s_mov_b32 s7, s11
	s_addc_u32 s18, s23, s19
	s_lshl_b64 s[6:7], s[6:7], 3
	s_add_u32 s19, s20, s6
	s_waitcnt lgkmcnt(0)
	v_add_u32_e32 v7, v2, v3
	v_lshrrev_b32_e32 v2, 5, v0
	s_addc_u32 s20, s21, s7
	v_add_lshl_u32 v8, v2, v0, 2
	v_lshlrev_b32_e32 v2, 2, v0
	v_lshrrev_b32_e32 v3, 3, v0
	s_bitcmp1_b32 s14, 0
	s_load_dword s10, s[4:5], 0xe8
	s_load_dword s14, s[4:5], 0x1c8
	v_add_lshl_u32 v9, v3, v2, 2
	v_add_u32_e32 v2, -1, v0
	v_lshrrev_b32_e32 v3, 5, v2
	v_add_lshl_u32 v10, v3, v2, 2
	v_mbcnt_lo_u32_b32 v3, -1, 0
	s_mov_b32 s21, 0x8000
	v_add_u32_e32 v2, s34, v0
	v_mbcnt_hi_u32_b32 v11, -1, v3
	s_waitcnt vmcnt(0)
	v_add_u32_sdwa v6, sext(v5), s21 dst_sel:DWORD dst_unused:UNUSED_PAD src0_sel:WORD_0 src1_sel:DWORD
	s_cselect_b64 s[6:7], -1, 0
	v_cmp_gt_u32_e64 s[4:5], 64, v0
	s_waitcnt lgkmcnt(0)
	v_mul_lo_u32 v0, s10, v2
	s_lshl_b32 s22, s10, 8
	v_and_b32_e32 v12, 15, v11
	v_bfe_i32 v13, v11, 4, 1
	v_add_u32_e32 v14, -1, v11
	v_and_b32_e32 v15, 64, v11
                                        ; implicit-def: $vgpr16
	s_branch .LBB58_21
.LBB58_19:                              ;   in Loop: Header=BB58_21 Depth=1
	s_or_b64 exec, exec, s[10:11]
	v_add_u32_e32 v7, v19, v7
.LBB58_20:                              ;   in Loop: Header=BB58_21 Depth=1
	s_add_i32 s9, s9, -1
	v_add_u32_e32 v4, v18, v4
	v_add_u32_e32 v0, s22, v0
	s_cmp_lg_u32 s9, 0
	v_add_u32_e32 v2, 0x100, v2
	s_cbranch_scc0 .LBB58_40
.LBB58_21:                              ; =>This Inner Loop Header: Depth=1
	v_cmp_gt_u32_e32 vcc, s12, v2
	v_mov_b32_e32 v3, 0
	v_mov_b32_e32 v17, 0
	s_and_saveexec_b64 s[10:11], vcc
	s_cbranch_execz .LBB58_23
; %bb.22:                               ;   in Loop: Header=BB58_21 Depth=1
	v_lshlrev_b64 v[16:17], 1, v[0:1]
	v_mov_b32_e32 v3, s16
	v_add_co_u32_e32 v16, vcc, s15, v16
	v_addc_co_u32_e32 v17, vcc, v3, v17, vcc
	global_load_ushort v16, v[16:17], off
	s_waitcnt vmcnt(0)
	v_add_u32_sdwa v3, sext(v16), s21 dst_sel:DWORD dst_unused:UNUSED_PAD src0_sel:WORD_0 src1_sel:DWORD
	v_cmp_gt_u32_e32 vcc, v3, v6
	v_cndmask_b32_e64 v17, 0, 1, vcc
	v_cmp_lt_u32_e32 vcc, v3, v6
	v_cndmask_b32_e64 v3, 0, 1, vcc
	v_cndmask_b32_e64 v3, v3, v17, s[6:7]
	v_cmp_eq_u16_e32 vcc, v16, v5
	v_and_b32_e32 v3, 1, v3
	v_cndmask_b32_e64 v17, 0, 1, vcc
.LBB58_23:                              ;   in Loop: Header=BB58_21 Depth=1
	s_or_b64 exec, exec, s[10:11]
	ds_write_b32 v8, v3
	s_waitcnt lgkmcnt(0)
	s_barrier
	s_and_saveexec_b64 s[10:11], s[4:5]
	s_cbranch_execz .LBB58_25
; %bb.24:                               ;   in Loop: Header=BB58_21 Depth=1
	ds_read2_b32 v[18:19], v9 offset1:1
	ds_read2_b32 v[20:21], v9 offset0:2 offset1:3
	v_cmp_ne_u32_e32 vcc, 0, v12
	; wave barrier
	s_waitcnt lgkmcnt(1)
	v_add_u32_e32 v19, v19, v18
	s_waitcnt lgkmcnt(0)
	v_add3_u32 v19, v19, v20, v21
	s_nop 1
	v_mov_b32_dpp v20, v19 row_shr:1 row_mask:0xf bank_mask:0xf
	v_cndmask_b32_e32 v20, 0, v20, vcc
	v_add_u32_e32 v19, v20, v19
	v_cmp_lt_u32_e32 vcc, 1, v12
	s_nop 0
	v_mov_b32_dpp v20, v19 row_shr:2 row_mask:0xf bank_mask:0xf
	v_cndmask_b32_e32 v20, 0, v20, vcc
	v_add_u32_e32 v19, v19, v20
	v_cmp_lt_u32_e32 vcc, 3, v12
	s_nop 0
	v_mov_b32_dpp v20, v19 row_shr:4 row_mask:0xf bank_mask:0xf
	v_cndmask_b32_e32 v20, 0, v20, vcc
	v_add_u32_e32 v19, v19, v20
	v_cmp_lt_u32_e32 vcc, 7, v12
	s_nop 0
	v_mov_b32_dpp v20, v19 row_shr:8 row_mask:0xf bank_mask:0xf
	v_cndmask_b32_e32 v20, 0, v20, vcc
	v_add_u32_e32 v19, v19, v20
	v_cmp_lt_u32_e32 vcc, 31, v11
	s_nop 0
	v_mov_b32_dpp v20, v19 row_bcast:15 row_mask:0xf bank_mask:0xf
	v_and_b32_e32 v20, v13, v20
	v_add_u32_e32 v19, v19, v20
	s_nop 1
	v_mov_b32_dpp v20, v19 row_bcast:31 row_mask:0xf bank_mask:0xf
	v_cndmask_b32_e32 v20, 0, v20, vcc
	v_cmp_lt_i32_e32 vcc, v14, v15
	v_add_u32_e32 v19, v19, v20
	v_cndmask_b32_e32 v20, v14, v11, vcc
	v_lshlrev_b32_e32 v20, 2, v20
	ds_bpermute_b32 v19, v20, v19
	s_waitcnt lgkmcnt(0)
	v_add_u32_e32 v18, v19, v18
	v_cndmask_b32_e64 v20, v18, v3, s[2:3]
	ds_write_b32 v9, v20
	; wave barrier
	ds_read2_b32 v[18:19], v9 offset0:1 offset1:2
	ds_read_b32 v21, v9 offset:12
	s_waitcnt lgkmcnt(1)
	v_add_u32_e32 v18, v18, v20
	v_add_u32_e32 v19, v19, v18
	ds_write2_b32 v9, v18, v19 offset0:1 offset1:2
	s_waitcnt lgkmcnt(1)
	v_add_u32_e32 v18, v21, v19
	ds_write_b32 v9, v18 offset:12
.LBB58_25:                              ;   in Loop: Header=BB58_21 Depth=1
	s_or_b64 exec, exec, s[10:11]
	v_mov_b32_e32 v19, 0
	s_waitcnt lgkmcnt(0)
	s_barrier
	s_and_saveexec_b64 s[10:11], s[0:1]
	s_cbranch_execz .LBB58_27
; %bb.26:                               ;   in Loop: Header=BB58_21 Depth=1
	ds_read_b32 v19, v10
.LBB58_27:                              ;   in Loop: Header=BB58_21 Depth=1
	s_or_b64 exec, exec, s[10:11]
	ds_read_b32 v18, v1 offset:1048
	v_cmp_ne_u32_e32 vcc, 0, v3
	s_waitcnt lgkmcnt(0)
	s_barrier
	s_and_saveexec_b64 s[10:11], vcc
	s_cbranch_execz .LBB58_29
; %bb.28:                               ;   in Loop: Header=BB58_21 Depth=1
	v_add_u32_e32 v19, v19, v4
	v_mul_lo_u32 v20, v19, s14
	v_mov_b32_e32 v21, v1
	v_lshlrev_b64 v[20:21], 1, v[20:21]
	v_mov_b32_e32 v3, s18
	v_add_co_u32_e32 v20, vcc, s17, v20
	v_addc_co_u32_e32 v21, vcc, v3, v21, vcc
	global_store_short v[20:21], v16, off
	v_mul_lo_u32 v20, v19, s8
	v_mov_b32_e32 v21, v1
	v_lshlrev_b64 v[20:21], 3, v[20:21]
	v_mov_b32_e32 v19, s20
	v_add_co_u32_e32 v20, vcc, s19, v20
	v_mov_b32_e32 v3, v1
	v_addc_co_u32_e32 v21, vcc, v19, v21, vcc
	global_store_dwordx2 v[20:21], v[2:3], off
.LBB58_29:                              ;   in Loop: Header=BB58_21 Depth=1
	s_or_b64 exec, exec, s[10:11]
	v_cmp_le_u32_e32 vcc, s13, v7
	s_cbranch_vccnz .LBB58_20
; %bb.30:                               ;   in Loop: Header=BB58_21 Depth=1
	ds_write_b32 v8, v17
	s_waitcnt lgkmcnt(0)
	s_barrier
	s_and_saveexec_b64 s[10:11], s[4:5]
	s_cbranch_execz .LBB58_32
; %bb.31:                               ;   in Loop: Header=BB58_21 Depth=1
	ds_read2_b32 v[20:21], v9 offset1:1
	ds_read2_b32 v[22:23], v9 offset0:2 offset1:3
	v_cmp_ne_u32_e32 vcc, 0, v12
	; wave barrier
	s_waitcnt lgkmcnt(1)
	v_add_u32_e32 v3, v21, v20
	s_waitcnt lgkmcnt(0)
	v_add3_u32 v3, v3, v22, v23
	s_nop 1
	v_mov_b32_dpp v19, v3 row_shr:1 row_mask:0xf bank_mask:0xf
	v_cndmask_b32_e32 v19, 0, v19, vcc
	v_add_u32_e32 v3, v19, v3
	v_cmp_lt_u32_e32 vcc, 1, v12
	s_nop 0
	v_mov_b32_dpp v19, v3 row_shr:2 row_mask:0xf bank_mask:0xf
	v_cndmask_b32_e32 v19, 0, v19, vcc
	v_add_u32_e32 v3, v3, v19
	v_cmp_lt_u32_e32 vcc, 3, v12
	s_nop 0
	v_mov_b32_dpp v19, v3 row_shr:4 row_mask:0xf bank_mask:0xf
	v_cndmask_b32_e32 v19, 0, v19, vcc
	v_add_u32_e32 v3, v3, v19
	v_cmp_lt_u32_e32 vcc, 7, v12
	s_nop 0
	v_mov_b32_dpp v19, v3 row_shr:8 row_mask:0xf bank_mask:0xf
	v_cndmask_b32_e32 v19, 0, v19, vcc
	v_add_u32_e32 v3, v3, v19
	v_cmp_lt_u32_e32 vcc, 31, v11
	s_nop 0
	v_mov_b32_dpp v19, v3 row_bcast:15 row_mask:0xf bank_mask:0xf
	v_and_b32_e32 v19, v13, v19
	v_add_u32_e32 v3, v3, v19
	s_nop 1
	v_mov_b32_dpp v19, v3 row_bcast:31 row_mask:0xf bank_mask:0xf
	v_cndmask_b32_e32 v19, 0, v19, vcc
	v_cmp_lt_i32_e32 vcc, v14, v15
	v_add_u32_e32 v3, v3, v19
	v_cndmask_b32_e32 v19, v14, v11, vcc
	v_lshlrev_b32_e32 v19, 2, v19
	ds_bpermute_b32 v3, v19, v3
	s_waitcnt lgkmcnt(0)
	v_add_u32_e32 v3, v3, v20
	v_cndmask_b32_e64 v3, v3, v17, s[2:3]
	ds_write_b32 v9, v3
	; wave barrier
	ds_read2_b32 v[20:21], v9 offset0:1 offset1:2
	ds_read_b32 v19, v9 offset:12
	s_waitcnt lgkmcnt(1)
	v_add_u32_e32 v3, v20, v3
	v_add_u32_e32 v20, v21, v3
	ds_write2_b32 v9, v3, v20 offset0:1 offset1:2
	s_waitcnt lgkmcnt(1)
	v_add_u32_e32 v3, v19, v20
	ds_write_b32 v9, v3 offset:12
.LBB58_32:                              ;   in Loop: Header=BB58_21 Depth=1
	s_or_b64 exec, exec, s[10:11]
	v_mov_b32_e32 v3, 0
	s_waitcnt lgkmcnt(0)
	s_barrier
	s_and_saveexec_b64 s[10:11], s[0:1]
	s_cbranch_execz .LBB58_34
; %bb.33:                               ;   in Loop: Header=BB58_21 Depth=1
	ds_read_b32 v3, v10
.LBB58_34:                              ;   in Loop: Header=BB58_21 Depth=1
	s_or_b64 exec, exec, s[10:11]
	ds_read_b32 v19, v1 offset:1048
	v_cmp_ne_u32_e32 vcc, 0, v17
	s_waitcnt lgkmcnt(0)
	s_barrier
	s_and_saveexec_b64 s[10:11], vcc
	s_cbranch_execz .LBB58_19
; %bb.35:                               ;   in Loop: Header=BB58_21 Depth=1
	v_add_u32_e32 v17, v3, v7
	v_cmp_gt_u32_e32 vcc, s13, v17
	s_and_b64 exec, exec, vcc
	s_cbranch_execz .LBB58_19
; %bb.36:                               ;   in Loop: Header=BB58_21 Depth=1
	v_mul_lo_u32 v20, v17, s14
	v_mov_b32_e32 v21, v1
	v_lshlrev_b64 v[20:21], 1, v[20:21]
	v_mov_b32_e32 v3, s18
	v_add_co_u32_e32 v20, vcc, s17, v20
	v_addc_co_u32_e32 v21, vcc, v3, v21, vcc
	global_store_short v[20:21], v16, off
	v_mul_lo_u32 v20, v17, s8
	v_mov_b32_e32 v21, v1
	v_lshlrev_b64 v[20:21], 3, v[20:21]
	v_mov_b32_e32 v17, s20
	v_add_co_u32_e32 v20, vcc, s19, v20
	v_mov_b32_e32 v3, v1
	v_addc_co_u32_e32 v21, vcc, v17, v21, vcc
	global_store_dwordx2 v[20:21], v[2:3], off
	s_branch .LBB58_19
.LBB58_37:                              ;   in Loop: Header=BB58_38 Depth=1
	s_add_u32 s16, s16, 4
	s_addc_u32 s17, s17, 0
	s_waitcnt lgkmcnt(0)
	s_add_i32 s46, s15, s46
	s_add_u32 s18, s18, 4
	s_addc_u32 s19, s19, 0
	s_add_i32 s14, s14, 1
	s_cmp_lt_u32 s14, s10
	s_cbranch_scc0 .LBB58_16
.LBB58_38:                              ; =>This Inner Loop Header: Depth=1
	s_load_dword s15, s[16:17], 0x0
	s_cmp_ge_u32 s14, s11
	s_cbranch_scc1 .LBB58_37
; %bb.39:                               ;   in Loop: Header=BB58_38 Depth=1
	s_load_dword s34, s[18:19], 0x0
	s_waitcnt lgkmcnt(0)
	s_add_i32 s7, s15, s7
	s_add_i32 s45, s34, s45
	s_branch .LBB58_37
.LBB58_40:
	s_endpgm
	.section	.rodata,"a",@progbits
	.p2align	6, 0x0
	.amdhsa_kernel _ZN2at6native6mbtopk10gatherTopKIsjLi2EEEvNS_4cuda6detail10TensorInfoIKT_T0_EES8_S8_bjS8_NS5_IS6_S8_EES8_NS5_IlS8_EES8_jjPS6_PjSD_j
		.amdhsa_group_segment_fixed_size 1068
		.amdhsa_private_segment_fixed_size 0
		.amdhsa_kernarg_size 984
		.amdhsa_user_sgpr_count 6
		.amdhsa_user_sgpr_private_segment_buffer 1
		.amdhsa_user_sgpr_dispatch_ptr 0
		.amdhsa_user_sgpr_queue_ptr 0
		.amdhsa_user_sgpr_kernarg_segment_ptr 1
		.amdhsa_user_sgpr_dispatch_id 0
		.amdhsa_user_sgpr_flat_scratch_init 0
		.amdhsa_user_sgpr_kernarg_preload_length 0
		.amdhsa_user_sgpr_kernarg_preload_offset 0
		.amdhsa_user_sgpr_private_segment_size 0
		.amdhsa_uses_dynamic_stack 0
		.amdhsa_system_sgpr_private_segment_wavefront_offset 0
		.amdhsa_system_sgpr_workgroup_id_x 1
		.amdhsa_system_sgpr_workgroup_id_y 1
		.amdhsa_system_sgpr_workgroup_id_z 1
		.amdhsa_system_sgpr_workgroup_info 0
		.amdhsa_system_vgpr_workitem_id 0
		.amdhsa_next_free_vgpr 24
		.amdhsa_next_free_sgpr 50
		.amdhsa_accum_offset 24
		.amdhsa_reserve_vcc 1
		.amdhsa_reserve_flat_scratch 0
		.amdhsa_float_round_mode_32 0
		.amdhsa_float_round_mode_16_64 0
		.amdhsa_float_denorm_mode_32 3
		.amdhsa_float_denorm_mode_16_64 3
		.amdhsa_dx10_clamp 1
		.amdhsa_ieee_mode 1
		.amdhsa_fp16_overflow 0
		.amdhsa_tg_split 0
		.amdhsa_exception_fp_ieee_invalid_op 0
		.amdhsa_exception_fp_denorm_src 0
		.amdhsa_exception_fp_ieee_div_zero 0
		.amdhsa_exception_fp_ieee_overflow 0
		.amdhsa_exception_fp_ieee_underflow 0
		.amdhsa_exception_fp_ieee_inexact 0
		.amdhsa_exception_int_div_zero 0
	.end_amdhsa_kernel
	.section	.text._ZN2at6native6mbtopk10gatherTopKIsjLi2EEEvNS_4cuda6detail10TensorInfoIKT_T0_EES8_S8_bjS8_NS5_IS6_S8_EES8_NS5_IlS8_EES8_jjPS6_PjSD_j,"axG",@progbits,_ZN2at6native6mbtopk10gatherTopKIsjLi2EEEvNS_4cuda6detail10TensorInfoIKT_T0_EES8_S8_bjS8_NS5_IS6_S8_EES8_NS5_IlS8_EES8_jjPS6_PjSD_j,comdat
.Lfunc_end58:
	.size	_ZN2at6native6mbtopk10gatherTopKIsjLi2EEEvNS_4cuda6detail10TensorInfoIKT_T0_EES8_S8_bjS8_NS5_IS6_S8_EES8_NS5_IlS8_EES8_jjPS6_PjSD_j, .Lfunc_end58-_ZN2at6native6mbtopk10gatherTopKIsjLi2EEEvNS_4cuda6detail10TensorInfoIKT_T0_EES8_S8_bjS8_NS5_IS6_S8_EES8_NS5_IlS8_EES8_jjPS6_PjSD_j
                                        ; -- End function
	.section	.AMDGPU.csdata,"",@progbits
; Kernel info:
; codeLenInByte = 2420
; NumSgprs: 54
; NumVgprs: 24
; NumAgprs: 0
; TotalNumVgprs: 24
; ScratchSize: 0
; MemoryBound: 0
; FloatMode: 240
; IeeeMode: 1
; LDSByteSize: 1068 bytes/workgroup (compile time only)
; SGPRBlocks: 6
; VGPRBlocks: 2
; NumSGPRsForWavesPerEU: 54
; NumVGPRsForWavesPerEU: 24
; AccumOffset: 24
; Occupancy: 8
; WaveLimiterHint : 1
; COMPUTE_PGM_RSRC2:SCRATCH_EN: 0
; COMPUTE_PGM_RSRC2:USER_SGPR: 6
; COMPUTE_PGM_RSRC2:TRAP_HANDLER: 0
; COMPUTE_PGM_RSRC2:TGID_X_EN: 1
; COMPUTE_PGM_RSRC2:TGID_Y_EN: 1
; COMPUTE_PGM_RSRC2:TGID_Z_EN: 1
; COMPUTE_PGM_RSRC2:TIDIG_COMP_CNT: 0
; COMPUTE_PGM_RSRC3_GFX90A:ACCUM_OFFSET: 5
; COMPUTE_PGM_RSRC3_GFX90A:TG_SPLIT: 0
	.section	.text._ZN2at6native6sbtopk10gatherTopKIsjLi2ELb0EEEvNS_4cuda6detail10TensorInfoIKT_T0_EES8_S8_bS8_S8_NS5_IS6_S8_EES8_NS5_IlS8_EES8_PS6_,"axG",@progbits,_ZN2at6native6sbtopk10gatherTopKIsjLi2ELb0EEEvNS_4cuda6detail10TensorInfoIKT_T0_EES8_S8_bS8_S8_NS5_IS6_S8_EES8_NS5_IlS8_EES8_PS6_,comdat
	.protected	_ZN2at6native6sbtopk10gatherTopKIsjLi2ELb0EEEvNS_4cuda6detail10TensorInfoIKT_T0_EES8_S8_bS8_S8_NS5_IS6_S8_EES8_NS5_IlS8_EES8_PS6_ ; -- Begin function _ZN2at6native6sbtopk10gatherTopKIsjLi2ELb0EEEvNS_4cuda6detail10TensorInfoIKT_T0_EES8_S8_bS8_S8_NS5_IS6_S8_EES8_NS5_IlS8_EES8_PS6_
	.globl	_ZN2at6native6sbtopk10gatherTopKIsjLi2ELb0EEEvNS_4cuda6detail10TensorInfoIKT_T0_EES8_S8_bS8_S8_NS5_IS6_S8_EES8_NS5_IlS8_EES8_PS6_
	.p2align	8
	.type	_ZN2at6native6sbtopk10gatherTopKIsjLi2ELb0EEEvNS_4cuda6detail10TensorInfoIKT_T0_EES8_S8_bS8_S8_NS5_IS6_S8_EES8_NS5_IlS8_EES8_PS6_,@function
_ZN2at6native6sbtopk10gatherTopKIsjLi2ELb0EEEvNS_4cuda6detail10TensorInfoIKT_T0_EES8_S8_bS8_S8_NS5_IS6_S8_EES8_NS5_IlS8_EES8_PS6_: ; @_ZN2at6native6sbtopk10gatherTopKIsjLi2ELb0EEEvNS_4cuda6detail10TensorInfoIKT_T0_EES8_S8_bS8_S8_NS5_IS6_S8_EES8_NS5_IlS8_EES8_PS6_
; %bb.0:
	s_load_dwordx2 s[10:11], s[4:5], 0x2b8
	s_load_dwordx4 s[60:63], s[4:5], 0xd8
	s_add_u32 s2, s4, 0x2b8
	s_addc_u32 s3, s5, 0
	s_waitcnt lgkmcnt(0)
	s_mul_i32 s0, s11, s8
	s_add_i32 s0, s0, s7
	s_mul_i32 s0, s0, s10
	s_add_i32 s17, s0, s6
	s_cmp_ge_u32 s17, s63
	s_cbranch_scc1 .LBB59_411
; %bb.1:
	s_load_dwordx2 s[8:9], s[4:5], 0x1d0
                                        ; implicit-def: $vgpr52 : SGPR spill to VGPR lane
	s_load_dword s11, s[4:5], 0xc
	s_load_dword s16, s[4:5], 0xe8
	s_load_dwordx2 s[12:13], s[4:5], 0x6c
	s_load_dwordx2 s[0:1], s[4:5], 0x0
	s_mov_b32 s18, 0
	s_waitcnt lgkmcnt(0)
	v_cvt_f32_u32_e32 v1, s11
	s_load_dword s14, s[4:5], 0xfc
	v_writelane_b32 v52, s8, 0
	v_writelane_b32 v52, s9, 1
	s_load_dwordx2 s[8:9], s[4:5], 0x15c
	v_rcp_iflag_f32_e32 v1, v1
	s_waitcnt lgkmcnt(0)
	v_cvt_f32_u32_e32 v2, s14
	v_writelane_b32 v52, s8, 2
	v_writelane_b32 v52, s9, 3
	s_load_dwordx2 s[8:9], s[4:5], 0x23c
	v_mul_f32_e32 v1, 0x4f7ffffe, v1
	v_cvt_u32_f32_e32 v1, v1
	v_rcp_iflag_f32_e32 v2, v2
	s_waitcnt lgkmcnt(0)
	v_writelane_b32 v52, s8, 4
	v_writelane_b32 v52, s9, 5
	s_load_dword s9, s[4:5], 0x1dc
	v_writelane_b32 v52, s4, 6
	v_writelane_b32 v52, s5, 7
	s_load_dwordx2 s[4:5], s[4:5], 0xf0
	v_readfirstlane_b32 s7, v1
	v_mul_f32_e32 v1, 0x4f7ffffe, v2
	s_waitcnt lgkmcnt(0)
	v_cvt_f32_u32_e32 v2, s9
	v_cvt_u32_f32_e32 v1, v1
	v_writelane_b32 v52, s4, 8
	v_writelane_b32 v52, s5, 9
	v_rcp_iflag_f32_e32 v2, v2
	s_sub_i32 s5, 0, s11
	s_mul_i32 s5, s5, s7
	s_mul_hi_u32 s5, s7, s5
	s_add_i32 s7, s7, s5
	v_readfirstlane_b32 s8, v1
	v_mul_f32_e32 v1, 0x4f7ffffe, v2
	s_mul_hi_u32 s5, s17, s7
	s_sub_i32 s7, 0, s14
	v_cvt_u32_f32_e32 v1, v1
	s_mul_i32 s7, s7, s8
	s_mul_hi_u32 s7, s8, s7
	s_add_i32 s8, s8, s7
	s_mul_hi_u32 s4, s17, s8
	s_sub_i32 s7, 0, s9
	v_readfirstlane_b32 s8, v1
	s_mul_i32 s7, s7, s8
	v_writelane_b32 v52, s14, 10
	s_mul_hi_u32 s7, s8, s7
	v_writelane_b32 v52, s4, 11
	s_add_i32 s8, s8, s7
	v_writelane_b32 v52, s9, 12
	s_mul_hi_u32 s4, s17, s8
	v_writelane_b32 v52, s4, 13
	v_cmp_eq_u32_e64 s[8:9], 0, v0
	s_mov_b64 s[14:15], exec
	v_writelane_b32 v52, s8, 14
	v_writelane_b32 v52, s9, 15
	s_and_b64 s[8:9], s[14:15], s[8:9]
	s_mov_b64 exec, s[8:9]
	s_cbranch_execz .LBB59_3
; %bb.2:
	v_mov_b32_e32 v2, 0
	v_mov_b32_e32 v3, s60
	;; [unrolled: 1-line block ×3, first 2 shown]
	ds_write_b96 v2, v[2:4] offset:4096
.LBB59_3:
	s_or_b64 exec, exec, s[14:15]
	s_mul_i32 s7, s5, s11
	s_sub_i32 s7, s17, s7
	s_add_i32 s8, s5, 1
	s_sub_i32 s9, s7, s11
	s_cmp_ge_u32 s7, s11
	s_cselect_b32 s5, s8, s5
	s_cselect_b32 s7, s9, s7
	s_add_i32 s8, s5, 1
	s_cmp_ge_u32 s7, s11
	s_cselect_b32 s5, s8, s5
	s_mul_i32 s4, s5, s11
	s_sub_i32 s4, s17, s4
	s_mul_i32 s4, s4, s13
	s_mul_i32 s5, s5, s12
	s_add_i32 s4, s5, s4
	s_mov_b32 s5, s18
	v_writelane_b32 v52, s17, 16
	s_mov_b32 s8, 0
	s_lshl_b64 s[4:5], s[4:5], 1
	v_writelane_b32 v52, s8, 17
	s_add_u32 s33, s0, s4
	v_writelane_b32 v52, s9, 18
	s_addc_u32 s8, s1, s5
	s_waitcnt lgkmcnt(0)
	s_barrier
	s_load_dword s0, s[2:3], 0xc
	s_bitcmp1_b32 s62, 0
	s_cselect_b64 s[4:5], -1, 0
	v_writelane_b32 v52, s4, 19
	v_writelane_b32 v52, s5, 20
	s_xor_b64 s[4:5], s[4:5], -1
	v_mbcnt_lo_u32_b32 v1, -1, 0
	v_writelane_b32 v52, s4, 21
	v_mbcnt_hi_u32_b32 v1, -1, v1
	v_writelane_b32 v52, s5, 22
	s_waitcnt lgkmcnt(0)
	s_and_b32 s9, s0, 0xffff
	s_bfe_u32 s5, s0, 0xa0006
	v_cmp_gt_u32_e32 vcc, 64, v0
	v_cmp_gt_i32_e64 s[0:1], 4, v1
	s_lshl_b32 s77, s9, 2
	s_and_b64 s[0:1], vcc, s[0:1]
	v_writelane_b32 v52, s0, 23
	s_cmpk_gt_u32 s60, 0x600
	v_writelane_b32 v52, s1, 24
	s_cselect_b64 s[0:1], -1, 0
	v_writelane_b32 v52, s0, 25
	s_cmp_gt_u32 s9, 63
	v_writelane_b32 v52, s1, 26
	s_cselect_b64 s[0:1], -1, 0
	v_writelane_b32 v52, s0, 27
	v_writelane_b32 v52, s1, 28
	s_add_i32 s0, s9, -1
	s_add_i32 s4, s0, s60
	s_cmp_lt_u32 s6, s10
	v_writelane_b32 v52, s0, 29
	s_cselect_b32 s0, 12, 18
	s_add_u32 s0, s2, s0
	s_addc_u32 s1, s3, 0
	v_writelane_b32 v52, s0, 30
	s_add_i32 s2, s5, -2
	v_writelane_b32 v52, s1, 31
	s_lshr_b32 s0, s2, 1
	s_add_i32 s3, s0, 1
	s_cmpk_gt_u32 s9, 0x7f
	v_mov_b32_e32 v11, 0
	s_cselect_b64 s[0:1], -1, 0
	v_writelane_b32 v52, s0, 32
	v_mul_lo_u32 v12, v0, s16
	v_mov_b32_e32 v13, v11
	v_writelane_b32 v52, s1, 33
	v_lshlrev_b64 v[2:3], 1, v[12:13]
	v_cmp_gt_u32_e64 s[6:7], s60, v0
	v_mov_b32_e32 v17, s8
	v_add_co_u32_e32 v8, vcc, s33, v2
	v_writelane_b32 v52, s6, 34
	v_lshrrev_b32_e32 v2, 4, v0
	v_addc_co_u32_e32 v9, vcc, v17, v3, vcc
	v_writelane_b32 v52, s7, 35
	v_and_b32_e32 v18, 60, v2
	v_cmp_gt_u32_e64 s[6:7], 2, v0
	v_lshlrev_b64 v[2:3], v1, -1
	v_writelane_b32 v52, s6, 36
	v_not_b32_e32 v6, v2
	v_cvt_f32_u32_e32 v2, s77
	v_writelane_b32 v52, s7, 37
	s_and_b32 s6, s5, 0x3fe
	s_and_b32 s7, s3, 7
	s_cmp_gt_u32 s2, 13
	s_cselect_b64 s[10:11], -1, 0
	v_writelane_b32 v52, s10, 38
	v_rcp_iflag_f32_e32 v2, v2
	v_writelane_b32 v52, s11, 39
	s_and_b32 s2, s3, -8
	v_writelane_b32 v52, s2, 40
	s_cmp_lg_u32 s7, 0
	v_writelane_b32 v52, s7, 41
	s_cselect_b64 s[2:3], -1, 0
	v_writelane_b32 v52, s2, 42
	v_mul_f32_e32 v2, 0x4f7ffffe, v2
	v_writelane_b32 v52, s3, 43
	v_cvt_u32_f32_e32 v2, v2
	v_writelane_b32 v52, s5, 44
	s_cmp_lg_u32 s6, s5
	v_writelane_b32 v52, s6, 45
	s_cselect_b64 s[2:3], -1, 0
	v_writelane_b32 v52, s2, 46
	v_writelane_b32 v52, s3, 47
	s_sub_i32 s2, 0, s77
	v_readfirstlane_b32 s3, v2
	v_cvt_f32_u32_e32 v2, s9
	s_mul_i32 s2, s2, s3
	s_mul_hi_u32 s2, s3, s2
	s_add_i32 s2, s3, s2
	v_writelane_b32 v52, s2, 48
	s_mul_hi_u32 s2, s60, s2
	v_rcp_iflag_f32_e32 v5, v2
	s_mul_i32 s2, s2, s77
	s_sub_i32 s2, s60, s2
	s_sub_i32 s3, s2, s77
	s_cmp_ge_u32 s2, s77
	v_mul_f32_e32 v5, 0x4f7ffffe, v5
	s_cselect_b32 s2, s3, s2
	v_cvt_u32_f32_e32 v5, v5
	s_sub_i32 s3, s2, s77
	s_cmp_ge_u32 s2, s77
	s_cselect_b32 s2, s3, s2
	v_lshlrev_b32_e32 v16, 2, v0
	s_sub_i32 s7, s60, s2
	s_sub_i32 s3, 0, s9
	v_readfirstlane_b32 s5, v5
	v_cmp_gt_u32_e64 s[10:11], s7, v16
	s_mul_i32 s3, s3, s5
	v_writelane_b32 v52, s10, 49
	s_mul_hi_u32 s3, s5, s3
	v_writelane_b32 v52, s11, 50
	s_add_i32 s3, s5, s3
	v_writelane_b32 v52, s3, 51
	s_mul_hi_u32 s3, s4, s3
	s_mul_i32 s3, s3, s9
	s_sub_i32 s3, s4, s3
	s_sub_i32 s5, s3, s9
	v_add_u32_e32 v21, s7, v0
	s_cmp_ge_u32 s3, s9
	v_mul_lo_u32 v10, v21, s16
	s_cselect_b32 s3, s5, s3
	v_not_b32_e32 v7, v3
	v_lshlrev_b64 v[2:3], 1, v[10:11]
	s_sub_i32 s5, s3, s9
	v_add_co_u32_e32 v14, vcc, s33, v2
	s_cmp_ge_u32 s3, s9
	v_mul_lo_u32 v2, s16, v16
	s_cselect_b32 s3, s5, s3
	v_add_u32_e32 v22, s16, v2
	v_or_b32_e32 v2, 2, v16
	s_sub_i32 s78, s4, s3
	v_mul_lo_u32 v23, s16, v2
	v_or_b32_e32 v2, 3, v16
	s_add_i32 s3, s9, s60
	v_cmp_gt_u32_e64 s[4:5], s78, v0
	v_mul_lo_u32 v24, s16, v2
	v_add_u32_e32 v2, s3, v0
	v_lshlrev_b32_e32 v19, 1, v0
	v_lshlrev_b32_e32 v4, 2, v1
	v_mov_b32_e32 v10, s8
	v_writelane_b32 v52, s4, 52
	s_mul_i32 s76, s16, s9
	v_subrev_u32_e32 v2, s2, v2
	v_cmp_eq_u32_e64 s[0:1], 0, v1
	v_add_u32_e32 v20, 0xc00, v19
	v_and_b32_e32 v13, 0x100, v4
	v_cmp_gt_u32_e64 s[14:15], s60, v21
	v_addc_co_u32_e32 v15, vcc, v10, v3, vcc
	v_writelane_b32 v52, s5, 53
	s_lshl_b32 s79, s76, 2
	v_lshlrev_b32_e32 v25, 2, v12
	v_mul_lo_u32 v26, s16, v2
	v_lshlrev_b32_e32 v27, 3, v0
	s_lshl_b32 s12, s9, 3
	s_lshl_b32 s13, s9, 1
	v_or_b32_e32 v28, 0xc00, v4
	s_mov_b32 s72, 14
	s_mov_b64 s[90:91], 0
	v_mov_b32_e32 v34, s61
	s_mov_b32 s6, 0x8000
	v_mov_b32_e32 v29, 0xc00
	v_mov_b32_e32 v30, 0x5040100
	;; [unrolled: 1-line block ×3, first 2 shown]
	s_mov_b32 s73, 0
	v_mov_b32_e32 v32, 0
	v_mov_b32_e32 v31, 0
	v_writelane_b32 v52, s16, 54
                                        ; implicit-def: $sgpr92_sgpr93
                                        ; implicit-def: $sgpr94_sgpr95
                                        ; implicit-def: $sgpr66_sgpr67
                                        ; implicit-def: $sgpr68_sgpr69
                                        ; implicit-def: $sgpr64_sgpr65
                                        ; implicit-def: $sgpr70_sgpr71
                                        ; implicit-def: $sgpr2_sgpr3
                                        ; implicit-def: $sgpr84_sgpr85
                                        ; implicit-def: $sgpr86_sgpr87
                                        ; implicit-def: $sgpr88_sgpr89
	s_branch .LBB59_6
.LBB59_4:                               ;   in Loop: Header=BB59_6 Depth=1
	s_or_b64 exec, exec, s[22:23]
	s_andn2_b64 s[4:5], s[88:89], exec
	s_and_b64 s[10:11], s[20:21], exec
	s_or_b64 s[88:89], s[4:5], s[10:11]
	s_andn2_b64 s[86:87], s[86:87], exec
	s_andn2_b64 s[84:85], s[84:85], exec
	;; [unrolled: 1-line block ×4, first 2 shown]
	s_orn2_b64 s[18:19], s[18:19], exec
	v_mov_b32_e32 v31, v3
	v_mov_b32_e32 v32, v2
	;; [unrolled: 1-line block ×4, first 2 shown]
.LBB59_5:                               ;   in Loop: Header=BB59_6 Depth=1
	s_or_b64 exec, exec, s[16:17]
	s_and_b64 s[4:5], exec, s[18:19]
	s_or_b64 s[90:91], s[4:5], s[90:91]
	s_andn2_b64 s[4:5], s[64:65], exec
	s_and_b64 s[10:11], s[88:89], exec
	s_or_b64 s[64:65], s[4:5], s[10:11]
	s_andn2_b64 s[4:5], s[68:69], exec
	s_and_b64 s[10:11], s[86:87], exec
	;; [unrolled: 3-line block ×5, first 2 shown]
	s_or_b64 s[92:93], s[4:5], s[10:11]
	s_andn2_b64 exec, exec, s[90:91]
	s_cbranch_execz .LBB59_407
.LBB59_6:                               ; =>This Loop Header: Depth=1
                                        ;     Child Loop BB59_11 Depth 2
                                        ;     Child Loop BB59_29 Depth 2
	;; [unrolled: 1-line block ×25, first 2 shown]
	ds_read_b64 v[2:3], v11 offset:4096
	s_waitcnt lgkmcnt(0)
	v_readfirstlane_b32 s4, v2
	s_cmp_lg_u32 s4, 0
	s_cbranch_scc1 .LBB59_36
; %bb.7:                                ;   in Loop: Header=BB59_6 Depth=1
	v_readlane_b32 s4, v52, 25
	v_readlane_b32 s5, v52, 26
	s_and_b64 vcc, exec, s[4:5]
	s_cbranch_vccz .LBB59_19
; %bb.8:                                ;   in Loop: Header=BB59_6 Depth=1
	s_movk_i32 s4, 0x601
	v_cmp_gt_u32_e32 vcc, s4, v3
	s_mov_b64 s[16:17], 0
	s_mov_b64 s[18:19], 0
	s_cbranch_vccz .LBB59_20
; %bb.9:                                ;   in Loop: Header=BB59_6 Depth=1
	v_readlane_b32 s4, v52, 30
	v_readlane_b32 s5, v52, 31
	s_nop 4
	global_load_ushort v2, v11, s[4:5]
	global_load_ushort v3, v[8:9], off
	v_readlane_b32 s4, v52, 54
	s_mov_b64 s[22:23], 0
	s_waitcnt vmcnt(1)
	v_add_u32_e32 v5, v0, v2
	v_mul_lo_u32 v4, s4, v2
	v_mul_lo_u32 v10, s4, v5
	v_mov_b32_e32 v5, v0
	s_branch .LBB59_11
.LBB59_10:                              ;   in Loop: Header=BB59_11 Depth=2
	s_or_b64 exec, exec, s[20:21]
	v_add_u32_e32 v10, v10, v4
	v_mov_b32_e32 v3, v35
	s_andn2_b64 exec, exec, s[22:23]
	s_cbranch_execz .LBB59_21
.LBB59_11:                              ;   Parent Loop BB59_6 Depth=1
                                        ; =>  This Inner Loop Header: Depth=2
	v_add_u32_e32 v5, v5, v2
	v_cmp_gt_u32_e64 s[18:19], s60, v5
	v_cmp_le_u32_e32 vcc, s60, v5
	s_waitcnt lgkmcnt(0)
	v_mov_b32_e32 v36, 0
	v_mov_b32_e32 v35, 0
	s_and_saveexec_b64 s[20:21], s[18:19]
	s_cbranch_execz .LBB59_13
; %bb.12:                               ;   in Loop: Header=BB59_11 Depth=2
	v_lshlrev_b64 v[38:39], 1, v[10:11]
	v_add_co_u32_e64 v38, s[18:19], s33, v38
	v_addc_co_u32_e64 v39, s[18:19], v17, v39, s[18:19]
	global_load_ushort v35, v[38:39], off
.LBB59_13:                              ;   in Loop: Header=BB59_11 Depth=2
	s_or_b64 exec, exec, s[20:21]
	s_waitcnt vmcnt(0)
	v_add_u32_sdwa v37, sext(v3), s6 dst_sel:DWORD dst_unused:UNUSED_PAD src0_sel:WORD_0 src1_sel:DWORD
	v_and_b32_e32 v37, v37, v31
	v_cmp_eq_u32_e64 s[18:19], v37, v32
	s_cmp_lg_u64 s[18:19], 0
	s_cselect_b64 s[4:5], -1, 0
	s_and_b64 s[4:5], s[0:1], s[4:5]
	s_and_saveexec_b64 s[24:25], s[4:5]
	s_cbranch_execz .LBB59_17
; %bb.14:                               ;   in Loop: Header=BB59_11 Depth=2
	s_mov_b64 s[28:29], exec
	v_mbcnt_lo_u32_b32 v36, s28, 0
	v_mbcnt_hi_u32_b32 v36, s29, v36
	s_bcnt1_i32_b64 s4, s[18:19]
	v_cmp_eq_u32_e64 s[20:21], 0, v36
                                        ; implicit-def: $vgpr37
	s_and_saveexec_b64 s[26:27], s[20:21]
	s_cbranch_execz .LBB59_16
; %bb.15:                               ;   in Loop: Header=BB59_11 Depth=2
	s_bcnt1_i32_b64 s5, s[28:29]
	s_mul_i32 s5, s4, s5
	v_mov_b32_e32 v37, s5
	ds_add_rtn_u32 v37, v11, v37 offset:4104
.LBB59_16:                              ;   in Loop: Header=BB59_11 Depth=2
	s_or_b64 exec, exec, s[26:27]
	s_waitcnt lgkmcnt(0)
	v_readfirstlane_b32 s5, v37
	v_mov_b32_e32 v37, s5
	v_mad_u32_u24 v36, s4, v36, v37
.LBB59_17:                              ;   in Loop: Header=BB59_11 Depth=2
	s_or_b64 exec, exec, s[24:25]
	ds_bpermute_b32 v36, v13, v36
	s_and_b64 s[4:5], exec, vcc
	s_or_b64 s[22:23], s[4:5], s[22:23]
	s_and_saveexec_b64 s[20:21], s[18:19]
	s_cbranch_execz .LBB59_10
; %bb.18:                               ;   in Loop: Header=BB59_11 Depth=2
	v_and_b32_e32 v38, s18, v6
	v_and_b32_e32 v37, s19, v7
	v_bcnt_u32_b32 v38, v38, 0
	v_bcnt_u32_b32 v37, v37, v38
	v_lshlrev_b32_e32 v37, 1, v37
	s_waitcnt lgkmcnt(0)
	v_lshl_add_u32 v36, v36, 1, v37
	ds_write_b16 v36, v3
	s_branch .LBB59_10
.LBB59_19:                              ;   in Loop: Header=BB59_6 Depth=1
	s_mov_b64 s[18:19], 0
                                        ; implicit-def: $sgpr4
	s_cbranch_execnz .LBB59_24
	s_branch .LBB59_34
.LBB59_20:                              ;   in Loop: Header=BB59_6 Depth=1
	s_mov_b32 s4, 0
	s_and_b64 vcc, exec, s[16:17]
	s_cbranch_vccnz .LBB59_24
	s_branch .LBB59_34
.LBB59_21:                              ;   in Loop: Header=BB59_6 Depth=1
	s_or_b64 exec, exec, s[22:23]
	s_waitcnt lgkmcnt(0)
	s_barrier
	s_mov_b64 s[18:19], exec
	v_readlane_b32 s4, v52, 14
	v_readlane_b32 s5, v52, 15
	s_and_b64 s[4:5], s[18:19], s[4:5]
	s_mov_b64 exec, s[4:5]
	s_cbranch_execz .LBB59_23
; %bb.22:                               ;   in Loop: Header=BB59_6 Depth=1
	ds_read_b32 v2, v11 offset:4104
	s_waitcnt lgkmcnt(0)
	ds_write_b32 v11, v2 offset:4096
.LBB59_23:                              ;   in Loop: Header=BB59_6 Depth=1
	s_or_b64 exec, exec, s[18:19]
	s_waitcnt lgkmcnt(0)
	s_barrier
	s_mov_b64 s[18:19], -1
	s_mov_b32 s4, 0
	s_and_b64 vcc, exec, s[16:17]
	s_cbranch_vccz .LBB59_34
.LBB59_24:                              ;   in Loop: Header=BB59_6 Depth=1
	v_mov_b32_e32 v2, 0
	s_mov_b64 s[16:17], exec
	v_readlane_b32 s4, v52, 34
	v_readlane_b32 s5, v52, 35
	s_and_b64 s[4:5], s[16:17], s[4:5]
	s_mov_b64 exec, s[4:5]
	s_cbranch_execz .LBB59_26
; %bb.25:                               ;   in Loop: Header=BB59_6 Depth=1
	global_load_ushort v2, v[8:9], off
.LBB59_26:                              ;   in Loop: Header=BB59_6 Depth=1
	s_or_b64 exec, exec, s[16:17]
	s_mov_b64 s[16:17], exec
	v_readlane_b32 s4, v52, 34
	v_readlane_b32 s5, v52, 35
	s_and_b64 s[4:5], s[16:17], s[4:5]
	s_mov_b64 exec, s[4:5]
	s_cbranch_execz .LBB59_31
; %bb.27:                               ;   in Loop: Header=BB59_6 Depth=1
	v_readlane_b32 s4, v52, 30
	v_readlane_b32 s5, v52, 31
	s_mov_b64 s[20:21], 0
	v_mov_b32_e32 v4, v19
	v_mov_b32_e32 v36, v0
	s_nop 1
	global_load_ushort v3, v11, s[4:5]
	v_readlane_b32 s4, v52, 54
	s_waitcnt vmcnt(0)
	v_add_u32_e32 v10, v0, v3
	v_lshlrev_b32_e32 v5, 1, v3
	v_mul_lo_u32 v35, s4, v3
	v_mul_lo_u32 v10, s4, v10
	s_branch .LBB59_29
.LBB59_28:                              ;   in Loop: Header=BB59_29 Depth=2
	s_or_b64 exec, exec, s[22:23]
	s_and_b64 s[4:5], exec, vcc
	s_or_b64 s[20:21], s[4:5], s[20:21]
	ds_write_b16 v4, v2
	v_add_u32_e32 v4, v4, v5
	v_add_u32_e32 v10, v10, v35
	s_waitcnt vmcnt(0)
	v_mov_b32_e32 v2, v37
	s_andn2_b64 exec, exec, s[20:21]
	s_cbranch_execz .LBB59_31
.LBB59_29:                              ;   Parent Loop BB59_6 Depth=1
                                        ; =>  This Inner Loop Header: Depth=2
	v_add_u32_e32 v36, v36, v3
	v_cmp_gt_u32_e64 s[18:19], s60, v36
	v_cmp_le_u32_e32 vcc, s60, v36
	v_mov_b32_e32 v37, 0
	s_and_saveexec_b64 s[22:23], s[18:19]
	s_cbranch_execz .LBB59_28
; %bb.30:                               ;   in Loop: Header=BB59_29 Depth=2
	v_lshlrev_b64 v[38:39], 1, v[10:11]
	v_mov_b32_e32 v37, s8
	v_add_co_u32_e64 v38, s[18:19], s33, v38
	v_addc_co_u32_e64 v39, s[18:19], v37, v39, s[18:19]
	global_load_ushort v37, v[38:39], off
	s_branch .LBB59_28
.LBB59_31:                              ;   in Loop: Header=BB59_6 Depth=1
	s_or_b64 exec, exec, s[16:17]
	s_waitcnt lgkmcnt(0)
	s_barrier
	s_mov_b64 s[16:17], exec
	v_readlane_b32 s4, v52, 14
	v_readlane_b32 s5, v52, 15
	s_and_b64 s[4:5], s[16:17], s[4:5]
	s_mov_b64 exec, s[4:5]
	s_cbranch_execz .LBB59_33
; %bb.32:                               ;   in Loop: Header=BB59_6 Depth=1
	s_waitcnt vmcnt(0)
	v_mov_b32_e32 v2, s60
	ds_write_b32 v11, v2 offset:4096
.LBB59_33:                              ;   in Loop: Header=BB59_6 Depth=1
	s_or_b64 exec, exec, s[16:17]
	s_mov_b64 s[18:19], -1
	s_waitcnt lgkmcnt(0)
	s_barrier
                                        ; implicit-def: $sgpr4
.LBB59_34:                              ;   in Loop: Header=BB59_6 Depth=1
	s_and_b64 vcc, exec, s[18:19]
	s_cbranch_vccz .LBB59_36
; %bb.35:                               ;   in Loop: Header=BB59_6 Depth=1
	s_waitcnt vmcnt(0)
	ds_read_b32 v2, v11 offset:4096
	s_waitcnt lgkmcnt(0)
	v_readfirstlane_b32 s4, v2
.LBB59_36:                              ;   in Loop: Header=BB59_6 Depth=1
	s_cmp_lt_i32 s4, 1
	s_cbranch_scc0 .LBB59_48
; %bb.37:                               ;   in Loop: Header=BB59_6 Depth=1
	s_waitcnt vmcnt(0)
	v_mov_b32_e32 v2, 0
	s_mov_b32 s5, 0
	v_mov_b32_e32 v3, 0
	v_mov_b32_e32 v4, v2
	;; [unrolled: 1-line block ×3, first 2 shown]
	s_mov_b64 s[48:49], exec
	v_readlane_b32 s10, v52, 49
	v_readlane_b32 s11, v52, 50
	s_and_b64 s[10:11], s[48:49], s[10:11]
	s_mov_b64 exec, s[10:11]
	s_cbranch_execz .LBB59_41
; %bb.38:                               ;   in Loop: Header=BB59_6 Depth=1
	s_and_b32 s10, s72, 0xfe
	s_mov_b64 s[50:51], 0
	s_mov_b32 s11, 0
	s_mov_b32 s16, 0
	;; [unrolled: 1-line block ×4, first 2 shown]
	v_mov_b32_e32 v35, v16
.LBB59_39:                              ;   Parent Loop BB59_6 Depth=1
                                        ; =>  This Inner Loop Header: Depth=2
	v_add_u32_e32 v10, s5, v25
	v_lshlrev_b64 v[2:3], 1, v[10:11]
	v_mov_b32_e32 v38, s8
	v_add_u32_e32 v10, s5, v22
	v_add_co_u32_e64 v2, s[18:19], s33, v2
	v_lshlrev_b64 v[4:5], 1, v[10:11]
	v_addc_co_u32_e64 v3, s[18:19], v38, v3, s[18:19]
	v_add_u32_e32 v10, s5, v23
	v_add_co_u32_e64 v4, s[18:19], s33, v4
	v_lshlrev_b64 v[36:37], 1, v[10:11]
	v_add_u32_e32 v10, s5, v24
	v_addc_co_u32_e64 v5, s[18:19], v38, v5, s[18:19]
	global_load_sshort v39, v[2:3], off
	v_lshlrev_b64 v[2:3], 1, v[10:11]
	global_load_sshort v10, v[4:5], off
	v_add_co_u32_e64 v4, s[18:19], s33, v36
	v_addc_co_u32_e64 v5, s[18:19], v38, v37, s[18:19]
	v_add_co_u32_e64 v2, s[18:19], s33, v2
	global_load_sshort v4, v[4:5], off
	v_addc_co_u32_e64 v3, s[18:19], v38, v3, s[18:19]
	global_load_sshort v2, v[2:3], off
	v_add_u32_e32 v35, s77, v35
	v_cmp_le_u32_e32 vcc, s7, v35
	s_add_i32 s5, s5, s79
	s_waitcnt vmcnt(3)
	v_add_u32_e32 v3, 0x8000, v39
	s_waitcnt vmcnt(2)
	v_add_u32_e32 v5, 0x8000, v10
	v_and_b32_e32 v10, v3, v31
	v_bfe_u32 v3, v3, s10, 2
	v_cmp_eq_u32_e64 s[18:19], v10, v32
	v_cmp_eq_u32_e64 s[20:21], 0, v3
	v_and_b32_e32 v10, v5, v31
	v_bfe_u32 v5, v5, s10, 2
	v_cmp_eq_u32_e64 s[22:23], 1, v3
	s_and_b64 s[20:21], s[18:19], s[20:21]
	s_waitcnt vmcnt(1)
	v_add_u32_e32 v4, 0x8000, v4
	v_cmp_eq_u32_e64 s[24:25], 2, v3
	v_cmp_eq_u32_e64 s[26:27], 3, v3
	;; [unrolled: 1-line block ×6, first 2 shown]
	v_cndmask_b32_e64 v5, 0, 1, s[20:21]
	s_and_b64 s[20:21], s[18:19], s[22:23]
	s_waitcnt vmcnt(0)
	v_add_u32_e32 v2, 0x8000, v2
	v_cmp_eq_u32_e64 s[28:29], v10, v32
	v_and_b32_e32 v3, v4, v31
	v_bfe_u32 v4, v4, s10, 2
	v_cndmask_b32_e64 v10, 0, 1, s[20:21]
	s_and_b64 s[20:21], s[18:19], s[24:25]
	s_and_b64 s[18:19], s[18:19], s[26:27]
	v_cndmask_b32_e64 v36, 0, 1, s[20:21]
	v_cndmask_b32_e64 v37, 0, 1, s[18:19]
	v_cmp_eq_u32_e64 s[18:19], v3, v32
	v_and_b32_e32 v3, v2, v31
	v_bfe_u32 v2, v2, s10, 2
	v_cmp_eq_u32_e64 s[20:21], 0, v4
	s_and_b64 s[30:31], s[28:29], s[30:31]
	s_and_b64 s[34:35], s[28:29], s[34:35]
	;; [unrolled: 1-line block ×4, first 2 shown]
	v_cmp_eq_u32_e64 s[22:23], 1, v4
	v_cmp_eq_u32_e64 s[24:25], 2, v4
	;; [unrolled: 1-line block ×3, first 2 shown]
	v_cmp_ne_u32_e64 s[40:41], 0, v5
	v_cndmask_b32_e64 v5, 0, 1, s[34:35]
	v_cmp_ne_u32_e64 s[34:35], 0, v36
	v_cndmask_b32_e64 v36, 0, 1, s[28:29]
	v_cmp_eq_u32_e64 s[28:29], v3, v32
	v_cmp_eq_u32_e64 s[38:39], 0, v2
	s_and_b64 s[20:21], s[18:19], s[20:21]
	v_cmp_eq_u32_e64 s[42:43], 1, v2
	v_cmp_eq_u32_e64 s[44:45], 2, v2
	;; [unrolled: 1-line block ×3, first 2 shown]
	v_cndmask_b32_e64 v2, 0, 1, s[20:21]
	s_and_b64 s[22:23], s[18:19], s[22:23]
	s_and_b64 s[24:25], s[18:19], s[24:25]
	;; [unrolled: 1-line block ×4, first 2 shown]
	v_cndmask_b32_e64 v4, 0, 1, s[30:31]
	v_cmp_ne_u32_e64 s[30:31], 0, v10
	v_cndmask_b32_e64 v10, 0, 1, s[36:37]
	v_cmp_ne_u32_e64 s[36:37], 0, v37
	v_cmp_ne_u32_e64 s[20:21], 0, v5
	v_cndmask_b32_e64 v3, 0, 1, s[22:23]
	v_cndmask_b32_e64 v5, 0, 1, s[18:19]
	v_cmp_ne_u32_e64 s[18:19], 0, v2
	v_cndmask_b32_e64 v2, 0, 1, s[26:27]
	s_and_b64 s[26:27], s[28:29], s[42:43]
	s_bcnt1_i32_b64 s53, s[40:41]
	v_cmp_ne_u32_e64 s[40:41], 0, v4
	s_bcnt1_i32_b64 s30, s[30:31]
	s_bcnt1_i32_b64 s31, s[34:35]
	v_cmp_ne_u32_e64 s[22:23], 0, v10
	v_cndmask_b32_e64 v4, 0, 1, s[24:25]
	s_bcnt1_i32_b64 s34, s[36:37]
	s_bcnt1_i32_b64 s37, s[20:21]
	v_cmp_ne_u32_e64 s[20:21], 0, v3
	v_cndmask_b32_e64 v3, 0, 1, s[26:27]
	s_and_b64 s[26:27], s[28:29], s[44:45]
	v_cmp_ne_u32_e64 s[24:25], 0, v36
	s_add_i32 s30, s17, s30
	s_bcnt1_i32_b64 s38, s[22:23]
	v_cmp_ne_u32_e64 s[22:23], 0, v4
	v_cndmask_b32_e64 v4, 0, 1, s[26:27]
	s_add_i32 s26, s16, s31
	s_and_b64 s[16:17], s[28:29], s[46:47]
	s_bcnt1_i32_b64 s35, s[40:41]
	s_add_i32 s36, s52, s53
	s_bcnt1_i32_b64 s27, s[24:25]
	v_cmp_ne_u32_e64 s[24:25], 0, v5
	v_cndmask_b32_e64 v5, 0, 1, s[16:17]
	s_add_i32 s11, s11, s34
	s_bcnt1_i32_b64 s16, s[18:19]
	v_cmp_ne_u32_e64 s[18:19], 0, v2
	s_add_i32 s17, s36, s35
	s_bcnt1_i32_b64 s28, s[20:21]
	v_cmp_ne_u32_e64 s[20:21], 0, v3
	;; [unrolled: 3-line block ×4, first 2 shown]
	s_add_i32 s11, s11, s27
	s_bcnt1_i32_b64 s18, s[18:19]
	s_add_i32 s16, s17, s16
	s_bcnt1_i32_b64 s17, s[20:21]
	;; [unrolled: 2-line block ×4, first 2 shown]
	s_add_i32 s11, s11, s31
	s_add_i32 s52, s16, s18
	;; [unrolled: 1-line block ×5, first 2 shown]
	s_or_b64 s[50:51], vcc, s[50:51]
	v_mov_b32_e32 v2, s52
	v_mov_b32_e32 v3, s17
	;; [unrolled: 1-line block ×4, first 2 shown]
	s_andn2_b64 exec, exec, s[50:51]
	s_cbranch_execnz .LBB59_39
; %bb.40:                               ;   in Loop: Header=BB59_6 Depth=1
	s_or_b64 exec, exec, s[50:51]
.LBB59_41:                              ;   in Loop: Header=BB59_6 Depth=1
	s_or_b64 exec, exec, s[48:49]
	v_mov_b32_e32 v35, 0
	s_and_saveexec_b64 s[16:17], s[14:15]
	s_cbranch_execz .LBB59_43
; %bb.42:                               ;   in Loop: Header=BB59_6 Depth=1
	global_load_ushort v35, v[14:15], off
.LBB59_43:                              ;   in Loop: Header=BB59_6 Depth=1
	s_or_b64 exec, exec, s[16:17]
	s_mov_b64 s[16:17], 0
	s_mov_b64 s[80:81], 0
	s_and_saveexec_b64 s[20:21], s[14:15]
	s_cbranch_execz .LBB59_50
; %bb.44:                               ;   in Loop: Header=BB59_6 Depth=1
	s_and_b32 s5, s72, 0xfe
	s_mov_b64 s[22:23], 0
	v_mov_b32_e32 v10, v26
	v_mov_b32_e32 v36, v21
	s_branch .LBB59_46
.LBB59_45:                              ;   in Loop: Header=BB59_46 Depth=2
	s_or_b64 exec, exec, s[24:25]
	s_waitcnt vmcnt(0)
	v_add_u32_sdwa v35, sext(v35), s6 dst_sel:DWORD dst_unused:UNUSED_PAD src0_sel:WORD_0 src1_sel:DWORD
	s_and_b64 s[10:11], exec, vcc
	v_and_b32_e32 v38, v35, v31
	v_bfe_u32 v35, v35, s5, 2
	s_or_b64 s[22:23], s[10:11], s[22:23]
	v_cmp_eq_u32_e32 vcc, v38, v32
	v_cmp_eq_u32_e64 s[18:19], 0, v35
	s_and_b64 s[10:11], vcc, s[18:19]
	v_cndmask_b32_e64 v38, 0, 1, s[10:11]
	v_cmp_ne_u32_e64 s[18:19], 0, v38
	s_bcnt1_i32_b64 s10, s[18:19]
	v_cmp_eq_u32_e64 s[18:19], 1, v35
	v_add_u32_e32 v2, s10, v2
	s_and_b64 s[10:11], vcc, s[18:19]
	v_cndmask_b32_e64 v38, 0, 1, s[10:11]
	v_cmp_ne_u32_e64 s[18:19], 0, v38
	s_bcnt1_i32_b64 s10, s[18:19]
	v_cmp_eq_u32_e64 s[18:19], 2, v35
	v_add_u32_e32 v3, s10, v3
	;; [unrolled: 6-line block ×3, first 2 shown]
	s_and_b64 s[10:11], vcc, s[18:19]
	v_cndmask_b32_e64 v35, 0, 1, s[10:11]
	v_cmp_ne_u32_e32 vcc, 0, v35
	s_bcnt1_i32_b64 s10, vcc
	v_add_u32_e32 v5, s10, v5
	v_add_u32_e32 v10, s76, v10
	v_mov_b32_e32 v35, v37
	s_andn2_b64 exec, exec, s[22:23]
	s_cbranch_execz .LBB59_49
.LBB59_46:                              ;   Parent Loop BB59_6 Depth=1
                                        ; =>  This Inner Loop Header: Depth=2
	v_add_u32_e32 v36, s9, v36
	v_cmp_gt_u32_e64 s[18:19], s60, v36
	v_cmp_le_u32_e32 vcc, s60, v36
	v_mov_b32_e32 v37, 0
	s_and_saveexec_b64 s[24:25], s[18:19]
	s_cbranch_execz .LBB59_45
; %bb.47:                               ;   in Loop: Header=BB59_46 Depth=2
	v_lshlrev_b64 v[38:39], 1, v[10:11]
	v_mov_b32_e32 v37, s8
	v_add_co_u32_e64 v38, s[18:19], s33, v38
	v_addc_co_u32_e64 v39, s[18:19], v37, v39, s[18:19]
	global_load_ushort v37, v[38:39], off
	s_branch .LBB59_45
.LBB59_48:                              ;   in Loop: Header=BB59_6 Depth=1
	s_mov_b64 s[80:81], 0
                                        ; implicit-def: $vgpr5
	s_cbranch_execnz .LBB59_51
	s_branch .LBB59_60
.LBB59_49:                              ;   in Loop: Header=BB59_6 Depth=1
	s_or_b64 exec, exec, s[22:23]
	s_mov_b64 s[80:81], exec
.LBB59_50:                              ;   in Loop: Header=BB59_6 Depth=1
	s_or_b64 exec, exec, s[20:21]
	s_and_b64 vcc, exec, s[16:17]
	s_cbranch_vccz .LBB59_60
.LBB59_51:                              ;   in Loop: Header=BB59_6 Depth=1
	v_readlane_b32 s5, v52, 48
	s_mul_hi_u32 s5, s4, s5
	s_mul_i32 s5, s5, s77
	s_sub_i32 s5, s4, s5
	s_sub_i32 s10, s5, s77
	s_cmp_ge_u32 s5, s77
	s_cselect_b32 s5, s10, s5
	s_sub_i32 s10, s5, s77
	s_cmp_ge_u32 s5, s77
	s_cselect_b32 s5, s10, s5
	s_sub_i32 s5, s4, s5
	v_cmp_gt_u32_e32 vcc, s5, v16
	s_mov_b32 s11, 0
	s_waitcnt vmcnt(0)
	v_mov_b32_e32 v2, 0
	v_mov_b32_e32 v3, 0
	;; [unrolled: 1-line block ×4, first 2 shown]
	s_and_saveexec_b64 s[82:83], vcc
	s_cbranch_execz .LBB59_55
; %bb.52:                               ;   in Loop: Header=BB59_6 Depth=1
	s_and_b32 s10, s72, 0xfe
	s_mov_b64 s[16:17], 0
	v_mov_b32_e32 v10, v27
	s_mov_b32 s62, 0
	s_mov_b32 s63, 0
	;; [unrolled: 1-line block ×3, first 2 shown]
	v_mov_b32_e32 v35, v16
.LBB59_53:                              ;   Parent Loop BB59_6 Depth=1
                                        ; =>  This Inner Loop Header: Depth=2
	ds_read_b64 v[2:3], v10
	v_add_u32_e32 v35, s77, v35
	v_cmp_le_u32_e32 vcc, s5, v35
	v_add_u32_e32 v10, s12, v10
	s_waitcnt lgkmcnt(0)
	v_add_u32_sdwa v4, sext(v2), s6 dst_sel:DWORD dst_unused:UNUSED_PAD src0_sel:WORD_0 src1_sel:DWORD
	v_add_u32_sdwa v2, sext(v2), s6 dst_sel:DWORD dst_unused:UNUSED_PAD src0_sel:WORD_1 src1_sel:DWORD
	v_and_b32_e32 v36, v4, v31
	v_bfe_u32 v4, v4, s10, 2
	v_add_u32_sdwa v5, sext(v3), s6 dst_sel:DWORD dst_unused:UNUSED_PAD src0_sel:WORD_0 src1_sel:DWORD
	v_and_b32_e32 v37, v2, v31
	v_bfe_u32 v2, v2, s10, 2
	v_cmp_eq_u32_e64 s[18:19], v36, v32
	v_cmp_eq_u32_e64 s[26:27], 0, v4
	v_add_u32_sdwa v3, sext(v3), s6 dst_sel:DWORD dst_unused:UNUSED_PAD src0_sel:WORD_1 src1_sel:DWORD
	v_and_b32_e32 v38, v5, v31
	v_bfe_u32 v5, v5, s10, 2
	v_cmp_eq_u32_e64 s[20:21], v37, v32
	v_cmp_eq_u32_e64 s[28:29], 0, v2
	s_and_b64 s[26:27], s[18:19], s[26:27]
	v_and_b32_e32 v39, v3, v31
	v_bfe_u32 v3, v3, s10, 2
	v_cmp_eq_u32_e64 s[22:23], v38, v32
	v_cmp_eq_u32_e64 s[30:31], 0, v5
	;; [unrolled: 1-line block ×5, first 2 shown]
	v_cndmask_b32_e64 v2, 0, 1, s[26:27]
	s_and_b64 s[26:27], s[20:21], s[28:29]
	v_cmp_eq_u32_e64 s[24:25], v39, v32
	v_cmp_eq_u32_e64 s[34:35], 0, v3
	;; [unrolled: 1-line block ×5, first 2 shown]
	v_cndmask_b32_e64 v3, 0, 1, s[26:27]
	s_and_b64 s[26:27], s[22:23], s[30:31]
	v_cmp_eq_u32_e64 s[36:37], 1, v4
	v_cmp_eq_u32_e64 s[44:45], 2, v4
	;; [unrolled: 1-line block ×3, first 2 shown]
	v_cndmask_b32_e64 v4, 0, 1, s[26:27]
	s_and_b64 s[26:27], s[24:25], s[34:35]
	v_cmp_eq_u32_e64 s[40:41], 1, v5
	v_cmp_eq_u32_e64 s[48:49], 2, v5
	;; [unrolled: 1-line block ×3, first 2 shown]
	v_cndmask_b32_e64 v5, 0, 1, s[26:27]
	s_and_b64 s[26:27], s[18:19], s[36:37]
	v_cndmask_b32_e64 v36, 0, 1, s[26:27]
	s_and_b64 s[26:27], s[20:21], s[38:39]
	v_cndmask_b32_e64 v37, 0, 1, s[26:27]
	s_and_b64 s[26:27], s[22:23], s[40:41]
	v_cndmask_b32_e64 v38, 0, 1, s[26:27]
	s_and_b64 s[26:27], s[24:25], s[42:43]
	v_cndmask_b32_e64 v39, 0, 1, s[26:27]
	s_and_b64 s[26:27], s[18:19], s[44:45]
	s_and_b64 s[18:19], s[18:19], s[52:53]
	v_cndmask_b32_e64 v40, 0, 1, s[26:27]
	s_and_b64 s[26:27], s[20:21], s[46:47]
	v_cndmask_b32_e64 v44, 0, 1, s[18:19]
	;; [unrolled: 2-line block ×7, first 2 shown]
	v_cndmask_b32_e64 v47, 0, 1, s[18:19]
	v_cmp_ne_u32_e64 s[18:19], 0, v2
	v_cmp_ne_u32_e64 s[20:21], 0, v3
	;; [unrolled: 1-line block ×11, first 2 shown]
	s_bcnt1_i32_b64 s18, s[18:19]
	s_bcnt1_i32_b64 s19, s[20:21]
	;; [unrolled: 1-line block ×8, first 2 shown]
	v_cmp_ne_u32_e64 s[34:35], 0, v39
	v_cmp_ne_u32_e64 s[40:41], 0, v42
	;; [unrolled: 1-line block ×3, first 2 shown]
	s_bcnt1_i32_b64 s23, s[28:29]
	s_bcnt1_i32_b64 s27, s[38:39]
	;; [unrolled: 1-line block ×3, first 2 shown]
	s_add_i32 s18, s74, s18
	s_add_i32 s22, s63, s22
	;; [unrolled: 1-line block ×4, first 2 shown]
	v_cmp_ne_u32_e64 s[42:43], 0, v43
	v_cmp_ne_u32_e64 s[50:51], 0, v47
	s_bcnt1_i32_b64 s25, s[34:35]
	s_bcnt1_i32_b64 s28, s[40:41]
	s_bcnt1_i32_b64 s34, s[48:49]
	s_add_i32 s18, s18, s19
	s_add_i32 s19, s22, s23
	s_add_i32 s22, s26, s27
	s_add_i32 s11, s11, s31
	s_bcnt1_i32_b64 s29, s[42:43]
	s_bcnt1_i32_b64 s35, s[50:51]
	s_add_i32 s18, s18, s20
	s_add_i32 s19, s19, s24
	;; [unrolled: 1-line block ×8, first 2 shown]
	s_or_b64 s[16:17], vcc, s[16:17]
	v_mov_b32_e32 v2, s74
	v_mov_b32_e32 v3, s63
	;; [unrolled: 1-line block ×4, first 2 shown]
	s_andn2_b64 exec, exec, s[16:17]
	s_cbranch_execnz .LBB59_53
; %bb.54:                               ;   in Loop: Header=BB59_6 Depth=1
	s_or_b64 exec, exec, s[16:17]
.LBB59_55:                              ;   in Loop: Header=BB59_6 Depth=1
	s_or_b64 exec, exec, s[82:83]
	v_add_u32_e32 v10, s5, v0
	v_cmp_gt_u32_e32 vcc, s4, v10
	s_and_saveexec_b64 s[16:17], vcc
	s_cbranch_execz .LBB59_59
; %bb.56:                               ;   in Loop: Header=BB59_6 Depth=1
	s_and_b32 s5, s72, 0xfe
	v_lshlrev_b32_e32 v35, 1, v10
	s_mov_b64 s[28:29], 0
.LBB59_57:                              ;   Parent Loop BB59_6 Depth=1
                                        ; =>  This Inner Loop Header: Depth=2
	ds_read_i16 v36, v35
	v_add_u32_e32 v10, s9, v10
	v_cmp_le_u32_e32 vcc, s4, v10
	v_add_u32_e32 v35, s13, v35
	s_waitcnt lgkmcnt(0)
	v_add_u32_e32 v36, 0x8000, v36
	v_and_b32_e32 v37, v36, v31
	v_bfe_u32 v36, v36, s5, 2
	v_cmp_eq_u32_e64 s[18:19], v37, v32
	v_cmp_eq_u32_e64 s[20:21], 0, v36
	;; [unrolled: 1-line block ×3, first 2 shown]
	s_and_b64 s[10:11], s[18:19], s[20:21]
	v_cmp_eq_u32_e64 s[24:25], 2, v36
	v_cmp_eq_u32_e64 s[26:27], 3, v36
	v_cndmask_b32_e64 v36, 0, 1, s[10:11]
	s_and_b64 s[10:11], s[18:19], s[22:23]
	v_cndmask_b32_e64 v37, 0, 1, s[10:11]
	s_and_b64 s[10:11], s[18:19], s[24:25]
	;; [unrolled: 2-line block ×3, first 2 shown]
	v_cndmask_b32_e64 v39, 0, 1, s[10:11]
	v_cmp_ne_u32_e64 s[18:19], 0, v36
	v_cmp_ne_u32_e64 s[20:21], 0, v37
	;; [unrolled: 1-line block ×4, first 2 shown]
	s_bcnt1_i32_b64 s10, s[18:19]
	s_bcnt1_i32_b64 s11, s[20:21]
	;; [unrolled: 1-line block ×4, first 2 shown]
	v_add_u32_e32 v2, s10, v2
	v_add_u32_e32 v3, s11, v3
	;; [unrolled: 1-line block ×3, first 2 shown]
	s_or_b64 s[28:29], vcc, s[28:29]
	v_add_u32_e32 v5, s19, v5
	s_andn2_b64 exec, exec, s[28:29]
	s_cbranch_execnz .LBB59_57
; %bb.58:                               ;   in Loop: Header=BB59_6 Depth=1
	s_or_b64 exec, exec, s[28:29]
	s_or_b64 s[80:81], s[80:81], exec
.LBB59_59:                              ;   in Loop: Header=BB59_6 Depth=1
	s_or_b64 exec, exec, s[16:17]
.LBB59_60:                              ;   in Loop: Header=BB59_6 Depth=1
	s_and_saveexec_b64 s[16:17], s[80:81]
	s_or_b64 exec, exec, s[16:17]
	s_lshl_b32 s4, s73, 6
	s_and_saveexec_b64 s[16:17], s[0:1]
	s_cbranch_execz .LBB59_62
; %bb.61:                               ;   in Loop: Header=BB59_6 Depth=1
	v_or_b32_e32 v10, s4, v18
	v_lshlrev_b32_e32 v10, 2, v10
	s_waitcnt vmcnt(0)
	ds_write_b128 v10, v[2:5] offset:3072
.LBB59_62:                              ;   in Loop: Header=BB59_6 Depth=1
	s_or_b64 exec, exec, s[16:17]
	s_waitcnt lgkmcnt(0)
	s_barrier
	s_mov_b64 s[16:17], exec
	v_readlane_b32 s10, v52, 23
	v_readlane_b32 s11, v52, 24
	s_and_b64 s[10:11], s[16:17], s[10:11]
	s_mov_b64 exec, s[10:11]
	s_cbranch_execz .LBB59_76
; %bb.63:                               ;   in Loop: Header=BB59_6 Depth=1
	v_readlane_b32 s10, v52, 27
	v_readlane_b32 s11, v52, 28
	v_add_u32_e32 v4, s4, v1
	s_andn2_b64 vcc, exec, s[10:11]
	s_waitcnt vmcnt(0)
	v_mov_b32_e32 v2, 0
	s_cbranch_vccnz .LBB59_75
; %bb.64:                               ;   in Loop: Header=BB59_6 Depth=1
	v_readlane_b32 s10, v52, 32
	v_readlane_b32 s11, v52, 33
	s_mov_b32 s5, 0
	s_and_b64 vcc, exec, s[10:11]
	v_mov_b32_e32 v2, 0
	s_cbranch_vccz .LBB59_68
; %bb.65:                               ;   in Loop: Header=BB59_6 Depth=1
	v_readlane_b32 s10, v52, 38
	v_readlane_b32 s18, v52, 17
	;; [unrolled: 1-line block ×3, first 2 shown]
	v_lshl_add_u32 v5, v4, 2, v29
	v_readlane_b32 s19, v52, 18
	s_andn2_b64 vcc, exec, s[10:11]
	s_cbranch_vccnz .LBB59_69
; %bb.66:                               ;   in Loop: Header=BB59_6 Depth=1
	v_writelane_b32 v52, s18, 17
	v_writelane_b32 v52, s19, 18
	s_mov_b32 s19, 1
	s_mov_b32 s18, 0
	v_mov_b32_e32 v2, 0
	v_readlane_b32 s5, v52, 40
	v_mov_b32_e32 v3, 0
.LBB59_67:                              ;   Parent Loop BB59_6 Depth=1
                                        ; =>  This Inner Loop Header: Depth=2
	v_lshl_add_u32 v10, s18, 4, v5
	v_lshl_add_u32 v35, s19, 4, v5
	ds_read2_b32 v[36:37], v10 offset1:8
	ds_read2_b32 v[38:39], v35 offset1:8
	ds_read2_b32 v[40:41], v10 offset0:16 offset1:24
	ds_read2_b32 v[42:43], v35 offset0:16 offset1:24
	;; [unrolled: 1-line block ×6, first 2 shown]
	s_waitcnt lgkmcnt(7)
	v_add3_u32 v2, v36, v2, v37
	s_waitcnt lgkmcnt(6)
	v_add3_u32 v3, v38, v3, v39
	;; [unrolled: 2-line block ×3, first 2 shown]
	v_add3_u32 v2, v40, v2, v41
	s_add_i32 s19, s19, 16
	s_add_i32 s18, s18, 16
	s_add_i32 s5, s5, -8
	s_waitcnt lgkmcnt(3)
	v_add3_u32 v2, v44, v2, v45
	s_waitcnt lgkmcnt(2)
	v_add3_u32 v3, v46, v3, v47
	s_cmp_lg_u32 s5, 0
	s_waitcnt lgkmcnt(0)
	v_add3_u32 v3, v50, v3, v51
	v_add3_u32 v2, v48, v2, v49
	s_cbranch_scc1 .LBB59_67
	s_branch .LBB59_70
.LBB59_68:                              ;   in Loop: Header=BB59_6 Depth=1
	s_cbranch_execnz .LBB59_73
	s_branch .LBB59_75
.LBB59_69:                              ;   in Loop: Header=BB59_6 Depth=1
	s_mov_b32 s10, s18
	s_mov_b32 s19, s18
	v_writelane_b32 v52, s10, 17
	v_pk_mov_b32 v[2:3], s[18:19], s[18:19] op_sel:[0,1]
	s_mov_b32 s19, 1
	v_writelane_b32 v52, s11, 18
.LBB59_70:                              ;   in Loop: Header=BB59_6 Depth=1
	v_readlane_b32 s10, v52, 42
	v_readlane_b32 s11, v52, 43
	s_andn2_b64 vcc, exec, s[10:11]
	v_readlane_b32 s5, v52, 41
	s_cbranch_vccnz .LBB59_72
.LBB59_71:                              ;   Parent Loop BB59_6 Depth=1
                                        ; =>  This Inner Loop Header: Depth=2
	v_lshl_add_u32 v10, s18, 4, v5
	v_lshl_add_u32 v35, s19, 4, v5
	ds_read_b32 v35, v35
	ds_read_b32 v10, v10
	s_add_i32 s19, s19, 2
	s_add_i32 s18, s18, 2
	s_add_i32 s5, s5, -1
	s_cmp_lg_u32 s5, 0
	s_waitcnt lgkmcnt(1)
	v_add_u32_e32 v3, v35, v3
	s_waitcnt lgkmcnt(0)
	v_add_u32_e32 v2, v10, v2
	s_cbranch_scc1 .LBB59_71
.LBB59_72:                              ;   in Loop: Header=BB59_6 Depth=1
	v_readlane_b32 s18, v52, 46
	v_add_u32_e32 v2, v2, v3
	v_readlane_b32 s5, v52, 45
	v_readlane_b32 s19, v52, 47
	s_and_b64 vcc, exec, s[18:19]
	s_cbranch_vccz .LBB59_75
.LBB59_73:                              ;   in Loop: Header=BB59_6 Depth=1
	s_lshl_b32 s10, s73, 8
	s_lshl_b32 s11, s5, 4
	s_add_i32 s10, s10, s11
	v_add_u32_e32 v3, s10, v28
	v_readlane_b32 s10, v52, 44
	s_sub_i32 s5, s10, s5
.LBB59_74:                              ;   Parent Loop BB59_6 Depth=1
                                        ; =>  This Inner Loop Header: Depth=2
	ds_read_b32 v5, v3
	s_add_i32 s5, s5, -1
	v_add_u32_e32 v3, 16, v3
	s_cmp_eq_u32 s5, 0
	s_waitcnt lgkmcnt(0)
	v_add_u32_e32 v2, v5, v2
	s_cbranch_scc0 .LBB59_74
.LBB59_75:                              ;   in Loop: Header=BB59_6 Depth=1
	v_lshlrev_b32_e32 v3, 2, v4
	ds_write_b32 v3, v2 offset:3072
.LBB59_76:                              ;   in Loop: Header=BB59_6 Depth=1
	s_or_b64 exec, exec, s[16:17]
	s_lshl_b32 s4, s4, 2
	s_waitcnt vmcnt(0)
	v_mov_b32_e32 v2, s4
	s_waitcnt lgkmcnt(0)
	s_barrier
	ds_read_b128 v[2:5], v2 offset:3072
	s_and_b32 s62, s72, 0xfe
	v_readlane_b32 s16, v52, 21
	s_lshl_b32 s4, 3, s62
	v_readlane_b32 s17, v52, 22
	s_waitcnt lgkmcnt(0)
	v_readfirstlane_b32 s5, v2
	v_readfirstlane_b32 s11, v3
	v_readfirstlane_b32 s63, v4
	v_readfirstlane_b32 s74, v5
	s_not_b32 s10, s4
	s_andn2_b64 vcc, exec, s[16:17]
	v_cmp_eq_u32_e64 s[18:19], 1, v34
	s_cbranch_vccnz .LBB59_89
; %bb.77:                               ;   in Loop: Header=BB59_6 Depth=1
	s_cmp_eq_u32 s5, 1
	s_cselect_b64 s[16:17], -1, 0
	s_and_b64 s[36:37], s[16:17], s[18:19]
	s_mov_b64 s[16:17], -1
	v_mov_b32_e32 v2, v32
	v_mov_b32_e32 v3, v31
	;; [unrolled: 1-line block ×3, first 2 shown]
                                        ; implicit-def: $sgpr22_sgpr23
                                        ; implicit-def: $sgpr28_sgpr29
                                        ; implicit-def: $sgpr26_sgpr27
	s_and_saveexec_b64 s[24:25], s[36:37]
	s_cbranch_execz .LBB59_105
; %bb.78:                               ;   in Loop: Header=BB59_6 Depth=1
	ds_read_b32 v2, v11 offset:4096
	s_waitcnt lgkmcnt(0)
	s_barrier
	v_readfirstlane_b32 s28, v2
	s_mov_b64 s[16:17], exec
	v_readlane_b32 s20, v52, 36
	v_readlane_b32 s21, v52, 37
	s_and_b64 s[20:21], s[16:17], s[20:21]
	s_mov_b64 exec, s[20:21]
	s_cbranch_execz .LBB59_80
; %bb.79:                               ;   in Loop: Header=BB59_6 Depth=1
	ds_write_b16 v20, v11
.LBB59_80:                              ;   in Loop: Header=BB59_6 Depth=1
	s_or_b64 exec, exec, s[16:17]
	v_and_b32_e32 v2, s10, v32
	v_or_b32_e32 v3, s4, v31
	s_cmp_eq_u32 s28, 0
	s_waitcnt lgkmcnt(0)
	s_barrier
	s_cbranch_scc1 .LBB59_91
; %bb.81:                               ;   in Loop: Header=BB59_6 Depth=1
	v_readlane_b32 s16, v52, 29
	s_add_i32 s16, s28, s16
	v_readlane_b32 s17, v52, 51
	s_mul_hi_u32 s17, s16, s17
	s_mul_i32 s17, s17, s9
	s_sub_i32 s17, s16, s17
	s_sub_i32 s20, s17, s9
	s_cmp_ge_u32 s17, s9
	s_cselect_b32 s17, s20, s17
	s_sub_i32 s20, s17, s9
	s_cmp_ge_u32 s17, s9
	s_cselect_b32 s17, s20, s17
	s_sub_i32 s29, s16, s17
	v_cmp_gt_u32_e32 vcc, s29, v0
	s_mov_b64 s[16:17], 0
                                        ; implicit-def: $vgpr35
	s_and_saveexec_b64 s[22:23], vcc
	s_cbranch_execz .LBB59_93
; %bb.82:                               ;   in Loop: Header=BB59_6 Depth=1
	v_mov_b32_e32 v4, v19
	v_mov_b32_e32 v5, v0
                                        ; implicit-def: $sgpr26_sgpr27
	s_branch .LBB59_84
.LBB59_83:                              ;   in Loop: Header=BB59_84 Depth=2
	s_or_b64 exec, exec, s[20:21]
	s_waitcnt lgkmcnt(0)
	s_barrier
	ds_read_b32 v10, v11 offset:3072
	v_add_u32_e32 v5, s9, v5
	v_cmp_le_u32_e64 s[20:21], s29, v5
	v_add_u32_e32 v4, s13, v4
	s_waitcnt lgkmcnt(0)
	v_cmp_ne_u16_e32 vcc, 0, v10
	s_or_b64 s[20:21], s[20:21], vcc
	s_and_b64 s[20:21], exec, s[20:21]
	s_or_b64 s[16:17], s[20:21], s[16:17]
	s_andn2_b64 s[20:21], s[26:27], exec
	s_and_b64 s[26:27], vcc, exec
	s_or_b64 s[26:27], s[20:21], s[26:27]
	s_barrier
	s_andn2_b64 exec, exec, s[16:17]
	s_cbranch_execz .LBB59_92
.LBB59_84:                              ;   Parent Loop BB59_6 Depth=1
                                        ; =>  This Inner Loop Header: Depth=2
	v_cmp_gt_u32_e32 vcc, s28, v5
	v_mov_b32_e32 v10, 0
	s_and_saveexec_b64 s[20:21], vcc
	s_cbranch_execz .LBB59_86
; %bb.85:                               ;   in Loop: Header=BB59_84 Depth=2
	ds_read_u16 v10, v4
.LBB59_86:                              ;   in Loop: Header=BB59_84 Depth=2
	s_or_b64 exec, exec, s[20:21]
	s_and_saveexec_b64 s[20:21], vcc
	s_cbranch_execz .LBB59_83
; %bb.87:                               ;   in Loop: Header=BB59_84 Depth=2
	s_waitcnt lgkmcnt(0)
	v_add_u32_sdwa v35, sext(v10), s6 dst_sel:DWORD dst_unused:UNUSED_PAD src0_sel:WORD_0 src1_sel:DWORD
	v_and_b32_e32 v35, v35, v3
	v_cmp_eq_u32_e32 vcc, v35, v2
	s_and_b64 exec, exec, vcc
	s_cbranch_execz .LBB59_83
; %bb.88:                               ;   in Loop: Header=BB59_84 Depth=2
	v_perm_b32 v10, v10, 1, v30
	ds_write_b32 v11, v10 offset:3072
	s_branch .LBB59_83
.LBB59_89:                              ;   in Loop: Header=BB59_6 Depth=1
	s_mov_b64 s[24:25], 0
	s_mov_b64 s[20:21], 0
                                        ; implicit-def: $sgpr26_sgpr27
                                        ; implicit-def: $sgpr28_sgpr29
                                        ; implicit-def: $sgpr22_sgpr23
                                        ; implicit-def: $vgpr5
                                        ; implicit-def: $vgpr4
                                        ; implicit-def: $vgpr2
                                        ; implicit-def: $vgpr3
                                        ; implicit-def: $vgpr35
	s_cbranch_execnz .LBB59_241
.LBB59_90:                              ;   in Loop: Header=BB59_6 Depth=1
	s_mov_b64 s[30:31], s[22:23]
	s_mov_b64 s[34:35], s[22:23]
	s_and_saveexec_b64 s[16:17], s[24:25]
	s_cbranch_execnz .LBB59_403
	s_branch .LBB59_404
.LBB59_91:                              ;   in Loop: Header=BB59_6 Depth=1
	s_mov_b64 s[22:23], -1
	s_mov_b64 s[16:17], 0
                                        ; implicit-def: $sgpr26_sgpr27
                                        ; implicit-def: $vgpr35
	s_mov_b64 s[28:29], s[22:23]
	s_cbranch_execnz .LBB59_94
	s_branch .LBB59_104
.LBB59_92:                              ;   in Loop: Header=BB59_6 Depth=1
	s_or_b64 exec, exec, s[16:17]
	v_lshrrev_b32_e32 v35, 16, v10
	s_and_b64 s[16:17], s[26:27], exec
.LBB59_93:                              ;   in Loop: Header=BB59_6 Depth=1
	s_or_b64 exec, exec, s[22:23]
	s_mov_b64 s[26:27], -1
	s_mov_b64 s[22:23], 0
	s_mov_b64 s[28:29], s[22:23]
	s_branch .LBB59_104
.LBB59_94:                              ;   in Loop: Header=BB59_6 Depth=1
	s_mov_b64 s[16:17], 0
                                        ; implicit-def: $vgpr35
	s_mov_b64 s[22:23], exec
	v_readlane_b32 s20, v52, 52
	v_readlane_b32 s21, v52, 53
	s_and_b64 s[20:21], s[22:23], s[20:21]
	s_mov_b64 exec, s[20:21]
	s_cbranch_execz .LBB59_103
; %bb.95:                               ;   in Loop: Header=BB59_6 Depth=1
	v_mov_b32_e32 v10, v12
	v_mov_b32_e32 v4, v0
                                        ; implicit-def: $sgpr26_sgpr27
	s_branch .LBB59_97
.LBB59_96:                              ;   in Loop: Header=BB59_97 Depth=2
	s_or_b64 exec, exec, s[20:21]
	s_waitcnt lgkmcnt(0)
	s_barrier
	s_waitcnt vmcnt(0)
	ds_read_b32 v5, v11 offset:3072
	v_add_u32_e32 v4, s9, v4
	v_cmp_le_u32_e64 s[20:21], s78, v4
	v_add_u32_e32 v10, s76, v10
	s_waitcnt lgkmcnt(0)
	v_cmp_ne_u16_e32 vcc, 0, v5
	s_or_b64 s[20:21], s[20:21], vcc
	s_and_b64 s[20:21], exec, s[20:21]
	s_or_b64 s[16:17], s[20:21], s[16:17]
	s_andn2_b64 s[20:21], s[26:27], exec
	s_and_b64 s[26:27], vcc, exec
	s_or_b64 s[26:27], s[20:21], s[26:27]
	s_barrier
	s_andn2_b64 exec, exec, s[16:17]
	s_cbranch_execz .LBB59_102
.LBB59_97:                              ;   Parent Loop BB59_6 Depth=1
                                        ; =>  This Inner Loop Header: Depth=2
	v_cmp_gt_u32_e32 vcc, s60, v4
	v_mov_b32_e32 v5, 0
	s_and_saveexec_b64 s[28:29], vcc
	s_cbranch_execz .LBB59_99
; %bb.98:                               ;   in Loop: Header=BB59_97 Depth=2
	v_lshlrev_b64 v[36:37], 1, v[10:11]
	v_mov_b32_e32 v5, s8
	v_add_co_u32_e64 v36, s[20:21], s33, v36
	v_addc_co_u32_e64 v37, s[20:21], v5, v37, s[20:21]
	global_load_ushort v5, v[36:37], off
.LBB59_99:                              ;   in Loop: Header=BB59_97 Depth=2
	s_or_b64 exec, exec, s[28:29]
	s_and_saveexec_b64 s[20:21], vcc
	s_cbranch_execz .LBB59_96
; %bb.100:                              ;   in Loop: Header=BB59_97 Depth=2
	s_waitcnt vmcnt(0)
	v_add_u32_sdwa v35, sext(v5), s6 dst_sel:DWORD dst_unused:UNUSED_PAD src0_sel:WORD_0 src1_sel:DWORD
	v_and_b32_e32 v35, v35, v3
	v_cmp_eq_u32_e32 vcc, v35, v2
	s_and_b64 exec, exec, vcc
	s_cbranch_execz .LBB59_96
; %bb.101:                              ;   in Loop: Header=BB59_97 Depth=2
	v_perm_b32 v5, v5, 1, v30
	ds_write_b32 v11, v5 offset:3072
	s_branch .LBB59_96
.LBB59_102:                             ;   in Loop: Header=BB59_6 Depth=1
	s_or_b64 exec, exec, s[16:17]
	v_lshrrev_b32_e32 v35, 16, v5
	s_and_b64 s[16:17], s[26:27], exec
.LBB59_103:                             ;   in Loop: Header=BB59_6 Depth=1
	s_or_b64 exec, exec, s[22:23]
	s_mov_b64 s[28:29], -1
	s_mov_b64 s[22:23], 0
	s_mov_b64 s[26:27], 0
.LBB59_104:                             ;   in Loop: Header=BB59_6 Depth=1
	s_orn2_b64 s[16:17], s[16:17], exec
.LBB59_105:                             ;   in Loop: Header=BB59_6 Depth=1
	s_or_b64 exec, exec, s[24:25]
	s_mov_b64 s[30:31], 0
	s_mov_b64 s[24:25], 0
	;; [unrolled: 1-line block ×3, first 2 shown]
                                        ; implicit-def: $vgpr5
                                        ; implicit-def: $vgpr4
	s_and_saveexec_b64 s[34:35], s[16:17]
	s_cbranch_execz .LBB59_240
; %bb.106:                              ;   in Loop: Header=BB59_6 Depth=1
	s_xor_b64 s[24:25], s[36:37], -1
	v_mov_b32_e32 v4, 1
	v_mov_b32_e32 v5, 1
	s_and_saveexec_b64 s[16:17], s[24:25]
	s_cbranch_execz .LBB59_116
; %bb.107:                              ;   in Loop: Header=BB59_6 Depth=1
	v_cmp_ge_u32_e32 vcc, s5, v34
                                        ; implicit-def: $sgpr36
                                        ; implicit-def: $sgpr20_sgpr21
	s_and_saveexec_b64 s[24:25], vcc
	s_xor_b64 s[24:25], exec, s[24:25]
	s_cbranch_execz .LBB59_113
; %bb.108:                              ;   in Loop: Header=BB59_6 Depth=1
	ds_read_b32 v4, v11 offset:4096
	s_waitcnt lgkmcnt(0)
	v_cmp_ne_u32_e32 vcc, 0, v4
	s_cbranch_vccnz .LBB59_112
; %bb.109:                              ;   in Loop: Header=BB59_6 Depth=1
	s_mov_b64 s[20:21], exec
	v_readlane_b32 s36, v52, 14
	v_readlane_b32 s37, v52, 15
	s_and_b64 s[36:37], s[20:21], s[36:37]
	s_mov_b64 exec, s[36:37]
	s_cbranch_execz .LBB59_111
; %bb.110:                              ;   in Loop: Header=BB59_6 Depth=1
	v_mov_b32_e32 v4, s5
	ds_write_b32 v11, v4 offset:4100
.LBB59_111:                             ;   in Loop: Header=BB59_6 Depth=1
	s_or_b64 exec, exec, s[20:21]
	s_waitcnt lgkmcnt(0)
	s_barrier
.LBB59_112:                             ;   in Loop: Header=BB59_6 Depth=1
	v_and_b32_e32 v2, s10, v2
	v_or_b32_e32 v3, s4, v3
	s_mov_b64 s[20:21], 0
	s_mov_b32 s36, 8
.LBB59_113:                             ;   in Loop: Header=BB59_6 Depth=1
	s_or_saveexec_b64 s[24:25], s[24:25]
	v_mov_b32_e32 v5, s36
	v_mov_b32_e32 v4, v34
	s_xor_b64 exec, exec, s[24:25]
; %bb.114:                              ;   in Loop: Header=BB59_6 Depth=1
	v_subrev_u32_e32 v4, s5, v34
	v_mov_b32_e32 v5, 0
	s_or_b64 s[20:21], s[20:21], exec
; %bb.115:                              ;   in Loop: Header=BB59_6 Depth=1
	s_or_b64 exec, exec, s[24:25]
	s_and_b64 s[20:21], s[20:21], exec
.LBB59_116:                             ;   in Loop: Header=BB59_6 Depth=1
	s_or_b64 exec, exec, s[16:17]
	s_mov_b64 s[38:39], -1
                                        ; implicit-def: $sgpr16_sgpr17
                                        ; implicit-def: $sgpr36_sgpr37
                                        ; implicit-def: $sgpr42_sgpr43
	s_and_saveexec_b64 s[24:25], s[20:21]
	s_xor_b64 s[24:25], exec, s[24:25]
	s_cbranch_execz .LBB59_237
; %bb.117:                              ;   in Loop: Header=BB59_6 Depth=1
	s_cmp_eq_u32 s11, 1
	s_cselect_b64 s[16:17], -1, 0
	v_cmp_eq_u32_e32 vcc, 1, v4
	s_and_b64 s[44:45], s[16:17], vcc
	s_mov_b64 s[16:17], -1
                                        ; implicit-def: $sgpr36_sgpr37
                                        ; implicit-def: $sgpr40_sgpr41
                                        ; implicit-def: $sgpr38_sgpr39
	s_and_saveexec_b64 s[42:43], s[44:45]
	s_cbranch_execz .LBB59_143
; %bb.118:                              ;   in Loop: Header=BB59_6 Depth=1
	ds_read_b32 v5, v11 offset:4096
	s_waitcnt lgkmcnt(0)
	s_barrier
	v_readfirstlane_b32 s40, v5
	s_mov_b64 s[16:17], exec
	v_readlane_b32 s20, v52, 36
	v_readlane_b32 s21, v52, 37
	s_and_b64 s[20:21], s[16:17], s[20:21]
	s_mov_b64 exec, s[20:21]
	s_cbranch_execz .LBB59_120
; %bb.119:                              ;   in Loop: Header=BB59_6 Depth=1
	ds_write_b16 v20, v11
.LBB59_120:                             ;   in Loop: Header=BB59_6 Depth=1
	s_or_b64 exec, exec, s[16:17]
	v_and_b32_e32 v2, s10, v2
	v_lshl_or_b32 v2, 1, s62, v2
	v_or_b32_e32 v3, s4, v3
	s_cmp_eq_u32 s40, 0
	s_waitcnt lgkmcnt(0)
	s_barrier
	s_cbranch_scc1 .LBB59_129
; %bb.121:                              ;   in Loop: Header=BB59_6 Depth=1
	v_readlane_b32 s16, v52, 29
	s_add_i32 s16, s40, s16
	v_readlane_b32 s17, v52, 51
	s_mul_hi_u32 s17, s16, s17
	s_mul_i32 s17, s17, s9
	s_sub_i32 s17, s16, s17
	s_sub_i32 s20, s17, s9
	s_cmp_ge_u32 s17, s9
	s_cselect_b32 s17, s20, s17
	s_sub_i32 s20, s17, s9
	s_cmp_ge_u32 s17, s9
	s_cselect_b32 s17, s20, s17
	s_sub_i32 s41, s16, s17
	v_cmp_gt_u32_e32 vcc, s41, v0
	s_mov_b64 s[16:17], 0
                                        ; implicit-def: $vgpr35
	s_and_saveexec_b64 s[36:37], vcc
	s_cbranch_execz .LBB59_131
; %bb.122:                              ;   in Loop: Header=BB59_6 Depth=1
	v_mov_b32_e32 v5, v19
	v_mov_b32_e32 v10, v0
                                        ; implicit-def: $sgpr38_sgpr39
	s_branch .LBB59_124
.LBB59_123:                             ;   in Loop: Header=BB59_124 Depth=2
	s_or_b64 exec, exec, s[20:21]
	s_waitcnt lgkmcnt(0)
	s_barrier
	ds_read_b32 v35, v11 offset:3072
	v_add_u32_e32 v10, s9, v10
	v_cmp_le_u32_e64 s[20:21], s41, v10
	v_add_u32_e32 v5, s13, v5
	s_waitcnt lgkmcnt(0)
	v_cmp_ne_u16_e32 vcc, 0, v35
	s_or_b64 s[20:21], s[20:21], vcc
	s_and_b64 s[20:21], exec, s[20:21]
	s_or_b64 s[16:17], s[20:21], s[16:17]
	s_andn2_b64 s[20:21], s[38:39], exec
	s_and_b64 s[38:39], vcc, exec
	s_or_b64 s[38:39], s[20:21], s[38:39]
	s_barrier
	s_andn2_b64 exec, exec, s[16:17]
	s_cbranch_execz .LBB59_130
.LBB59_124:                             ;   Parent Loop BB59_6 Depth=1
                                        ; =>  This Inner Loop Header: Depth=2
	v_cmp_gt_u32_e32 vcc, s40, v10
	v_mov_b32_e32 v35, 0
	s_and_saveexec_b64 s[20:21], vcc
	s_cbranch_execz .LBB59_126
; %bb.125:                              ;   in Loop: Header=BB59_124 Depth=2
	ds_read_u16 v35, v5
.LBB59_126:                             ;   in Loop: Header=BB59_124 Depth=2
	s_or_b64 exec, exec, s[20:21]
	s_and_saveexec_b64 s[20:21], vcc
	s_cbranch_execz .LBB59_123
; %bb.127:                              ;   in Loop: Header=BB59_124 Depth=2
	s_waitcnt lgkmcnt(0)
	v_add_u32_sdwa v36, sext(v35), s6 dst_sel:DWORD dst_unused:UNUSED_PAD src0_sel:WORD_0 src1_sel:DWORD
	v_and_b32_e32 v36, v36, v3
	v_cmp_eq_u32_e32 vcc, v36, v2
	s_and_b64 exec, exec, vcc
	s_cbranch_execz .LBB59_123
; %bb.128:                              ;   in Loop: Header=BB59_124 Depth=2
	v_perm_b32 v35, v35, 1, v30
	ds_write_b32 v11, v35 offset:3072
	s_branch .LBB59_123
.LBB59_129:                             ;   in Loop: Header=BB59_6 Depth=1
	s_mov_b64 s[36:37], -1
	s_mov_b64 s[16:17], 0
                                        ; implicit-def: $sgpr38_sgpr39
                                        ; implicit-def: $vgpr35
	s_mov_b64 s[40:41], s[36:37]
	s_cbranch_execnz .LBB59_132
	s_branch .LBB59_142
.LBB59_130:                             ;   in Loop: Header=BB59_6 Depth=1
	s_or_b64 exec, exec, s[16:17]
	v_lshrrev_b32_e32 v35, 16, v35
	s_and_b64 s[16:17], s[38:39], exec
.LBB59_131:                             ;   in Loop: Header=BB59_6 Depth=1
	s_or_b64 exec, exec, s[36:37]
	s_mov_b64 s[38:39], -1
	s_mov_b64 s[36:37], 0
	s_mov_b64 s[40:41], s[36:37]
	s_branch .LBB59_142
.LBB59_132:                             ;   in Loop: Header=BB59_6 Depth=1
	s_mov_b64 s[16:17], 0
                                        ; implicit-def: $vgpr35
	s_mov_b64 s[36:37], exec
	v_readlane_b32 s20, v52, 52
	v_readlane_b32 s21, v52, 53
	s_and_b64 s[20:21], s[36:37], s[20:21]
	s_mov_b64 exec, s[20:21]
	s_cbranch_execz .LBB59_141
; %bb.133:                              ;   in Loop: Header=BB59_6 Depth=1
	v_mov_b32_e32 v10, v12
	v_mov_b32_e32 v5, v0
                                        ; implicit-def: $sgpr38_sgpr39
	s_branch .LBB59_135
.LBB59_134:                             ;   in Loop: Header=BB59_135 Depth=2
	s_or_b64 exec, exec, s[20:21]
	s_waitcnt lgkmcnt(0)
	s_barrier
	s_waitcnt vmcnt(0)
	ds_read_b32 v35, v11 offset:3072
	v_add_u32_e32 v5, s9, v5
	v_cmp_le_u32_e64 s[20:21], s78, v5
	v_add_u32_e32 v10, s76, v10
	s_waitcnt lgkmcnt(0)
	v_cmp_ne_u16_e32 vcc, 0, v35
	s_or_b64 s[20:21], s[20:21], vcc
	s_and_b64 s[20:21], exec, s[20:21]
	s_or_b64 s[16:17], s[20:21], s[16:17]
	s_andn2_b64 s[20:21], s[38:39], exec
	s_and_b64 s[38:39], vcc, exec
	s_or_b64 s[38:39], s[20:21], s[38:39]
	s_barrier
	s_andn2_b64 exec, exec, s[16:17]
	s_cbranch_execz .LBB59_140
.LBB59_135:                             ;   Parent Loop BB59_6 Depth=1
                                        ; =>  This Inner Loop Header: Depth=2
	v_cmp_gt_u32_e32 vcc, s60, v5
	v_mov_b32_e32 v35, 0
	s_and_saveexec_b64 s[40:41], vcc
	s_cbranch_execz .LBB59_137
; %bb.136:                              ;   in Loop: Header=BB59_135 Depth=2
	v_lshlrev_b64 v[36:37], 1, v[10:11]
	v_mov_b32_e32 v35, s8
	v_add_co_u32_e64 v36, s[20:21], s33, v36
	v_addc_co_u32_e64 v37, s[20:21], v35, v37, s[20:21]
	global_load_ushort v35, v[36:37], off
.LBB59_137:                             ;   in Loop: Header=BB59_135 Depth=2
	s_or_b64 exec, exec, s[40:41]
	s_and_saveexec_b64 s[20:21], vcc
	s_cbranch_execz .LBB59_134
; %bb.138:                              ;   in Loop: Header=BB59_135 Depth=2
	s_waitcnt vmcnt(0)
	v_add_u32_sdwa v36, sext(v35), s6 dst_sel:DWORD dst_unused:UNUSED_PAD src0_sel:WORD_0 src1_sel:DWORD
	v_and_b32_e32 v36, v36, v3
	v_cmp_eq_u32_e32 vcc, v36, v2
	s_and_b64 exec, exec, vcc
	s_cbranch_execz .LBB59_134
; %bb.139:                              ;   in Loop: Header=BB59_135 Depth=2
	v_perm_b32 v35, v35, 1, v30
	ds_write_b32 v11, v35 offset:3072
	s_branch .LBB59_134
.LBB59_140:                             ;   in Loop: Header=BB59_6 Depth=1
	s_or_b64 exec, exec, s[16:17]
	v_lshrrev_b32_e32 v35, 16, v35
	s_and_b64 s[16:17], s[38:39], exec
.LBB59_141:                             ;   in Loop: Header=BB59_6 Depth=1
	s_or_b64 exec, exec, s[36:37]
	s_mov_b64 s[40:41], -1
	s_mov_b64 s[36:37], 0
	s_mov_b64 s[38:39], 0
.LBB59_142:                             ;   in Loop: Header=BB59_6 Depth=1
	s_orn2_b64 s[16:17], s[16:17], exec
.LBB59_143:                             ;   in Loop: Header=BB59_6 Depth=1
	s_or_b64 exec, exec, s[42:43]
	s_mov_b64 s[20:21], 0
                                        ; implicit-def: $vgpr5
	s_and_saveexec_b64 s[42:43], s[16:17]
	s_cbranch_execz .LBB59_236
; %bb.144:                              ;   in Loop: Header=BB59_6 Depth=1
	s_xor_b64 s[20:21], s[44:45], -1
	s_mov_b64 s[48:49], 0
	v_mov_b32_e32 v36, 1
	v_mov_b32_e32 v5, 1
	s_and_saveexec_b64 s[16:17], s[20:21]
	s_cbranch_execz .LBB59_154
; %bb.145:                              ;   in Loop: Header=BB59_6 Depth=1
	v_cmp_ge_u32_e32 vcc, s11, v4
                                        ; implicit-def: $sgpr46
                                        ; implicit-def: $sgpr20_sgpr21
	s_and_saveexec_b64 s[44:45], vcc
	s_xor_b64 s[44:45], exec, s[44:45]
	s_cbranch_execz .LBB59_151
; %bb.146:                              ;   in Loop: Header=BB59_6 Depth=1
	ds_read_b32 v5, v11 offset:4096
	s_waitcnt lgkmcnt(0)
	v_cmp_ne_u32_e32 vcc, 0, v5
	s_cbranch_vccnz .LBB59_150
; %bb.147:                              ;   in Loop: Header=BB59_6 Depth=1
	s_mov_b64 s[20:21], exec
	v_readlane_b32 s46, v52, 14
	v_readlane_b32 s47, v52, 15
	s_and_b64 s[46:47], s[20:21], s[46:47]
	s_mov_b64 exec, s[46:47]
	s_cbranch_execz .LBB59_149
; %bb.148:                              ;   in Loop: Header=BB59_6 Depth=1
	v_mov_b32_e32 v5, s11
	ds_write_b32 v11, v5 offset:4100
.LBB59_149:                             ;   in Loop: Header=BB59_6 Depth=1
	s_or_b64 exec, exec, s[20:21]
	s_waitcnt lgkmcnt(0)
	s_barrier
.LBB59_150:                             ;   in Loop: Header=BB59_6 Depth=1
	v_and_b32_e32 v2, s10, v2
	v_lshl_or_b32 v2, 1, s62, v2
	v_or_b32_e32 v3, s4, v3
	s_mov_b64 s[20:21], 0
	s_mov_b32 s46, 8
.LBB59_151:                             ;   in Loop: Header=BB59_6 Depth=1
	s_or_saveexec_b64 s[44:45], s[44:45]
	v_mov_b32_e32 v5, s46
	s_xor_b64 exec, exec, s[44:45]
; %bb.152:                              ;   in Loop: Header=BB59_6 Depth=1
	v_subrev_u32_e32 v4, s11, v4
	v_mov_b32_e32 v5, 0
	s_or_b64 s[20:21], s[20:21], exec
; %bb.153:                              ;   in Loop: Header=BB59_6 Depth=1
	s_or_b64 exec, exec, s[44:45]
	s_and_b64 s[48:49], s[20:21], exec
	v_mov_b32_e32 v36, v4
.LBB59_154:                             ;   in Loop: Header=BB59_6 Depth=1
	s_or_b64 exec, exec, s[16:17]
	s_mov_b64 s[16:17], -1
                                        ; implicit-def: $sgpr20_sgpr21
                                        ; implicit-def: $sgpr46_sgpr47
                                        ; implicit-def: $sgpr52_sgpr53
	s_and_saveexec_b64 s[44:45], s[48:49]
	s_cbranch_execz .LBB59_235
; %bb.155:                              ;   in Loop: Header=BB59_6 Depth=1
	s_cmp_eq_u32 s63, 1
	s_cselect_b64 s[16:17], -1, 0
	v_cmp_eq_u32_e32 vcc, 1, v36
	s_and_b64 s[54:55], s[16:17], vcc
	s_mov_b64 s[20:21], -1
                                        ; implicit-def: $sgpr46_sgpr47
                                        ; implicit-def: $sgpr50_sgpr51
                                        ; implicit-def: $sgpr48_sgpr49
	s_and_saveexec_b64 s[52:53], s[54:55]
	s_cbranch_execz .LBB59_181
; %bb.156:                              ;   in Loop: Header=BB59_6 Depth=1
	ds_read_b32 v4, v11 offset:4096
	s_waitcnt lgkmcnt(0)
	s_barrier
	v_readfirstlane_b32 s50, v4
	s_mov_b64 s[16:17], exec
	v_readlane_b32 s20, v52, 36
	v_readlane_b32 s21, v52, 37
	s_and_b64 s[20:21], s[16:17], s[20:21]
	s_mov_b64 exec, s[20:21]
	s_cbranch_execz .LBB59_158
; %bb.157:                              ;   in Loop: Header=BB59_6 Depth=1
	ds_write_b16 v20, v11
.LBB59_158:                             ;   in Loop: Header=BB59_6 Depth=1
	s_or_b64 exec, exec, s[16:17]
	v_and_b32_e32 v2, s10, v2
	v_lshl_or_b32 v2, 2, s62, v2
	v_or_b32_e32 v3, s4, v3
	s_cmp_eq_u32 s50, 0
	s_waitcnt lgkmcnt(0)
	s_barrier
	s_cbranch_scc1 .LBB59_167
; %bb.159:                              ;   in Loop: Header=BB59_6 Depth=1
	v_readlane_b32 s16, v52, 29
	s_add_i32 s16, s50, s16
	v_readlane_b32 s17, v52, 51
	s_mul_hi_u32 s17, s16, s17
	s_mul_i32 s17, s17, s9
	s_sub_i32 s17, s16, s17
	s_sub_i32 s20, s17, s9
	s_cmp_ge_u32 s17, s9
	s_cselect_b32 s17, s20, s17
	s_sub_i32 s20, s17, s9
	s_cmp_ge_u32 s17, s9
	s_cselect_b32 s17, s20, s17
	s_sub_i32 s51, s16, s17
	v_cmp_gt_u32_e32 vcc, s51, v0
	s_mov_b64 s[16:17], 0
                                        ; implicit-def: $vgpr35
	s_and_saveexec_b64 s[46:47], vcc
	s_cbranch_execz .LBB59_169
; %bb.160:                              ;   in Loop: Header=BB59_6 Depth=1
	v_mov_b32_e32 v4, v19
	v_mov_b32_e32 v5, v0
                                        ; implicit-def: $sgpr48_sgpr49
	s_branch .LBB59_162
.LBB59_161:                             ;   in Loop: Header=BB59_162 Depth=2
	s_or_b64 exec, exec, s[20:21]
	s_waitcnt lgkmcnt(0)
	s_barrier
	ds_read_b32 v10, v11 offset:3072
	v_add_u32_e32 v5, s9, v5
	v_cmp_le_u32_e64 s[20:21], s51, v5
	v_add_u32_e32 v4, s13, v4
	s_waitcnt lgkmcnt(0)
	v_cmp_ne_u16_e32 vcc, 0, v10
	s_or_b64 s[20:21], s[20:21], vcc
	s_and_b64 s[20:21], exec, s[20:21]
	s_or_b64 s[16:17], s[20:21], s[16:17]
	s_andn2_b64 s[20:21], s[48:49], exec
	s_and_b64 s[48:49], vcc, exec
	s_or_b64 s[48:49], s[20:21], s[48:49]
	s_barrier
	s_andn2_b64 exec, exec, s[16:17]
	s_cbranch_execz .LBB59_168
.LBB59_162:                             ;   Parent Loop BB59_6 Depth=1
                                        ; =>  This Inner Loop Header: Depth=2
	v_cmp_gt_u32_e32 vcc, s50, v5
	v_mov_b32_e32 v10, 0
	s_and_saveexec_b64 s[20:21], vcc
	s_cbranch_execz .LBB59_164
; %bb.163:                              ;   in Loop: Header=BB59_162 Depth=2
	ds_read_u16 v10, v4
.LBB59_164:                             ;   in Loop: Header=BB59_162 Depth=2
	s_or_b64 exec, exec, s[20:21]
	s_and_saveexec_b64 s[20:21], vcc
	s_cbranch_execz .LBB59_161
; %bb.165:                              ;   in Loop: Header=BB59_162 Depth=2
	s_waitcnt lgkmcnt(0)
	v_add_u32_sdwa v35, sext(v10), s6 dst_sel:DWORD dst_unused:UNUSED_PAD src0_sel:WORD_0 src1_sel:DWORD
	v_and_b32_e32 v35, v35, v3
	v_cmp_eq_u32_e32 vcc, v35, v2
	s_and_b64 exec, exec, vcc
	s_cbranch_execz .LBB59_161
; %bb.166:                              ;   in Loop: Header=BB59_162 Depth=2
	v_perm_b32 v10, v10, 1, v30
	ds_write_b32 v11, v10 offset:3072
	s_branch .LBB59_161
.LBB59_167:                             ;   in Loop: Header=BB59_6 Depth=1
	s_mov_b64 s[46:47], -1
	s_mov_b64 s[16:17], 0
                                        ; implicit-def: $sgpr48_sgpr49
                                        ; implicit-def: $vgpr35
	s_mov_b64 s[50:51], s[46:47]
	s_cbranch_execnz .LBB59_170
	s_branch .LBB59_180
.LBB59_168:                             ;   in Loop: Header=BB59_6 Depth=1
	s_or_b64 exec, exec, s[16:17]
	v_lshrrev_b32_e32 v35, 16, v10
	s_and_b64 s[16:17], s[48:49], exec
.LBB59_169:                             ;   in Loop: Header=BB59_6 Depth=1
	s_or_b64 exec, exec, s[46:47]
	s_mov_b64 s[48:49], -1
	s_mov_b64 s[46:47], 0
	s_mov_b64 s[50:51], s[46:47]
	s_branch .LBB59_180
.LBB59_170:                             ;   in Loop: Header=BB59_6 Depth=1
	s_mov_b64 s[16:17], 0
                                        ; implicit-def: $vgpr35
	s_mov_b64 s[46:47], exec
	v_readlane_b32 s20, v52, 52
	v_readlane_b32 s21, v52, 53
	s_and_b64 s[20:21], s[46:47], s[20:21]
	s_mov_b64 exec, s[20:21]
	s_cbranch_execz .LBB59_179
; %bb.171:                              ;   in Loop: Header=BB59_6 Depth=1
	v_mov_b32_e32 v10, v12
	v_mov_b32_e32 v4, v0
                                        ; implicit-def: $sgpr48_sgpr49
	s_branch .LBB59_173
.LBB59_172:                             ;   in Loop: Header=BB59_173 Depth=2
	s_or_b64 exec, exec, s[20:21]
	s_waitcnt lgkmcnt(0)
	s_barrier
	s_waitcnt vmcnt(0)
	ds_read_b32 v5, v11 offset:3072
	v_add_u32_e32 v4, s9, v4
	v_cmp_le_u32_e64 s[20:21], s78, v4
	v_add_u32_e32 v10, s76, v10
	s_waitcnt lgkmcnt(0)
	v_cmp_ne_u16_e32 vcc, 0, v5
	s_or_b64 s[20:21], s[20:21], vcc
	s_and_b64 s[20:21], exec, s[20:21]
	s_or_b64 s[16:17], s[20:21], s[16:17]
	s_andn2_b64 s[20:21], s[48:49], exec
	s_and_b64 s[48:49], vcc, exec
	s_or_b64 s[48:49], s[20:21], s[48:49]
	s_barrier
	s_andn2_b64 exec, exec, s[16:17]
	s_cbranch_execz .LBB59_178
.LBB59_173:                             ;   Parent Loop BB59_6 Depth=1
                                        ; =>  This Inner Loop Header: Depth=2
	v_cmp_gt_u32_e32 vcc, s60, v4
	v_mov_b32_e32 v5, 0
	s_and_saveexec_b64 s[50:51], vcc
	s_cbranch_execz .LBB59_175
; %bb.174:                              ;   in Loop: Header=BB59_173 Depth=2
	v_lshlrev_b64 v[38:39], 1, v[10:11]
	v_mov_b32_e32 v5, s8
	v_add_co_u32_e64 v38, s[20:21], s33, v38
	v_addc_co_u32_e64 v39, s[20:21], v5, v39, s[20:21]
	global_load_ushort v5, v[38:39], off
.LBB59_175:                             ;   in Loop: Header=BB59_173 Depth=2
	s_or_b64 exec, exec, s[50:51]
	s_and_saveexec_b64 s[20:21], vcc
	s_cbranch_execz .LBB59_172
; %bb.176:                              ;   in Loop: Header=BB59_173 Depth=2
	s_waitcnt vmcnt(0)
	v_add_u32_sdwa v35, sext(v5), s6 dst_sel:DWORD dst_unused:UNUSED_PAD src0_sel:WORD_0 src1_sel:DWORD
	v_and_b32_e32 v35, v35, v3
	v_cmp_eq_u32_e32 vcc, v35, v2
	s_and_b64 exec, exec, vcc
	s_cbranch_execz .LBB59_172
; %bb.177:                              ;   in Loop: Header=BB59_173 Depth=2
	v_perm_b32 v5, v5, 1, v30
	ds_write_b32 v11, v5 offset:3072
	s_branch .LBB59_172
.LBB59_178:                             ;   in Loop: Header=BB59_6 Depth=1
	s_or_b64 exec, exec, s[16:17]
	v_lshrrev_b32_e32 v35, 16, v5
	s_and_b64 s[16:17], s[48:49], exec
.LBB59_179:                             ;   in Loop: Header=BB59_6 Depth=1
	s_or_b64 exec, exec, s[46:47]
	s_mov_b64 s[50:51], -1
	s_mov_b64 s[46:47], 0
	s_mov_b64 s[48:49], 0
.LBB59_180:                             ;   in Loop: Header=BB59_6 Depth=1
	s_orn2_b64 s[20:21], s[16:17], exec
.LBB59_181:                             ;   in Loop: Header=BB59_6 Depth=1
	s_or_b64 exec, exec, s[52:53]
	s_mov_b64 s[16:17], 0
                                        ; implicit-def: $vgpr5
	s_and_saveexec_b64 s[52:53], s[20:21]
	s_cbranch_execz .LBB59_234
; %bb.182:                              ;   in Loop: Header=BB59_6 Depth=1
	s_xor_b64 s[20:21], s[54:55], -1
	s_mov_b64 s[58:59], 0
	v_mov_b32_e32 v4, 1
	v_mov_b32_e32 v5, 1
	s_and_saveexec_b64 s[16:17], s[20:21]
	s_cbranch_execz .LBB59_192
; %bb.183:                              ;   in Loop: Header=BB59_6 Depth=1
	v_cmp_ge_u32_e32 vcc, s63, v36
                                        ; implicit-def: $sgpr56
                                        ; implicit-def: $sgpr20_sgpr21
	s_and_saveexec_b64 s[54:55], vcc
	s_xor_b64 s[54:55], exec, s[54:55]
	s_cbranch_execz .LBB59_189
; %bb.184:                              ;   in Loop: Header=BB59_6 Depth=1
	ds_read_b32 v4, v11 offset:4096
	s_waitcnt lgkmcnt(0)
	v_cmp_ne_u32_e32 vcc, 0, v4
	s_cbranch_vccnz .LBB59_188
; %bb.185:                              ;   in Loop: Header=BB59_6 Depth=1
	s_mov_b64 s[20:21], exec
	v_readlane_b32 s56, v52, 14
	v_readlane_b32 s57, v52, 15
	s_and_b64 s[56:57], s[20:21], s[56:57]
	s_mov_b64 exec, s[56:57]
	s_cbranch_execz .LBB59_187
; %bb.186:                              ;   in Loop: Header=BB59_6 Depth=1
	v_mov_b32_e32 v4, s63
	ds_write_b32 v11, v4 offset:4100
.LBB59_187:                             ;   in Loop: Header=BB59_6 Depth=1
	s_or_b64 exec, exec, s[20:21]
	s_waitcnt lgkmcnt(0)
	s_barrier
.LBB59_188:                             ;   in Loop: Header=BB59_6 Depth=1
	v_and_b32_e32 v2, s10, v2
	v_lshl_or_b32 v2, 2, s62, v2
	v_or_b32_e32 v3, s4, v3
	s_mov_b64 s[20:21], 0
	s_mov_b32 s56, 8
.LBB59_189:                             ;   in Loop: Header=BB59_6 Depth=1
	s_or_saveexec_b64 s[54:55], s[54:55]
	v_mov_b32_e32 v5, s56
	s_xor_b64 exec, exec, s[54:55]
; %bb.190:                              ;   in Loop: Header=BB59_6 Depth=1
	v_subrev_u32_e32 v36, s63, v36
	v_mov_b32_e32 v5, 0
	s_or_b64 s[20:21], s[20:21], exec
; %bb.191:                              ;   in Loop: Header=BB59_6 Depth=1
	s_or_b64 exec, exec, s[54:55]
	s_and_b64 s[58:59], s[20:21], exec
	v_mov_b32_e32 v4, v36
.LBB59_192:                             ;   in Loop: Header=BB59_6 Depth=1
	s_or_b64 exec, exec, s[16:17]
	s_mov_b64 s[56:57], -1
                                        ; implicit-def: $sgpr16_sgpr17
                                        ; implicit-def: $sgpr80_sgpr81
                                        ; implicit-def: $sgpr20_sgpr21
	s_and_saveexec_b64 s[54:55], s[58:59]
	s_cbranch_execz .LBB59_233
; %bb.193:                              ;   in Loop: Header=BB59_6 Depth=1
	s_cmp_eq_u32 s74, 1
	s_cselect_b64 s[16:17], -1, 0
	v_cmp_eq_u32_e32 vcc, 1, v4
	s_mov_b64 s[82:83], -1
	s_and_b64 s[56:57], s[16:17], vcc
                                        ; implicit-def: $sgpr16_sgpr17
                                        ; implicit-def: $sgpr80_sgpr81
                                        ; implicit-def: $sgpr20_sgpr21
	s_mov_b64 s[58:59], exec
	v_writelane_b32 v52, s56, 55
	v_writelane_b32 v52, s57, 56
	s_and_b64 s[56:57], s[58:59], s[56:57]
	s_mov_b64 exec, s[56:57]
	s_cbranch_execz .LBB59_220
; %bb.194:                              ;   in Loop: Header=BB59_6 Depth=1
	ds_read_b32 v5, v11 offset:4096
	s_waitcnt lgkmcnt(0)
	s_barrier
	v_readfirstlane_b32 s75, v5
	s_mov_b64 s[16:17], exec
	v_readlane_b32 s20, v52, 36
	v_readlane_b32 s21, v52, 37
	s_and_b64 s[20:21], s[16:17], s[20:21]
	s_mov_b64 exec, s[20:21]
	s_cbranch_execz .LBB59_196
; %bb.195:                              ;   in Loop: Header=BB59_6 Depth=1
	ds_write_b16 v20, v11
.LBB59_196:                             ;   in Loop: Header=BB59_6 Depth=1
	s_or_b64 exec, exec, s[16:17]
	v_or_b32_e32 v2, s4, v2
	v_or_b32_e32 v3, s4, v3
	s_cmp_eq_u32 s75, 0
	s_waitcnt lgkmcnt(0)
	s_barrier
	s_cbranch_scc1 .LBB59_205
; %bb.197:                              ;   in Loop: Header=BB59_6 Depth=1
	v_readlane_b32 s16, v52, 29
	s_add_i32 s16, s75, s16
	v_readlane_b32 s17, v52, 51
	s_mul_hi_u32 s17, s16, s17
	s_mul_i32 s17, s17, s9
	s_sub_i32 s17, s16, s17
	s_sub_i32 s20, s17, s9
	s_cmp_ge_u32 s17, s9
	s_cselect_b32 s17, s20, s17
	s_sub_i32 s20, s17, s9
	s_cmp_ge_u32 s17, s9
	s_cselect_b32 s17, s20, s17
	s_sub_i32 s56, s16, s17
	s_mov_b64 s[82:83], 0
	v_cmp_gt_u32_e32 vcc, s56, v0
                                        ; implicit-def: $vgpr35
	s_mov_b64 s[16:17], exec
	v_writelane_b32 v52, s16, 57
	s_and_b64 s[20:21], s[16:17], vcc
	v_writelane_b32 v52, s17, 58
	s_mov_b64 exec, s[20:21]
	s_cbranch_execz .LBB59_207
; %bb.198:                              ;   in Loop: Header=BB59_6 Depth=1
	s_mov_b64 s[80:81], 0
	v_mov_b32_e32 v5, v19
	v_mov_b32_e32 v10, v0
                                        ; implicit-def: $sgpr82_sgpr83
	s_branch .LBB59_200
.LBB59_199:                             ;   in Loop: Header=BB59_200 Depth=2
	s_or_b64 exec, exec, s[20:21]
	s_waitcnt lgkmcnt(0)
	s_barrier
	ds_read_b32 v35, v11 offset:3072
	v_add_u32_e32 v10, s9, v10
	v_cmp_le_u32_e64 s[20:21], s56, v10
	v_add_u32_e32 v5, s13, v5
	s_waitcnt lgkmcnt(0)
	v_cmp_ne_u16_e32 vcc, 0, v35
	s_or_b64 s[16:17], s[20:21], vcc
	s_and_b64 s[16:17], exec, s[16:17]
	s_or_b64 s[80:81], s[16:17], s[80:81]
	s_andn2_b64 s[16:17], s[82:83], exec
	s_and_b64 s[20:21], vcc, exec
	s_or_b64 s[82:83], s[16:17], s[20:21]
	s_barrier
	s_andn2_b64 exec, exec, s[80:81]
	s_cbranch_execz .LBB59_206
.LBB59_200:                             ;   Parent Loop BB59_6 Depth=1
                                        ; =>  This Inner Loop Header: Depth=2
	v_cmp_gt_u32_e32 vcc, s75, v10
	v_mov_b32_e32 v35, 0
	s_and_saveexec_b64 s[20:21], vcc
	s_cbranch_execz .LBB59_202
; %bb.201:                              ;   in Loop: Header=BB59_200 Depth=2
	ds_read_u16 v35, v5
.LBB59_202:                             ;   in Loop: Header=BB59_200 Depth=2
	s_or_b64 exec, exec, s[20:21]
	s_and_saveexec_b64 s[20:21], vcc
	s_cbranch_execz .LBB59_199
; %bb.203:                              ;   in Loop: Header=BB59_200 Depth=2
	s_waitcnt lgkmcnt(0)
	v_add_u32_sdwa v36, sext(v35), s6 dst_sel:DWORD dst_unused:UNUSED_PAD src0_sel:WORD_0 src1_sel:DWORD
	v_and_b32_e32 v36, v36, v3
	v_cmp_eq_u32_e32 vcc, v36, v2
	s_and_b64 exec, exec, vcc
	s_cbranch_execz .LBB59_199
; %bb.204:                              ;   in Loop: Header=BB59_200 Depth=2
	v_perm_b32 v35, v35, 1, v30
	ds_write_b32 v11, v35 offset:3072
	s_branch .LBB59_199
.LBB59_205:                             ;   in Loop: Header=BB59_6 Depth=1
	s_mov_b64 s[16:17], -1
	s_mov_b64 s[82:83], 0
                                        ; implicit-def: $sgpr20_sgpr21
                                        ; implicit-def: $vgpr35
	s_branch .LBB59_208
.LBB59_206:                             ;   in Loop: Header=BB59_6 Depth=1
	s_or_b64 exec, exec, s[80:81]
	v_lshrrev_b32_e32 v35, 16, v35
	s_and_b64 s[82:83], s[82:83], exec
.LBB59_207:                             ;   in Loop: Header=BB59_6 Depth=1
	v_readlane_b32 s16, v52, 57
	v_readlane_b32 s17, v52, 58
	s_or_b64 exec, exec, s[16:17]
	s_mov_b64 s[20:21], -1
	s_mov_b64 s[16:17], 0
.LBB59_208:                             ;   in Loop: Header=BB59_6 Depth=1
	s_and_b64 vcc, exec, s[16:17]
	s_mov_b64 s[80:81], s[16:17]
	s_cbranch_vccz .LBB59_219
; %bb.209:                              ;   in Loop: Header=BB59_6 Depth=1
	s_mov_b64 s[82:83], 0
                                        ; implicit-def: $vgpr35
	s_mov_b64 s[56:57], exec
	v_readlane_b32 s16, v52, 52
	v_readlane_b32 s17, v52, 53
	s_and_b64 s[16:17], s[56:57], s[16:17]
	s_mov_b64 exec, s[16:17]
	s_cbranch_execz .LBB59_218
; %bb.210:                              ;   in Loop: Header=BB59_6 Depth=1
	s_mov_b64 s[80:81], 0
	v_mov_b32_e32 v10, v12
	v_mov_b32_e32 v5, v0
                                        ; implicit-def: $sgpr82_sgpr83
	s_branch .LBB59_212
.LBB59_211:                             ;   in Loop: Header=BB59_212 Depth=2
	s_or_b64 exec, exec, s[16:17]
	s_waitcnt lgkmcnt(0)
	s_barrier
	s_waitcnt vmcnt(0)
	ds_read_b32 v35, v11 offset:3072
	v_add_u32_e32 v5, s9, v5
	v_cmp_le_u32_e64 s[20:21], s78, v5
	v_add_u32_e32 v10, s76, v10
	s_waitcnt lgkmcnt(0)
	v_cmp_ne_u16_e32 vcc, 0, v35
	s_or_b64 s[16:17], s[20:21], vcc
	s_and_b64 s[16:17], exec, s[16:17]
	s_or_b64 s[80:81], s[16:17], s[80:81]
	s_andn2_b64 s[16:17], s[82:83], exec
	s_and_b64 s[20:21], vcc, exec
	s_or_b64 s[82:83], s[16:17], s[20:21]
	s_barrier
	s_andn2_b64 exec, exec, s[80:81]
	s_cbranch_execz .LBB59_217
.LBB59_212:                             ;   Parent Loop BB59_6 Depth=1
                                        ; =>  This Inner Loop Header: Depth=2
	v_cmp_gt_u32_e32 vcc, s60, v5
	v_mov_b32_e32 v35, 0
	s_and_saveexec_b64 s[16:17], vcc
	s_cbranch_execz .LBB59_214
; %bb.213:                              ;   in Loop: Header=BB59_212 Depth=2
	v_lshlrev_b64 v[36:37], 1, v[10:11]
	v_mov_b32_e32 v35, s8
	v_add_co_u32_e64 v36, s[20:21], s33, v36
	v_addc_co_u32_e64 v37, s[20:21], v35, v37, s[20:21]
	global_load_ushort v35, v[36:37], off
.LBB59_214:                             ;   in Loop: Header=BB59_212 Depth=2
	s_or_b64 exec, exec, s[16:17]
	s_and_saveexec_b64 s[16:17], vcc
	s_cbranch_execz .LBB59_211
; %bb.215:                              ;   in Loop: Header=BB59_212 Depth=2
	s_waitcnt vmcnt(0)
	v_add_u32_sdwa v36, sext(v35), s6 dst_sel:DWORD dst_unused:UNUSED_PAD src0_sel:WORD_0 src1_sel:DWORD
	v_and_b32_e32 v36, v36, v3
	v_cmp_eq_u32_e32 vcc, v36, v2
	s_and_b64 exec, exec, vcc
	s_cbranch_execz .LBB59_211
; %bb.216:                              ;   in Loop: Header=BB59_212 Depth=2
	v_perm_b32 v35, v35, 1, v30
	ds_write_b32 v11, v35 offset:3072
	s_branch .LBB59_211
.LBB59_217:                             ;   in Loop: Header=BB59_6 Depth=1
	s_or_b64 exec, exec, s[80:81]
	v_lshrrev_b32_e32 v35, 16, v35
	s_and_b64 s[82:83], s[82:83], exec
.LBB59_218:                             ;   in Loop: Header=BB59_6 Depth=1
	s_or_b64 exec, exec, s[56:57]
	s_mov_b64 s[80:81], -1
	s_mov_b64 s[16:17], 0
	s_mov_b64 s[20:21], 0
.LBB59_219:                             ;   in Loop: Header=BB59_6 Depth=1
	s_orn2_b64 s[82:83], s[82:83], exec
.LBB59_220:                             ;   in Loop: Header=BB59_6 Depth=1
	s_or_b64 exec, exec, s[58:59]
	s_mov_b64 vcc, 0
                                        ; implicit-def: $vgpr5
                                        ; implicit-def: $vgpr10
	s_and_saveexec_b64 s[58:59], s[82:83]
	s_cbranch_execz .LBB59_232
; %bb.221:                              ;   in Loop: Header=BB59_6 Depth=1
	v_readlane_b32 s56, v52, 55
	v_readlane_b32 s57, v52, 56
	s_xor_b64 s[82:83], s[56:57], -1
	v_mov_b32_e32 v5, 1
	v_mov_b32_e32 v10, 1
	s_and_saveexec_b64 s[56:57], s[82:83]
	s_cbranch_execz .LBB59_231
; %bb.222:                              ;   in Loop: Header=BB59_6 Depth=1
	v_cmp_ge_u32_e32 vcc, s74, v4
                                        ; implicit-def: $sgpr75
	s_and_saveexec_b64 s[82:83], vcc
	s_xor_b64 s[82:83], exec, s[82:83]
	s_cbranch_execz .LBB59_228
; %bb.223:                              ;   in Loop: Header=BB59_6 Depth=1
	ds_read_b32 v5, v11 offset:4096
	s_waitcnt lgkmcnt(0)
	v_cmp_ne_u32_e32 vcc, 0, v5
	s_cbranch_vccnz .LBB59_227
; %bb.224:                              ;   in Loop: Header=BB59_6 Depth=1
	v_writelane_b32 v52, s82, 59
	v_writelane_b32 v52, s83, 60
	s_mov_b64 s[82:83], exec
	v_writelane_b32 v52, s82, 61
	v_writelane_b32 v52, s83, 62
	v_readlane_b32 vcc_lo, v52, 14
	v_readlane_b32 s82, v52, 61
	v_readlane_b32 vcc_hi, v52, 15
	v_readlane_b32 s83, v52, 62
	s_and_b64 vcc, s[82:83], vcc
	s_mov_b64 exec, vcc
	s_cbranch_execz .LBB59_226
; %bb.225:                              ;   in Loop: Header=BB59_6 Depth=1
	v_mov_b32_e32 v5, s74
	ds_write_b32 v11, v5 offset:4100
.LBB59_226:                             ;   in Loop: Header=BB59_6 Depth=1
	v_readlane_b32 vcc_lo, v52, 61
	v_readlane_b32 vcc_hi, v52, 62
	s_or_b64 exec, exec, vcc
	v_readlane_b32 s82, v52, 59
	v_readlane_b32 s83, v52, 60
	s_waitcnt lgkmcnt(0)
	s_barrier
.LBB59_227:                             ;   in Loop: Header=BB59_6 Depth=1
	v_or_b32_e32 v2, s4, v2
	v_or_b32_e32 v3, s4, v3
	s_mov_b32 s75, 8
.LBB59_228:                             ;   in Loop: Header=BB59_6 Depth=1
	s_or_saveexec_b64 s[82:83], s[82:83]
	v_mov_b32_e32 v5, s75
	s_xor_b64 exec, exec, s[82:83]
; %bb.229:                              ;   in Loop: Header=BB59_6 Depth=1
	v_subrev_u32_e32 v4, s74, v4
	v_mov_b32_e32 v5, 8
; %bb.230:                              ;   in Loop: Header=BB59_6 Depth=1
	s_or_b64 exec, exec, s[82:83]
	v_mov_b32_e32 v10, v4
.LBB59_231:                             ;   in Loop: Header=BB59_6 Depth=1
	s_or_b64 exec, exec, s[56:57]
	s_mov_b64 vcc, exec
.LBB59_232:                             ;   in Loop: Header=BB59_6 Depth=1
	s_or_b64 exec, exec, s[58:59]
	s_orn2_b64 s[56:57], vcc, exec
	v_mov_b32_e32 v4, v10
.LBB59_233:                             ;   in Loop: Header=BB59_6 Depth=1
	s_or_b64 exec, exec, s[54:55]
	s_andn2_b64 s[46:47], s[46:47], exec
	s_and_b64 s[16:17], s[16:17], exec
	s_or_b64 s[46:47], s[46:47], s[16:17]
	s_andn2_b64 s[16:17], s[50:51], exec
	s_and_b64 s[50:51], s[80:81], exec
	s_or_b64 s[50:51], s[16:17], s[50:51]
	;; [unrolled: 3-line block ×3, first 2 shown]
	s_and_b64 s[16:17], s[56:57], exec
	v_mov_b32_e32 v36, v4
.LBB59_234:                             ;   in Loop: Header=BB59_6 Depth=1
	s_or_b64 exec, exec, s[52:53]
	s_and_b64 s[52:53], s[46:47], exec
	s_and_b64 s[46:47], s[50:51], exec
	;; [unrolled: 1-line block ×3, first 2 shown]
	s_orn2_b64 s[16:17], s[16:17], exec
.LBB59_235:                             ;   in Loop: Header=BB59_6 Depth=1
	s_or_b64 exec, exec, s[44:45]
	s_andn2_b64 s[36:37], s[36:37], exec
	s_and_b64 s[44:45], s[52:53], exec
	s_or_b64 s[36:37], s[36:37], s[44:45]
	s_andn2_b64 s[40:41], s[40:41], exec
	s_and_b64 s[44:45], s[46:47], exec
	s_andn2_b64 s[38:39], s[38:39], exec
	s_and_b64 s[20:21], s[20:21], exec
	s_or_b64 s[40:41], s[40:41], s[44:45]
	s_or_b64 s[38:39], s[38:39], s[20:21]
	s_and_b64 s[20:21], s[16:17], exec
	v_mov_b32_e32 v4, v36
.LBB59_236:                             ;   in Loop: Header=BB59_6 Depth=1
	s_or_b64 exec, exec, s[42:43]
	s_and_b64 s[42:43], s[36:37], exec
	s_and_b64 s[36:37], s[40:41], exec
	;; [unrolled: 1-line block ×3, first 2 shown]
	s_orn2_b64 s[38:39], s[20:21], exec
.LBB59_237:                             ;   in Loop: Header=BB59_6 Depth=1
	s_or_b64 exec, exec, s[24:25]
	s_mov_b64 s[24:25], 0
	s_mov_b64 s[20:21], 0
	s_and_saveexec_b64 s[40:41], s[38:39]
	s_xor_b64 s[38:39], exec, s[40:41]
; %bb.238:                              ;   in Loop: Header=BB59_6 Depth=1
	v_cmp_eq_u32_e32 vcc, 8, v5
	v_cmp_ne_u32_e64 s[20:21], 8, v5
	s_andn2_b64 s[42:43], s[42:43], exec
	s_andn2_b64 s[36:37], s[36:37], exec
	;; [unrolled: 1-line block ×3, first 2 shown]
	s_and_b64 s[20:21], s[20:21], exec
	s_and_b64 s[24:25], vcc, exec
; %bb.239:                              ;   in Loop: Header=BB59_6 Depth=1
	s_or_b64 exec, exec, s[38:39]
	s_andn2_b64 s[22:23], s[22:23], exec
	s_and_b64 s[38:39], s[42:43], exec
	s_andn2_b64 s[28:29], s[28:29], exec
	s_and_b64 s[36:37], s[36:37], exec
	;; [unrolled: 2-line block ×3, first 2 shown]
	s_or_b64 s[22:23], s[22:23], s[38:39]
	s_or_b64 s[28:29], s[28:29], s[36:37]
	;; [unrolled: 1-line block ×3, first 2 shown]
	s_and_b64 s[20:21], s[20:21], exec
	s_and_b64 s[24:25], s[24:25], exec
.LBB59_240:                             ;   in Loop: Header=BB59_6 Depth=1
	s_or_b64 exec, exec, s[34:35]
	s_and_b64 vcc, exec, s[30:31]
	s_cbranch_vccz .LBB59_90
.LBB59_241:                             ;   in Loop: Header=BB59_6 Depth=1
	s_cmp_eq_u32 s74, 1
	s_cselect_b64 s[16:17], -1, 0
	s_and_b64 s[28:29], s[16:17], s[18:19]
	s_mov_b64 s[16:17], -1
                                        ; implicit-def: $sgpr30_sgpr31
                                        ; implicit-def: $sgpr34_sgpr35
                                        ; implicit-def: $sgpr22_sgpr23
	s_and_saveexec_b64 s[26:27], s[28:29]
	s_cbranch_execz .LBB59_267
; %bb.242:                              ;   in Loop: Header=BB59_6 Depth=1
	ds_read_b32 v2, v11 offset:4096
	s_waitcnt lgkmcnt(0)
	s_barrier
	v_readfirstlane_b32 s34, v2
	s_mov_b64 s[16:17], exec
	v_readlane_b32 s18, v52, 36
	v_readlane_b32 s19, v52, 37
	s_and_b64 s[18:19], s[16:17], s[18:19]
	s_mov_b64 exec, s[18:19]
	s_cbranch_execz .LBB59_244
; %bb.243:                              ;   in Loop: Header=BB59_6 Depth=1
	ds_write_b16 v20, v11
.LBB59_244:                             ;   in Loop: Header=BB59_6 Depth=1
	s_or_b64 exec, exec, s[16:17]
	v_or_b32_e32 v32, s4, v32
	v_or_b32_e32 v31, s4, v31
	s_cmp_eq_u32 s34, 0
	s_waitcnt lgkmcnt(0)
	s_barrier
	s_cbranch_scc1 .LBB59_253
; %bb.245:                              ;   in Loop: Header=BB59_6 Depth=1
	v_readlane_b32 s16, v52, 29
	s_add_i32 s16, s34, s16
	v_readlane_b32 s17, v52, 51
	s_mul_hi_u32 s17, s16, s17
	s_mul_i32 s17, s17, s9
	s_sub_i32 s17, s16, s17
	s_sub_i32 s18, s17, s9
	s_cmp_ge_u32 s17, s9
	s_cselect_b32 s17, s18, s17
	s_sub_i32 s18, s17, s9
	s_cmp_ge_u32 s17, s9
	s_cselect_b32 s17, s18, s17
	s_sub_i32 s35, s16, s17
	v_cmp_gt_u32_e32 vcc, s35, v0
	s_mov_b64 s[16:17], 0
                                        ; implicit-def: $vgpr33
	s_and_saveexec_b64 s[22:23], vcc
	s_cbranch_execz .LBB59_255
; %bb.246:                              ;   in Loop: Header=BB59_6 Depth=1
	v_mov_b32_e32 v2, v19
	v_mov_b32_e32 v3, v0
                                        ; implicit-def: $sgpr30_sgpr31
	s_branch .LBB59_248
.LBB59_247:                             ;   in Loop: Header=BB59_248 Depth=2
	s_or_b64 exec, exec, s[18:19]
	s_waitcnt lgkmcnt(0)
	s_barrier
	ds_read_b32 v4, v11 offset:3072
	v_add_u32_e32 v3, s9, v3
	v_cmp_le_u32_e64 s[18:19], s35, v3
	v_add_u32_e32 v2, s13, v2
	s_waitcnt lgkmcnt(0)
	v_cmp_ne_u16_e32 vcc, 0, v4
	s_or_b64 s[18:19], s[18:19], vcc
	s_and_b64 s[18:19], exec, s[18:19]
	s_or_b64 s[16:17], s[18:19], s[16:17]
	s_andn2_b64 s[18:19], s[30:31], exec
	s_and_b64 s[30:31], vcc, exec
	s_or_b64 s[30:31], s[18:19], s[30:31]
	s_barrier
	s_andn2_b64 exec, exec, s[16:17]
	s_cbranch_execz .LBB59_254
.LBB59_248:                             ;   Parent Loop BB59_6 Depth=1
                                        ; =>  This Inner Loop Header: Depth=2
	v_cmp_gt_u32_e32 vcc, s34, v3
	v_mov_b32_e32 v4, 0
	s_and_saveexec_b64 s[18:19], vcc
	s_cbranch_execz .LBB59_250
; %bb.249:                              ;   in Loop: Header=BB59_248 Depth=2
	ds_read_u16 v4, v2
.LBB59_250:                             ;   in Loop: Header=BB59_248 Depth=2
	s_or_b64 exec, exec, s[18:19]
	s_and_saveexec_b64 s[18:19], vcc
	s_cbranch_execz .LBB59_247
; %bb.251:                              ;   in Loop: Header=BB59_248 Depth=2
	s_waitcnt lgkmcnt(0)
	v_add_u32_sdwa v5, sext(v4), s6 dst_sel:DWORD dst_unused:UNUSED_PAD src0_sel:WORD_0 src1_sel:DWORD
	v_and_b32_e32 v5, v5, v31
	v_cmp_eq_u32_e32 vcc, v5, v32
	s_and_b64 exec, exec, vcc
	s_cbranch_execz .LBB59_247
; %bb.252:                              ;   in Loop: Header=BB59_248 Depth=2
	v_perm_b32 v4, v4, 1, v30
	ds_write_b32 v11, v4 offset:3072
	s_branch .LBB59_247
.LBB59_253:                             ;   in Loop: Header=BB59_6 Depth=1
	s_mov_b64 s[30:31], -1
	s_mov_b64 s[16:17], 0
                                        ; implicit-def: $sgpr34_sgpr35
                                        ; implicit-def: $vgpr33
	s_mov_b64 s[22:23], s[30:31]
	s_cbranch_execnz .LBB59_256
	s_branch .LBB59_266
.LBB59_254:                             ;   in Loop: Header=BB59_6 Depth=1
	s_or_b64 exec, exec, s[16:17]
	v_lshrrev_b32_e32 v33, 16, v4
	s_and_b64 s[16:17], s[30:31], exec
.LBB59_255:                             ;   in Loop: Header=BB59_6 Depth=1
	s_or_b64 exec, exec, s[22:23]
	s_mov_b64 s[30:31], 0
	s_mov_b64 s[34:35], -1
	s_mov_b64 s[22:23], s[30:31]
	s_branch .LBB59_266
.LBB59_256:                             ;   in Loop: Header=BB59_6 Depth=1
	s_mov_b64 s[16:17], 0
                                        ; implicit-def: $vgpr33
	s_mov_b64 s[22:23], exec
	v_readlane_b32 s18, v52, 52
	v_readlane_b32 s19, v52, 53
	s_and_b64 s[18:19], s[22:23], s[18:19]
	s_mov_b64 exec, s[18:19]
	s_cbranch_execz .LBB59_265
; %bb.257:                              ;   in Loop: Header=BB59_6 Depth=1
	v_mov_b32_e32 v10, v12
	v_mov_b32_e32 v2, v0
                                        ; implicit-def: $sgpr30_sgpr31
	s_branch .LBB59_259
.LBB59_258:                             ;   in Loop: Header=BB59_259 Depth=2
	s_or_b64 exec, exec, s[18:19]
	s_waitcnt lgkmcnt(0)
	s_barrier
	s_waitcnt vmcnt(0)
	ds_read_b32 v3, v11 offset:3072
	v_add_u32_e32 v2, s9, v2
	v_cmp_le_u32_e64 s[18:19], s78, v2
	v_add_u32_e32 v10, s76, v10
	s_waitcnt lgkmcnt(0)
	v_cmp_ne_u16_e32 vcc, 0, v3
	s_or_b64 s[18:19], s[18:19], vcc
	s_and_b64 s[18:19], exec, s[18:19]
	s_or_b64 s[16:17], s[18:19], s[16:17]
	s_andn2_b64 s[18:19], s[30:31], exec
	s_and_b64 s[30:31], vcc, exec
	s_or_b64 s[30:31], s[18:19], s[30:31]
	s_barrier
	s_andn2_b64 exec, exec, s[16:17]
	s_cbranch_execz .LBB59_264
.LBB59_259:                             ;   Parent Loop BB59_6 Depth=1
                                        ; =>  This Inner Loop Header: Depth=2
	v_cmp_gt_u32_e32 vcc, s60, v2
	v_mov_b32_e32 v3, 0
	s_and_saveexec_b64 s[34:35], vcc
	s_cbranch_execz .LBB59_261
; %bb.260:                              ;   in Loop: Header=BB59_259 Depth=2
	v_lshlrev_b64 v[4:5], 1, v[10:11]
	v_mov_b32_e32 v3, s8
	v_add_co_u32_e64 v4, s[18:19], s33, v4
	v_addc_co_u32_e64 v5, s[18:19], v3, v5, s[18:19]
	global_load_ushort v3, v[4:5], off
.LBB59_261:                             ;   in Loop: Header=BB59_259 Depth=2
	s_or_b64 exec, exec, s[34:35]
	s_and_saveexec_b64 s[18:19], vcc
	s_cbranch_execz .LBB59_258
; %bb.262:                              ;   in Loop: Header=BB59_259 Depth=2
	s_waitcnt vmcnt(0)
	v_add_u32_sdwa v4, sext(v3), s6 dst_sel:DWORD dst_unused:UNUSED_PAD src0_sel:WORD_0 src1_sel:DWORD
	v_and_b32_e32 v4, v4, v31
	v_cmp_eq_u32_e32 vcc, v4, v32
	s_and_b64 exec, exec, vcc
	s_cbranch_execz .LBB59_258
; %bb.263:                              ;   in Loop: Header=BB59_259 Depth=2
	v_perm_b32 v3, v3, 1, v30
	ds_write_b32 v11, v3 offset:3072
	s_branch .LBB59_258
.LBB59_264:                             ;   in Loop: Header=BB59_6 Depth=1
	s_or_b64 exec, exec, s[16:17]
	v_lshrrev_b32_e32 v33, 16, v3
	s_and_b64 s[16:17], s[30:31], exec
.LBB59_265:                             ;   in Loop: Header=BB59_6 Depth=1
	s_or_b64 exec, exec, s[22:23]
	s_mov_b64 s[34:35], 0
	s_mov_b64 s[30:31], -1
	s_mov_b64 s[22:23], 0
.LBB59_266:                             ;   in Loop: Header=BB59_6 Depth=1
	s_orn2_b64 s[16:17], s[16:17], exec
.LBB59_267:                             ;   in Loop: Header=BB59_6 Depth=1
	s_or_b64 exec, exec, s[26:27]
                                        ; implicit-def: $vgpr5
                                        ; implicit-def: $vgpr4
                                        ; implicit-def: $vgpr2
                                        ; implicit-def: $vgpr3
                                        ; implicit-def: $vgpr35
	s_and_saveexec_b64 s[26:27], s[16:17]
	s_cbranch_execz .LBB59_402
; %bb.268:                              ;   in Loop: Header=BB59_6 Depth=1
	s_xor_b64 s[28:29], s[28:29], -1
	s_mov_b64 s[18:19], 0
	v_mov_b32_e32 v4, 1
	v_mov_b32_e32 v5, 1
	s_and_saveexec_b64 s[16:17], s[28:29]
	s_cbranch_execz .LBB59_278
; %bb.269:                              ;   in Loop: Header=BB59_6 Depth=1
	v_cmp_ge_u32_e32 vcc, s74, v34
                                        ; implicit-def: $sgpr36
                                        ; implicit-def: $sgpr18_sgpr19
	s_and_saveexec_b64 s[28:29], vcc
	s_xor_b64 s[28:29], exec, s[28:29]
	s_cbranch_execz .LBB59_275
; %bb.270:                              ;   in Loop: Header=BB59_6 Depth=1
	ds_read_b32 v2, v11 offset:4096
	s_waitcnt lgkmcnt(0)
	v_cmp_ne_u32_e32 vcc, 0, v2
	s_cbranch_vccnz .LBB59_274
; %bb.271:                              ;   in Loop: Header=BB59_6 Depth=1
	s_mov_b64 s[18:19], exec
	v_readlane_b32 s36, v52, 14
	v_readlane_b32 s37, v52, 15
	s_and_b64 s[36:37], s[18:19], s[36:37]
	s_mov_b64 exec, s[36:37]
	s_cbranch_execz .LBB59_273
; %bb.272:                              ;   in Loop: Header=BB59_6 Depth=1
	v_mov_b32_e32 v2, s74
	ds_write_b32 v11, v2 offset:4100
.LBB59_273:                             ;   in Loop: Header=BB59_6 Depth=1
	s_or_b64 exec, exec, s[18:19]
	s_waitcnt lgkmcnt(0)
	s_barrier
.LBB59_274:                             ;   in Loop: Header=BB59_6 Depth=1
	v_or_b32_e32 v32, s4, v32
	v_or_b32_e32 v31, s4, v31
	s_mov_b64 s[18:19], 0
	s_mov_b32 s36, 5
.LBB59_275:                             ;   in Loop: Header=BB59_6 Depth=1
	s_or_saveexec_b64 s[28:29], s[28:29]
	v_mov_b32_e32 v5, s36
	s_xor_b64 exec, exec, s[28:29]
; %bb.276:                              ;   in Loop: Header=BB59_6 Depth=1
	v_subrev_u32_e32 v34, s74, v34
	v_mov_b32_e32 v5, 0
	s_or_b64 s[18:19], s[18:19], exec
; %bb.277:                              ;   in Loop: Header=BB59_6 Depth=1
	s_or_b64 exec, exec, s[28:29]
	s_and_b64 s[18:19], s[18:19], exec
	v_mov_b32_e32 v4, v34
.LBB59_278:                             ;   in Loop: Header=BB59_6 Depth=1
	s_or_b64 exec, exec, s[16:17]
	s_mov_b64 s[38:39], -1
                                        ; implicit-def: $sgpr16_sgpr17
                                        ; implicit-def: $sgpr36_sgpr37
                                        ; implicit-def: $sgpr42_sgpr43
	s_and_saveexec_b64 s[28:29], s[18:19]
	s_xor_b64 s[28:29], exec, s[28:29]
	s_cbranch_execz .LBB59_399
; %bb.279:                              ;   in Loop: Header=BB59_6 Depth=1
	s_cmp_eq_u32 s63, 1
	s_cselect_b64 s[16:17], -1, 0
	v_cmp_eq_u32_e32 vcc, 1, v4
	s_and_b64 s[44:45], s[16:17], vcc
	s_mov_b64 s[16:17], -1
                                        ; implicit-def: $sgpr36_sgpr37
                                        ; implicit-def: $sgpr38_sgpr39
                                        ; implicit-def: $sgpr40_sgpr41
	s_and_saveexec_b64 s[42:43], s[44:45]
	s_cbranch_execz .LBB59_305
; %bb.280:                              ;   in Loop: Header=BB59_6 Depth=1
	ds_read_b32 v2, v11 offset:4096
	s_waitcnt lgkmcnt(0)
	s_barrier
	v_readfirstlane_b32 s40, v2
	s_mov_b64 s[16:17], exec
	v_readlane_b32 s18, v52, 36
	v_readlane_b32 s19, v52, 37
	s_and_b64 s[18:19], s[16:17], s[18:19]
	s_mov_b64 exec, s[18:19]
	s_cbranch_execz .LBB59_282
; %bb.281:                              ;   in Loop: Header=BB59_6 Depth=1
	ds_write_b16 v20, v11
.LBB59_282:                             ;   in Loop: Header=BB59_6 Depth=1
	s_or_b64 exec, exec, s[16:17]
	v_and_b32_e32 v2, s10, v32
	v_lshl_or_b32 v32, 2, s62, v2
	v_or_b32_e32 v31, s4, v31
	s_cmp_eq_u32 s40, 0
	s_waitcnt lgkmcnt(0)
	s_barrier
	s_cbranch_scc1 .LBB59_291
; %bb.283:                              ;   in Loop: Header=BB59_6 Depth=1
	v_readlane_b32 s16, v52, 29
	s_add_i32 s16, s40, s16
	v_readlane_b32 s17, v52, 51
	s_mul_hi_u32 s17, s16, s17
	s_mul_i32 s17, s17, s9
	s_sub_i32 s17, s16, s17
	s_sub_i32 s18, s17, s9
	s_cmp_ge_u32 s17, s9
	s_cselect_b32 s17, s18, s17
	s_sub_i32 s18, s17, s9
	s_cmp_ge_u32 s17, s9
	s_cselect_b32 s17, s18, s17
	s_sub_i32 s41, s16, s17
	v_cmp_gt_u32_e32 vcc, s41, v0
	s_mov_b64 s[16:17], 0
                                        ; implicit-def: $vgpr33
	s_and_saveexec_b64 s[36:37], vcc
	s_cbranch_execz .LBB59_293
; %bb.284:                              ;   in Loop: Header=BB59_6 Depth=1
	v_mov_b32_e32 v2, v19
	v_mov_b32_e32 v3, v0
                                        ; implicit-def: $sgpr38_sgpr39
	s_branch .LBB59_286
.LBB59_285:                             ;   in Loop: Header=BB59_286 Depth=2
	s_or_b64 exec, exec, s[18:19]
	s_waitcnt lgkmcnt(0)
	s_barrier
	ds_read_b32 v5, v11 offset:3072
	v_add_u32_e32 v3, s9, v3
	v_cmp_le_u32_e64 s[18:19], s41, v3
	v_add_u32_e32 v2, s13, v2
	s_waitcnt lgkmcnt(0)
	v_cmp_ne_u16_e32 vcc, 0, v5
	s_or_b64 s[18:19], s[18:19], vcc
	s_and_b64 s[18:19], exec, s[18:19]
	s_or_b64 s[16:17], s[18:19], s[16:17]
	s_andn2_b64 s[18:19], s[38:39], exec
	s_and_b64 s[38:39], vcc, exec
	s_or_b64 s[38:39], s[18:19], s[38:39]
	s_barrier
	s_andn2_b64 exec, exec, s[16:17]
	s_cbranch_execz .LBB59_292
.LBB59_286:                             ;   Parent Loop BB59_6 Depth=1
                                        ; =>  This Inner Loop Header: Depth=2
	v_cmp_gt_u32_e32 vcc, s40, v3
	v_mov_b32_e32 v5, 0
	s_and_saveexec_b64 s[18:19], vcc
	s_cbranch_execz .LBB59_288
; %bb.287:                              ;   in Loop: Header=BB59_286 Depth=2
	ds_read_u16 v5, v2
.LBB59_288:                             ;   in Loop: Header=BB59_286 Depth=2
	s_or_b64 exec, exec, s[18:19]
	s_and_saveexec_b64 s[18:19], vcc
	s_cbranch_execz .LBB59_285
; %bb.289:                              ;   in Loop: Header=BB59_286 Depth=2
	s_waitcnt lgkmcnt(0)
	v_add_u32_sdwa v10, sext(v5), s6 dst_sel:DWORD dst_unused:UNUSED_PAD src0_sel:WORD_0 src1_sel:DWORD
	v_and_b32_e32 v10, v10, v31
	v_cmp_eq_u32_e32 vcc, v10, v32
	s_and_b64 exec, exec, vcc
	s_cbranch_execz .LBB59_285
; %bb.290:                              ;   in Loop: Header=BB59_286 Depth=2
	v_perm_b32 v5, v5, 1, v30
	ds_write_b32 v11, v5 offset:3072
	s_branch .LBB59_285
.LBB59_291:                             ;   in Loop: Header=BB59_6 Depth=1
	s_mov_b64 s[36:37], -1
	s_mov_b64 s[16:17], 0
                                        ; implicit-def: $sgpr38_sgpr39
                                        ; implicit-def: $vgpr33
	s_mov_b64 s[40:41], s[36:37]
	s_cbranch_execnz .LBB59_294
	s_branch .LBB59_304
.LBB59_292:                             ;   in Loop: Header=BB59_6 Depth=1
	s_or_b64 exec, exec, s[16:17]
	v_lshrrev_b32_e32 v33, 16, v5
	s_and_b64 s[16:17], s[38:39], exec
.LBB59_293:                             ;   in Loop: Header=BB59_6 Depth=1
	s_or_b64 exec, exec, s[36:37]
	s_mov_b64 s[36:37], 0
	s_mov_b64 s[38:39], -1
	s_mov_b64 s[40:41], s[36:37]
	s_branch .LBB59_304
.LBB59_294:                             ;   in Loop: Header=BB59_6 Depth=1
	s_mov_b64 s[16:17], 0
                                        ; implicit-def: $vgpr33
	s_mov_b64 s[36:37], exec
	v_readlane_b32 s18, v52, 52
	v_readlane_b32 s19, v52, 53
	s_and_b64 s[18:19], s[36:37], s[18:19]
	s_mov_b64 exec, s[18:19]
	s_cbranch_execz .LBB59_303
; %bb.295:                              ;   in Loop: Header=BB59_6 Depth=1
	v_mov_b32_e32 v10, v12
	v_mov_b32_e32 v2, v0
                                        ; implicit-def: $sgpr38_sgpr39
	s_branch .LBB59_297
.LBB59_296:                             ;   in Loop: Header=BB59_297 Depth=2
	s_or_b64 exec, exec, s[18:19]
	s_waitcnt lgkmcnt(0)
	s_barrier
	s_waitcnt vmcnt(0)
	ds_read_b32 v3, v11 offset:3072
	v_add_u32_e32 v2, s9, v2
	v_cmp_le_u32_e64 s[18:19], s78, v2
	v_add_u32_e32 v10, s76, v10
	s_waitcnt lgkmcnt(0)
	v_cmp_ne_u16_e32 vcc, 0, v3
	s_or_b64 s[18:19], s[18:19], vcc
	s_and_b64 s[18:19], exec, s[18:19]
	s_or_b64 s[16:17], s[18:19], s[16:17]
	s_andn2_b64 s[18:19], s[38:39], exec
	s_and_b64 s[38:39], vcc, exec
	s_or_b64 s[38:39], s[18:19], s[38:39]
	s_barrier
	s_andn2_b64 exec, exec, s[16:17]
	s_cbranch_execz .LBB59_302
.LBB59_297:                             ;   Parent Loop BB59_6 Depth=1
                                        ; =>  This Inner Loop Header: Depth=2
	v_cmp_gt_u32_e32 vcc, s60, v2
	v_mov_b32_e32 v3, 0
	s_and_saveexec_b64 s[40:41], vcc
	s_cbranch_execz .LBB59_299
; %bb.298:                              ;   in Loop: Header=BB59_297 Depth=2
	v_lshlrev_b64 v[34:35], 1, v[10:11]
	v_mov_b32_e32 v3, s8
	v_add_co_u32_e64 v34, s[18:19], s33, v34
	v_addc_co_u32_e64 v35, s[18:19], v3, v35, s[18:19]
	global_load_ushort v3, v[34:35], off
.LBB59_299:                             ;   in Loop: Header=BB59_297 Depth=2
	s_or_b64 exec, exec, s[40:41]
	s_and_saveexec_b64 s[18:19], vcc
	s_cbranch_execz .LBB59_296
; %bb.300:                              ;   in Loop: Header=BB59_297 Depth=2
	s_waitcnt vmcnt(0)
	v_add_u32_sdwa v5, sext(v3), s6 dst_sel:DWORD dst_unused:UNUSED_PAD src0_sel:WORD_0 src1_sel:DWORD
	v_and_b32_e32 v5, v5, v31
	v_cmp_eq_u32_e32 vcc, v5, v32
	s_and_b64 exec, exec, vcc
	s_cbranch_execz .LBB59_296
; %bb.301:                              ;   in Loop: Header=BB59_297 Depth=2
	v_perm_b32 v3, v3, 1, v30
	ds_write_b32 v11, v3 offset:3072
	s_branch .LBB59_296
.LBB59_302:                             ;   in Loop: Header=BB59_6 Depth=1
	s_or_b64 exec, exec, s[16:17]
	v_lshrrev_b32_e32 v33, 16, v3
	s_and_b64 s[16:17], s[38:39], exec
.LBB59_303:                             ;   in Loop: Header=BB59_6 Depth=1
	s_or_b64 exec, exec, s[36:37]
	s_mov_b64 s[38:39], 0
	s_mov_b64 s[36:37], -1
	s_mov_b64 s[40:41], 0
.LBB59_304:                             ;   in Loop: Header=BB59_6 Depth=1
	s_orn2_b64 s[16:17], s[16:17], exec
.LBB59_305:                             ;   in Loop: Header=BB59_6 Depth=1
	s_or_b64 exec, exec, s[42:43]
	s_mov_b64 s[18:19], 0
                                        ; implicit-def: $vgpr5
	s_and_saveexec_b64 s[42:43], s[16:17]
	s_cbranch_execz .LBB59_398
; %bb.306:                              ;   in Loop: Header=BB59_6 Depth=1
	s_xor_b64 s[18:19], s[44:45], -1
	s_mov_b64 s[48:49], 0
	v_mov_b32_e32 v2, 1
	v_mov_b32_e32 v5, 1
	s_and_saveexec_b64 s[16:17], s[18:19]
	s_cbranch_execz .LBB59_316
; %bb.307:                              ;   in Loop: Header=BB59_6 Depth=1
	v_cmp_ge_u32_e32 vcc, s63, v4
                                        ; implicit-def: $sgpr46
                                        ; implicit-def: $sgpr18_sgpr19
	s_and_saveexec_b64 s[44:45], vcc
	s_xor_b64 s[44:45], exec, s[44:45]
	s_cbranch_execz .LBB59_313
; %bb.308:                              ;   in Loop: Header=BB59_6 Depth=1
	ds_read_b32 v2, v11 offset:4096
	s_waitcnt lgkmcnt(0)
	v_cmp_ne_u32_e32 vcc, 0, v2
	s_cbranch_vccnz .LBB59_312
; %bb.309:                              ;   in Loop: Header=BB59_6 Depth=1
	s_mov_b64 s[18:19], exec
	v_readlane_b32 s46, v52, 14
	v_readlane_b32 s47, v52, 15
	s_and_b64 s[46:47], s[18:19], s[46:47]
	s_mov_b64 exec, s[46:47]
	s_cbranch_execz .LBB59_311
; %bb.310:                              ;   in Loop: Header=BB59_6 Depth=1
	v_mov_b32_e32 v2, s63
	ds_write_b32 v11, v2 offset:4100
.LBB59_311:                             ;   in Loop: Header=BB59_6 Depth=1
	s_or_b64 exec, exec, s[18:19]
	s_waitcnt lgkmcnt(0)
	s_barrier
.LBB59_312:                             ;   in Loop: Header=BB59_6 Depth=1
	v_and_b32_e32 v2, s10, v32
	v_lshl_or_b32 v32, 2, s62, v2
	v_or_b32_e32 v31, s4, v31
	s_mov_b64 s[18:19], 0
	s_mov_b32 s46, 5
.LBB59_313:                             ;   in Loop: Header=BB59_6 Depth=1
	s_or_saveexec_b64 s[44:45], s[44:45]
	v_mov_b32_e32 v5, s46
	s_xor_b64 exec, exec, s[44:45]
; %bb.314:                              ;   in Loop: Header=BB59_6 Depth=1
	v_subrev_u32_e32 v4, s63, v4
	v_mov_b32_e32 v5, 0
	s_or_b64 s[18:19], s[18:19], exec
; %bb.315:                              ;   in Loop: Header=BB59_6 Depth=1
	s_or_b64 exec, exec, s[44:45]
	s_and_b64 s[48:49], s[18:19], exec
	v_mov_b32_e32 v2, v4
.LBB59_316:                             ;   in Loop: Header=BB59_6 Depth=1
	s_or_b64 exec, exec, s[16:17]
	s_mov_b64 s[16:17], -1
                                        ; implicit-def: $sgpr18_sgpr19
                                        ; implicit-def: $sgpr46_sgpr47
                                        ; implicit-def: $sgpr52_sgpr53
	s_and_saveexec_b64 s[44:45], s[48:49]
	s_cbranch_execz .LBB59_397
; %bb.317:                              ;   in Loop: Header=BB59_6 Depth=1
	s_cmp_eq_u32 s11, 1
	s_cselect_b64 s[16:17], -1, 0
	v_cmp_eq_u32_e32 vcc, 1, v2
	s_and_b64 s[54:55], s[16:17], vcc
	s_mov_b64 s[18:19], -1
                                        ; implicit-def: $sgpr46_sgpr47
                                        ; implicit-def: $sgpr48_sgpr49
                                        ; implicit-def: $sgpr50_sgpr51
	s_and_saveexec_b64 s[52:53], s[54:55]
	s_cbranch_execz .LBB59_343
; %bb.318:                              ;   in Loop: Header=BB59_6 Depth=1
	ds_read_b32 v3, v11 offset:4096
	s_waitcnt lgkmcnt(0)
	s_barrier
	v_readfirstlane_b32 s50, v3
	s_mov_b64 s[16:17], exec
	v_readlane_b32 s18, v52, 36
	v_readlane_b32 s19, v52, 37
	s_and_b64 s[18:19], s[16:17], s[18:19]
	s_mov_b64 exec, s[18:19]
	s_cbranch_execz .LBB59_320
; %bb.319:                              ;   in Loop: Header=BB59_6 Depth=1
	ds_write_b16 v20, v11
.LBB59_320:                             ;   in Loop: Header=BB59_6 Depth=1
	s_or_b64 exec, exec, s[16:17]
	v_and_b32_e32 v3, s10, v32
	v_lshl_or_b32 v32, 1, s62, v3
	v_or_b32_e32 v31, s4, v31
	s_cmp_eq_u32 s50, 0
	s_waitcnt lgkmcnt(0)
	s_barrier
	s_cbranch_scc1 .LBB59_329
; %bb.321:                              ;   in Loop: Header=BB59_6 Depth=1
	v_readlane_b32 s16, v52, 29
	s_add_i32 s16, s50, s16
	v_readlane_b32 s17, v52, 51
	s_mul_hi_u32 s17, s16, s17
	s_mul_i32 s17, s17, s9
	s_sub_i32 s17, s16, s17
	s_sub_i32 s18, s17, s9
	s_cmp_ge_u32 s17, s9
	s_cselect_b32 s17, s18, s17
	s_sub_i32 s18, s17, s9
	s_cmp_ge_u32 s17, s9
	s_cselect_b32 s17, s18, s17
	s_sub_i32 s51, s16, s17
	v_cmp_gt_u32_e32 vcc, s51, v0
	s_mov_b64 s[16:17], 0
                                        ; implicit-def: $vgpr33
	s_and_saveexec_b64 s[46:47], vcc
	s_cbranch_execz .LBB59_331
; %bb.322:                              ;   in Loop: Header=BB59_6 Depth=1
	v_mov_b32_e32 v3, v19
	v_mov_b32_e32 v4, v0
                                        ; implicit-def: $sgpr48_sgpr49
	s_branch .LBB59_324
.LBB59_323:                             ;   in Loop: Header=BB59_324 Depth=2
	s_or_b64 exec, exec, s[18:19]
	s_waitcnt lgkmcnt(0)
	s_barrier
	ds_read_b32 v5, v11 offset:3072
	v_add_u32_e32 v4, s9, v4
	v_cmp_le_u32_e64 s[18:19], s51, v4
	v_add_u32_e32 v3, s13, v3
	s_waitcnt lgkmcnt(0)
	v_cmp_ne_u16_e32 vcc, 0, v5
	s_or_b64 s[18:19], s[18:19], vcc
	s_and_b64 s[18:19], exec, s[18:19]
	s_or_b64 s[16:17], s[18:19], s[16:17]
	s_andn2_b64 s[18:19], s[48:49], exec
	s_and_b64 s[48:49], vcc, exec
	s_or_b64 s[48:49], s[18:19], s[48:49]
	s_barrier
	s_andn2_b64 exec, exec, s[16:17]
	s_cbranch_execz .LBB59_330
.LBB59_324:                             ;   Parent Loop BB59_6 Depth=1
                                        ; =>  This Inner Loop Header: Depth=2
	v_cmp_gt_u32_e32 vcc, s50, v4
	v_mov_b32_e32 v5, 0
	s_and_saveexec_b64 s[18:19], vcc
	s_cbranch_execz .LBB59_326
; %bb.325:                              ;   in Loop: Header=BB59_324 Depth=2
	ds_read_u16 v5, v3
.LBB59_326:                             ;   in Loop: Header=BB59_324 Depth=2
	s_or_b64 exec, exec, s[18:19]
	s_and_saveexec_b64 s[18:19], vcc
	s_cbranch_execz .LBB59_323
; %bb.327:                              ;   in Loop: Header=BB59_324 Depth=2
	s_waitcnt lgkmcnt(0)
	v_add_u32_sdwa v10, sext(v5), s6 dst_sel:DWORD dst_unused:UNUSED_PAD src0_sel:WORD_0 src1_sel:DWORD
	v_and_b32_e32 v10, v10, v31
	v_cmp_eq_u32_e32 vcc, v10, v32
	s_and_b64 exec, exec, vcc
	s_cbranch_execz .LBB59_323
; %bb.328:                              ;   in Loop: Header=BB59_324 Depth=2
	v_perm_b32 v5, v5, 1, v30
	ds_write_b32 v11, v5 offset:3072
	s_branch .LBB59_323
.LBB59_329:                             ;   in Loop: Header=BB59_6 Depth=1
	s_mov_b64 s[46:47], -1
	s_mov_b64 s[16:17], 0
                                        ; implicit-def: $sgpr48_sgpr49
                                        ; implicit-def: $vgpr33
	s_mov_b64 s[50:51], s[46:47]
	s_cbranch_execnz .LBB59_332
	s_branch .LBB59_342
.LBB59_330:                             ;   in Loop: Header=BB59_6 Depth=1
	s_or_b64 exec, exec, s[16:17]
	v_lshrrev_b32_e32 v33, 16, v5
	s_and_b64 s[16:17], s[48:49], exec
.LBB59_331:                             ;   in Loop: Header=BB59_6 Depth=1
	s_or_b64 exec, exec, s[46:47]
	s_mov_b64 s[46:47], 0
	s_mov_b64 s[48:49], -1
	s_mov_b64 s[50:51], s[46:47]
	s_branch .LBB59_342
.LBB59_332:                             ;   in Loop: Header=BB59_6 Depth=1
	s_mov_b64 s[16:17], 0
                                        ; implicit-def: $vgpr33
	s_mov_b64 s[46:47], exec
	v_readlane_b32 s18, v52, 52
	v_readlane_b32 s19, v52, 53
	s_and_b64 s[18:19], s[46:47], s[18:19]
	s_mov_b64 exec, s[18:19]
	s_cbranch_execz .LBB59_341
; %bb.333:                              ;   in Loop: Header=BB59_6 Depth=1
	v_mov_b32_e32 v10, v12
	v_mov_b32_e32 v3, v0
                                        ; implicit-def: $sgpr48_sgpr49
	s_branch .LBB59_335
.LBB59_334:                             ;   in Loop: Header=BB59_335 Depth=2
	s_or_b64 exec, exec, s[18:19]
	s_waitcnt lgkmcnt(0)
	s_barrier
	s_waitcnt vmcnt(0)
	ds_read_b32 v4, v11 offset:3072
	v_add_u32_e32 v3, s9, v3
	v_cmp_le_u32_e64 s[18:19], s78, v3
	v_add_u32_e32 v10, s76, v10
	s_waitcnt lgkmcnt(0)
	v_cmp_ne_u16_e32 vcc, 0, v4
	s_or_b64 s[18:19], s[18:19], vcc
	s_and_b64 s[18:19], exec, s[18:19]
	s_or_b64 s[16:17], s[18:19], s[16:17]
	s_andn2_b64 s[18:19], s[48:49], exec
	s_and_b64 s[48:49], vcc, exec
	s_or_b64 s[48:49], s[18:19], s[48:49]
	s_barrier
	s_andn2_b64 exec, exec, s[16:17]
	s_cbranch_execz .LBB59_340
.LBB59_335:                             ;   Parent Loop BB59_6 Depth=1
                                        ; =>  This Inner Loop Header: Depth=2
	v_cmp_gt_u32_e32 vcc, s60, v3
	v_mov_b32_e32 v4, 0
	s_and_saveexec_b64 s[50:51], vcc
	s_cbranch_execz .LBB59_337
; %bb.336:                              ;   in Loop: Header=BB59_335 Depth=2
	v_lshlrev_b64 v[4:5], 1, v[10:11]
	v_mov_b32_e32 v33, s8
	v_add_co_u32_e64 v4, s[18:19], s33, v4
	v_addc_co_u32_e64 v5, s[18:19], v33, v5, s[18:19]
	global_load_ushort v4, v[4:5], off
.LBB59_337:                             ;   in Loop: Header=BB59_335 Depth=2
	s_or_b64 exec, exec, s[50:51]
	s_and_saveexec_b64 s[18:19], vcc
	s_cbranch_execz .LBB59_334
; %bb.338:                              ;   in Loop: Header=BB59_335 Depth=2
	s_waitcnt vmcnt(0)
	v_add_u32_sdwa v5, sext(v4), s6 dst_sel:DWORD dst_unused:UNUSED_PAD src0_sel:WORD_0 src1_sel:DWORD
	v_and_b32_e32 v5, v5, v31
	v_cmp_eq_u32_e32 vcc, v5, v32
	s_and_b64 exec, exec, vcc
	s_cbranch_execz .LBB59_334
; %bb.339:                              ;   in Loop: Header=BB59_335 Depth=2
	v_perm_b32 v4, v4, 1, v30
	ds_write_b32 v11, v4 offset:3072
	s_branch .LBB59_334
.LBB59_340:                             ;   in Loop: Header=BB59_6 Depth=1
	s_or_b64 exec, exec, s[16:17]
	v_lshrrev_b32_e32 v33, 16, v4
	s_and_b64 s[16:17], s[48:49], exec
.LBB59_341:                             ;   in Loop: Header=BB59_6 Depth=1
	s_or_b64 exec, exec, s[46:47]
	s_mov_b64 s[48:49], 0
	s_mov_b64 s[46:47], -1
	s_mov_b64 s[50:51], 0
.LBB59_342:                             ;   in Loop: Header=BB59_6 Depth=1
	s_orn2_b64 s[18:19], s[16:17], exec
.LBB59_343:                             ;   in Loop: Header=BB59_6 Depth=1
	s_or_b64 exec, exec, s[52:53]
	s_mov_b64 s[16:17], 0
                                        ; implicit-def: $vgpr5
	s_and_saveexec_b64 s[52:53], s[18:19]
	s_cbranch_execz .LBB59_396
; %bb.344:                              ;   in Loop: Header=BB59_6 Depth=1
	s_xor_b64 s[18:19], s[54:55], -1
	s_mov_b64 s[58:59], 0
	v_mov_b32_e32 v3, 1
	v_mov_b32_e32 v5, 1
	s_and_saveexec_b64 s[16:17], s[18:19]
	s_cbranch_execz .LBB59_354
; %bb.345:                              ;   in Loop: Header=BB59_6 Depth=1
	v_cmp_ge_u32_e32 vcc, s11, v2
                                        ; implicit-def: $sgpr56
                                        ; implicit-def: $sgpr18_sgpr19
	s_and_saveexec_b64 s[54:55], vcc
	s_xor_b64 s[54:55], exec, s[54:55]
	s_cbranch_execz .LBB59_351
; %bb.346:                              ;   in Loop: Header=BB59_6 Depth=1
	ds_read_b32 v3, v11 offset:4096
	s_waitcnt lgkmcnt(0)
	v_cmp_ne_u32_e32 vcc, 0, v3
	s_cbranch_vccnz .LBB59_350
; %bb.347:                              ;   in Loop: Header=BB59_6 Depth=1
	s_mov_b64 s[18:19], exec
	v_readlane_b32 s56, v52, 14
	v_readlane_b32 s57, v52, 15
	s_and_b64 s[56:57], s[18:19], s[56:57]
	s_mov_b64 exec, s[56:57]
	s_cbranch_execz .LBB59_349
; %bb.348:                              ;   in Loop: Header=BB59_6 Depth=1
	v_mov_b32_e32 v3, s11
	ds_write_b32 v11, v3 offset:4100
.LBB59_349:                             ;   in Loop: Header=BB59_6 Depth=1
	s_or_b64 exec, exec, s[18:19]
	s_waitcnt lgkmcnt(0)
	s_barrier
.LBB59_350:                             ;   in Loop: Header=BB59_6 Depth=1
	v_and_b32_e32 v3, s10, v32
	v_lshl_or_b32 v32, 1, s62, v3
	v_or_b32_e32 v31, s4, v31
	s_mov_b64 s[18:19], 0
	s_mov_b32 s56, 5
.LBB59_351:                             ;   in Loop: Header=BB59_6 Depth=1
	s_or_saveexec_b64 s[54:55], s[54:55]
	v_mov_b32_e32 v5, s56
	s_xor_b64 exec, exec, s[54:55]
; %bb.352:                              ;   in Loop: Header=BB59_6 Depth=1
	v_subrev_u32_e32 v2, s11, v2
	v_mov_b32_e32 v5, 0
	s_or_b64 s[18:19], s[18:19], exec
; %bb.353:                              ;   in Loop: Header=BB59_6 Depth=1
	s_or_b64 exec, exec, s[54:55]
	s_and_b64 s[58:59], s[18:19], exec
	v_mov_b32_e32 v3, v2
.LBB59_354:                             ;   in Loop: Header=BB59_6 Depth=1
	s_or_b64 exec, exec, s[16:17]
	s_mov_b64 s[56:57], -1
                                        ; implicit-def: $sgpr16_sgpr17
                                        ; implicit-def: $sgpr18_sgpr19
                                        ; implicit-def: $sgpr80_sgpr81
	s_and_saveexec_b64 s[54:55], s[58:59]
	s_cbranch_execz .LBB59_395
; %bb.355:                              ;   in Loop: Header=BB59_6 Depth=1
	s_cmp_eq_u32 s5, 1
	s_cselect_b64 s[16:17], -1, 0
	v_cmp_eq_u32_e32 vcc, 1, v3
	s_and_b64 s[56:57], s[16:17], vcc
	s_mov_b64 s[82:83], -1
                                        ; implicit-def: $sgpr16_sgpr17
                                        ; implicit-def: $sgpr18_sgpr19
                                        ; implicit-def: $sgpr80_sgpr81
	s_and_saveexec_b64 s[58:59], s[56:57]
	s_cbranch_execz .LBB59_382
; %bb.356:                              ;   in Loop: Header=BB59_6 Depth=1
	ds_read_b32 v2, v11 offset:4096
	s_waitcnt lgkmcnt(0)
	s_barrier
	v_readfirstlane_b32 s11, v2
	s_mov_b64 s[16:17], exec
	v_readlane_b32 s18, v52, 36
	v_readlane_b32 s19, v52, 37
	s_and_b64 s[18:19], s[16:17], s[18:19]
	s_mov_b64 exec, s[18:19]
	s_cbranch_execz .LBB59_358
; %bb.357:                              ;   in Loop: Header=BB59_6 Depth=1
	ds_write_b16 v20, v11
.LBB59_358:                             ;   in Loop: Header=BB59_6 Depth=1
	s_or_b64 exec, exec, s[16:17]
	v_and_b32_e32 v32, s10, v32
	v_or_b32_e32 v31, s4, v31
	s_cmp_eq_u32 s11, 0
	s_waitcnt lgkmcnt(0)
	s_barrier
	s_cbranch_scc1 .LBB59_367
; %bb.359:                              ;   in Loop: Header=BB59_6 Depth=1
	v_readlane_b32 s16, v52, 29
	s_add_i32 s16, s11, s16
	v_readlane_b32 s17, v52, 51
	s_mul_hi_u32 s17, s16, s17
	s_mul_i32 s17, s17, s9
	s_sub_i32 s17, s16, s17
	s_sub_i32 s18, s17, s9
	s_cmp_ge_u32 s17, s9
	s_cselect_b32 s17, s18, s17
	s_sub_i32 s18, s17, s9
	s_cmp_ge_u32 s17, s9
	s_cselect_b32 s17, s18, s17
	s_sub_i32 s62, s16, s17
	v_cmp_gt_u32_e32 vcc, s62, v0
	s_mov_b64 s[82:83], 0
                                        ; implicit-def: $vgpr33
	s_and_saveexec_b64 s[16:17], vcc
	s_cbranch_execz .LBB59_369
; %bb.360:                              ;   in Loop: Header=BB59_6 Depth=1
	s_mov_b64 s[80:81], 0
	v_mov_b32_e32 v2, v19
	v_mov_b32_e32 v4, v0
                                        ; implicit-def: $sgpr82_sgpr83
	s_branch .LBB59_362
.LBB59_361:                             ;   in Loop: Header=BB59_362 Depth=2
	s_or_b64 exec, exec, s[18:19]
	s_waitcnt lgkmcnt(0)
	s_barrier
	ds_read_b32 v5, v11 offset:3072
	v_add_u32_e32 v4, s9, v4
	v_cmp_le_u32_e64 s[18:19], s62, v4
	v_add_u32_e32 v2, s13, v2
	s_waitcnt lgkmcnt(0)
	v_cmp_ne_u16_e32 vcc, 0, v5
	s_or_b64 s[18:19], s[18:19], vcc
	s_and_b64 s[18:19], exec, s[18:19]
	s_or_b64 s[80:81], s[18:19], s[80:81]
	s_andn2_b64 s[18:19], s[82:83], exec
	s_and_b64 s[74:75], vcc, exec
	s_or_b64 s[82:83], s[18:19], s[74:75]
	s_barrier
	s_andn2_b64 exec, exec, s[80:81]
	s_cbranch_execz .LBB59_368
.LBB59_362:                             ;   Parent Loop BB59_6 Depth=1
                                        ; =>  This Inner Loop Header: Depth=2
	v_cmp_gt_u32_e32 vcc, s11, v4
	v_mov_b32_e32 v5, 0
	s_and_saveexec_b64 s[18:19], vcc
	s_cbranch_execz .LBB59_364
; %bb.363:                              ;   in Loop: Header=BB59_362 Depth=2
	ds_read_u16 v5, v2
.LBB59_364:                             ;   in Loop: Header=BB59_362 Depth=2
	s_or_b64 exec, exec, s[18:19]
	s_and_saveexec_b64 s[18:19], vcc
	s_cbranch_execz .LBB59_361
; %bb.365:                              ;   in Loop: Header=BB59_362 Depth=2
	s_waitcnt lgkmcnt(0)
	v_add_u32_sdwa v10, sext(v5), s6 dst_sel:DWORD dst_unused:UNUSED_PAD src0_sel:WORD_0 src1_sel:DWORD
	v_and_b32_e32 v10, v10, v31
	v_cmp_eq_u32_e32 vcc, v10, v32
	s_and_b64 exec, exec, vcc
	s_cbranch_execz .LBB59_361
; %bb.366:                              ;   in Loop: Header=BB59_362 Depth=2
	v_perm_b32 v5, v5, 1, v30
	ds_write_b32 v11, v5 offset:3072
	s_branch .LBB59_361
.LBB59_367:                             ;   in Loop: Header=BB59_6 Depth=1
	s_mov_b64 s[16:17], -1
	s_mov_b64 s[82:83], 0
                                        ; implicit-def: $sgpr18_sgpr19
                                        ; implicit-def: $vgpr33
	s_branch .LBB59_370
.LBB59_368:                             ;   in Loop: Header=BB59_6 Depth=1
	s_or_b64 exec, exec, s[80:81]
	v_lshrrev_b32_e32 v33, 16, v5
	s_and_b64 s[82:83], s[82:83], exec
.LBB59_369:                             ;   in Loop: Header=BB59_6 Depth=1
	s_or_b64 exec, exec, s[16:17]
	s_mov_b64 s[16:17], 0
	s_mov_b64 s[18:19], -1
.LBB59_370:                             ;   in Loop: Header=BB59_6 Depth=1
	s_and_b64 vcc, exec, s[16:17]
	s_mov_b64 s[80:81], s[16:17]
	s_cbranch_vccz .LBB59_381
; %bb.371:                              ;   in Loop: Header=BB59_6 Depth=1
	s_mov_b64 s[82:83], 0
                                        ; implicit-def: $vgpr33
	s_mov_b64 s[62:63], exec
	v_readlane_b32 s16, v52, 52
	v_readlane_b32 s17, v52, 53
	s_and_b64 s[16:17], s[62:63], s[16:17]
	s_mov_b64 exec, s[16:17]
	s_cbranch_execz .LBB59_380
; %bb.372:                              ;   in Loop: Header=BB59_6 Depth=1
	s_mov_b64 s[80:81], 0
	v_mov_b32_e32 v10, v12
	v_mov_b32_e32 v2, v0
                                        ; implicit-def: $sgpr82_sgpr83
	s_branch .LBB59_374
.LBB59_373:                             ;   in Loop: Header=BB59_374 Depth=2
	s_or_b64 exec, exec, s[16:17]
	s_waitcnt lgkmcnt(0)
	s_barrier
	s_waitcnt vmcnt(0)
	ds_read_b32 v4, v11 offset:3072
	v_add_u32_e32 v2, s9, v2
	v_cmp_le_u32_e64 s[18:19], s78, v2
	v_add_u32_e32 v10, s76, v10
	s_waitcnt lgkmcnt(0)
	v_cmp_ne_u16_e32 vcc, 0, v4
	s_or_b64 s[16:17], s[18:19], vcc
	s_and_b64 s[16:17], exec, s[16:17]
	s_or_b64 s[80:81], s[16:17], s[80:81]
	s_andn2_b64 s[16:17], s[82:83], exec
	s_and_b64 s[18:19], vcc, exec
	s_or_b64 s[82:83], s[16:17], s[18:19]
	s_barrier
	s_andn2_b64 exec, exec, s[80:81]
	s_cbranch_execz .LBB59_379
.LBB59_374:                             ;   Parent Loop BB59_6 Depth=1
                                        ; =>  This Inner Loop Header: Depth=2
	v_cmp_gt_u32_e32 vcc, s60, v2
	v_mov_b32_e32 v4, 0
	s_and_saveexec_b64 s[16:17], vcc
	s_cbranch_execz .LBB59_376
; %bb.375:                              ;   in Loop: Header=BB59_374 Depth=2
	v_lshlrev_b64 v[4:5], 1, v[10:11]
	v_mov_b32_e32 v33, s8
	v_add_co_u32_e64 v4, s[18:19], s33, v4
	v_addc_co_u32_e64 v5, s[18:19], v33, v5, s[18:19]
	global_load_ushort v4, v[4:5], off
.LBB59_376:                             ;   in Loop: Header=BB59_374 Depth=2
	s_or_b64 exec, exec, s[16:17]
	s_and_saveexec_b64 s[16:17], vcc
	s_cbranch_execz .LBB59_373
; %bb.377:                              ;   in Loop: Header=BB59_374 Depth=2
	s_waitcnt vmcnt(0)
	v_add_u32_sdwa v5, sext(v4), s6 dst_sel:DWORD dst_unused:UNUSED_PAD src0_sel:WORD_0 src1_sel:DWORD
	v_and_b32_e32 v5, v5, v31
	v_cmp_eq_u32_e32 vcc, v5, v32
	s_and_b64 exec, exec, vcc
	s_cbranch_execz .LBB59_373
; %bb.378:                              ;   in Loop: Header=BB59_374 Depth=2
	v_perm_b32 v4, v4, 1, v30
	ds_write_b32 v11, v4 offset:3072
	s_branch .LBB59_373
.LBB59_379:                             ;   in Loop: Header=BB59_6 Depth=1
	s_or_b64 exec, exec, s[80:81]
	v_lshrrev_b32_e32 v33, 16, v4
	s_and_b64 s[82:83], s[82:83], exec
.LBB59_380:                             ;   in Loop: Header=BB59_6 Depth=1
	s_or_b64 exec, exec, s[62:63]
	s_mov_b64 s[18:19], 0
	s_mov_b64 s[16:17], -1
	s_mov_b64 s[80:81], 0
.LBB59_381:                             ;   in Loop: Header=BB59_6 Depth=1
	s_orn2_b64 s[82:83], s[82:83], exec
.LBB59_382:                             ;   in Loop: Header=BB59_6 Depth=1
	s_or_b64 exec, exec, s[58:59]
	s_mov_b64 vcc, 0
                                        ; implicit-def: $vgpr5
                                        ; implicit-def: $vgpr2
	s_and_saveexec_b64 s[58:59], s[82:83]
	s_cbranch_execz .LBB59_394
; %bb.383:                              ;   in Loop: Header=BB59_6 Depth=1
	s_xor_b64 s[62:63], s[56:57], -1
	v_mov_b32_e32 v5, 1
	v_mov_b32_e32 v2, 1
	s_and_saveexec_b64 s[56:57], s[62:63]
	s_cbranch_execz .LBB59_393
; %bb.384:                              ;   in Loop: Header=BB59_6 Depth=1
	v_cmp_ge_u32_e32 vcc, s5, v3
                                        ; implicit-def: $sgpr11
	s_and_saveexec_b64 s[62:63], vcc
	s_xor_b64 s[82:83], exec, s[62:63]
	s_cbranch_execz .LBB59_390
; %bb.385:                              ;   in Loop: Header=BB59_6 Depth=1
	ds_read_b32 v2, v11 offset:4096
	s_waitcnt lgkmcnt(0)
	v_cmp_ne_u32_e32 vcc, 0, v2
	s_cbranch_vccnz .LBB59_389
; %bb.386:                              ;   in Loop: Header=BB59_6 Depth=1
	s_mov_b64 vcc, exec
	v_readlane_b32 s62, v52, 14
	v_readlane_b32 s63, v52, 15
	s_and_b64 s[62:63], vcc, s[62:63]
	s_mov_b64 exec, s[62:63]
	s_cbranch_execz .LBB59_388
; %bb.387:                              ;   in Loop: Header=BB59_6 Depth=1
	v_mov_b32_e32 v2, s5
	ds_write_b32 v11, v2 offset:4100
.LBB59_388:                             ;   in Loop: Header=BB59_6 Depth=1
	s_or_b64 exec, exec, vcc
	s_waitcnt lgkmcnt(0)
	s_barrier
.LBB59_389:                             ;   in Loop: Header=BB59_6 Depth=1
	v_and_b32_e32 v32, s10, v32
	v_or_b32_e32 v31, s4, v31
	s_mov_b32 s11, 5
.LBB59_390:                             ;   in Loop: Header=BB59_6 Depth=1
	s_or_saveexec_b64 s[82:83], s[82:83]
	v_mov_b32_e32 v5, s11
	s_xor_b64 exec, exec, s[82:83]
; %bb.391:                              ;   in Loop: Header=BB59_6 Depth=1
	v_subrev_u32_e32 v3, s5, v3
	v_mov_b32_e32 v5, 5
; %bb.392:                              ;   in Loop: Header=BB59_6 Depth=1
	s_or_b64 exec, exec, s[82:83]
	v_mov_b32_e32 v2, v3
.LBB59_393:                             ;   in Loop: Header=BB59_6 Depth=1
	s_or_b64 exec, exec, s[56:57]
	s_mov_b64 vcc, exec
.LBB59_394:                             ;   in Loop: Header=BB59_6 Depth=1
	s_or_b64 exec, exec, s[58:59]
	s_orn2_b64 s[56:57], vcc, exec
	v_mov_b32_e32 v3, v2
.LBB59_395:                             ;   in Loop: Header=BB59_6 Depth=1
	s_or_b64 exec, exec, s[54:55]
	s_andn2_b64 s[4:5], s[46:47], exec
	s_and_b64 s[10:11], s[16:17], exec
	s_or_b64 s[46:47], s[4:5], s[10:11]
	s_andn2_b64 s[4:5], s[48:49], exec
	s_and_b64 s[10:11], s[18:19], exec
	s_or_b64 s[48:49], s[4:5], s[10:11]
	;; [unrolled: 3-line block ×3, first 2 shown]
	s_and_b64 s[16:17], s[56:57], exec
	v_mov_b32_e32 v2, v3
.LBB59_396:                             ;   in Loop: Header=BB59_6 Depth=1
	s_or_b64 exec, exec, s[52:53]
	s_and_b64 s[52:53], s[46:47], exec
	s_and_b64 s[46:47], s[48:49], exec
	;; [unrolled: 1-line block ×3, first 2 shown]
	s_orn2_b64 s[16:17], s[16:17], exec
.LBB59_397:                             ;   in Loop: Header=BB59_6 Depth=1
	s_or_b64 exec, exec, s[44:45]
	s_andn2_b64 s[4:5], s[36:37], exec
	s_and_b64 s[10:11], s[52:53], exec
	s_or_b64 s[36:37], s[4:5], s[10:11]
	s_andn2_b64 s[4:5], s[38:39], exec
	s_and_b64 s[10:11], s[46:47], exec
	s_or_b64 s[38:39], s[4:5], s[10:11]
	;; [unrolled: 3-line block ×3, first 2 shown]
	s_and_b64 s[18:19], s[16:17], exec
	v_mov_b32_e32 v4, v2
.LBB59_398:                             ;   in Loop: Header=BB59_6 Depth=1
	s_or_b64 exec, exec, s[42:43]
	s_and_b64 s[42:43], s[36:37], exec
	s_and_b64 s[36:37], s[38:39], exec
	;; [unrolled: 1-line block ×3, first 2 shown]
	s_orn2_b64 s[38:39], s[18:19], exec
.LBB59_399:                             ;   in Loop: Header=BB59_6 Depth=1
	s_or_b64 exec, exec, s[28:29]
	s_mov_b64 s[18:19], s[24:25]
	s_mov_b64 s[28:29], s[20:21]
	s_and_saveexec_b64 s[40:41], s[38:39]
; %bb.400:                              ;   in Loop: Header=BB59_6 Depth=1
	v_cmp_ne_u32_e64 s[18:19], 5, v5
	v_cmp_eq_u32_e32 vcc, 5, v5
	s_andn2_b64 s[4:5], s[20:21], exec
	s_and_b64 s[10:11], s[18:19], exec
	s_or_b64 s[28:29], s[4:5], s[10:11]
	s_andn2_b64 s[4:5], s[24:25], exec
	s_and_b64 s[10:11], vcc, exec
	s_andn2_b64 s[42:43], s[42:43], exec
	s_andn2_b64 s[36:37], s[36:37], exec
	;; [unrolled: 1-line block ×3, first 2 shown]
	s_or_b64 s[18:19], s[4:5], s[10:11]
; %bb.401:                              ;   in Loop: Header=BB59_6 Depth=1
	s_or_b64 exec, exec, s[40:41]
	s_andn2_b64 s[4:5], s[30:31], exec
	s_and_b64 s[10:11], s[42:43], exec
	s_or_b64 s[30:31], s[4:5], s[10:11]
	s_andn2_b64 s[4:5], s[34:35], exec
	s_and_b64 s[10:11], s[36:37], exec
	s_or_b64 s[34:35], s[4:5], s[10:11]
	;; [unrolled: 3-line block ×5, first 2 shown]
	v_mov_b32_e32 v2, v32
	v_mov_b32_e32 v3, v31
	;; [unrolled: 1-line block ×3, first 2 shown]
.LBB59_402:                             ;   in Loop: Header=BB59_6 Depth=1
	s_or_b64 exec, exec, s[26:27]
	s_mov_b64 s[28:29], s[22:23]
	s_mov_b64 s[26:27], s[22:23]
	s_and_saveexec_b64 s[16:17], s[24:25]
.LBB59_403:                             ;   in Loop: Header=BB59_6 Depth=1
	v_mov_b32_e32 v5, 0
	s_andn2_b64 s[22:23], s[22:23], exec
	s_andn2_b64 s[30:31], s[30:31], exec
	;; [unrolled: 1-line block ×5, first 2 shown]
	s_or_b64 s[20:21], s[20:21], exec
.LBB59_404:                             ;   in Loop: Header=BB59_6 Depth=1
	s_or_b64 exec, exec, s[16:17]
	s_andn2_b64 s[4:5], s[88:89], exec
	s_and_b64 s[10:11], s[22:23], exec
	s_or_b64 s[88:89], s[4:5], s[10:11]
	s_andn2_b64 s[4:5], s[86:87], exec
	s_and_b64 s[10:11], s[30:31], exec
	s_or_b64 s[86:87], s[4:5], s[10:11]
	s_andn2_b64 s[4:5], s[84:85], exec
	s_and_b64 s[10:11], s[34:35], exec
	s_or_b64 s[84:85], s[4:5], s[10:11]
	s_andn2_b64 s[2:3], s[2:3], exec
	s_and_b64 s[4:5], s[28:29], exec
	s_or_b64 s[2:3], s[2:3], s[4:5]
	s_andn2_b64 s[4:5], s[70:71], exec
	s_and_b64 s[10:11], s[26:27], exec
	s_mov_b64 s[18:19], -1
	s_or_b64 s[70:71], s[4:5], s[10:11]
                                        ; implicit-def: $vgpr31
                                        ; implicit-def: $vgpr32
                                        ; implicit-def: $vgpr34
                                        ; implicit-def: $vgpr33
	s_and_saveexec_b64 s[4:5], s[20:21]
	s_xor_b64 s[16:17], exec, s[4:5]
	s_cbranch_execz .LBB59_5
; %bb.405:                              ;   in Loop: Header=BB59_6 Depth=1
	v_cmp_eq_u32_e32 vcc, 0, v5
	s_mov_b64 s[20:21], -1
	s_and_saveexec_b64 s[22:23], vcc
	s_cbranch_execz .LBB59_4
; %bb.406:                              ;   in Loop: Header=BB59_6 Depth=1
	s_xor_b32 s73, s73, 1
	s_add_i32 s10, s72, -2
	s_cmp_eq_u32 s72, 0
	s_cselect_b64 s[4:5], -1, 0
	s_xor_b64 s[20:21], exec, -1
	s_orn2_b64 s[18:19], s[4:5], exec
	s_mov_b32 s72, s10
	s_branch .LBB59_4
.LBB59_407:
	s_or_b64 exec, exec, s[90:91]
	s_xor_b64 s[16:17], s[68:69], -1
	s_xor_b64 s[20:21], s[66:67], -1
	;; [unrolled: 1-line block ×5, first 2 shown]
	s_mov_b64 s[12:13], 0
	s_and_saveexec_b64 s[6:7], s[4:5]
	s_xor_b64 s[10:11], exec, s[6:7]
	s_cbranch_execnz .LBB59_412
; %bb.408:
	s_andn2_saveexec_b64 s[0:1], s[10:11]
	s_cbranch_execnz .LBB59_431
.LBB59_409:
	s_or_b64 exec, exec, s[0:1]
	s_and_saveexec_b64 s[0:1], s[12:13]
.LBB59_410:
	; divergent unreachable
.LBB59_411:
	s_endpgm
.LBB59_412:
	s_mov_b64 s[14:15], 0
	s_and_saveexec_b64 s[4:5], s[18:19]
	s_xor_b64 s[12:13], exec, s[4:5]
	s_cbranch_execz .LBB59_429
; %bb.413:
	s_mov_b64 s[18:19], 0
	s_and_saveexec_b64 s[4:5], s[20:21]
	s_xor_b64 s[14:15], exec, s[4:5]
	s_cbranch_execz .LBB59_427
; %bb.414:
	s_and_saveexec_b64 s[4:5], s[16:17]
	s_xor_b64 s[16:17], exec, s[4:5]
	s_cbranch_execz .LBB59_425
; %bb.415:
	s_and_saveexec_b64 s[4:5], s[2:3]
	s_xor_b64 s[2:3], exec, s[4:5]
; %bb.416:
	v_xor_b32_e32 v35, 0xffff8000, v2
; %bb.417:
	s_or_b64 exec, exec, s[2:3]
	s_mov_b64 s[2:3], exec
	v_readlane_b32 s4, v52, 14
	v_readlane_b32 s5, v52, 15
	;; [unrolled: 1-line block ×3, first 2 shown]
	s_and_b64 s[4:5], s[2:3], s[4:5]
	v_readlane_b32 s35, v52, 20
	v_readlane_b32 s20, v52, 54
	s_mov_b64 exec, s[4:5]
	s_cbranch_execz .LBB59_419
; %bb.418:
	v_mov_b32_e32 v1, 0
	ds_write_b32 v1, v1 offset:4108
.LBB59_419:
	s_or_b64 exec, exec, s[2:3]
	v_mov_b32_e32 v1, 0
	s_waitcnt lgkmcnt(0)
	s_barrier
	s_mov_b64 s[2:3], exec
	v_readlane_b32 s4, v52, 34
	v_readlane_b32 s5, v52, 35
	s_and_b64 s[4:5], s[2:3], s[4:5]
	s_mov_b64 exec, s[4:5]
	s_cbranch_execz .LBB59_421
; %bb.420:
	global_load_ushort v1, v[8:9], off
.LBB59_421:
	s_or_b64 exec, exec, s[2:3]
	v_readlane_b32 s5, v52, 10
	v_readlane_b32 s7, v52, 11
	s_mul_i32 s2, s7, s5
	v_readlane_b32 s6, v52, 16
	s_add_i32 s42, s60, 63
	s_sub_i32 s2, s6, s2
	s_andn2_b32 s42, s42, 63
	s_add_i32 s3, s7, 1
	s_sub_i32 s4, s2, s5
	s_cmp_ge_u32 s2, s5
	s_cselect_b32 s3, s3, s7
	s_cselect_b32 s2, s4, s2
	s_add_i32 s4, s3, 1
	s_cmp_ge_u32 s2, s5
	s_cselect_b32 s2, s4, s3
	s_mul_i32 s3, s2, s5
	v_readlane_b32 s4, v52, 2
	s_sub_i32 s3, s6, s3
	v_readlane_b32 s5, v52, 3
	s_mul_i32 s3, s3, s5
	s_mul_i32 s2, s2, s4
	v_readlane_b32 s7, v52, 12
	v_readlane_b32 s18, v52, 13
	s_add_i32 s2, s2, s3
	s_mul_i32 s3, s18, s7
	s_sub_i32 s3, s6, s3
	s_add_i32 s4, s18, 1
	s_sub_i32 s5, s3, s7
	s_cmp_ge_u32 s3, s7
	s_cselect_b32 s4, s4, s18
	s_cselect_b32 s3, s5, s3
	s_add_i32 s5, s4, 1
	s_cmp_ge_u32 s3, s7
	s_cselect_b32 s3, s5, s4
	s_mul_i32 s4, s3, s7
	s_sub_i32 s4, s6, s4
	v_readlane_b32 s6, v52, 4
	v_readlane_b32 s7, v52, 5
	s_mul_i32 s4, s4, s7
	s_mul_i32 s3, s3, s6
	s_add_i32 s4, s3, s4
	s_mov_b32 s3, 0
	s_lshl_b64 s[6:7], s[2:3], 1
	v_readlane_b32 s18, v52, 8
	v_readlane_b32 s19, v52, 9
	s_add_u32 s43, s18, s6
	s_mov_b32 s5, s3
	s_addc_u32 s44, s19, s7
	s_lshl_b64 s[2:3], s[4:5], 3
	v_readlane_b32 s4, v52, 0
	v_readlane_b32 s5, v52, 1
	s_add_u32 s45, s4, s2
	s_addc_u32 s46, s5, s3
	v_readlane_b32 s2, v52, 6
	v_readlane_b32 s3, v52, 7
	s_load_dword s47, s[2:3], 0x1c8
	s_load_dword s48, s[2:3], 0x2a8
	v_add_u32_e32 v4, s9, v0
	v_cmp_gt_u32_e32 vcc, s42, v0
	s_mov_b64 s[18:19], -1
	s_mov_b64 s[2:3], 0
	v_mul_lo_u32 v2, s20, v4
	s_mov_b64 s[4:5], 0
	s_and_saveexec_b64 s[30:31], vcc
	s_cbranch_execnz .LBB59_432
; %bb.422:
	s_or_b64 exec, exec, s[30:31]
	s_and_saveexec_b64 s[40:41], s[18:19]
	s_cbranch_execnz .LBB59_447
.LBB59_423:
	s_or_b64 exec, exec, s[40:41]
	s_and_saveexec_b64 s[0:1], s[4:5]
	s_xor_b64 s[0:1], exec, s[0:1]
	s_cbranch_execnz .LBB59_469
.LBB59_424:
	s_or_b64 exec, exec, s[0:1]
	s_and_b64 s[18:19], s[2:3], exec
.LBB59_425:
	s_andn2_saveexec_b64 s[0:1], s[16:17]
	s_cbranch_execnz .LBB59_472
.LBB59_426:
	s_or_b64 exec, exec, s[0:1]
	s_and_b64 s[18:19], s[18:19], exec
.LBB59_427:
	s_andn2_saveexec_b64 s[0:1], s[14:15]
	s_cbranch_execnz .LBB59_471
.LBB59_428:
	s_or_b64 exec, exec, s[0:1]
	s_and_b64 s[14:15], s[18:19], exec
.LBB59_429:
	s_andn2_saveexec_b64 s[0:1], s[12:13]
	s_cbranch_execnz .LBB59_470
.LBB59_430:
	s_or_b64 exec, exec, s[0:1]
	s_and_b64 s[12:13], s[14:15], exec
	s_andn2_saveexec_b64 s[0:1], s[10:11]
	s_cbranch_execz .LBB59_409
.LBB59_431:
	s_or_b64 s[12:13], s[12:13], exec
	s_trap 2
	s_or_b64 exec, exec, s[0:1]
	s_and_saveexec_b64 s[0:1], s[12:13]
	s_cbranch_execnz .LBB59_410
	s_branch .LBB59_411
.LBB59_432:
	s_mov_b32 s6, 0x8000
	v_add_u32_sdwa v3, sext(v35), s6 dst_sel:DWORD dst_unused:UNUSED_PAD src0_sel:WORD_0 src1_sel:DWORD
	v_mul_lo_u32 v4, s20, v4
	s_mov_b64 s[18:19], 0
	v_mov_b32_e32 v5, 0
	v_mov_b32_e32 v10, v0
                                        ; implicit-def: $sgpr20_sgpr21
                                        ; implicit-def: $vgpr14
	s_branch .LBB59_434
.LBB59_433:                             ;   in Loop: Header=BB59_434 Depth=1
	s_or_b64 exec, exec, s[22:23]
	s_xor_b64 s[22:23], s[26:27], -1
	s_and_b64 s[4:5], exec, s[4:5]
	s_or_b64 s[18:19], s[4:5], s[18:19]
	s_andn2_b64 s[4:5], s[20:21], exec
	s_and_b64 s[20:21], s[22:23], exec
	s_or_b64 s[20:21], s[4:5], s[20:21]
	v_mov_b32_e32 v1, v15
	v_mov_b32_e32 v10, v12
	s_andn2_b64 exec, exec, s[18:19]
	s_cbranch_execz .LBB59_446
.LBB59_434:                             ; =>This Inner Loop Header: Depth=1
	v_add_u32_e32 v12, s9, v10
	v_cmp_gt_u32_e32 vcc, s60, v12
	v_mov_b32_e32 v15, 0
	s_and_saveexec_b64 s[4:5], vcc
	s_cbranch_execz .LBB59_436
; %bb.435:                              ;   in Loop: Header=BB59_434 Depth=1
	v_lshlrev_b64 v[16:17], 1, v[4:5]
	v_mov_b32_e32 v11, s8
	v_add_co_u32_e32 v16, vcc, s33, v16
	v_addc_co_u32_e32 v17, vcc, v11, v17, vcc
	global_load_ushort v15, v[16:17], off
.LBB59_436:                             ;   in Loop: Header=BB59_434 Depth=1
	s_or_b64 exec, exec, s[4:5]
	s_waitcnt vmcnt(0)
	v_add_u32_sdwa v11, sext(v1), s6 dst_sel:DWORD dst_unused:UNUSED_PAD src0_sel:WORD_0 src1_sel:DWORD
	v_cmp_gt_u32_e64 s[4:5], v11, v3
	v_cndmask_b32_e64 v16, 0, 1, s[4:5]
	v_cmp_lt_u32_e64 s[4:5], v11, v3
	v_cndmask_b32_e64 v11, 0, 1, s[4:5]
	v_cndmask_b32_e64 v11, v11, v16, s[34:35]
	v_and_b32_e32 v11, 1, v11
	v_cmp_gt_u32_e32 vcc, s60, v10
	v_cmp_eq_u32_e64 s[4:5], 1, v11
	s_and_b64 s[24:25], vcc, s[4:5]
	v_cndmask_b32_e64 v11, 0, 1, s[24:25]
	v_cmp_ne_u32_e32 vcc, 0, v11
	s_cmp_lg_u64 vcc, 0
	s_cselect_b64 s[4:5], -1, 0
	s_and_b64 s[4:5], s[0:1], s[4:5]
	s_and_saveexec_b64 s[22:23], s[4:5]
	s_cbranch_execz .LBB59_440
; %bb.437:                              ;   in Loop: Header=BB59_434 Depth=1
	s_mov_b64 s[28:29], exec
	v_mbcnt_lo_u32_b32 v11, s28, 0
	v_mbcnt_hi_u32_b32 v11, s29, v11
	s_bcnt1_i32_b64 s7, vcc
	v_cmp_eq_u32_e64 s[4:5], 0, v11
                                        ; implicit-def: $vgpr14
	s_and_saveexec_b64 s[26:27], s[4:5]
	s_cbranch_execz .LBB59_439
; %bb.438:                              ;   in Loop: Header=BB59_434 Depth=1
	s_bcnt1_i32_b64 s4, s[28:29]
	s_mul_i32 s4, s7, s4
	s_waitcnt lgkmcnt(0)
	v_mov_b32_e32 v14, s4
	ds_add_rtn_u32 v14, v5, v14 offset:4108
.LBB59_439:                             ;   in Loop: Header=BB59_434 Depth=1
	s_or_b64 exec, exec, s[26:27]
	s_waitcnt lgkmcnt(0)
	v_readfirstlane_b32 s4, v14
	v_mov_b32_e32 v14, s4
	v_mad_u32_u24 v14, s7, v11, v14
.LBB59_440:                             ;   in Loop: Header=BB59_434 Depth=1
	s_or_b64 exec, exec, s[22:23]
	s_waitcnt lgkmcnt(0)
	ds_bpermute_b32 v14, v13, v14
	s_mov_b64 s[4:5], -1
	s_mov_b64 s[28:29], -1
                                        ; implicit-def: $sgpr26_sgpr27
	s_and_saveexec_b64 s[22:23], s[24:25]
	s_cbranch_execz .LBB59_444
; %bb.441:                              ;   in Loop: Header=BB59_434 Depth=1
	v_and_b32_e32 v16, vcc_lo, v6
	v_and_b32_e32 v11, vcc_hi, v7
	v_bcnt_u32_b32 v16, v16, 0
	v_bcnt_u32_b32 v11, v11, v16
	s_waitcnt lgkmcnt(0)
	v_add_u32_e32 v11, v14, v11
	v_cmp_gt_u32_e32 vcc, s61, v11
	s_mov_b64 s[24:25], 0
	s_and_saveexec_b64 s[26:27], vcc
	s_cbranch_execz .LBB59_443
; %bb.442:                              ;   in Loop: Header=BB59_434 Depth=1
	v_mul_lo_u32 v16, v11, s47
	v_mov_b32_e32 v17, v5
	v_lshlrev_b64 v[16:17], 1, v[16:17]
	v_mul_lo_u32 v18, v11, s48
	v_mov_b32_e32 v11, s44
	v_add_co_u32_e32 v16, vcc, s43, v16
	v_addc_co_u32_e32 v17, vcc, v11, v17, vcc
	v_mov_b32_e32 v19, v5
	global_store_short v[16:17], v1, off
	v_lshlrev_b64 v[16:17], 3, v[18:19]
	v_mov_b32_e32 v1, s46
	v_add_co_u32_e32 v16, vcc, s45, v16
	s_mov_b64 s[24:25], exec
	v_mov_b32_e32 v11, v5
	v_addc_co_u32_e32 v17, vcc, v1, v17, vcc
	global_store_dwordx2 v[16:17], v[10:11], off
.LBB59_443:                             ;   in Loop: Header=BB59_434 Depth=1
	s_or_b64 exec, exec, s[26:27]
	s_mov_b64 s[26:27], -1
	s_orn2_b64 s[28:29], s[24:25], exec
.LBB59_444:                             ;   in Loop: Header=BB59_434 Depth=1
	s_or_b64 exec, exec, s[22:23]
	s_and_saveexec_b64 s[22:23], s[28:29]
	s_cbranch_execz .LBB59_433
; %bb.445:                              ;   in Loop: Header=BB59_434 Depth=1
	v_cmp_le_u32_e32 vcc, s42, v12
	v_add_u32_e32 v4, s76, v4
	s_andn2_b64 s[26:27], s[26:27], exec
	s_orn2_b64 s[4:5], vcc, exec
	s_branch .LBB59_433
.LBB59_446:
	s_or_b64 exec, exec, s[18:19]
	s_mov_b64 s[4:5], exec
	s_orn2_b64 s[18:19], s[20:21], exec
	s_or_b64 exec, exec, s[30:31]
	s_and_saveexec_b64 s[40:41], s[18:19]
	s_cbranch_execz .LBB59_423
.LBB59_447:
	v_mov_b32_e32 v3, 0
	s_waitcnt vmcnt(0)
	v_mov_b32_e32 v1, 0
	s_waitcnt lgkmcnt(0)
	s_barrier
	s_mov_b64 s[2:3], exec
	v_readlane_b32 s6, v52, 34
	v_readlane_b32 s7, v52, 35
	s_and_b64 s[6:7], s[2:3], s[6:7]
	s_mov_b64 exec, s[6:7]
	s_cbranch_execz .LBB59_449
; %bb.448:
	global_load_ushort v1, v[8:9], off
.LBB59_449:
	s_or_b64 exec, exec, s[2:3]
	s_mov_b64 s[18:19], 0
                                        ; implicit-def: $sgpr6_sgpr7
                                        ; implicit-def: $sgpr20_sgpr21
                                        ; implicit-def: $sgpr22_sgpr23
                                        ; implicit-def: $vgpr4
	s_branch .LBB59_452
.LBB59_450:                             ;   in Loop: Header=BB59_452 Depth=1
	s_or_b64 exec, exec, s[28:29]
	s_andn2_b64 s[2:3], s[22:23], exec
	s_and_b64 s[22:23], s[34:35], exec
	s_or_b64 s[22:23], s[2:3], s[22:23]
	s_andn2_b64 s[2:3], s[20:21], exec
	s_and_b64 s[20:21], s[26:27], exec
	s_or_b64 s[20:21], s[2:3], s[20:21]
	v_mov_b32_e32 v0, v5
.LBB59_451:                             ;   in Loop: Header=BB59_452 Depth=1
	s_or_b64 exec, exec, s[24:25]
	s_xor_b64 s[2:3], s[22:23], -1
	s_and_b64 s[24:25], exec, s[20:21]
	s_or_b64 s[18:19], s[24:25], s[18:19]
	s_andn2_b64 s[6:7], s[6:7], exec
	s_and_b64 s[2:3], s[2:3], exec
	s_or_b64 s[6:7], s[6:7], s[2:3]
	s_andn2_b64 exec, exec, s[18:19]
	s_cbranch_execz .LBB59_467
.LBB59_452:                             ; =>This Inner Loop Header: Depth=1
	v_cmp_gt_u32_e32 vcc, s42, v0
	s_or_b64 s[22:23], s[22:23], exec
	s_or_b64 s[20:21], s[20:21], exec
	s_and_saveexec_b64 s[24:25], vcc
	s_cbranch_execz .LBB59_451
; %bb.453:                              ;   in Loop: Header=BB59_452 Depth=1
	v_add_u32_e32 v5, s9, v0
	v_cmp_gt_u32_e32 vcc, s60, v5
	v_mov_b32_e32 v8, 0
	s_and_saveexec_b64 s[2:3], vcc
	s_cbranch_execz .LBB59_455
; %bb.454:                              ;   in Loop: Header=BB59_452 Depth=1
	v_lshlrev_b64 v[8:9], 1, v[2:3]
	v_mov_b32_e32 v10, s8
	v_add_co_u32_e32 v8, vcc, s33, v8
	v_addc_co_u32_e32 v9, vcc, v10, v9, vcc
	global_load_ushort v8, v[8:9], off
.LBB59_455:                             ;   in Loop: Header=BB59_452 Depth=1
	s_or_b64 exec, exec, s[2:3]
	v_cmp_gt_u32_e32 vcc, s60, v0
	s_waitcnt vmcnt(0)
	v_cmp_eq_u16_e64 s[2:3], v1, v35
	s_and_b64 s[28:29], vcc, s[2:3]
	v_cndmask_b32_e64 v9, 0, 1, s[28:29]
	v_cmp_ne_u32_e32 vcc, 0, v9
	s_cmp_lg_u64 vcc, 0
	s_cselect_b64 s[2:3], -1, 0
	s_and_b64 s[2:3], s[0:1], s[2:3]
	s_and_saveexec_b64 s[26:27], s[2:3]
	s_cbranch_execz .LBB59_459
; %bb.456:                              ;   in Loop: Header=BB59_452 Depth=1
	s_mov_b64 s[34:35], exec
	v_mbcnt_lo_u32_b32 v4, s34, 0
	v_mbcnt_hi_u32_b32 v4, s35, v4
	s_bcnt1_i32_b64 s36, vcc
	v_cmp_eq_u32_e64 s[2:3], 0, v4
                                        ; implicit-def: $vgpr9
	s_and_saveexec_b64 s[30:31], s[2:3]
	s_cbranch_execz .LBB59_458
; %bb.457:                              ;   in Loop: Header=BB59_452 Depth=1
	s_bcnt1_i32_b64 s2, s[34:35]
	s_mul_i32 s2, s36, s2
	v_mov_b32_e32 v9, s2
	ds_add_rtn_u32 v9, v3, v9 offset:4108
.LBB59_458:                             ;   in Loop: Header=BB59_452 Depth=1
	s_or_b64 exec, exec, s[30:31]
	s_waitcnt lgkmcnt(0)
	v_readfirstlane_b32 s2, v9
	v_mov_b32_e32 v9, s2
	v_mad_u32_u24 v4, s36, v4, v9
.LBB59_459:                             ;   in Loop: Header=BB59_452 Depth=1
	s_or_b64 exec, exec, s[26:27]
	ds_bpermute_b32 v4, v13, v4
	s_cmp_eq_u64 vcc, 0
	s_cselect_b64 s[30:31], -1, 0
	s_mov_b64 s[26:27], -1
	s_mov_b64 s[34:35], -1
	s_waitcnt lgkmcnt(0)
	v_cmp_gt_u32_e64 s[2:3], s61, v4
	s_or_b64 s[2:3], s[30:31], s[2:3]
	v_cndmask_b32_e64 v1, v1, v8, s[2:3]
	s_and_b64 s[36:37], s[28:29], s[2:3]
	s_mov_b64 s[30:31], -1
	s_and_saveexec_b64 s[28:29], s[36:37]
	s_cbranch_execz .LBB59_465
; %bb.460:                              ;   in Loop: Header=BB59_452 Depth=1
	v_and_b32_e32 v9, vcc_lo, v6
	v_and_b32_e32 v1, vcc_hi, v7
	v_bcnt_u32_b32 v9, v9, 0
	v_bcnt_u32_b32 v1, v1, v9
	v_sub_u32_e32 v9, s61, v4
	v_cmp_le_u32_e64 s[30:31], v9, v1
	v_cmp_gt_u32_e32 vcc, v9, v1
	s_mov_b64 s[36:37], -1
	s_and_saveexec_b64 s[34:35], vcc
	s_cbranch_execz .LBB59_464
; %bb.461:                              ;   in Loop: Header=BB59_452 Depth=1
	v_add_u32_e32 v1, v4, v1
	v_cmp_gt_u32_e32 vcc, s61, v1
	s_mov_b64 s[38:39], s[30:31]
	s_and_saveexec_b64 s[36:37], vcc
	s_cbranch_execz .LBB59_463
; %bb.462:                              ;   in Loop: Header=BB59_452 Depth=1
	v_mul_lo_u32 v10, v1, s47
	v_mov_b32_e32 v11, v3
	v_lshlrev_b64 v[10:11], 1, v[10:11]
	v_mul_lo_u32 v14, v1, s48
	v_mov_b32_e32 v1, s44
	v_add_co_u32_e32 v10, vcc, s43, v10
	v_addc_co_u32_e32 v11, vcc, v1, v11, vcc
	v_mov_b32_e32 v15, v3
	global_store_short v[10:11], v35, off
	v_lshlrev_b64 v[10:11], 3, v[14:15]
	v_mov_b32_e32 v9, s46
	v_add_co_u32_e32 v10, vcc, s45, v10
	v_mov_b32_e32 v1, v3
	v_addc_co_u32_e32 v11, vcc, v9, v11, vcc
	s_or_b64 s[38:39], s[30:31], exec
	global_store_dwordx2 v[10:11], v[0:1], off
.LBB59_463:                             ;   in Loop: Header=BB59_452 Depth=1
	s_or_b64 exec, exec, s[36:37]
	s_andn2_b64 s[30:31], s[30:31], exec
	s_and_b64 s[38:39], s[38:39], exec
	s_xor_b64 s[36:37], exec, -1
	s_or_b64 s[30:31], s[30:31], s[38:39]
.LBB59_464:                             ;   in Loop: Header=BB59_452 Depth=1
	s_or_b64 exec, exec, s[34:35]
	s_orn2_b64 s[34:35], s[36:37], exec
	s_or_b64 s[2:3], s[2:3], exec
	s_orn2_b64 s[30:31], s[30:31], exec
	v_mov_b32_e32 v1, v8
.LBB59_465:                             ;   in Loop: Header=BB59_452 Depth=1
	s_or_b64 exec, exec, s[28:29]
	s_and_saveexec_b64 s[28:29], s[30:31]
	s_cbranch_execz .LBB59_450
; %bb.466:                              ;   in Loop: Header=BB59_452 Depth=1
	s_xor_b64 s[2:3], s[2:3], -1
	v_add_u32_e32 v2, s76, v2
	s_or_b64 s[34:35], s[34:35], exec
	s_orn2_b64 s[26:27], s[2:3], exec
	s_branch .LBB59_450
.LBB59_467:
	s_or_b64 exec, exec, s[18:19]
	s_mov_b64 s[0:1], 0
	s_and_saveexec_b64 s[2:3], s[6:7]
	s_xor_b64 s[2:3], exec, s[2:3]
	s_cbranch_execnz .LBB59_473
.LBB59_468:
	s_or_b64 exec, exec, s[2:3]
	s_and_b64 s[2:3], s[0:1], exec
	s_andn2_b64 s[4:5], s[4:5], exec
	s_or_b64 exec, exec, s[40:41]
	s_and_saveexec_b64 s[0:1], s[4:5]
	s_xor_b64 s[0:1], exec, s[0:1]
	s_cbranch_execz .LBB59_424
.LBB59_469:
	s_or_b64 s[2:3], s[2:3], exec
	s_trap 2
	s_branch .LBB59_424
.LBB59_470:
	s_or_b64 s[14:15], s[14:15], exec
	s_trap 2
	s_branch .LBB59_430
.LBB59_471:
	s_or_b64 s[18:19], s[18:19], exec
	s_trap 2
	s_branch .LBB59_428
.LBB59_472:
	s_trap 2
	s_or_b64 s[18:19], s[18:19], exec
	s_branch .LBB59_426
.LBB59_473:
	s_mov_b64 s[0:1], exec
	s_trap 2
	s_branch .LBB59_468
	.section	.rodata,"a",@progbits
	.p2align	6, 0x0
	.amdhsa_kernel _ZN2at6native6sbtopk10gatherTopKIsjLi2ELb0EEEvNS_4cuda6detail10TensorInfoIKT_T0_EES8_S8_bS8_S8_NS5_IS6_S8_EES8_NS5_IlS8_EES8_PS6_
		.amdhsa_group_segment_fixed_size 4112
		.amdhsa_private_segment_fixed_size 0
		.amdhsa_kernarg_size 952
		.amdhsa_user_sgpr_count 6
		.amdhsa_user_sgpr_private_segment_buffer 1
		.amdhsa_user_sgpr_dispatch_ptr 0
		.amdhsa_user_sgpr_queue_ptr 0
		.amdhsa_user_sgpr_kernarg_segment_ptr 1
		.amdhsa_user_sgpr_dispatch_id 0
		.amdhsa_user_sgpr_flat_scratch_init 0
		.amdhsa_user_sgpr_kernarg_preload_length 0
		.amdhsa_user_sgpr_kernarg_preload_offset 0
		.amdhsa_user_sgpr_private_segment_size 0
		.amdhsa_uses_dynamic_stack 0
		.amdhsa_system_sgpr_private_segment_wavefront_offset 0
		.amdhsa_system_sgpr_workgroup_id_x 1
		.amdhsa_system_sgpr_workgroup_id_y 1
		.amdhsa_system_sgpr_workgroup_id_z 1
		.amdhsa_system_sgpr_workgroup_info 0
		.amdhsa_system_vgpr_workitem_id 0
		.amdhsa_next_free_vgpr 53
		.amdhsa_next_free_sgpr 96
		.amdhsa_accum_offset 56
		.amdhsa_reserve_vcc 1
		.amdhsa_reserve_flat_scratch 0
		.amdhsa_float_round_mode_32 0
		.amdhsa_float_round_mode_16_64 0
		.amdhsa_float_denorm_mode_32 3
		.amdhsa_float_denorm_mode_16_64 3
		.amdhsa_dx10_clamp 1
		.amdhsa_ieee_mode 1
		.amdhsa_fp16_overflow 0
		.amdhsa_tg_split 0
		.amdhsa_exception_fp_ieee_invalid_op 0
		.amdhsa_exception_fp_denorm_src 0
		.amdhsa_exception_fp_ieee_div_zero 0
		.amdhsa_exception_fp_ieee_overflow 0
		.amdhsa_exception_fp_ieee_underflow 0
		.amdhsa_exception_fp_ieee_inexact 0
		.amdhsa_exception_int_div_zero 0
	.end_amdhsa_kernel
	.section	.text._ZN2at6native6sbtopk10gatherTopKIsjLi2ELb0EEEvNS_4cuda6detail10TensorInfoIKT_T0_EES8_S8_bS8_S8_NS5_IS6_S8_EES8_NS5_IlS8_EES8_PS6_,"axG",@progbits,_ZN2at6native6sbtopk10gatherTopKIsjLi2ELb0EEEvNS_4cuda6detail10TensorInfoIKT_T0_EES8_S8_bS8_S8_NS5_IS6_S8_EES8_NS5_IlS8_EES8_PS6_,comdat
.Lfunc_end59:
	.size	_ZN2at6native6sbtopk10gatherTopKIsjLi2ELb0EEEvNS_4cuda6detail10TensorInfoIKT_T0_EES8_S8_bS8_S8_NS5_IS6_S8_EES8_NS5_IlS8_EES8_PS6_, .Lfunc_end59-_ZN2at6native6sbtopk10gatherTopKIsjLi2ELb0EEEvNS_4cuda6detail10TensorInfoIKT_T0_EES8_S8_bS8_S8_NS5_IS6_S8_EES8_NS5_IlS8_EES8_PS6_
                                        ; -- End function
	.section	.AMDGPU.csdata,"",@progbits
; Kernel info:
; codeLenInByte = 15980
; NumSgprs: 100
; NumVgprs: 53
; NumAgprs: 0
; TotalNumVgprs: 53
; ScratchSize: 0
; MemoryBound: 0
; FloatMode: 240
; IeeeMode: 1
; LDSByteSize: 4112 bytes/workgroup (compile time only)
; SGPRBlocks: 12
; VGPRBlocks: 6
; NumSGPRsForWavesPerEU: 100
; NumVGPRsForWavesPerEU: 53
; AccumOffset: 56
; Occupancy: 8
; WaveLimiterHint : 1
; COMPUTE_PGM_RSRC2:SCRATCH_EN: 0
; COMPUTE_PGM_RSRC2:USER_SGPR: 6
; COMPUTE_PGM_RSRC2:TRAP_HANDLER: 0
; COMPUTE_PGM_RSRC2:TGID_X_EN: 1
; COMPUTE_PGM_RSRC2:TGID_Y_EN: 1
; COMPUTE_PGM_RSRC2:TGID_Z_EN: 1
; COMPUTE_PGM_RSRC2:TIDIG_COMP_CNT: 0
; COMPUTE_PGM_RSRC3_GFX90A:ACCUM_OFFSET: 13
; COMPUTE_PGM_RSRC3_GFX90A:TG_SPLIT: 0
	.section	.text._ZN2at6native6mbtopk23computeBlockDigitCountsIsjjLi3EEEvNS_4cuda6detail10TensorInfoIKT_T0_EEjPjjS8_iijT1_PSB_Ps,"axG",@progbits,_ZN2at6native6mbtopk23computeBlockDigitCountsIsjjLi3EEEvNS_4cuda6detail10TensorInfoIKT_T0_EEjPjjS8_iijT1_PSB_Ps,comdat
	.protected	_ZN2at6native6mbtopk23computeBlockDigitCountsIsjjLi3EEEvNS_4cuda6detail10TensorInfoIKT_T0_EEjPjjS8_iijT1_PSB_Ps ; -- Begin function _ZN2at6native6mbtopk23computeBlockDigitCountsIsjjLi3EEEvNS_4cuda6detail10TensorInfoIKT_T0_EEjPjjS8_iijT1_PSB_Ps
	.globl	_ZN2at6native6mbtopk23computeBlockDigitCountsIsjjLi3EEEvNS_4cuda6detail10TensorInfoIKT_T0_EEjPjjS8_iijT1_PSB_Ps
	.p2align	8
	.type	_ZN2at6native6mbtopk23computeBlockDigitCountsIsjjLi3EEEvNS_4cuda6detail10TensorInfoIKT_T0_EEjPjjS8_iijT1_PSB_Ps,@function
_ZN2at6native6mbtopk23computeBlockDigitCountsIsjjLi3EEEvNS_4cuda6detail10TensorInfoIKT_T0_EEjPjjS8_iijT1_PSB_Ps: ; @_ZN2at6native6mbtopk23computeBlockDigitCountsIsjjLi3EEEvNS_4cuda6detail10TensorInfoIKT_T0_EEjPjjS8_iijT1_PSB_Ps
; %bb.0:
	s_load_dwordx2 s[10:11], s[4:5], 0xf8
	s_load_dwordx4 s[12:15], s[4:5], 0xe8
	s_load_dwordx2 s[0:1], s[4:5], 0x110
	s_waitcnt lgkmcnt(0)
	v_cvt_f32_u32_e32 v1, s10
	s_sub_i32 s2, 0, s10
	s_mul_i32 s1, s1, s8
	s_add_i32 s1, s1, s7
	v_rcp_iflag_f32_e32 v1, v1
	s_mul_i32 s18, s1, s0
	s_add_i32 s18, s18, s6
	s_mov_b32 s7, 0
	v_mul_f32_e32 v1, 0x4f7ffffe, v1
	v_cvt_u32_f32_e32 v1, v1
	v_readfirstlane_b32 s0, v1
	s_mul_i32 s2, s2, s0
	s_mul_hi_u32 s1, s0, s2
	s_add_i32 s0, s0, s1
	s_mul_hi_u32 s0, s18, s0
	s_mul_i32 s1, s0, s10
	s_sub_i32 s1, s18, s1
	s_add_i32 s2, s0, 1
	s_sub_i32 s3, s1, s10
	s_cmp_ge_u32 s1, s10
	s_cselect_b32 s0, s2, s0
	s_cselect_b32 s1, s3, s1
	s_add_i32 s2, s0, 1
	s_cmp_ge_u32 s1, s10
	s_cselect_b32 s6, s2, s0
	s_cmp_ge_u32 s6, s12
	s_cbranch_scc1 .LBB60_29
; %bb.1:
	s_load_dwordx2 s[8:9], s[4:5], 0xc
	s_load_dwordx4 s[0:3], s[4:5], 0x100
	s_lshl_b64 s[16:17], s[6:7], 2
	s_movk_i32 s7, 0x100
	v_cmp_gt_u32_e32 vcc, s7, v0
	s_waitcnt lgkmcnt(0)
	v_cvt_f32_u32_e32 v1, s9
	v_cvt_f32_u32_e32 v2, s8
	s_add_u32 s0, s0, s16
	s_addc_u32 s1, s1, s17
	v_rcp_iflag_f32_e32 v1, v1
	s_sub_i32 s12, 0, s9
	v_rcp_iflag_f32_e32 v2, v2
	v_mul_f32_e32 v1, 0x4f7ffffe, v1
	v_cvt_u32_f32_e32 v1, v1
	v_mul_f32_e32 v2, 0x4f7ffffe, v2
	v_cvt_u32_f32_e32 v2, v2
	v_readfirstlane_b32 s16, v1
	s_mul_i32 s12, s12, s16
	s_mul_hi_u32 s12, s16, s12
	s_add_i32 s16, s16, s12
	s_mul_hi_u32 s12, s6, s16
	s_mul_i32 s16, s12, s9
	s_sub_i32 s16, s6, s16
	s_add_i32 s17, s12, 1
	s_sub_i32 s19, s16, s9
	s_cmp_ge_u32 s16, s9
	s_cselect_b32 s12, s17, s12
	s_cselect_b32 s16, s19, s16
	s_add_i32 s17, s12, 1
	s_cmp_ge_u32 s16, s9
	v_readfirstlane_b32 s20, v2
	s_cselect_b32 s19, s17, s12
	v_lshlrev_b32_e32 v1, 2, v0
	s_and_saveexec_b64 s[16:17], vcc
	s_cbranch_execz .LBB60_3
; %bb.2:
	v_mov_b32_e32 v2, 0
	ds_write_b32 v1, v2
.LBB60_3:
	s_or_b64 exec, exec, s[16:17]
	s_load_dword s12, s[4:5], 0xd8
	s_mul_i32 s7, s6, s10
	s_sub_i32 s7, s18, s7
	s_add_i32 s17, s7, 1
	s_mul_i32 s7, s15, s7
	s_lshl_b32 s16, s7, 8
	s_waitcnt lgkmcnt(0)
	s_sub_i32 s7, s12, s16
	s_add_u32 s7, s7, 0xff
	s_addc_u32 s21, 0, 0
	v_mov_b32_e32 v2, s7
	v_alignbit_b32 v2, s21, v2, 8
	s_cmp_lt_u32 s17, s10
	v_readfirstlane_b32 s7, v2
	s_cselect_b32 s15, s15, s7
	s_cmp_lt_i32 s15, 1
	s_mov_b32 s7, 0
	s_barrier
	s_cbranch_scc1 .LBB60_25
; %bb.4:
	s_sub_i32 s10, 0, s8
	s_mul_i32 s10, s10, s20
	s_mul_hi_u32 s10, s20, s10
	s_add_i32 s10, s20, s10
	s_load_dwordx4 s[20:23], s[4:5], 0x6c
	s_load_dwordx2 s[24:25], s[4:5], 0x0
	s_mul_hi_u32 s4, s19, s10
	s_load_dword s10, s[0:1], 0x0
	s_mul_i32 s1, s4, s8
	s_mul_i32 s0, s19, s9
	s_sub_i32 s1, s19, s1
	s_sub_i32 s0, s6, s0
	s_add_i32 s5, s4, 1
	s_sub_i32 s6, s1, s8
	s_cmp_ge_u32 s1, s8
	s_cselect_b32 s4, s5, s4
	s_cselect_b32 s1, s6, s1
	s_add_i32 s5, s4, 1
	s_cmp_ge_u32 s1, s8
	s_cselect_b32 s1, s5, s4
	s_mul_i32 s4, s1, s8
	s_sub_i32 s4, s19, s4
	s_waitcnt lgkmcnt(0)
	s_mul_i32 s0, s0, s22
	s_mul_i32 s4, s4, s21
	s_add_i32 s0, s4, s0
	s_mul_i32 s1, s1, s20
	s_add_i32 s6, s0, s1
	s_lshl_b64 s[0:1], s[6:7], 1
	s_add_u32 s6, s24, s0
	s_addc_u32 s8, s25, s1
	s_and_b32 s9, s14, 0xff
	s_cmp_lt_u32 s15, 4
	s_cbranch_scc1 .LBB60_19
; %bb.5:
	v_add_u32_e32 v2, s16, v0
	v_add_u32_e32 v3, 0x200, v2
	;; [unrolled: 1-line block ×3, first 2 shown]
	v_mul_lo_u32 v6, s13, v3
	v_add_u32_e32 v3, 0x100, v2
	s_and_b32 s7, s15, 0x7ffffffc
	v_mul_lo_u32 v5, s13, v4
	s_lshl_b32 s14, s13, 10
	v_mul_lo_u32 v7, s13, v3
	v_mul_lo_u32 v8, s13, v2
	s_mov_b32 s17, 0
	v_mov_b32_e32 v3, 0
	v_mov_b32_e32 v9, 1
	s_mov_b32 s19, 0
	s_branch .LBB60_7
.LBB60_6:                               ;   in Loop: Header=BB60_7 Depth=1
	s_or_b64 exec, exec, s[4:5]
	s_add_i32 s19, s19, 4
	s_add_i32 s17, s17, s14
	s_cmp_eq_u32 s7, s19
	v_add_u32_e32 v4, 0x400, v4
	s_cbranch_scc1 .LBB60_19
.LBB60_7:                               ; =>This Inner Loop Header: Depth=1
	v_add_u32_e32 v2, 0xfffffd00, v4
	v_cmp_gt_u32_e64 s[0:1], s12, v2
	s_and_saveexec_b64 s[4:5], s[0:1]
	s_cbranch_execz .LBB60_10
; %bb.8:                                ;   in Loop: Header=BB60_7 Depth=1
	v_add_u32_e32 v2, s17, v8
	v_lshlrev_b64 v[10:11], 1, v[2:3]
	v_mov_b32_e32 v2, s8
	v_add_co_u32_e64 v10, s[0:1], s6, v10
	v_addc_co_u32_e64 v11, s[0:1], v2, v11, s[0:1]
	global_load_sshort v2, v[10:11], off
	s_waitcnt vmcnt(0)
	v_add_u32_e32 v2, 0x8000, v2
	v_xor_b32_e32 v10, s10, v2
	v_and_b32_e32 v10, s11, v10
	v_cmp_eq_u32_e64 s[0:1], 0, v10
	s_and_b64 exec, exec, s[0:1]
	s_cbranch_execz .LBB60_10
; %bb.9:                                ;   in Loop: Header=BB60_7 Depth=1
	v_bfe_u32 v2, v2, s9, 8
	v_lshlrev_b32_e32 v2, 2, v2
	ds_add_u32 v2, v9
.LBB60_10:                              ;   in Loop: Header=BB60_7 Depth=1
	s_or_b64 exec, exec, s[4:5]
	v_add_u32_e32 v2, 0xfffffe00, v4
	v_cmp_gt_u32_e64 s[0:1], s12, v2
	s_and_saveexec_b64 s[4:5], s[0:1]
	s_cbranch_execz .LBB60_13
; %bb.11:                               ;   in Loop: Header=BB60_7 Depth=1
	v_add_u32_e32 v2, s17, v7
	v_lshlrev_b64 v[10:11], 1, v[2:3]
	v_mov_b32_e32 v2, s8
	v_add_co_u32_e64 v10, s[0:1], s6, v10
	v_addc_co_u32_e64 v11, s[0:1], v2, v11, s[0:1]
	global_load_sshort v2, v[10:11], off
	s_waitcnt vmcnt(0)
	v_add_u32_e32 v2, 0x8000, v2
	v_xor_b32_e32 v10, s10, v2
	v_and_b32_e32 v10, s11, v10
	v_cmp_eq_u32_e64 s[0:1], 0, v10
	s_and_b64 exec, exec, s[0:1]
	s_cbranch_execz .LBB60_13
; %bb.12:                               ;   in Loop: Header=BB60_7 Depth=1
	v_bfe_u32 v2, v2, s9, 8
	v_lshlrev_b32_e32 v2, 2, v2
	ds_add_u32 v2, v9
.LBB60_13:                              ;   in Loop: Header=BB60_7 Depth=1
	s_or_b64 exec, exec, s[4:5]
	v_add_u32_e32 v2, 0xffffff00, v4
	v_cmp_gt_u32_e64 s[0:1], s12, v2
	s_and_saveexec_b64 s[4:5], s[0:1]
	s_cbranch_execz .LBB60_16
; %bb.14:                               ;   in Loop: Header=BB60_7 Depth=1
	v_add_u32_e32 v2, s17, v6
	v_lshlrev_b64 v[10:11], 1, v[2:3]
	v_mov_b32_e32 v2, s8
	v_add_co_u32_e64 v10, s[0:1], s6, v10
	v_addc_co_u32_e64 v11, s[0:1], v2, v11, s[0:1]
	global_load_sshort v2, v[10:11], off
	s_waitcnt vmcnt(0)
	v_add_u32_e32 v2, 0x8000, v2
	v_xor_b32_e32 v10, s10, v2
	v_and_b32_e32 v10, s11, v10
	v_cmp_eq_u32_e64 s[0:1], 0, v10
	s_and_b64 exec, exec, s[0:1]
	s_cbranch_execz .LBB60_16
; %bb.15:                               ;   in Loop: Header=BB60_7 Depth=1
	v_bfe_u32 v2, v2, s9, 8
	v_lshlrev_b32_e32 v2, 2, v2
	ds_add_u32 v2, v9
.LBB60_16:                              ;   in Loop: Header=BB60_7 Depth=1
	s_or_b64 exec, exec, s[4:5]
	v_cmp_gt_u32_e64 s[0:1], s12, v4
	s_and_saveexec_b64 s[4:5], s[0:1]
	s_cbranch_execz .LBB60_6
; %bb.17:                               ;   in Loop: Header=BB60_7 Depth=1
	v_add_u32_e32 v2, s17, v5
	v_lshlrev_b64 v[10:11], 1, v[2:3]
	v_mov_b32_e32 v2, s8
	v_add_co_u32_e64 v10, s[0:1], s6, v10
	v_addc_co_u32_e64 v11, s[0:1], v2, v11, s[0:1]
	global_load_sshort v2, v[10:11], off
	s_waitcnt vmcnt(0)
	v_add_u32_e32 v2, 0x8000, v2
	v_xor_b32_e32 v10, s10, v2
	v_and_b32_e32 v10, s11, v10
	v_cmp_eq_u32_e64 s[0:1], 0, v10
	s_and_b64 exec, exec, s[0:1]
	s_cbranch_execz .LBB60_6
; %bb.18:                               ;   in Loop: Header=BB60_7 Depth=1
	v_bfe_u32 v2, v2, s9, 8
	v_lshlrev_b32_e32 v2, 2, v2
	ds_add_u32 v2, v9
	s_branch .LBB60_6
.LBB60_19:
	s_and_b32 s14, s15, 3
	s_cmp_eq_u32 s14, 0
	s_cbranch_scc1 .LBB60_25
; %bb.20:
	s_lshl_b32 s0, s7, 8
	s_add_i32 s0, s0, s16
	v_add_u32_e32 v4, s0, v0
	v_mul_lo_u32 v2, s13, v4
	s_lshl_b32 s7, s13, 8
	v_mov_b32_e32 v3, 0
	v_mov_b32_e32 v5, 1
	s_branch .LBB60_22
.LBB60_21:                              ;   in Loop: Header=BB60_22 Depth=1
	s_or_b64 exec, exec, s[4:5]
	s_add_i32 s14, s14, -1
	v_add_u32_e32 v2, s7, v2
	s_cmp_lg_u32 s14, 0
	v_add_u32_e32 v4, 0x100, v4
	s_cbranch_scc0 .LBB60_25
.LBB60_22:                              ; =>This Inner Loop Header: Depth=1
	v_cmp_gt_u32_e64 s[0:1], s12, v4
	s_and_saveexec_b64 s[4:5], s[0:1]
	s_cbranch_execz .LBB60_21
; %bb.23:                               ;   in Loop: Header=BB60_22 Depth=1
	v_lshlrev_b64 v[6:7], 1, v[2:3]
	v_mov_b32_e32 v8, s8
	v_add_co_u32_e64 v6, s[0:1], s6, v6
	v_addc_co_u32_e64 v7, s[0:1], v8, v7, s[0:1]
	global_load_sshort v6, v[6:7], off
	s_waitcnt vmcnt(0)
	v_add_u32_e32 v6, 0x8000, v6
	v_xor_b32_e32 v7, s10, v6
	v_and_b32_e32 v7, s11, v7
	v_cmp_eq_u32_e64 s[0:1], 0, v7
	s_and_b64 exec, exec, s[0:1]
	s_cbranch_execz .LBB60_21
; %bb.24:                               ;   in Loop: Header=BB60_22 Depth=1
	v_bfe_u32 v6, v6, s9, 8
	v_lshlrev_b32_e32 v6, 2, v6
	ds_add_u32 v6, v5
	s_branch .LBB60_21
.LBB60_25:
	v_mov_b32_e32 v2, 0
	s_waitcnt lgkmcnt(0)
	s_barrier
	s_and_saveexec_b64 s[0:1], vcc
	s_cbranch_execz .LBB60_27
; %bb.26:
	ds_read_b32 v2, v1
.LBB60_27:
	s_or_b64 exec, exec, s[0:1]
	s_and_saveexec_b64 s[0:1], vcc
	s_cbranch_execz .LBB60_29
; %bb.28:
	v_lshl_or_b32 v0, s18, 8, v0
	v_mov_b32_e32 v1, 0
	v_lshlrev_b64 v[0:1], 1, v[0:1]
	v_mov_b32_e32 v3, s3
	v_add_co_u32_e32 v0, vcc, s2, v0
	v_addc_co_u32_e32 v1, vcc, v3, v1, vcc
	s_waitcnt lgkmcnt(0)
	global_store_short v[0:1], v2, off
.LBB60_29:
	s_endpgm
	.section	.rodata,"a",@progbits
	.p2align	6, 0x0
	.amdhsa_kernel _ZN2at6native6mbtopk23computeBlockDigitCountsIsjjLi3EEEvNS_4cuda6detail10TensorInfoIKT_T0_EEjPjjS8_iijT1_PSB_Ps
		.amdhsa_group_segment_fixed_size 1024
		.amdhsa_private_segment_fixed_size 0
		.amdhsa_kernarg_size 528
		.amdhsa_user_sgpr_count 6
		.amdhsa_user_sgpr_private_segment_buffer 1
		.amdhsa_user_sgpr_dispatch_ptr 0
		.amdhsa_user_sgpr_queue_ptr 0
		.amdhsa_user_sgpr_kernarg_segment_ptr 1
		.amdhsa_user_sgpr_dispatch_id 0
		.amdhsa_user_sgpr_flat_scratch_init 0
		.amdhsa_user_sgpr_kernarg_preload_length 0
		.amdhsa_user_sgpr_kernarg_preload_offset 0
		.amdhsa_user_sgpr_private_segment_size 0
		.amdhsa_uses_dynamic_stack 0
		.amdhsa_system_sgpr_private_segment_wavefront_offset 0
		.amdhsa_system_sgpr_workgroup_id_x 1
		.amdhsa_system_sgpr_workgroup_id_y 1
		.amdhsa_system_sgpr_workgroup_id_z 1
		.amdhsa_system_sgpr_workgroup_info 0
		.amdhsa_system_vgpr_workitem_id 0
		.amdhsa_next_free_vgpr 12
		.amdhsa_next_free_sgpr 26
		.amdhsa_accum_offset 12
		.amdhsa_reserve_vcc 1
		.amdhsa_reserve_flat_scratch 0
		.amdhsa_float_round_mode_32 0
		.amdhsa_float_round_mode_16_64 0
		.amdhsa_float_denorm_mode_32 3
		.amdhsa_float_denorm_mode_16_64 3
		.amdhsa_dx10_clamp 1
		.amdhsa_ieee_mode 1
		.amdhsa_fp16_overflow 0
		.amdhsa_tg_split 0
		.amdhsa_exception_fp_ieee_invalid_op 0
		.amdhsa_exception_fp_denorm_src 0
		.amdhsa_exception_fp_ieee_div_zero 0
		.amdhsa_exception_fp_ieee_overflow 0
		.amdhsa_exception_fp_ieee_underflow 0
		.amdhsa_exception_fp_ieee_inexact 0
		.amdhsa_exception_int_div_zero 0
	.end_amdhsa_kernel
	.section	.text._ZN2at6native6mbtopk23computeBlockDigitCountsIsjjLi3EEEvNS_4cuda6detail10TensorInfoIKT_T0_EEjPjjS8_iijT1_PSB_Ps,"axG",@progbits,_ZN2at6native6mbtopk23computeBlockDigitCountsIsjjLi3EEEvNS_4cuda6detail10TensorInfoIKT_T0_EEjPjjS8_iijT1_PSB_Ps,comdat
.Lfunc_end60:
	.size	_ZN2at6native6mbtopk23computeBlockDigitCountsIsjjLi3EEEvNS_4cuda6detail10TensorInfoIKT_T0_EEjPjjS8_iijT1_PSB_Ps, .Lfunc_end60-_ZN2at6native6mbtopk23computeBlockDigitCountsIsjjLi3EEEvNS_4cuda6detail10TensorInfoIKT_T0_EEjPjjS8_iijT1_PSB_Ps
                                        ; -- End function
	.section	.AMDGPU.csdata,"",@progbits
; Kernel info:
; codeLenInByte = 1440
; NumSgprs: 30
; NumVgprs: 12
; NumAgprs: 0
; TotalNumVgprs: 12
; ScratchSize: 0
; MemoryBound: 0
; FloatMode: 240
; IeeeMode: 1
; LDSByteSize: 1024 bytes/workgroup (compile time only)
; SGPRBlocks: 3
; VGPRBlocks: 1
; NumSGPRsForWavesPerEU: 30
; NumVGPRsForWavesPerEU: 12
; AccumOffset: 12
; Occupancy: 8
; WaveLimiterHint : 1
; COMPUTE_PGM_RSRC2:SCRATCH_EN: 0
; COMPUTE_PGM_RSRC2:USER_SGPR: 6
; COMPUTE_PGM_RSRC2:TRAP_HANDLER: 0
; COMPUTE_PGM_RSRC2:TGID_X_EN: 1
; COMPUTE_PGM_RSRC2:TGID_Y_EN: 1
; COMPUTE_PGM_RSRC2:TGID_Z_EN: 1
; COMPUTE_PGM_RSRC2:TIDIG_COMP_CNT: 0
; COMPUTE_PGM_RSRC3_GFX90A:ACCUM_OFFSET: 2
; COMPUTE_PGM_RSRC3_GFX90A:TG_SPLIT: 0
	.section	.text._ZN2at6native6mbtopk10gatherTopKIsjLi3EEEvNS_4cuda6detail10TensorInfoIKT_T0_EES8_S8_bjS8_NS5_IS6_S8_EES8_NS5_IlS8_EES8_jjPS6_PjSD_j,"axG",@progbits,_ZN2at6native6mbtopk10gatherTopKIsjLi3EEEvNS_4cuda6detail10TensorInfoIKT_T0_EES8_S8_bjS8_NS5_IS6_S8_EES8_NS5_IlS8_EES8_jjPS6_PjSD_j,comdat
	.protected	_ZN2at6native6mbtopk10gatherTopKIsjLi3EEEvNS_4cuda6detail10TensorInfoIKT_T0_EES8_S8_bjS8_NS5_IS6_S8_EES8_NS5_IlS8_EES8_jjPS6_PjSD_j ; -- Begin function _ZN2at6native6mbtopk10gatherTopKIsjLi3EEEvNS_4cuda6detail10TensorInfoIKT_T0_EES8_S8_bjS8_NS5_IS6_S8_EES8_NS5_IlS8_EES8_jjPS6_PjSD_j
	.globl	_ZN2at6native6mbtopk10gatherTopKIsjLi3EEEvNS_4cuda6detail10TensorInfoIKT_T0_EES8_S8_bjS8_NS5_IS6_S8_EES8_NS5_IlS8_EES8_jjPS6_PjSD_j
	.p2align	8
	.type	_ZN2at6native6mbtopk10gatherTopKIsjLi3EEEvNS_4cuda6detail10TensorInfoIKT_T0_EES8_S8_bjS8_NS5_IS6_S8_EES8_NS5_IlS8_EES8_jjPS6_PjSD_j,@function
_ZN2at6native6mbtopk10gatherTopKIsjLi3EEEvNS_4cuda6detail10TensorInfoIKT_T0_EES8_S8_bjS8_NS5_IS6_S8_EES8_NS5_IlS8_EES8_jjPS6_PjSD_j: ; @_ZN2at6native6mbtopk10gatherTopKIsjLi3EEEvNS_4cuda6detail10TensorInfoIKT_T0_EES8_S8_bjS8_NS5_IS6_S8_EES8_NS5_IlS8_EES8_jjPS6_PjSD_j
; %bb.0:
	s_load_dwordx2 s[0:1], s[4:5], 0x2d8
	s_load_dword s2, s[4:5], 0x2d0
	s_waitcnt lgkmcnt(0)
	s_mul_i32 s1, s1, s8
	s_add_i32 s1, s1, s7
	s_mul_i32 s0, s1, s0
	s_add_i32 s0, s0, s6
	s_cmp_ge_u32 s0, s2
	s_cbranch_scc1 .LBB61_40
; %bb.1:
	s_load_dwordx8 s[8:15], s[4:5], 0x2a8
	s_load_dwordx2 s[36:37], s[4:5], 0xc
	s_load_dwordx2 s[40:41], s[4:5], 0xfc
	s_load_dwordx2 s[34:35], s[4:5], 0x1dc
	s_load_dwordx2 s[6:7], s[4:5], 0x1d0
	s_mov_b32 s39, 0
	s_waitcnt lgkmcnt(0)
	v_cvt_f32_u32_e32 v1, s10
	s_sub_i32 s1, 0, s10
	v_cvt_f32_u32_e32 v2, s37
	v_rcp_iflag_f32_e32 v1, v1
	v_rcp_iflag_f32_e32 v2, v2
	v_mul_f32_e32 v1, 0x4f7ffffe, v1
	v_cvt_u32_f32_e32 v1, v1
	v_mul_f32_e32 v2, 0x4f7ffffe, v2
	v_cvt_u32_f32_e32 v2, v2
	v_readfirstlane_b32 s2, v1
	s_mul_i32 s1, s1, s2
	s_mul_hi_u32 s1, s2, s1
	s_add_i32 s2, s2, s1
	s_mul_hi_u32 s1, s0, s2
	s_mul_i32 s2, s1, s10
	s_sub_i32 s2, s0, s2
	s_add_i32 s3, s1, 1
	s_sub_i32 s11, s2, s10
	s_cmp_ge_u32 s2, s10
	s_cselect_b32 s1, s3, s1
	s_cselect_b32 s2, s11, s2
	s_add_i32 s3, s1, 1
	s_cmp_ge_u32 s2, s10
	s_cselect_b32 s38, s3, s1
	v_cvt_f32_u32_e32 v1, s36
	s_mul_i32 s28, s38, s10
	s_sub_i32 s1, 0, s37
	s_sub_i32 s11, s0, s28
	v_readfirstlane_b32 s0, v2
	s_mul_i32 s1, s1, s0
	s_mul_hi_u32 s1, s0, s1
	v_rcp_iflag_f32_e32 v1, v1
	s_add_i32 s0, s0, s1
	v_cvt_f32_u32_e32 v2, s41
	s_mul_hi_u32 s0, s38, s0
	s_mul_i32 s1, s0, s37
	s_sub_i32 s1, s38, s1
	v_mul_f32_e32 v1, 0x4f7ffffe, v1
	s_add_i32 s2, s0, 1
	s_sub_i32 s3, s1, s37
	v_cvt_u32_f32_e32 v1, v1
	v_rcp_iflag_f32_e32 v2, v2
	s_cmp_ge_u32 s1, s37
	s_cselect_b32 s0, s2, s0
	s_cselect_b32 s1, s3, s1
	s_add_i32 s2, s0, 1
	s_cmp_ge_u32 s1, s37
	v_readfirstlane_b32 s1, v1
	v_mul_f32_e32 v1, 0x4f7ffffe, v2
	v_cvt_u32_f32_e32 v1, v1
	s_cselect_b32 s33, s2, s0
	s_sub_i32 s0, 0, s36
	s_mul_i32 s0, s0, s1
	s_mul_hi_u32 s0, s1, s0
	s_add_i32 s2, s1, s0
	v_readfirstlane_b32 s1, v1
	v_cvt_f32_u32_e32 v1, s40
	s_sub_i32 s0, 0, s41
	s_mul_i32 s0, s0, s1
	s_mul_hi_u32 s0, s1, s0
	v_rcp_iflag_f32_e32 v1, v1
	s_add_i32 s1, s1, s0
	v_cvt_f32_u32_e32 v2, s35
	s_mul_hi_u32 s0, s38, s1
	s_mul_i32 s1, s0, s41
	s_sub_i32 s1, s38, s1
	v_mul_f32_e32 v1, 0x4f7ffffe, v1
	s_add_i32 s3, s0, 1
	s_sub_i32 s16, s1, s41
	v_cvt_u32_f32_e32 v1, v1
	v_rcp_iflag_f32_e32 v2, v2
	s_cmp_ge_u32 s1, s41
	s_cselect_b32 s0, s3, s0
	s_cselect_b32 s1, s16, s1
	s_add_i32 s3, s0, 1
	s_cmp_ge_u32 s1, s41
	v_readfirstlane_b32 s1, v1
	v_mul_f32_e32 v1, 0x4f7ffffe, v2
	v_cvt_u32_f32_e32 v1, v1
	s_cselect_b32 s52, s3, s0
	s_sub_i32 s0, 0, s40
	s_mul_i32 s0, s0, s1
	s_mul_hi_u32 s0, s1, s0
	s_add_i32 s3, s1, s0
	v_readfirstlane_b32 s1, v1
	v_cvt_f32_u32_e32 v1, s34
	s_sub_i32 s0, 0, s35
	s_mul_i32 s0, s0, s1
	s_mul_hi_u32 s0, s1, s0
	s_add_i32 s1, s1, s0
	v_rcp_iflag_f32_e32 v1, v1
	s_mul_hi_u32 s0, s38, s1
	s_mul_i32 s1, s0, s35
	s_sub_i32 s1, s38, s1
	s_add_i32 s16, s0, 1
	s_sub_i32 s17, s1, s35
	v_mul_f32_e32 v1, 0x4f7ffffe, v1
	s_cmp_ge_u32 s1, s35
	v_cvt_u32_f32_e32 v1, v1
	s_cselect_b32 s0, s16, s0
	s_cselect_b32 s1, s17, s1
	s_add_i32 s16, s0, 1
	s_cmp_ge_u32 s1, s35
	s_cselect_b32 s53, s16, s0
	s_sub_i32 s0, 0, s34
	v_readfirstlane_b32 s1, v1
	s_mul_i32 s0, s0, s1
	s_mul_hi_u32 s0, s1, s0
	s_add_i32 s29, s1, s0
	s_lshl_b64 s[0:1], s[38:39], 1
	s_add_u32 s0, s12, s0
	s_addc_u32 s1, s13, s1
	v_mov_b32_e32 v1, 0
	global_load_ushort v5, v1, s[0:1]
	s_load_dwordx4 s[20:23], s[4:5], 0x15c
	s_load_dwordx2 s[44:45], s[4:5], 0x0
	s_load_dwordx4 s[16:19], s[4:5], 0x23c
	s_load_dwordx2 s[42:43], s[4:5], 0xf0
	s_load_dwordx4 s[24:27], s[4:5], 0x6c
	s_waitcnt lgkmcnt(0)
	s_mul_hi_u32 s27, s33, s2
	s_mul_hi_u32 s23, s52, s3
	;; [unrolled: 1-line block ×3, first 2 shown]
	v_cmp_ne_u32_e64 s[0:1], 0, v0
	v_cmp_eq_u32_e64 s[2:3], 0, v0
	s_and_saveexec_b64 s[12:13], s[2:3]
	s_cbranch_execz .LBB61_17
; %bb.2:
	s_load_dwordx2 s[46:47], s[4:5], 0x2c8
	s_mov_b32 s29, s39
	s_lshl_b64 s[48:49], s[28:29], 2
	s_add_u32 s28, s14, s48
	s_addc_u32 s29, s15, s49
	s_waitcnt lgkmcnt(0)
	s_add_u32 s30, s46, s48
	s_addc_u32 s31, s47, s49
	s_cmp_lt_u32 s10, 4
	s_cbranch_scc1 .LBB61_14
; %bb.3:
	s_mov_b32 s54, s39
	s_mov_b32 s55, s39
	s_mov_b32 s56, s39
.LBB61_4:                               ; =>This Inner Loop Header: Depth=1
	s_add_u32 s28, s14, s48
	s_addc_u32 s29, s15, s49
	s_load_dwordx4 s[28:31], s[28:29], 0x0
	s_add_u32 s50, s46, s48
	s_addc_u32 s51, s47, s49
	s_cmp_ge_u32 s56, s11
	s_cbranch_scc0 .LBB61_11
; %bb.5:                                ;   in Loop: Header=BB61_4 Depth=1
	s_add_i32 s57, s56, 1
	s_cmp_ge_u32 s57, s11
	s_cbranch_scc0 .LBB61_12
.LBB61_6:                               ;   in Loop: Header=BB61_4 Depth=1
	s_add_i32 s57, s57, 1
	s_cmp_ge_u32 s57, s11
	s_cbranch_scc0 .LBB61_13
.LBB61_7:                               ;   in Loop: Header=BB61_4 Depth=1
	s_add_i32 s57, s57, 1
	s_cmp_ge_u32 s57, s11
	s_cbranch_scc1 .LBB61_9
.LBB61_8:                               ;   in Loop: Header=BB61_4 Depth=1
	s_load_dword s50, s[50:51], 0xc
	s_waitcnt lgkmcnt(0)
	s_add_i32 s39, s39, s31
	s_add_i32 s54, s50, s54
.LBB61_9:                               ;   in Loop: Header=BB61_4 Depth=1
	s_waitcnt lgkmcnt(0)
	s_add_i32 s28, s28, s55
	s_add_i32 s28, s28, s29
	;; [unrolled: 1-line block ×4, first 2 shown]
	s_add_u32 s14, s14, 16
	s_addc_u32 s15, s15, 0
	s_add_u32 s46, s46, 16
	s_addc_u32 s47, s47, 0
	s_add_i32 s51, s57, 4
	s_add_u32 s30, s46, s48
	s_addc_u32 s31, s47, s49
	s_add_u32 s28, s14, s48
	s_addc_u32 s29, s15, s49
	s_add_i32 s50, s57, 1
	s_cmp_ge_u32 s51, s10
	s_cbranch_scc1 .LBB61_15
; %bb.10:                               ;   in Loop: Header=BB61_4 Depth=1
	s_mov_b32 s56, s50
	s_branch .LBB61_4
.LBB61_11:                              ;   in Loop: Header=BB61_4 Depth=1
	s_load_dword s57, s[50:51], 0x0
	s_waitcnt lgkmcnt(0)
	s_add_i32 s39, s28, s39
	s_add_i32 s54, s57, s54
	;; [unrolled: 1-line block ×3, first 2 shown]
	s_cmp_ge_u32 s57, s11
	s_cbranch_scc1 .LBB61_6
.LBB61_12:                              ;   in Loop: Header=BB61_4 Depth=1
	s_load_dword s58, s[50:51], 0x4
	s_waitcnt lgkmcnt(0)
	s_add_i32 s39, s39, s29
	s_add_i32 s54, s58, s54
	;; [unrolled: 1-line block ×3, first 2 shown]
	s_cmp_ge_u32 s57, s11
	s_cbranch_scc1 .LBB61_7
.LBB61_13:                              ;   in Loop: Header=BB61_4 Depth=1
	s_load_dword s58, s[50:51], 0x8
	s_waitcnt lgkmcnt(0)
	s_add_i32 s39, s39, s30
	s_add_i32 s54, s58, s54
	;; [unrolled: 1-line block ×3, first 2 shown]
	s_cmp_ge_u32 s57, s11
	s_cbranch_scc0 .LBB61_8
	s_branch .LBB61_9
.LBB61_14:
	s_mov_b32 s54, 0
	s_mov_b32 s55, 0
	;; [unrolled: 1-line block ×3, first 2 shown]
	s_cmp_ge_u32 s14, s10
	s_cbranch_scc0 .LBB61_38
	s_branch .LBB61_16
.LBB61_15:
	s_add_i32 s14, s56, 4
	s_cmp_ge_u32 s14, s10
	s_cbranch_scc0 .LBB61_38
.LBB61_16:
	v_mov_b32_e32 v2, s54
	v_mov_b32_e32 v3, s55
	;; [unrolled: 1-line block ×4, first 2 shown]
	ds_write_b96 v1, v[2:4] offset:1056
.LBB61_17:
	s_or_b64 exec, exec, s[12:13]
	s_load_dwordx4 s[12:15], s[4:5], 0xd8
	s_mul_i32 s28, s9, s11
	s_lshl_b32 s28, s28, 8
	s_waitcnt lgkmcnt(0)
	s_add_i32 s15, s11, 1
	s_mov_b32 s11, 0
	s_sub_i32 s29, s12, s28
	s_add_u32 s29, s29, 0xff
	s_addc_u32 s30, 0, 0
	v_mov_b32_e32 v1, s29
	v_alignbit_b32 v1, s30, v1, 8
	s_cmp_lt_u32 s15, s10
	v_readfirstlane_b32 s10, v1
	s_cselect_b32 s9, s9, s10
	s_cmp_eq_u32 s9, 0
	s_barrier
	s_cbranch_scc1 .LBB61_40
; %bb.18:
	s_mul_i32 s10, s33, s37
	s_mul_i32 s15, s27, s36
	s_sub_i32 s10, s38, s10
	s_sub_i32 s15, s33, s15
	s_mul_i32 s10, s10, s26
	s_add_i32 s26, s27, 1
	s_sub_i32 s29, s15, s36
	s_cmp_ge_u32 s15, s36
	s_cselect_b32 s26, s26, s27
	s_cselect_b32 s15, s29, s15
	s_add_i32 s27, s26, 1
	s_cmp_ge_u32 s15, s36
	s_cselect_b32 s15, s27, s26
	s_mul_i32 s26, s15, s36
	s_sub_i32 s26, s33, s26
	s_mul_i32 s25, s26, s25
	s_add_i32 s10, s25, s10
	s_mul_i32 s15, s15, s24
	s_add_i32 s10, s10, s15
	s_mul_i32 s15, s52, s41
	s_sub_i32 s15, s38, s15
	s_mul_i32 s15, s15, s22
	s_mul_i32 s22, s23, s40
	s_sub_i32 s22, s52, s22
	s_add_i32 s24, s23, 1
	s_sub_i32 s25, s22, s40
	s_cmp_ge_u32 s22, s40
	s_cselect_b32 s23, s24, s23
	s_cselect_b32 s22, s25, s22
	s_add_i32 s24, s23, 1
	s_cmp_ge_u32 s22, s40
	s_cselect_b32 s22, s24, s23
	s_mul_i32 s23, s22, s40
	s_sub_i32 s23, s52, s23
	s_mul_i32 s21, s23, s21
	s_add_i32 s15, s21, s15
	s_mul_i32 s22, s22, s20
	s_add_i32 s20, s15, s22
	s_mul_i32 s15, s53, s35
	s_sub_i32 s15, s38, s15
	s_mul_i32 s15, s15, s18
	s_mul_i32 s18, s19, s34
	s_sub_i32 s18, s53, s18
	s_add_i32 s21, s19, 1
	s_sub_i32 s22, s18, s34
	s_cmp_ge_u32 s18, s34
	s_cselect_b32 s19, s21, s19
	s_cselect_b32 s18, s22, s18
	s_add_i32 s21, s19, 1
	s_cmp_ge_u32 s18, s34
	s_cselect_b32 s18, s21, s19
	s_mul_i32 s19, s18, s34
	s_sub_i32 s19, s53, s19
	s_mul_i32 s17, s19, s17
	s_add_i32 s15, s17, s15
	s_mul_i32 s18, s18, s16
	v_mov_b32_e32 v1, 0
	s_add_i32 s22, s15, s18
	s_lshl_b64 s[16:17], s[10:11], 1
	ds_read_b96 v[2:4], v1 offset:1056
	s_add_u32 s15, s44, s16
	s_mov_b32 s21, s11
	s_addc_u32 s16, s45, s17
	s_lshl_b64 s[18:19], s[20:21], 1
	s_add_u32 s17, s42, s18
	s_mov_b32 s23, s11
	s_addc_u32 s18, s43, s19
	s_lshl_b64 s[10:11], s[22:23], 3
	s_add_u32 s19, s6, s10
	s_waitcnt lgkmcnt(0)
	v_add_u32_e32 v7, v2, v3
	v_lshrrev_b32_e32 v2, 5, v0
	s_addc_u32 s20, s7, s11
	v_add_lshl_u32 v8, v2, v0, 2
	v_lshlrev_b32_e32 v2, 2, v0
	v_lshrrev_b32_e32 v3, 3, v0
	s_bitcmp1_b32 s14, 0
	s_load_dword s10, s[4:5], 0xe8
	s_load_dword s14, s[4:5], 0x1c8
	v_add_lshl_u32 v9, v3, v2, 2
	v_add_u32_e32 v2, -1, v0
	v_lshrrev_b32_e32 v3, 5, v2
	v_add_lshl_u32 v10, v3, v2, 2
	v_mbcnt_lo_u32_b32 v3, -1, 0
	s_mov_b32 s21, 0x8000
	v_add_u32_e32 v2, s28, v0
	v_mbcnt_hi_u32_b32 v11, -1, v3
	s_waitcnt vmcnt(0)
	v_add_u32_sdwa v6, sext(v5), s21 dst_sel:DWORD dst_unused:UNUSED_PAD src0_sel:WORD_0 src1_sel:DWORD
	s_cselect_b64 s[6:7], -1, 0
	v_cmp_gt_u32_e64 s[4:5], 64, v0
	s_waitcnt lgkmcnt(0)
	v_mul_lo_u32 v0, s10, v2
	s_lshl_b32 s22, s10, 8
	v_and_b32_e32 v12, 15, v11
	v_bfe_i32 v13, v11, 4, 1
	v_add_u32_e32 v14, -1, v11
	v_and_b32_e32 v15, 64, v11
                                        ; implicit-def: $vgpr16
	s_branch .LBB61_21
.LBB61_19:                              ;   in Loop: Header=BB61_21 Depth=1
	s_or_b64 exec, exec, s[10:11]
	v_add_u32_e32 v7, v19, v7
.LBB61_20:                              ;   in Loop: Header=BB61_21 Depth=1
	s_add_i32 s9, s9, -1
	v_add_u32_e32 v4, v18, v4
	v_add_u32_e32 v0, s22, v0
	s_cmp_lg_u32 s9, 0
	v_add_u32_e32 v2, 0x100, v2
	s_cbranch_scc0 .LBB61_40
.LBB61_21:                              ; =>This Inner Loop Header: Depth=1
	v_cmp_gt_u32_e32 vcc, s12, v2
	v_mov_b32_e32 v3, 0
	v_mov_b32_e32 v17, 0
	s_and_saveexec_b64 s[10:11], vcc
	s_cbranch_execz .LBB61_23
; %bb.22:                               ;   in Loop: Header=BB61_21 Depth=1
	v_lshlrev_b64 v[16:17], 1, v[0:1]
	v_mov_b32_e32 v3, s16
	v_add_co_u32_e32 v16, vcc, s15, v16
	v_addc_co_u32_e32 v17, vcc, v3, v17, vcc
	global_load_ushort v16, v[16:17], off
	s_waitcnt vmcnt(0)
	v_add_u32_sdwa v3, sext(v16), s21 dst_sel:DWORD dst_unused:UNUSED_PAD src0_sel:WORD_0 src1_sel:DWORD
	v_cmp_gt_u32_e32 vcc, v3, v6
	v_cndmask_b32_e64 v17, 0, 1, vcc
	v_cmp_lt_u32_e32 vcc, v3, v6
	v_cndmask_b32_e64 v3, 0, 1, vcc
	v_cndmask_b32_e64 v3, v3, v17, s[6:7]
	v_cmp_eq_u16_e32 vcc, v16, v5
	v_and_b32_e32 v3, 1, v3
	v_cndmask_b32_e64 v17, 0, 1, vcc
.LBB61_23:                              ;   in Loop: Header=BB61_21 Depth=1
	s_or_b64 exec, exec, s[10:11]
	ds_write_b32 v8, v3
	s_waitcnt lgkmcnt(0)
	s_barrier
	s_and_saveexec_b64 s[10:11], s[4:5]
	s_cbranch_execz .LBB61_25
; %bb.24:                               ;   in Loop: Header=BB61_21 Depth=1
	ds_read2_b32 v[18:19], v9 offset1:1
	ds_read2_b32 v[20:21], v9 offset0:2 offset1:3
	v_cmp_ne_u32_e32 vcc, 0, v12
	; wave barrier
	s_waitcnt lgkmcnt(1)
	v_add_u32_e32 v19, v19, v18
	s_waitcnt lgkmcnt(0)
	v_add3_u32 v19, v19, v20, v21
	s_nop 1
	v_mov_b32_dpp v20, v19 row_shr:1 row_mask:0xf bank_mask:0xf
	v_cndmask_b32_e32 v20, 0, v20, vcc
	v_add_u32_e32 v19, v20, v19
	v_cmp_lt_u32_e32 vcc, 1, v12
	s_nop 0
	v_mov_b32_dpp v20, v19 row_shr:2 row_mask:0xf bank_mask:0xf
	v_cndmask_b32_e32 v20, 0, v20, vcc
	v_add_u32_e32 v19, v19, v20
	v_cmp_lt_u32_e32 vcc, 3, v12
	;; [unrolled: 5-line block ×4, first 2 shown]
	s_nop 0
	v_mov_b32_dpp v20, v19 row_bcast:15 row_mask:0xf bank_mask:0xf
	v_and_b32_e32 v20, v13, v20
	v_add_u32_e32 v19, v19, v20
	s_nop 1
	v_mov_b32_dpp v20, v19 row_bcast:31 row_mask:0xf bank_mask:0xf
	v_cndmask_b32_e32 v20, 0, v20, vcc
	v_cmp_lt_i32_e32 vcc, v14, v15
	v_add_u32_e32 v19, v19, v20
	v_cndmask_b32_e32 v20, v14, v11, vcc
	v_lshlrev_b32_e32 v20, 2, v20
	ds_bpermute_b32 v19, v20, v19
	s_waitcnt lgkmcnt(0)
	v_add_u32_e32 v18, v19, v18
	v_cndmask_b32_e64 v20, v18, v3, s[2:3]
	ds_write_b32 v9, v20
	; wave barrier
	ds_read2_b32 v[18:19], v9 offset0:1 offset1:2
	ds_read_b32 v21, v9 offset:12
	s_waitcnt lgkmcnt(1)
	v_add_u32_e32 v18, v18, v20
	v_add_u32_e32 v19, v19, v18
	ds_write2_b32 v9, v18, v19 offset0:1 offset1:2
	s_waitcnt lgkmcnt(1)
	v_add_u32_e32 v18, v21, v19
	ds_write_b32 v9, v18 offset:12
.LBB61_25:                              ;   in Loop: Header=BB61_21 Depth=1
	s_or_b64 exec, exec, s[10:11]
	v_mov_b32_e32 v19, 0
	s_waitcnt lgkmcnt(0)
	s_barrier
	s_and_saveexec_b64 s[10:11], s[0:1]
	s_cbranch_execz .LBB61_27
; %bb.26:                               ;   in Loop: Header=BB61_21 Depth=1
	ds_read_b32 v19, v10
.LBB61_27:                              ;   in Loop: Header=BB61_21 Depth=1
	s_or_b64 exec, exec, s[10:11]
	ds_read_b32 v18, v1 offset:1048
	v_cmp_ne_u32_e32 vcc, 0, v3
	s_waitcnt lgkmcnt(0)
	s_barrier
	s_and_saveexec_b64 s[10:11], vcc
	s_cbranch_execz .LBB61_29
; %bb.28:                               ;   in Loop: Header=BB61_21 Depth=1
	v_add_u32_e32 v19, v19, v4
	v_mul_lo_u32 v20, v19, s14
	v_mov_b32_e32 v21, v1
	v_lshlrev_b64 v[20:21], 1, v[20:21]
	v_mov_b32_e32 v3, s18
	v_add_co_u32_e32 v20, vcc, s17, v20
	v_addc_co_u32_e32 v21, vcc, v3, v21, vcc
	global_store_short v[20:21], v16, off
	v_mul_lo_u32 v20, v19, s8
	v_mov_b32_e32 v21, v1
	v_lshlrev_b64 v[20:21], 3, v[20:21]
	v_mov_b32_e32 v19, s20
	v_add_co_u32_e32 v20, vcc, s19, v20
	v_mov_b32_e32 v3, v1
	v_addc_co_u32_e32 v21, vcc, v19, v21, vcc
	global_store_dwordx2 v[20:21], v[2:3], off
.LBB61_29:                              ;   in Loop: Header=BB61_21 Depth=1
	s_or_b64 exec, exec, s[10:11]
	v_cmp_le_u32_e32 vcc, s13, v7
	s_cbranch_vccnz .LBB61_20
; %bb.30:                               ;   in Loop: Header=BB61_21 Depth=1
	ds_write_b32 v8, v17
	s_waitcnt lgkmcnt(0)
	s_barrier
	s_and_saveexec_b64 s[10:11], s[4:5]
	s_cbranch_execz .LBB61_32
; %bb.31:                               ;   in Loop: Header=BB61_21 Depth=1
	ds_read2_b32 v[20:21], v9 offset1:1
	ds_read2_b32 v[22:23], v9 offset0:2 offset1:3
	v_cmp_ne_u32_e32 vcc, 0, v12
	; wave barrier
	s_waitcnt lgkmcnt(1)
	v_add_u32_e32 v3, v21, v20
	s_waitcnt lgkmcnt(0)
	v_add3_u32 v3, v3, v22, v23
	s_nop 1
	v_mov_b32_dpp v19, v3 row_shr:1 row_mask:0xf bank_mask:0xf
	v_cndmask_b32_e32 v19, 0, v19, vcc
	v_add_u32_e32 v3, v19, v3
	v_cmp_lt_u32_e32 vcc, 1, v12
	s_nop 0
	v_mov_b32_dpp v19, v3 row_shr:2 row_mask:0xf bank_mask:0xf
	v_cndmask_b32_e32 v19, 0, v19, vcc
	v_add_u32_e32 v3, v3, v19
	v_cmp_lt_u32_e32 vcc, 3, v12
	;; [unrolled: 5-line block ×4, first 2 shown]
	s_nop 0
	v_mov_b32_dpp v19, v3 row_bcast:15 row_mask:0xf bank_mask:0xf
	v_and_b32_e32 v19, v13, v19
	v_add_u32_e32 v3, v3, v19
	s_nop 1
	v_mov_b32_dpp v19, v3 row_bcast:31 row_mask:0xf bank_mask:0xf
	v_cndmask_b32_e32 v19, 0, v19, vcc
	v_cmp_lt_i32_e32 vcc, v14, v15
	v_add_u32_e32 v3, v3, v19
	v_cndmask_b32_e32 v19, v14, v11, vcc
	v_lshlrev_b32_e32 v19, 2, v19
	ds_bpermute_b32 v3, v19, v3
	s_waitcnt lgkmcnt(0)
	v_add_u32_e32 v3, v3, v20
	v_cndmask_b32_e64 v3, v3, v17, s[2:3]
	ds_write_b32 v9, v3
	; wave barrier
	ds_read2_b32 v[20:21], v9 offset0:1 offset1:2
	ds_read_b32 v19, v9 offset:12
	s_waitcnt lgkmcnt(1)
	v_add_u32_e32 v3, v20, v3
	v_add_u32_e32 v20, v21, v3
	ds_write2_b32 v9, v3, v20 offset0:1 offset1:2
	s_waitcnt lgkmcnt(1)
	v_add_u32_e32 v3, v19, v20
	ds_write_b32 v9, v3 offset:12
.LBB61_32:                              ;   in Loop: Header=BB61_21 Depth=1
	s_or_b64 exec, exec, s[10:11]
	v_mov_b32_e32 v3, 0
	s_waitcnt lgkmcnt(0)
	s_barrier
	s_and_saveexec_b64 s[10:11], s[0:1]
	s_cbranch_execz .LBB61_34
; %bb.33:                               ;   in Loop: Header=BB61_21 Depth=1
	ds_read_b32 v3, v10
.LBB61_34:                              ;   in Loop: Header=BB61_21 Depth=1
	s_or_b64 exec, exec, s[10:11]
	ds_read_b32 v19, v1 offset:1048
	v_cmp_ne_u32_e32 vcc, 0, v17
	s_waitcnt lgkmcnt(0)
	s_barrier
	s_and_saveexec_b64 s[10:11], vcc
	s_cbranch_execz .LBB61_19
; %bb.35:                               ;   in Loop: Header=BB61_21 Depth=1
	v_add_u32_e32 v17, v3, v7
	v_cmp_gt_u32_e32 vcc, s13, v17
	s_and_b64 exec, exec, vcc
	s_cbranch_execz .LBB61_19
; %bb.36:                               ;   in Loop: Header=BB61_21 Depth=1
	v_mul_lo_u32 v20, v17, s14
	v_mov_b32_e32 v21, v1
	v_lshlrev_b64 v[20:21], 1, v[20:21]
	v_mov_b32_e32 v3, s18
	v_add_co_u32_e32 v20, vcc, s17, v20
	v_addc_co_u32_e32 v21, vcc, v3, v21, vcc
	global_store_short v[20:21], v16, off
	v_mul_lo_u32 v20, v17, s8
	v_mov_b32_e32 v21, v1
	v_lshlrev_b64 v[20:21], 3, v[20:21]
	v_mov_b32_e32 v17, s20
	v_add_co_u32_e32 v20, vcc, s19, v20
	v_mov_b32_e32 v3, v1
	v_addc_co_u32_e32 v21, vcc, v17, v21, vcc
	global_store_dwordx2 v[20:21], v[2:3], off
	s_branch .LBB61_19
.LBB61_37:                              ;   in Loop: Header=BB61_38 Depth=1
	s_add_u32 s28, s28, 4
	s_addc_u32 s29, s29, 0
	s_waitcnt lgkmcnt(0)
	s_add_i32 s55, s15, s55
	s_add_u32 s30, s30, 4
	s_addc_u32 s31, s31, 0
	s_add_i32 s14, s14, 1
	s_cmp_lt_u32 s14, s10
	s_cbranch_scc0 .LBB61_16
.LBB61_38:                              ; =>This Inner Loop Header: Depth=1
	s_load_dword s15, s[28:29], 0x0
	s_cmp_ge_u32 s14, s11
	s_cbranch_scc1 .LBB61_37
; %bb.39:                               ;   in Loop: Header=BB61_38 Depth=1
	s_load_dword s46, s[30:31], 0x0
	s_waitcnt lgkmcnt(0)
	s_add_i32 s39, s15, s39
	s_add_i32 s54, s46, s54
	s_branch .LBB61_37
.LBB61_40:
	s_endpgm
	.section	.rodata,"a",@progbits
	.p2align	6, 0x0
	.amdhsa_kernel _ZN2at6native6mbtopk10gatherTopKIsjLi3EEEvNS_4cuda6detail10TensorInfoIKT_T0_EES8_S8_bjS8_NS5_IS6_S8_EES8_NS5_IlS8_EES8_jjPS6_PjSD_j
		.amdhsa_group_segment_fixed_size 1068
		.amdhsa_private_segment_fixed_size 0
		.amdhsa_kernarg_size 984
		.amdhsa_user_sgpr_count 6
		.amdhsa_user_sgpr_private_segment_buffer 1
		.amdhsa_user_sgpr_dispatch_ptr 0
		.amdhsa_user_sgpr_queue_ptr 0
		.amdhsa_user_sgpr_kernarg_segment_ptr 1
		.amdhsa_user_sgpr_dispatch_id 0
		.amdhsa_user_sgpr_flat_scratch_init 0
		.amdhsa_user_sgpr_kernarg_preload_length 0
		.amdhsa_user_sgpr_kernarg_preload_offset 0
		.amdhsa_user_sgpr_private_segment_size 0
		.amdhsa_uses_dynamic_stack 0
		.amdhsa_system_sgpr_private_segment_wavefront_offset 0
		.amdhsa_system_sgpr_workgroup_id_x 1
		.amdhsa_system_sgpr_workgroup_id_y 1
		.amdhsa_system_sgpr_workgroup_id_z 1
		.amdhsa_system_sgpr_workgroup_info 0
		.amdhsa_system_vgpr_workitem_id 0
		.amdhsa_next_free_vgpr 24
		.amdhsa_next_free_sgpr 59
		.amdhsa_accum_offset 24
		.amdhsa_reserve_vcc 1
		.amdhsa_reserve_flat_scratch 0
		.amdhsa_float_round_mode_32 0
		.amdhsa_float_round_mode_16_64 0
		.amdhsa_float_denorm_mode_32 3
		.amdhsa_float_denorm_mode_16_64 3
		.amdhsa_dx10_clamp 1
		.amdhsa_ieee_mode 1
		.amdhsa_fp16_overflow 0
		.amdhsa_tg_split 0
		.amdhsa_exception_fp_ieee_invalid_op 0
		.amdhsa_exception_fp_denorm_src 0
		.amdhsa_exception_fp_ieee_div_zero 0
		.amdhsa_exception_fp_ieee_overflow 0
		.amdhsa_exception_fp_ieee_underflow 0
		.amdhsa_exception_fp_ieee_inexact 0
		.amdhsa_exception_int_div_zero 0
	.end_amdhsa_kernel
	.section	.text._ZN2at6native6mbtopk10gatherTopKIsjLi3EEEvNS_4cuda6detail10TensorInfoIKT_T0_EES8_S8_bjS8_NS5_IS6_S8_EES8_NS5_IlS8_EES8_jjPS6_PjSD_j,"axG",@progbits,_ZN2at6native6mbtopk10gatherTopKIsjLi3EEEvNS_4cuda6detail10TensorInfoIKT_T0_EES8_S8_bjS8_NS5_IS6_S8_EES8_NS5_IlS8_EES8_jjPS6_PjSD_j,comdat
.Lfunc_end61:
	.size	_ZN2at6native6mbtopk10gatherTopKIsjLi3EEEvNS_4cuda6detail10TensorInfoIKT_T0_EES8_S8_bjS8_NS5_IS6_S8_EES8_NS5_IlS8_EES8_jjPS6_PjSD_j, .Lfunc_end61-_ZN2at6native6mbtopk10gatherTopKIsjLi3EEEvNS_4cuda6detail10TensorInfoIKT_T0_EES8_S8_bjS8_NS5_IS6_S8_EES8_NS5_IlS8_EES8_jjPS6_PjSD_j
                                        ; -- End function
	.section	.AMDGPU.csdata,"",@progbits
; Kernel info:
; codeLenInByte = 2724
; NumSgprs: 63
; NumVgprs: 24
; NumAgprs: 0
; TotalNumVgprs: 24
; ScratchSize: 0
; MemoryBound: 0
; FloatMode: 240
; IeeeMode: 1
; LDSByteSize: 1068 bytes/workgroup (compile time only)
; SGPRBlocks: 7
; VGPRBlocks: 2
; NumSGPRsForWavesPerEU: 63
; NumVGPRsForWavesPerEU: 24
; AccumOffset: 24
; Occupancy: 8
; WaveLimiterHint : 1
; COMPUTE_PGM_RSRC2:SCRATCH_EN: 0
; COMPUTE_PGM_RSRC2:USER_SGPR: 6
; COMPUTE_PGM_RSRC2:TRAP_HANDLER: 0
; COMPUTE_PGM_RSRC2:TGID_X_EN: 1
; COMPUTE_PGM_RSRC2:TGID_Y_EN: 1
; COMPUTE_PGM_RSRC2:TGID_Z_EN: 1
; COMPUTE_PGM_RSRC2:TIDIG_COMP_CNT: 0
; COMPUTE_PGM_RSRC3_GFX90A:ACCUM_OFFSET: 5
; COMPUTE_PGM_RSRC3_GFX90A:TG_SPLIT: 0
	.section	.text._ZN2at6native6sbtopk10gatherTopKIsjLi3ELb0EEEvNS_4cuda6detail10TensorInfoIKT_T0_EES8_S8_bS8_S8_NS5_IS6_S8_EES8_NS5_IlS8_EES8_PS6_,"axG",@progbits,_ZN2at6native6sbtopk10gatherTopKIsjLi3ELb0EEEvNS_4cuda6detail10TensorInfoIKT_T0_EES8_S8_bS8_S8_NS5_IS6_S8_EES8_NS5_IlS8_EES8_PS6_,comdat
	.protected	_ZN2at6native6sbtopk10gatherTopKIsjLi3ELb0EEEvNS_4cuda6detail10TensorInfoIKT_T0_EES8_S8_bS8_S8_NS5_IS6_S8_EES8_NS5_IlS8_EES8_PS6_ ; -- Begin function _ZN2at6native6sbtopk10gatherTopKIsjLi3ELb0EEEvNS_4cuda6detail10TensorInfoIKT_T0_EES8_S8_bS8_S8_NS5_IS6_S8_EES8_NS5_IlS8_EES8_PS6_
	.globl	_ZN2at6native6sbtopk10gatherTopKIsjLi3ELb0EEEvNS_4cuda6detail10TensorInfoIKT_T0_EES8_S8_bS8_S8_NS5_IS6_S8_EES8_NS5_IlS8_EES8_PS6_
	.p2align	8
	.type	_ZN2at6native6sbtopk10gatherTopKIsjLi3ELb0EEEvNS_4cuda6detail10TensorInfoIKT_T0_EES8_S8_bS8_S8_NS5_IS6_S8_EES8_NS5_IlS8_EES8_PS6_,@function
_ZN2at6native6sbtopk10gatherTopKIsjLi3ELb0EEEvNS_4cuda6detail10TensorInfoIKT_T0_EES8_S8_bS8_S8_NS5_IS6_S8_EES8_NS5_IlS8_EES8_PS6_: ; @_ZN2at6native6sbtopk10gatherTopKIsjLi3ELb0EEEvNS_4cuda6detail10TensorInfoIKT_T0_EES8_S8_bS8_S8_NS5_IS6_S8_EES8_NS5_IlS8_EES8_PS6_
; %bb.0:
	s_load_dwordx2 s[12:13], s[4:5], 0x2b8
	s_load_dwordx4 s[60:63], s[4:5], 0xd8
	s_add_u32 s10, s4, 0x2b8
	s_addc_u32 s11, s5, 0
	s_waitcnt lgkmcnt(0)
	s_mul_i32 s0, s13, s8
	s_add_i32 s0, s0, s7
	s_mul_i32 s0, s0, s12
	s_add_i32 s20, s0, s6
	s_cmp_ge_u32 s20, s63
	s_cbranch_scc1 .LBB62_411
; %bb.1:
	s_load_dwordx4 s[0:3], s[4:5], 0x23c
                                        ; implicit-def: $vgpr53 : SGPR spill to VGPR lane
	s_load_dwordx2 s[16:17], s[4:5], 0xc
	s_load_dwordx2 s[14:15], s[4:5], 0x0
	s_mov_b32 s24, 0
	s_load_dword s13, s[4:5], 0xe8
	s_waitcnt lgkmcnt(0)
	v_writelane_b32 v53, s0, 0
	v_writelane_b32 v53, s1, 1
	;; [unrolled: 1-line block ×4, first 2 shown]
	s_load_dwordx2 s[18:19], s[4:5], 0x1dc
	s_load_dwordx2 s[0:1], s[4:5], 0x1d0
	v_cvt_f32_u32_e32 v1, s17
	s_waitcnt lgkmcnt(0)
	v_writelane_b32 v53, s0, 4
	v_writelane_b32 v53, s1, 5
	s_load_dwordx4 s[0:3], s[4:5], 0x15c
	v_rcp_iflag_f32_e32 v1, v1
	v_mul_f32_e32 v1, 0x4f7ffffe, v1
	s_waitcnt lgkmcnt(0)
	v_writelane_b32 v53, s0, 6
	v_writelane_b32 v53, s1, 7
	;; [unrolled: 1-line block ×4, first 2 shown]
	s_load_dwordx2 s[22:23], s[4:5], 0xfc
	s_load_dwordx2 s[0:1], s[4:5], 0xf0
	v_cvt_u32_f32_e32 v1, v1
	s_waitcnt lgkmcnt(0)
	v_cvt_f32_u32_e32 v2, s23
	v_writelane_b32 v53, s0, 10
	v_writelane_b32 v53, s1, 11
	;; [unrolled: 1-line block ×4, first 2 shown]
	s_load_dwordx4 s[0:3], s[4:5], 0x6c
	v_readfirstlane_b32 s4, v1
	v_cvt_f32_u32_e32 v1, s16
	s_waitcnt lgkmcnt(0)
	s_sub_i32 s3, 0, s17
	s_mul_i32 s3, s3, s4
	s_mul_hi_u32 s3, s4, s3
	s_add_i32 s4, s4, s3
	v_rcp_iflag_f32_e32 v1, v1
	s_mul_hi_u32 s3, s20, s4
	s_mul_i32 s4, s3, s17
	s_sub_i32 s4, s20, s4
	s_add_i32 s5, s3, 1
	s_sub_i32 s7, s4, s17
	v_mul_f32_e32 v1, 0x4f7ffffe, v1
	s_cmp_ge_u32 s4, s17
	v_cvt_u32_f32_e32 v1, v1
	v_rcp_iflag_f32_e32 v2, v2
	s_cselect_b32 s3, s5, s3
	s_cselect_b32 s4, s7, s4
	s_add_i32 s5, s3, 1
	s_cmp_ge_u32 s4, s17
	s_cselect_b32 s3, s5, s3
	v_readfirstlane_b32 s5, v1
	v_mul_f32_e32 v1, 0x4f7ffffe, v2
	v_cvt_u32_f32_e32 v1, v1
	s_sub_i32 s4, 0, s16
	s_mul_i32 s4, s4, s5
	s_mul_hi_u32 s4, s5, s4
	v_readfirstlane_b32 s7, v1
	v_cvt_f32_u32_e32 v1, s22
	s_add_i32 s5, s5, s4
	s_mul_hi_u32 s4, s3, s5
	s_sub_i32 s5, 0, s23
	s_mul_i32 s5, s5, s7
	s_mul_hi_u32 s5, s7, s5
	v_rcp_iflag_f32_e32 v1, v1
	s_add_i32 s7, s7, s5
	v_cvt_f32_u32_e32 v2, s19
	s_mul_hi_u32 s5, s20, s7
	s_mul_i32 s7, s5, s23
	s_sub_i32 s7, s20, s7
	v_mul_f32_e32 v1, 0x4f7ffffe, v1
	s_add_i32 s8, s5, 1
	s_sub_i32 s9, s7, s23
	v_cvt_u32_f32_e32 v1, v1
	v_rcp_iflag_f32_e32 v2, v2
	s_cmp_ge_u32 s7, s23
	s_cselect_b32 s5, s8, s5
	s_cselect_b32 s7, s9, s7
	s_add_i32 s8, s5, 1
	s_cmp_ge_u32 s7, s23
	v_readfirstlane_b32 s7, v1
	v_mul_f32_e32 v1, 0x4f7ffffe, v2
	s_cselect_b32 s8, s8, s5
	v_writelane_b32 v53, s22, 14
	s_sub_i32 s5, 0, s22
	v_cvt_u32_f32_e32 v1, v1
	s_mul_i32 s5, s5, s7
	s_mul_hi_u32 s5, s7, s5
	v_writelane_b32 v53, s23, 15
	s_add_i32 s7, s7, s5
	v_writelane_b32 v53, s8, 16
	s_mul_hi_u32 s5, s8, s7
	v_readfirstlane_b32 s7, v1
	v_cvt_f32_u32_e32 v1, s18
	v_writelane_b32 v53, s5, 17
	s_sub_i32 s5, 0, s19
	s_mul_i32 s5, s5, s7
	s_mul_hi_u32 s5, s7, s5
	s_add_i32 s7, s7, s5
	v_rcp_iflag_f32_e32 v1, v1
	s_mul_hi_u32 s5, s20, s7
	s_mul_i32 s7, s5, s19
	s_sub_i32 s7, s20, s7
	s_add_i32 s8, s5, 1
	s_sub_i32 s9, s7, s19
	v_mul_f32_e32 v1, 0x4f7ffffe, v1
	s_cmp_ge_u32 s7, s19
	v_cvt_u32_f32_e32 v1, v1
	s_cselect_b32 s5, s8, s5
	s_cselect_b32 s7, s9, s7
	s_add_i32 s8, s5, 1
	s_cmp_ge_u32 s7, s19
	s_cselect_b32 s8, s8, s5
	v_writelane_b32 v53, s18, 18
	s_sub_i32 s5, 0, s18
	v_readfirstlane_b32 s7, v1
	s_mul_i32 s5, s5, s7
	s_mul_hi_u32 s5, s7, s5
	v_writelane_b32 v53, s19, 19
	s_add_i32 s7, s7, s5
	v_writelane_b32 v53, s8, 20
	s_mul_hi_u32 s5, s8, s7
	v_writelane_b32 v53, s5, 21
	v_cmp_eq_u32_e64 s[8:9], 0, v0
	s_mov_b64 s[18:19], exec
	v_writelane_b32 v53, s8, 22
	v_writelane_b32 v53, s9, 23
	s_and_b64 s[8:9], s[18:19], s[8:9]
	s_mov_b64 exec, s[8:9]
	s_cbranch_execz .LBB62_3
; %bb.2:
	v_mov_b32_e32 v2, 0
	v_mov_b32_e32 v3, s60
	;; [unrolled: 1-line block ×3, first 2 shown]
	ds_write_b96 v2, v[2:4] offset:4096
.LBB62_3:
	s_or_b64 exec, exec, s[18:19]
	s_mul_i32 s5, s3, s17
	s_sub_i32 s5, s20, s5
	s_mul_i32 s5, s5, s2
	s_mul_i32 s2, s4, s16
	s_sub_i32 s2, s3, s2
	s_add_i32 s7, s4, 1
	s_sub_i32 s8, s2, s16
	s_cmp_ge_u32 s2, s16
	s_cselect_b32 s4, s7, s4
	s_cselect_b32 s2, s8, s2
	s_add_i32 s7, s4, 1
	s_cmp_ge_u32 s2, s16
	s_cselect_b32 s2, s7, s4
	s_mul_i32 s4, s2, s16
	s_sub_i32 s3, s3, s4
	s_mul_i32 s1, s3, s1
	s_add_i32 s1, s1, s5
	s_mul_i32 s2, s2, s0
	s_add_i32 s0, s1, s2
	s_mov_b32 s1, s24
	s_lshl_b64 s[0:1], s[0:1], 1
	s_add_u32 s33, s14, s0
	v_writelane_b32 v53, s20, 24
	s_mov_b32 s2, 0
	s_waitcnt lgkmcnt(0)
	s_barrier
	s_load_dword s0, s[10:11], 0xc
	s_addc_u32 s8, s15, s1
	v_writelane_b32 v53, s2, 25
	s_bitcmp1_b32 s62, 0
	v_writelane_b32 v53, s3, 26
	s_cselect_b64 s[2:3], -1, 0
	v_writelane_b32 v53, s2, 27
	v_mbcnt_lo_u32_b32 v1, -1, 0
	v_writelane_b32 v53, s3, 28
	s_xor_b64 s[2:3], s[2:3], -1
	v_mbcnt_hi_u32_b32 v1, -1, v1
	v_writelane_b32 v53, s2, 29
	s_waitcnt lgkmcnt(0)
	s_and_b32 s9, s0, 0xffff
	s_bfe_u32 s5, s0, 0xa0006
	v_cmp_gt_u32_e32 vcc, 64, v0
	v_cmp_gt_i32_e64 s[0:1], 4, v1
	v_writelane_b32 v53, s3, 30
	s_lshl_b32 s85, s9, 2
	s_and_b64 s[0:1], vcc, s[0:1]
	v_writelane_b32 v53, s0, 31
	s_cmpk_gt_u32 s60, 0x600
	v_writelane_b32 v53, s1, 32
	s_cselect_b64 s[0:1], -1, 0
	v_writelane_b32 v53, s0, 33
	s_cmp_gt_u32 s9, 63
	v_writelane_b32 v53, s1, 34
	s_cselect_b64 s[0:1], -1, 0
	v_writelane_b32 v53, s0, 35
	v_writelane_b32 v53, s1, 36
	s_add_i32 s0, s9, -1
	s_add_i32 s2, s0, s60
	s_cmp_lt_u32 s6, s12
	v_writelane_b32 v53, s0, 37
	s_cselect_b32 s0, 12, 18
	s_add_u32 s0, s10, s0
	s_addc_u32 s1, s11, 0
	v_writelane_b32 v53, s0, 38
	s_add_i32 s3, s5, -2
	v_writelane_b32 v53, s1, 39
	s_lshr_b32 s0, s3, 1
	s_add_i32 s4, s0, 1
	s_cmpk_gt_u32 s9, 0x7f
	v_mov_b32_e32 v11, 0
	s_cselect_b64 s[0:1], -1, 0
	v_writelane_b32 v53, s0, 40
	v_mul_lo_u32 v12, v0, s13
	v_mov_b32_e32 v13, v11
	v_writelane_b32 v53, s1, 41
	v_lshlrev_b64 v[2:3], 1, v[12:13]
	v_cmp_gt_u32_e64 s[6:7], s60, v0
	v_mov_b32_e32 v17, s8
	v_add_co_u32_e32 v8, vcc, s33, v2
	v_writelane_b32 v53, s6, 42
	v_lshrrev_b32_e32 v2, 4, v0
	v_addc_co_u32_e32 v9, vcc, v17, v3, vcc
	v_writelane_b32 v53, s7, 43
	v_and_b32_e32 v18, 60, v2
	v_cmp_gt_u32_e64 s[6:7], 2, v0
	v_lshlrev_b64 v[2:3], v1, -1
	v_writelane_b32 v53, s6, 44
	v_not_b32_e32 v6, v2
	v_cvt_f32_u32_e32 v2, s85
	v_writelane_b32 v53, s7, 45
	s_and_b32 s6, s5, 0x3fe
	s_and_b32 s7, s4, 7
	s_cmp_gt_u32 s3, 13
	s_cselect_b64 s[10:11], -1, 0
	v_writelane_b32 v53, s10, 46
	v_rcp_iflag_f32_e32 v2, v2
	v_writelane_b32 v53, s11, 47
	s_and_b32 s3, s4, -8
	v_writelane_b32 v53, s3, 48
	s_cmp_lg_u32 s7, 0
	v_writelane_b32 v53, s7, 49
	s_cselect_b64 s[10:11], -1, 0
	v_writelane_b32 v53, s10, 50
	v_mul_f32_e32 v2, 0x4f7ffffe, v2
	v_writelane_b32 v53, s11, 51
	v_cvt_u32_f32_e32 v2, v2
	v_writelane_b32 v53, s5, 52
	s_cmp_lg_u32 s6, s5
	v_writelane_b32 v53, s6, 53
	s_cselect_b64 s[4:5], -1, 0
	v_writelane_b32 v53, s4, 54
	v_writelane_b32 v53, s5, 55
	s_sub_i32 s3, 0, s85
	v_readfirstlane_b32 s4, v2
	s_mul_i32 s3, s3, s4
	s_mul_hi_u32 s3, s4, s3
	s_add_i32 s3, s4, s3
	v_cvt_f32_u32_e32 v2, s9
	v_writelane_b32 v53, s3, 56
	s_mul_hi_u32 s3, s60, s3
	s_mul_i32 s3, s3, s85
	s_sub_i32 s3, s60, s3
	s_sub_i32 s4, s3, s85
	v_rcp_iflag_f32_e32 v5, v2
	s_cmp_ge_u32 s3, s85
	s_cselect_b32 s3, s4, s3
	s_sub_i32 s4, s3, s85
	s_cmp_ge_u32 s3, s85
	v_mul_f32_e32 v5, 0x4f7ffffe, v5
	s_cselect_b32 s3, s4, s3
	v_cvt_u32_f32_e32 v5, v5
	v_lshlrev_b32_e32 v16, 2, v0
	s_sub_i32 s7, s60, s3
	v_cmp_gt_u32_e64 s[4:5], s7, v16
	v_writelane_b32 v53, s4, 57
	v_writelane_b32 v53, s5, 58
	s_sub_i32 s4, 0, s9
	v_readfirstlane_b32 s5, v5
	s_mul_i32 s4, s4, s5
	s_mul_hi_u32 s4, s5, s4
	s_add_i32 s4, s5, s4
	v_writelane_b32 v53, s4, 59
	s_mul_hi_u32 s4, s2, s4
	s_mul_i32 s4, s4, s9
	s_sub_i32 s4, s2, s4
	s_sub_i32 s5, s4, s9
	s_cmp_ge_u32 s4, s9
	v_add_u32_e32 v21, s7, v0
	s_cselect_b32 s4, s5, s4
	v_mul_lo_u32 v10, v21, s13
	s_sub_i32 s5, s4, s9
	v_not_b32_e32 v7, v3
	v_lshlrev_b64 v[2:3], 1, v[10:11]
	s_cmp_ge_u32 s4, s9
	v_add_co_u32_e32 v14, vcc, s33, v2
	s_cselect_b32 s4, s5, s4
	v_mul_lo_u32 v2, s13, v16
	s_sub_i32 s86, s2, s4
	v_add_u32_e32 v22, s13, v2
	v_or_b32_e32 v2, 2, v16
	v_cmp_gt_u32_e64 s[4:5], s86, v0
	v_mul_lo_u32 v23, s13, v2
	v_or_b32_e32 v2, 3, v16
	s_add_i32 s2, s9, s60
	v_writelane_b32 v53, s4, 60
	v_mul_lo_u32 v24, s13, v2
	v_add_u32_e32 v2, s2, v0
	v_lshlrev_b32_e32 v19, 1, v0
	v_lshlrev_b32_e32 v4, 2, v1
	v_mov_b32_e32 v10, s8
	v_writelane_b32 v53, s5, 61
	s_mul_i32 s84, s13, s9
	v_subrev_u32_e32 v2, s3, v2
	v_cmp_eq_u32_e64 s[0:1], 0, v1
	v_add_u32_e32 v20, 0xc00, v19
	v_and_b32_e32 v13, 0x100, v4
	v_cmp_gt_u32_e64 s[14:15], s60, v21
	v_addc_co_u32_e32 v15, vcc, v10, v3, vcc
	s_lshl_b32 s87, s84, 2
	v_lshlrev_b32_e32 v25, 2, v12
	v_writelane_b32 v53, s13, 62
	v_mul_lo_u32 v26, s13, v2
	v_lshlrev_b32_e32 v27, 3, v0
	s_lshl_b32 s12, s9, 3
	s_lshl_b32 s13, s9, 1
	v_or_b32_e32 v28, 0xc00, v4
	s_mov_b32 s80, 14
	s_mov_b64 s[74:75], 0
	v_mov_b32_e32 v34, s61
	s_mov_b32 s6, 0x8000
	v_mov_b32_e32 v29, 0xc00
	v_mov_b32_e32 v30, 0x5040100
	;; [unrolled: 1-line block ×5, first 2 shown]
	s_mov_b32 s81, 0
                                        ; implicit-def: $sgpr64_sgpr65
                                        ; implicit-def: $sgpr66_sgpr67
                                        ; implicit-def: $sgpr68_sgpr69
                                        ; implicit-def: $sgpr2_sgpr3
                                        ; implicit-def: $sgpr70_sgpr71
                                        ; implicit-def: $sgpr76_sgpr77
                                        ; implicit-def: $sgpr78_sgpr79
                                        ; implicit-def: $sgpr92_sgpr93
                                        ; implicit-def: $sgpr94_sgpr95
                                        ; implicit-def: $sgpr72_sgpr73
	s_branch .LBB62_6
.LBB62_4:                               ;   in Loop: Header=BB62_6 Depth=1
	s_or_b64 exec, exec, s[22:23]
	s_andn2_b64 s[4:5], s[72:73], exec
	s_and_b64 s[10:11], s[20:21], exec
	s_or_b64 s[72:73], s[4:5], s[10:11]
	s_andn2_b64 s[94:95], s[94:95], exec
	s_andn2_b64 s[92:93], s[92:93], exec
	;; [unrolled: 1-line block ×4, first 2 shown]
	s_orn2_b64 s[18:19], s[18:19], exec
	v_mov_b32_e32 v31, v3
	v_mov_b32_e32 v32, v2
	;; [unrolled: 1-line block ×4, first 2 shown]
.LBB62_5:                               ;   in Loop: Header=BB62_6 Depth=1
	s_or_b64 exec, exec, s[16:17]
	s_and_b64 s[4:5], exec, s[18:19]
	s_or_b64 s[74:75], s[4:5], s[74:75]
	s_andn2_b64 s[4:5], s[70:71], exec
	s_and_b64 s[10:11], s[72:73], exec
	s_or_b64 s[70:71], s[4:5], s[10:11]
	s_andn2_b64 s[2:3], s[2:3], exec
	s_and_b64 s[4:5], s[94:95], exec
	;; [unrolled: 3-line block ×5, first 2 shown]
	s_or_b64 s[64:65], s[4:5], s[10:11]
	s_andn2_b64 exec, exec, s[74:75]
	s_cbranch_execz .LBB62_407
.LBB62_6:                               ; =>This Loop Header: Depth=1
                                        ;     Child Loop BB62_11 Depth 2
                                        ;     Child Loop BB62_29 Depth 2
	;; [unrolled: 1-line block ×25, first 2 shown]
	ds_read_b64 v[2:3], v11 offset:4096
	s_waitcnt lgkmcnt(0)
	v_readfirstlane_b32 s4, v2
	s_cmp_lg_u32 s4, 0
	s_cbranch_scc1 .LBB62_36
; %bb.7:                                ;   in Loop: Header=BB62_6 Depth=1
	v_readlane_b32 s4, v53, 33
	v_readlane_b32 s5, v53, 34
	s_and_b64 vcc, exec, s[4:5]
	s_cbranch_vccz .LBB62_19
; %bb.8:                                ;   in Loop: Header=BB62_6 Depth=1
	s_movk_i32 s4, 0x601
	v_cmp_gt_u32_e32 vcc, s4, v3
	s_mov_b64 s[16:17], 0
	s_mov_b64 s[18:19], 0
	s_cbranch_vccz .LBB62_20
; %bb.9:                                ;   in Loop: Header=BB62_6 Depth=1
	v_readlane_b32 s4, v53, 38
	v_readlane_b32 s5, v53, 39
	s_nop 4
	global_load_ushort v2, v11, s[4:5]
	global_load_ushort v3, v[8:9], off
	v_readlane_b32 s4, v53, 62
	s_mov_b64 s[22:23], 0
	s_waitcnt vmcnt(1)
	v_add_u32_e32 v5, v0, v2
	v_mul_lo_u32 v4, s4, v2
	v_mul_lo_u32 v10, s4, v5
	v_mov_b32_e32 v5, v0
	s_branch .LBB62_11
.LBB62_10:                              ;   in Loop: Header=BB62_11 Depth=2
	s_or_b64 exec, exec, s[20:21]
	v_add_u32_e32 v10, v10, v4
	v_mov_b32_e32 v3, v35
	s_andn2_b64 exec, exec, s[22:23]
	s_cbranch_execz .LBB62_21
.LBB62_11:                              ;   Parent Loop BB62_6 Depth=1
                                        ; =>  This Inner Loop Header: Depth=2
	v_add_u32_e32 v5, v5, v2
	v_cmp_gt_u32_e64 s[18:19], s60, v5
	v_cmp_le_u32_e32 vcc, s60, v5
	s_waitcnt lgkmcnt(0)
	v_mov_b32_e32 v36, 0
	v_mov_b32_e32 v35, 0
	s_and_saveexec_b64 s[20:21], s[18:19]
	s_cbranch_execz .LBB62_13
; %bb.12:                               ;   in Loop: Header=BB62_11 Depth=2
	v_lshlrev_b64 v[38:39], 1, v[10:11]
	v_add_co_u32_e64 v38, s[18:19], s33, v38
	v_addc_co_u32_e64 v39, s[18:19], v17, v39, s[18:19]
	global_load_ushort v35, v[38:39], off
.LBB62_13:                              ;   in Loop: Header=BB62_11 Depth=2
	s_or_b64 exec, exec, s[20:21]
	s_waitcnt vmcnt(0)
	v_add_u32_sdwa v37, sext(v3), s6 dst_sel:DWORD dst_unused:UNUSED_PAD src0_sel:WORD_0 src1_sel:DWORD
	v_and_b32_e32 v37, v37, v31
	v_cmp_eq_u32_e64 s[18:19], v37, v32
	s_cmp_lg_u64 s[18:19], 0
	s_cselect_b64 s[4:5], -1, 0
	s_and_b64 s[4:5], s[0:1], s[4:5]
	s_and_saveexec_b64 s[24:25], s[4:5]
	s_cbranch_execz .LBB62_17
; %bb.14:                               ;   in Loop: Header=BB62_11 Depth=2
	s_mov_b64 s[28:29], exec
	v_mbcnt_lo_u32_b32 v36, s28, 0
	v_mbcnt_hi_u32_b32 v36, s29, v36
	s_bcnt1_i32_b64 s4, s[18:19]
	v_cmp_eq_u32_e64 s[20:21], 0, v36
                                        ; implicit-def: $vgpr37
	s_and_saveexec_b64 s[26:27], s[20:21]
	s_cbranch_execz .LBB62_16
; %bb.15:                               ;   in Loop: Header=BB62_11 Depth=2
	s_bcnt1_i32_b64 s5, s[28:29]
	s_mul_i32 s5, s4, s5
	v_mov_b32_e32 v37, s5
	ds_add_rtn_u32 v37, v11, v37 offset:4104
.LBB62_16:                              ;   in Loop: Header=BB62_11 Depth=2
	s_or_b64 exec, exec, s[26:27]
	s_waitcnt lgkmcnt(0)
	v_readfirstlane_b32 s5, v37
	v_mov_b32_e32 v37, s5
	v_mad_u32_u24 v36, s4, v36, v37
.LBB62_17:                              ;   in Loop: Header=BB62_11 Depth=2
	s_or_b64 exec, exec, s[24:25]
	ds_bpermute_b32 v36, v13, v36
	s_and_b64 s[4:5], exec, vcc
	s_or_b64 s[22:23], s[4:5], s[22:23]
	s_and_saveexec_b64 s[20:21], s[18:19]
	s_cbranch_execz .LBB62_10
; %bb.18:                               ;   in Loop: Header=BB62_11 Depth=2
	v_and_b32_e32 v38, s18, v6
	v_and_b32_e32 v37, s19, v7
	v_bcnt_u32_b32 v38, v38, 0
	v_bcnt_u32_b32 v37, v37, v38
	v_lshlrev_b32_e32 v37, 1, v37
	s_waitcnt lgkmcnt(0)
	v_lshl_add_u32 v36, v36, 1, v37
	ds_write_b16 v36, v3
	s_branch .LBB62_10
.LBB62_19:                              ;   in Loop: Header=BB62_6 Depth=1
	s_mov_b64 s[18:19], 0
                                        ; implicit-def: $sgpr4
	s_cbranch_execnz .LBB62_24
	s_branch .LBB62_34
.LBB62_20:                              ;   in Loop: Header=BB62_6 Depth=1
	s_mov_b32 s4, 0
	s_and_b64 vcc, exec, s[16:17]
	s_cbranch_vccnz .LBB62_24
	s_branch .LBB62_34
.LBB62_21:                              ;   in Loop: Header=BB62_6 Depth=1
	s_or_b64 exec, exec, s[22:23]
	s_waitcnt lgkmcnt(0)
	s_barrier
	s_mov_b64 s[18:19], exec
	v_readlane_b32 s4, v53, 22
	v_readlane_b32 s5, v53, 23
	s_and_b64 s[4:5], s[18:19], s[4:5]
	s_mov_b64 exec, s[4:5]
	s_cbranch_execz .LBB62_23
; %bb.22:                               ;   in Loop: Header=BB62_6 Depth=1
	ds_read_b32 v2, v11 offset:4104
	s_waitcnt lgkmcnt(0)
	ds_write_b32 v11, v2 offset:4096
.LBB62_23:                              ;   in Loop: Header=BB62_6 Depth=1
	s_or_b64 exec, exec, s[18:19]
	s_waitcnt lgkmcnt(0)
	s_barrier
	s_mov_b64 s[18:19], -1
	s_mov_b32 s4, 0
	s_and_b64 vcc, exec, s[16:17]
	s_cbranch_vccz .LBB62_34
.LBB62_24:                              ;   in Loop: Header=BB62_6 Depth=1
	v_mov_b32_e32 v2, 0
	s_mov_b64 s[16:17], exec
	v_readlane_b32 s4, v53, 42
	v_readlane_b32 s5, v53, 43
	s_and_b64 s[4:5], s[16:17], s[4:5]
	s_mov_b64 exec, s[4:5]
	s_cbranch_execz .LBB62_26
; %bb.25:                               ;   in Loop: Header=BB62_6 Depth=1
	global_load_ushort v2, v[8:9], off
.LBB62_26:                              ;   in Loop: Header=BB62_6 Depth=1
	s_or_b64 exec, exec, s[16:17]
	s_mov_b64 s[16:17], exec
	v_readlane_b32 s4, v53, 42
	v_readlane_b32 s5, v53, 43
	s_and_b64 s[4:5], s[16:17], s[4:5]
	s_mov_b64 exec, s[4:5]
	s_cbranch_execz .LBB62_31
; %bb.27:                               ;   in Loop: Header=BB62_6 Depth=1
	v_readlane_b32 s4, v53, 38
	v_readlane_b32 s5, v53, 39
	s_mov_b64 s[20:21], 0
	v_mov_b32_e32 v4, v19
	v_mov_b32_e32 v36, v0
	s_nop 1
	global_load_ushort v3, v11, s[4:5]
	v_readlane_b32 s4, v53, 62
	s_waitcnt vmcnt(0)
	v_add_u32_e32 v10, v0, v3
	v_lshlrev_b32_e32 v5, 1, v3
	v_mul_lo_u32 v35, s4, v3
	v_mul_lo_u32 v10, s4, v10
	s_branch .LBB62_29
.LBB62_28:                              ;   in Loop: Header=BB62_29 Depth=2
	s_or_b64 exec, exec, s[22:23]
	s_and_b64 s[4:5], exec, vcc
	s_or_b64 s[20:21], s[4:5], s[20:21]
	ds_write_b16 v4, v2
	v_add_u32_e32 v4, v4, v5
	v_add_u32_e32 v10, v10, v35
	s_waitcnt vmcnt(0)
	v_mov_b32_e32 v2, v37
	s_andn2_b64 exec, exec, s[20:21]
	s_cbranch_execz .LBB62_31
.LBB62_29:                              ;   Parent Loop BB62_6 Depth=1
                                        ; =>  This Inner Loop Header: Depth=2
	v_add_u32_e32 v36, v36, v3
	v_cmp_gt_u32_e64 s[18:19], s60, v36
	v_cmp_le_u32_e32 vcc, s60, v36
	v_mov_b32_e32 v37, 0
	s_and_saveexec_b64 s[22:23], s[18:19]
	s_cbranch_execz .LBB62_28
; %bb.30:                               ;   in Loop: Header=BB62_29 Depth=2
	v_lshlrev_b64 v[38:39], 1, v[10:11]
	v_mov_b32_e32 v37, s8
	v_add_co_u32_e64 v38, s[18:19], s33, v38
	v_addc_co_u32_e64 v39, s[18:19], v37, v39, s[18:19]
	global_load_ushort v37, v[38:39], off
	s_branch .LBB62_28
.LBB62_31:                              ;   in Loop: Header=BB62_6 Depth=1
	s_or_b64 exec, exec, s[16:17]
	s_waitcnt lgkmcnt(0)
	s_barrier
	s_mov_b64 s[16:17], exec
	v_readlane_b32 s4, v53, 22
	v_readlane_b32 s5, v53, 23
	s_and_b64 s[4:5], s[16:17], s[4:5]
	s_mov_b64 exec, s[4:5]
	s_cbranch_execz .LBB62_33
; %bb.32:                               ;   in Loop: Header=BB62_6 Depth=1
	s_waitcnt vmcnt(0)
	v_mov_b32_e32 v2, s60
	ds_write_b32 v11, v2 offset:4096
.LBB62_33:                              ;   in Loop: Header=BB62_6 Depth=1
	s_or_b64 exec, exec, s[16:17]
	s_mov_b64 s[18:19], -1
	s_waitcnt lgkmcnt(0)
	s_barrier
                                        ; implicit-def: $sgpr4
.LBB62_34:                              ;   in Loop: Header=BB62_6 Depth=1
	s_and_b64 vcc, exec, s[18:19]
	s_cbranch_vccz .LBB62_36
; %bb.35:                               ;   in Loop: Header=BB62_6 Depth=1
	s_waitcnt vmcnt(0)
	ds_read_b32 v2, v11 offset:4096
	s_waitcnt lgkmcnt(0)
	v_readfirstlane_b32 s4, v2
.LBB62_36:                              ;   in Loop: Header=BB62_6 Depth=1
	s_cmp_lt_i32 s4, 1
	s_cbranch_scc0 .LBB62_48
; %bb.37:                               ;   in Loop: Header=BB62_6 Depth=1
	s_waitcnt vmcnt(0)
	v_mov_b32_e32 v2, 0
	s_mov_b32 s5, 0
	v_mov_b32_e32 v3, 0
	v_mov_b32_e32 v4, v2
	;; [unrolled: 1-line block ×3, first 2 shown]
	s_mov_b64 s[48:49], exec
	v_readlane_b32 s10, v53, 57
	v_readlane_b32 s11, v53, 58
	s_and_b64 s[10:11], s[48:49], s[10:11]
	s_mov_b64 exec, s[10:11]
	s_cbranch_execz .LBB62_41
; %bb.38:                               ;   in Loop: Header=BB62_6 Depth=1
	s_and_b32 s10, s80, 0xfe
	s_mov_b64 s[50:51], 0
	s_mov_b32 s11, 0
	s_mov_b32 s16, 0
	;; [unrolled: 1-line block ×4, first 2 shown]
	v_mov_b32_e32 v35, v16
.LBB62_39:                              ;   Parent Loop BB62_6 Depth=1
                                        ; =>  This Inner Loop Header: Depth=2
	v_add_u32_e32 v10, s5, v25
	v_lshlrev_b64 v[2:3], 1, v[10:11]
	v_mov_b32_e32 v38, s8
	v_add_u32_e32 v10, s5, v22
	v_add_co_u32_e64 v2, s[18:19], s33, v2
	v_lshlrev_b64 v[4:5], 1, v[10:11]
	v_addc_co_u32_e64 v3, s[18:19], v38, v3, s[18:19]
	v_add_u32_e32 v10, s5, v23
	v_add_co_u32_e64 v4, s[18:19], s33, v4
	v_lshlrev_b64 v[36:37], 1, v[10:11]
	v_add_u32_e32 v10, s5, v24
	v_addc_co_u32_e64 v5, s[18:19], v38, v5, s[18:19]
	global_load_sshort v39, v[2:3], off
	v_lshlrev_b64 v[2:3], 1, v[10:11]
	global_load_sshort v10, v[4:5], off
	v_add_co_u32_e64 v4, s[18:19], s33, v36
	v_addc_co_u32_e64 v5, s[18:19], v38, v37, s[18:19]
	v_add_co_u32_e64 v2, s[18:19], s33, v2
	global_load_sshort v4, v[4:5], off
	v_addc_co_u32_e64 v3, s[18:19], v38, v3, s[18:19]
	global_load_sshort v2, v[2:3], off
	v_add_u32_e32 v35, s85, v35
	v_cmp_le_u32_e32 vcc, s7, v35
	s_add_i32 s5, s5, s87
	s_waitcnt vmcnt(3)
	v_add_u32_e32 v3, 0x8000, v39
	s_waitcnt vmcnt(2)
	v_add_u32_e32 v5, 0x8000, v10
	v_and_b32_e32 v10, v3, v31
	v_bfe_u32 v3, v3, s10, 2
	v_cmp_eq_u32_e64 s[18:19], v10, v32
	v_cmp_eq_u32_e64 s[20:21], 0, v3
	v_and_b32_e32 v10, v5, v31
	v_bfe_u32 v5, v5, s10, 2
	v_cmp_eq_u32_e64 s[22:23], 1, v3
	s_and_b64 s[20:21], s[18:19], s[20:21]
	s_waitcnt vmcnt(1)
	v_add_u32_e32 v4, 0x8000, v4
	v_cmp_eq_u32_e64 s[24:25], 2, v3
	v_cmp_eq_u32_e64 s[26:27], 3, v3
	;; [unrolled: 1-line block ×6, first 2 shown]
	v_cndmask_b32_e64 v5, 0, 1, s[20:21]
	s_and_b64 s[20:21], s[18:19], s[22:23]
	s_waitcnt vmcnt(0)
	v_add_u32_e32 v2, 0x8000, v2
	v_cmp_eq_u32_e64 s[28:29], v10, v32
	v_and_b32_e32 v3, v4, v31
	v_bfe_u32 v4, v4, s10, 2
	v_cndmask_b32_e64 v10, 0, 1, s[20:21]
	s_and_b64 s[20:21], s[18:19], s[24:25]
	s_and_b64 s[18:19], s[18:19], s[26:27]
	v_cndmask_b32_e64 v36, 0, 1, s[20:21]
	v_cndmask_b32_e64 v37, 0, 1, s[18:19]
	v_cmp_eq_u32_e64 s[18:19], v3, v32
	v_and_b32_e32 v3, v2, v31
	v_bfe_u32 v2, v2, s10, 2
	v_cmp_eq_u32_e64 s[20:21], 0, v4
	s_and_b64 s[30:31], s[28:29], s[30:31]
	s_and_b64 s[34:35], s[28:29], s[34:35]
	;; [unrolled: 1-line block ×4, first 2 shown]
	v_cmp_eq_u32_e64 s[22:23], 1, v4
	v_cmp_eq_u32_e64 s[24:25], 2, v4
	;; [unrolled: 1-line block ×3, first 2 shown]
	v_cmp_ne_u32_e64 s[40:41], 0, v5
	v_cndmask_b32_e64 v5, 0, 1, s[34:35]
	v_cmp_ne_u32_e64 s[34:35], 0, v36
	v_cndmask_b32_e64 v36, 0, 1, s[28:29]
	v_cmp_eq_u32_e64 s[28:29], v3, v32
	v_cmp_eq_u32_e64 s[38:39], 0, v2
	s_and_b64 s[20:21], s[18:19], s[20:21]
	v_cmp_eq_u32_e64 s[42:43], 1, v2
	v_cmp_eq_u32_e64 s[44:45], 2, v2
	;; [unrolled: 1-line block ×3, first 2 shown]
	v_cndmask_b32_e64 v2, 0, 1, s[20:21]
	s_and_b64 s[22:23], s[18:19], s[22:23]
	s_and_b64 s[24:25], s[18:19], s[24:25]
	;; [unrolled: 1-line block ×4, first 2 shown]
	v_cndmask_b32_e64 v4, 0, 1, s[30:31]
	v_cmp_ne_u32_e64 s[30:31], 0, v10
	v_cndmask_b32_e64 v10, 0, 1, s[36:37]
	v_cmp_ne_u32_e64 s[36:37], 0, v37
	v_cmp_ne_u32_e64 s[20:21], 0, v5
	v_cndmask_b32_e64 v3, 0, 1, s[22:23]
	v_cndmask_b32_e64 v5, 0, 1, s[18:19]
	v_cmp_ne_u32_e64 s[18:19], 0, v2
	v_cndmask_b32_e64 v2, 0, 1, s[26:27]
	s_and_b64 s[26:27], s[28:29], s[42:43]
	s_bcnt1_i32_b64 s53, s[40:41]
	v_cmp_ne_u32_e64 s[40:41], 0, v4
	s_bcnt1_i32_b64 s30, s[30:31]
	s_bcnt1_i32_b64 s31, s[34:35]
	v_cmp_ne_u32_e64 s[22:23], 0, v10
	v_cndmask_b32_e64 v4, 0, 1, s[24:25]
	s_bcnt1_i32_b64 s34, s[36:37]
	s_bcnt1_i32_b64 s37, s[20:21]
	v_cmp_ne_u32_e64 s[20:21], 0, v3
	v_cndmask_b32_e64 v3, 0, 1, s[26:27]
	s_and_b64 s[26:27], s[28:29], s[44:45]
	v_cmp_ne_u32_e64 s[24:25], 0, v36
	s_add_i32 s30, s17, s30
	s_bcnt1_i32_b64 s38, s[22:23]
	v_cmp_ne_u32_e64 s[22:23], 0, v4
	v_cndmask_b32_e64 v4, 0, 1, s[26:27]
	s_add_i32 s26, s16, s31
	s_and_b64 s[16:17], s[28:29], s[46:47]
	s_bcnt1_i32_b64 s35, s[40:41]
	s_add_i32 s36, s52, s53
	s_bcnt1_i32_b64 s27, s[24:25]
	v_cmp_ne_u32_e64 s[24:25], 0, v5
	v_cndmask_b32_e64 v5, 0, 1, s[16:17]
	s_add_i32 s11, s11, s34
	s_bcnt1_i32_b64 s16, s[18:19]
	v_cmp_ne_u32_e64 s[18:19], 0, v2
	s_add_i32 s17, s36, s35
	s_bcnt1_i32_b64 s28, s[20:21]
	v_cmp_ne_u32_e64 s[20:21], 0, v3
	;; [unrolled: 3-line block ×4, first 2 shown]
	s_add_i32 s11, s11, s27
	s_bcnt1_i32_b64 s18, s[18:19]
	s_add_i32 s16, s17, s16
	s_bcnt1_i32_b64 s17, s[20:21]
	;; [unrolled: 2-line block ×4, first 2 shown]
	s_add_i32 s11, s11, s31
	s_add_i32 s52, s16, s18
	;; [unrolled: 1-line block ×5, first 2 shown]
	s_or_b64 s[50:51], vcc, s[50:51]
	v_mov_b32_e32 v2, s52
	v_mov_b32_e32 v3, s17
	;; [unrolled: 1-line block ×4, first 2 shown]
	s_andn2_b64 exec, exec, s[50:51]
	s_cbranch_execnz .LBB62_39
; %bb.40:                               ;   in Loop: Header=BB62_6 Depth=1
	s_or_b64 exec, exec, s[50:51]
.LBB62_41:                              ;   in Loop: Header=BB62_6 Depth=1
	s_or_b64 exec, exec, s[48:49]
	v_mov_b32_e32 v35, 0
	s_and_saveexec_b64 s[16:17], s[14:15]
	s_cbranch_execz .LBB62_43
; %bb.42:                               ;   in Loop: Header=BB62_6 Depth=1
	global_load_ushort v35, v[14:15], off
.LBB62_43:                              ;   in Loop: Header=BB62_6 Depth=1
	s_or_b64 exec, exec, s[16:17]
	s_mov_b64 s[16:17], 0
	s_mov_b64 s[88:89], 0
	s_and_saveexec_b64 s[20:21], s[14:15]
	s_cbranch_execz .LBB62_50
; %bb.44:                               ;   in Loop: Header=BB62_6 Depth=1
	s_and_b32 s5, s80, 0xfe
	s_mov_b64 s[22:23], 0
	v_mov_b32_e32 v10, v26
	v_mov_b32_e32 v36, v21
	s_branch .LBB62_46
.LBB62_45:                              ;   in Loop: Header=BB62_46 Depth=2
	s_or_b64 exec, exec, s[24:25]
	s_waitcnt vmcnt(0)
	v_add_u32_sdwa v35, sext(v35), s6 dst_sel:DWORD dst_unused:UNUSED_PAD src0_sel:WORD_0 src1_sel:DWORD
	s_and_b64 s[10:11], exec, vcc
	v_and_b32_e32 v38, v35, v31
	v_bfe_u32 v35, v35, s5, 2
	s_or_b64 s[22:23], s[10:11], s[22:23]
	v_cmp_eq_u32_e32 vcc, v38, v32
	v_cmp_eq_u32_e64 s[18:19], 0, v35
	s_and_b64 s[10:11], vcc, s[18:19]
	v_cndmask_b32_e64 v38, 0, 1, s[10:11]
	v_cmp_ne_u32_e64 s[18:19], 0, v38
	s_bcnt1_i32_b64 s10, s[18:19]
	v_cmp_eq_u32_e64 s[18:19], 1, v35
	v_add_u32_e32 v2, s10, v2
	s_and_b64 s[10:11], vcc, s[18:19]
	v_cndmask_b32_e64 v38, 0, 1, s[10:11]
	v_cmp_ne_u32_e64 s[18:19], 0, v38
	s_bcnt1_i32_b64 s10, s[18:19]
	v_cmp_eq_u32_e64 s[18:19], 2, v35
	v_add_u32_e32 v3, s10, v3
	;; [unrolled: 6-line block ×3, first 2 shown]
	s_and_b64 s[10:11], vcc, s[18:19]
	v_cndmask_b32_e64 v35, 0, 1, s[10:11]
	v_cmp_ne_u32_e32 vcc, 0, v35
	s_bcnt1_i32_b64 s10, vcc
	v_add_u32_e32 v5, s10, v5
	v_add_u32_e32 v10, s84, v10
	v_mov_b32_e32 v35, v37
	s_andn2_b64 exec, exec, s[22:23]
	s_cbranch_execz .LBB62_49
.LBB62_46:                              ;   Parent Loop BB62_6 Depth=1
                                        ; =>  This Inner Loop Header: Depth=2
	v_add_u32_e32 v36, s9, v36
	v_cmp_gt_u32_e64 s[18:19], s60, v36
	v_cmp_le_u32_e32 vcc, s60, v36
	v_mov_b32_e32 v37, 0
	s_and_saveexec_b64 s[24:25], s[18:19]
	s_cbranch_execz .LBB62_45
; %bb.47:                               ;   in Loop: Header=BB62_46 Depth=2
	v_lshlrev_b64 v[38:39], 1, v[10:11]
	v_mov_b32_e32 v37, s8
	v_add_co_u32_e64 v38, s[18:19], s33, v38
	v_addc_co_u32_e64 v39, s[18:19], v37, v39, s[18:19]
	global_load_ushort v37, v[38:39], off
	s_branch .LBB62_45
.LBB62_48:                              ;   in Loop: Header=BB62_6 Depth=1
	s_mov_b64 s[88:89], 0
                                        ; implicit-def: $vgpr5
	s_cbranch_execnz .LBB62_51
	s_branch .LBB62_60
.LBB62_49:                              ;   in Loop: Header=BB62_6 Depth=1
	s_or_b64 exec, exec, s[22:23]
	s_mov_b64 s[88:89], exec
.LBB62_50:                              ;   in Loop: Header=BB62_6 Depth=1
	s_or_b64 exec, exec, s[20:21]
	s_and_b64 vcc, exec, s[16:17]
	s_cbranch_vccz .LBB62_60
.LBB62_51:                              ;   in Loop: Header=BB62_6 Depth=1
	v_readlane_b32 s5, v53, 56
	s_mul_hi_u32 s5, s4, s5
	s_mul_i32 s5, s5, s85
	s_sub_i32 s5, s4, s5
	s_sub_i32 s10, s5, s85
	s_cmp_ge_u32 s5, s85
	s_cselect_b32 s5, s10, s5
	s_sub_i32 s10, s5, s85
	s_cmp_ge_u32 s5, s85
	s_cselect_b32 s5, s10, s5
	s_sub_i32 s5, s4, s5
	v_cmp_gt_u32_e32 vcc, s5, v16
	s_mov_b32 s11, 0
	s_waitcnt vmcnt(0)
	v_mov_b32_e32 v2, 0
	v_mov_b32_e32 v3, 0
	;; [unrolled: 1-line block ×4, first 2 shown]
	s_and_saveexec_b64 s[90:91], vcc
	s_cbranch_execz .LBB62_55
; %bb.52:                               ;   in Loop: Header=BB62_6 Depth=1
	s_and_b32 s10, s80, 0xfe
	s_mov_b64 s[16:17], 0
	v_mov_b32_e32 v10, v27
	s_mov_b32 s62, 0
	s_mov_b32 s63, 0
	;; [unrolled: 1-line block ×3, first 2 shown]
	v_mov_b32_e32 v35, v16
.LBB62_53:                              ;   Parent Loop BB62_6 Depth=1
                                        ; =>  This Inner Loop Header: Depth=2
	ds_read_b64 v[2:3], v10
	v_add_u32_e32 v35, s85, v35
	v_cmp_le_u32_e32 vcc, s5, v35
	v_add_u32_e32 v10, s12, v10
	s_waitcnt lgkmcnt(0)
	v_add_u32_sdwa v4, sext(v2), s6 dst_sel:DWORD dst_unused:UNUSED_PAD src0_sel:WORD_0 src1_sel:DWORD
	v_add_u32_sdwa v2, sext(v2), s6 dst_sel:DWORD dst_unused:UNUSED_PAD src0_sel:WORD_1 src1_sel:DWORD
	v_and_b32_e32 v36, v4, v31
	v_bfe_u32 v4, v4, s10, 2
	v_add_u32_sdwa v5, sext(v3), s6 dst_sel:DWORD dst_unused:UNUSED_PAD src0_sel:WORD_0 src1_sel:DWORD
	v_and_b32_e32 v37, v2, v31
	v_bfe_u32 v2, v2, s10, 2
	v_cmp_eq_u32_e64 s[18:19], v36, v32
	v_cmp_eq_u32_e64 s[26:27], 0, v4
	v_add_u32_sdwa v3, sext(v3), s6 dst_sel:DWORD dst_unused:UNUSED_PAD src0_sel:WORD_1 src1_sel:DWORD
	v_and_b32_e32 v38, v5, v31
	v_bfe_u32 v5, v5, s10, 2
	v_cmp_eq_u32_e64 s[20:21], v37, v32
	v_cmp_eq_u32_e64 s[28:29], 0, v2
	s_and_b64 s[26:27], s[18:19], s[26:27]
	v_and_b32_e32 v39, v3, v31
	v_bfe_u32 v3, v3, s10, 2
	v_cmp_eq_u32_e64 s[22:23], v38, v32
	v_cmp_eq_u32_e64 s[30:31], 0, v5
	;; [unrolled: 1-line block ×5, first 2 shown]
	v_cndmask_b32_e64 v2, 0, 1, s[26:27]
	s_and_b64 s[26:27], s[20:21], s[28:29]
	v_cmp_eq_u32_e64 s[24:25], v39, v32
	v_cmp_eq_u32_e64 s[34:35], 0, v3
	;; [unrolled: 1-line block ×5, first 2 shown]
	v_cndmask_b32_e64 v3, 0, 1, s[26:27]
	s_and_b64 s[26:27], s[22:23], s[30:31]
	v_cmp_eq_u32_e64 s[36:37], 1, v4
	v_cmp_eq_u32_e64 s[44:45], 2, v4
	;; [unrolled: 1-line block ×3, first 2 shown]
	v_cndmask_b32_e64 v4, 0, 1, s[26:27]
	s_and_b64 s[26:27], s[24:25], s[34:35]
	v_cmp_eq_u32_e64 s[40:41], 1, v5
	v_cmp_eq_u32_e64 s[48:49], 2, v5
	;; [unrolled: 1-line block ×3, first 2 shown]
	v_cndmask_b32_e64 v5, 0, 1, s[26:27]
	s_and_b64 s[26:27], s[18:19], s[36:37]
	v_cndmask_b32_e64 v36, 0, 1, s[26:27]
	s_and_b64 s[26:27], s[20:21], s[38:39]
	;; [unrolled: 2-line block ×5, first 2 shown]
	s_and_b64 s[18:19], s[18:19], s[52:53]
	v_cndmask_b32_e64 v40, 0, 1, s[26:27]
	s_and_b64 s[26:27], s[20:21], s[46:47]
	v_cndmask_b32_e64 v44, 0, 1, s[18:19]
	;; [unrolled: 2-line block ×7, first 2 shown]
	v_cndmask_b32_e64 v47, 0, 1, s[18:19]
	v_cmp_ne_u32_e64 s[18:19], 0, v2
	v_cmp_ne_u32_e64 s[20:21], 0, v3
	;; [unrolled: 1-line block ×11, first 2 shown]
	s_bcnt1_i32_b64 s18, s[18:19]
	s_bcnt1_i32_b64 s19, s[20:21]
	;; [unrolled: 1-line block ×8, first 2 shown]
	v_cmp_ne_u32_e64 s[34:35], 0, v39
	v_cmp_ne_u32_e64 s[40:41], 0, v42
	;; [unrolled: 1-line block ×3, first 2 shown]
	s_bcnt1_i32_b64 s23, s[28:29]
	s_bcnt1_i32_b64 s27, s[38:39]
	;; [unrolled: 1-line block ×3, first 2 shown]
	s_add_i32 s18, s82, s18
	s_add_i32 s22, s63, s22
	;; [unrolled: 1-line block ×4, first 2 shown]
	v_cmp_ne_u32_e64 s[42:43], 0, v43
	v_cmp_ne_u32_e64 s[50:51], 0, v47
	s_bcnt1_i32_b64 s25, s[34:35]
	s_bcnt1_i32_b64 s28, s[40:41]
	;; [unrolled: 1-line block ×3, first 2 shown]
	s_add_i32 s18, s18, s19
	s_add_i32 s19, s22, s23
	;; [unrolled: 1-line block ×4, first 2 shown]
	s_bcnt1_i32_b64 s29, s[42:43]
	s_bcnt1_i32_b64 s35, s[50:51]
	s_add_i32 s18, s18, s20
	s_add_i32 s19, s19, s24
	;; [unrolled: 1-line block ×8, first 2 shown]
	s_or_b64 s[16:17], vcc, s[16:17]
	v_mov_b32_e32 v2, s82
	v_mov_b32_e32 v3, s63
	;; [unrolled: 1-line block ×4, first 2 shown]
	s_andn2_b64 exec, exec, s[16:17]
	s_cbranch_execnz .LBB62_53
; %bb.54:                               ;   in Loop: Header=BB62_6 Depth=1
	s_or_b64 exec, exec, s[16:17]
.LBB62_55:                              ;   in Loop: Header=BB62_6 Depth=1
	s_or_b64 exec, exec, s[90:91]
	v_add_u32_e32 v10, s5, v0
	v_cmp_gt_u32_e32 vcc, s4, v10
	s_and_saveexec_b64 s[16:17], vcc
	s_cbranch_execz .LBB62_59
; %bb.56:                               ;   in Loop: Header=BB62_6 Depth=1
	s_and_b32 s5, s80, 0xfe
	v_lshlrev_b32_e32 v35, 1, v10
	s_mov_b64 s[28:29], 0
.LBB62_57:                              ;   Parent Loop BB62_6 Depth=1
                                        ; =>  This Inner Loop Header: Depth=2
	ds_read_i16 v36, v35
	v_add_u32_e32 v10, s9, v10
	v_cmp_le_u32_e32 vcc, s4, v10
	v_add_u32_e32 v35, s13, v35
	s_waitcnt lgkmcnt(0)
	v_add_u32_e32 v36, 0x8000, v36
	v_and_b32_e32 v37, v36, v31
	v_bfe_u32 v36, v36, s5, 2
	v_cmp_eq_u32_e64 s[18:19], v37, v32
	v_cmp_eq_u32_e64 s[20:21], 0, v36
	;; [unrolled: 1-line block ×3, first 2 shown]
	s_and_b64 s[10:11], s[18:19], s[20:21]
	v_cmp_eq_u32_e64 s[24:25], 2, v36
	v_cmp_eq_u32_e64 s[26:27], 3, v36
	v_cndmask_b32_e64 v36, 0, 1, s[10:11]
	s_and_b64 s[10:11], s[18:19], s[22:23]
	v_cndmask_b32_e64 v37, 0, 1, s[10:11]
	s_and_b64 s[10:11], s[18:19], s[24:25]
	;; [unrolled: 2-line block ×3, first 2 shown]
	v_cndmask_b32_e64 v39, 0, 1, s[10:11]
	v_cmp_ne_u32_e64 s[18:19], 0, v36
	v_cmp_ne_u32_e64 s[20:21], 0, v37
	;; [unrolled: 1-line block ×4, first 2 shown]
	s_bcnt1_i32_b64 s10, s[18:19]
	s_bcnt1_i32_b64 s11, s[20:21]
	;; [unrolled: 1-line block ×4, first 2 shown]
	v_add_u32_e32 v2, s10, v2
	v_add_u32_e32 v3, s11, v3
	;; [unrolled: 1-line block ×3, first 2 shown]
	s_or_b64 s[28:29], vcc, s[28:29]
	v_add_u32_e32 v5, s19, v5
	s_andn2_b64 exec, exec, s[28:29]
	s_cbranch_execnz .LBB62_57
; %bb.58:                               ;   in Loop: Header=BB62_6 Depth=1
	s_or_b64 exec, exec, s[28:29]
	s_or_b64 s[88:89], s[88:89], exec
.LBB62_59:                              ;   in Loop: Header=BB62_6 Depth=1
	s_or_b64 exec, exec, s[16:17]
.LBB62_60:                              ;   in Loop: Header=BB62_6 Depth=1
	s_and_saveexec_b64 s[16:17], s[88:89]
	s_or_b64 exec, exec, s[16:17]
	s_lshl_b32 s4, s81, 6
	s_and_saveexec_b64 s[16:17], s[0:1]
	s_cbranch_execz .LBB62_62
; %bb.61:                               ;   in Loop: Header=BB62_6 Depth=1
	v_or_b32_e32 v10, s4, v18
	v_lshlrev_b32_e32 v10, 2, v10
	s_waitcnt vmcnt(0)
	ds_write_b128 v10, v[2:5] offset:3072
.LBB62_62:                              ;   in Loop: Header=BB62_6 Depth=1
	s_or_b64 exec, exec, s[16:17]
	s_waitcnt lgkmcnt(0)
	s_barrier
	s_mov_b64 s[16:17], exec
	v_readlane_b32 s10, v53, 31
	v_readlane_b32 s11, v53, 32
	s_and_b64 s[10:11], s[16:17], s[10:11]
	s_mov_b64 exec, s[10:11]
	s_cbranch_execz .LBB62_76
; %bb.63:                               ;   in Loop: Header=BB62_6 Depth=1
	v_readlane_b32 s10, v53, 35
	v_readlane_b32 s11, v53, 36
	v_add_u32_e32 v4, s4, v1
	s_andn2_b64 vcc, exec, s[10:11]
	s_waitcnt vmcnt(0)
	v_mov_b32_e32 v2, 0
	s_cbranch_vccnz .LBB62_75
; %bb.64:                               ;   in Loop: Header=BB62_6 Depth=1
	v_readlane_b32 s10, v53, 40
	v_readlane_b32 s11, v53, 41
	s_mov_b32 s5, 0
	s_and_b64 vcc, exec, s[10:11]
	v_mov_b32_e32 v2, 0
	s_cbranch_vccz .LBB62_68
; %bb.65:                               ;   in Loop: Header=BB62_6 Depth=1
	v_readlane_b32 s10, v53, 46
	v_readlane_b32 s18, v53, 25
	;; [unrolled: 1-line block ×3, first 2 shown]
	v_lshl_add_u32 v5, v4, 2, v29
	v_readlane_b32 s19, v53, 26
	s_andn2_b64 vcc, exec, s[10:11]
	s_cbranch_vccnz .LBB62_69
; %bb.66:                               ;   in Loop: Header=BB62_6 Depth=1
	v_writelane_b32 v53, s18, 25
	v_writelane_b32 v53, s19, 26
	s_mov_b32 s19, 1
	s_mov_b32 s18, 0
	v_mov_b32_e32 v2, 0
	v_readlane_b32 s5, v53, 48
	v_mov_b32_e32 v3, 0
.LBB62_67:                              ;   Parent Loop BB62_6 Depth=1
                                        ; =>  This Inner Loop Header: Depth=2
	v_lshl_add_u32 v10, s18, 4, v5
	v_lshl_add_u32 v35, s19, 4, v5
	ds_read2_b32 v[36:37], v10 offset1:8
	ds_read2_b32 v[38:39], v35 offset1:8
	ds_read2_b32 v[40:41], v10 offset0:16 offset1:24
	ds_read2_b32 v[42:43], v35 offset0:16 offset1:24
	;; [unrolled: 1-line block ×6, first 2 shown]
	s_waitcnt lgkmcnt(7)
	v_add3_u32 v2, v36, v2, v37
	s_waitcnt lgkmcnt(6)
	v_add3_u32 v3, v38, v3, v39
	;; [unrolled: 2-line block ×3, first 2 shown]
	v_add3_u32 v2, v40, v2, v41
	s_add_i32 s19, s19, 16
	s_add_i32 s18, s18, 16
	s_add_i32 s5, s5, -8
	s_waitcnt lgkmcnt(3)
	v_add3_u32 v2, v44, v2, v45
	s_waitcnt lgkmcnt(2)
	v_add3_u32 v3, v46, v3, v47
	s_cmp_lg_u32 s5, 0
	s_waitcnt lgkmcnt(0)
	v_add3_u32 v3, v50, v3, v51
	v_add3_u32 v2, v48, v2, v49
	s_cbranch_scc1 .LBB62_67
	s_branch .LBB62_70
.LBB62_68:                              ;   in Loop: Header=BB62_6 Depth=1
	s_cbranch_execnz .LBB62_73
	s_branch .LBB62_75
.LBB62_69:                              ;   in Loop: Header=BB62_6 Depth=1
	s_mov_b32 s10, s18
	s_mov_b32 s19, s18
	v_writelane_b32 v53, s10, 25
	v_pk_mov_b32 v[2:3], s[18:19], s[18:19] op_sel:[0,1]
	s_mov_b32 s19, 1
	v_writelane_b32 v53, s11, 26
.LBB62_70:                              ;   in Loop: Header=BB62_6 Depth=1
	v_readlane_b32 s10, v53, 50
	v_readlane_b32 s11, v53, 51
	s_andn2_b64 vcc, exec, s[10:11]
	v_readlane_b32 s5, v53, 49
	s_cbranch_vccnz .LBB62_72
.LBB62_71:                              ;   Parent Loop BB62_6 Depth=1
                                        ; =>  This Inner Loop Header: Depth=2
	v_lshl_add_u32 v10, s18, 4, v5
	v_lshl_add_u32 v35, s19, 4, v5
	ds_read_b32 v35, v35
	ds_read_b32 v10, v10
	s_add_i32 s19, s19, 2
	s_add_i32 s18, s18, 2
	s_add_i32 s5, s5, -1
	s_cmp_lg_u32 s5, 0
	s_waitcnt lgkmcnt(1)
	v_add_u32_e32 v3, v35, v3
	s_waitcnt lgkmcnt(0)
	v_add_u32_e32 v2, v10, v2
	s_cbranch_scc1 .LBB62_71
.LBB62_72:                              ;   in Loop: Header=BB62_6 Depth=1
	v_readlane_b32 s18, v53, 54
	v_add_u32_e32 v2, v2, v3
	v_readlane_b32 s5, v53, 53
	v_readlane_b32 s19, v53, 55
	s_and_b64 vcc, exec, s[18:19]
	s_cbranch_vccz .LBB62_75
.LBB62_73:                              ;   in Loop: Header=BB62_6 Depth=1
	s_lshl_b32 s10, s81, 8
	s_lshl_b32 s11, s5, 4
	s_add_i32 s10, s10, s11
	v_add_u32_e32 v3, s10, v28
	v_readlane_b32 s10, v53, 52
	s_sub_i32 s5, s10, s5
.LBB62_74:                              ;   Parent Loop BB62_6 Depth=1
                                        ; =>  This Inner Loop Header: Depth=2
	ds_read_b32 v5, v3
	s_add_i32 s5, s5, -1
	v_add_u32_e32 v3, 16, v3
	s_cmp_eq_u32 s5, 0
	s_waitcnt lgkmcnt(0)
	v_add_u32_e32 v2, v5, v2
	s_cbranch_scc0 .LBB62_74
.LBB62_75:                              ;   in Loop: Header=BB62_6 Depth=1
	v_lshlrev_b32_e32 v3, 2, v4
	ds_write_b32 v3, v2 offset:3072
.LBB62_76:                              ;   in Loop: Header=BB62_6 Depth=1
	s_or_b64 exec, exec, s[16:17]
	s_lshl_b32 s4, s4, 2
	s_waitcnt vmcnt(0)
	v_mov_b32_e32 v2, s4
	s_waitcnt lgkmcnt(0)
	s_barrier
	ds_read_b128 v[2:5], v2 offset:3072
	s_and_b32 s62, s80, 0xfe
	v_readlane_b32 s16, v53, 29
	s_lshl_b32 s4, 3, s62
	v_readlane_b32 s17, v53, 30
	s_waitcnt lgkmcnt(0)
	v_readfirstlane_b32 s5, v2
	v_readfirstlane_b32 s11, v3
	;; [unrolled: 1-line block ×4, first 2 shown]
	s_not_b32 s10, s4
	s_andn2_b64 vcc, exec, s[16:17]
	v_cmp_eq_u32_e64 s[18:19], 1, v34
	s_cbranch_vccnz .LBB62_89
; %bb.77:                               ;   in Loop: Header=BB62_6 Depth=1
	s_cmp_eq_u32 s5, 1
	s_cselect_b64 s[16:17], -1, 0
	s_and_b64 s[36:37], s[16:17], s[18:19]
	s_mov_b64 s[16:17], -1
	v_mov_b32_e32 v2, v32
	v_mov_b32_e32 v3, v31
	;; [unrolled: 1-line block ×3, first 2 shown]
                                        ; implicit-def: $sgpr22_sgpr23
                                        ; implicit-def: $sgpr28_sgpr29
                                        ; implicit-def: $sgpr26_sgpr27
	s_and_saveexec_b64 s[24:25], s[36:37]
	s_cbranch_execz .LBB62_105
; %bb.78:                               ;   in Loop: Header=BB62_6 Depth=1
	ds_read_b32 v2, v11 offset:4096
	s_waitcnt lgkmcnt(0)
	s_barrier
	v_readfirstlane_b32 s28, v2
	s_mov_b64 s[16:17], exec
	v_readlane_b32 s20, v53, 44
	v_readlane_b32 s21, v53, 45
	s_and_b64 s[20:21], s[16:17], s[20:21]
	s_mov_b64 exec, s[20:21]
	s_cbranch_execz .LBB62_80
; %bb.79:                               ;   in Loop: Header=BB62_6 Depth=1
	ds_write_b16 v20, v11
.LBB62_80:                              ;   in Loop: Header=BB62_6 Depth=1
	s_or_b64 exec, exec, s[16:17]
	v_and_b32_e32 v2, s10, v32
	v_or_b32_e32 v3, s4, v31
	s_cmp_eq_u32 s28, 0
	s_waitcnt lgkmcnt(0)
	s_barrier
	s_cbranch_scc1 .LBB62_91
; %bb.81:                               ;   in Loop: Header=BB62_6 Depth=1
	v_readlane_b32 s16, v53, 37
	s_add_i32 s16, s28, s16
	v_readlane_b32 s17, v53, 59
	s_mul_hi_u32 s17, s16, s17
	s_mul_i32 s17, s17, s9
	s_sub_i32 s17, s16, s17
	s_sub_i32 s20, s17, s9
	s_cmp_ge_u32 s17, s9
	s_cselect_b32 s17, s20, s17
	s_sub_i32 s20, s17, s9
	s_cmp_ge_u32 s17, s9
	s_cselect_b32 s17, s20, s17
	s_sub_i32 s29, s16, s17
	v_cmp_gt_u32_e32 vcc, s29, v0
	s_mov_b64 s[16:17], 0
                                        ; implicit-def: $vgpr35
	s_and_saveexec_b64 s[22:23], vcc
	s_cbranch_execz .LBB62_93
; %bb.82:                               ;   in Loop: Header=BB62_6 Depth=1
	v_mov_b32_e32 v4, v19
	v_mov_b32_e32 v5, v0
                                        ; implicit-def: $sgpr26_sgpr27
	s_branch .LBB62_84
.LBB62_83:                              ;   in Loop: Header=BB62_84 Depth=2
	s_or_b64 exec, exec, s[20:21]
	s_waitcnt lgkmcnt(0)
	s_barrier
	ds_read_b32 v10, v11 offset:3072
	v_add_u32_e32 v5, s9, v5
	v_cmp_le_u32_e64 s[20:21], s29, v5
	v_add_u32_e32 v4, s13, v4
	s_waitcnt lgkmcnt(0)
	v_cmp_ne_u16_e32 vcc, 0, v10
	s_or_b64 s[20:21], s[20:21], vcc
	s_and_b64 s[20:21], exec, s[20:21]
	s_or_b64 s[16:17], s[20:21], s[16:17]
	s_andn2_b64 s[20:21], s[26:27], exec
	s_and_b64 s[26:27], vcc, exec
	s_or_b64 s[26:27], s[20:21], s[26:27]
	s_barrier
	s_andn2_b64 exec, exec, s[16:17]
	s_cbranch_execz .LBB62_92
.LBB62_84:                              ;   Parent Loop BB62_6 Depth=1
                                        ; =>  This Inner Loop Header: Depth=2
	v_cmp_gt_u32_e32 vcc, s28, v5
	v_mov_b32_e32 v10, 0
	s_and_saveexec_b64 s[20:21], vcc
	s_cbranch_execz .LBB62_86
; %bb.85:                               ;   in Loop: Header=BB62_84 Depth=2
	ds_read_u16 v10, v4
.LBB62_86:                              ;   in Loop: Header=BB62_84 Depth=2
	s_or_b64 exec, exec, s[20:21]
	s_and_saveexec_b64 s[20:21], vcc
	s_cbranch_execz .LBB62_83
; %bb.87:                               ;   in Loop: Header=BB62_84 Depth=2
	s_waitcnt lgkmcnt(0)
	v_add_u32_sdwa v35, sext(v10), s6 dst_sel:DWORD dst_unused:UNUSED_PAD src0_sel:WORD_0 src1_sel:DWORD
	v_and_b32_e32 v35, v35, v3
	v_cmp_eq_u32_e32 vcc, v35, v2
	s_and_b64 exec, exec, vcc
	s_cbranch_execz .LBB62_83
; %bb.88:                               ;   in Loop: Header=BB62_84 Depth=2
	v_perm_b32 v10, v10, 1, v30
	ds_write_b32 v11, v10 offset:3072
	s_branch .LBB62_83
.LBB62_89:                              ;   in Loop: Header=BB62_6 Depth=1
	s_mov_b64 s[24:25], 0
	s_mov_b64 s[20:21], 0
                                        ; implicit-def: $sgpr26_sgpr27
                                        ; implicit-def: $sgpr28_sgpr29
                                        ; implicit-def: $sgpr22_sgpr23
                                        ; implicit-def: $vgpr5
                                        ; implicit-def: $vgpr4
                                        ; implicit-def: $vgpr2
                                        ; implicit-def: $vgpr3
                                        ; implicit-def: $vgpr35
	s_cbranch_execnz .LBB62_241
.LBB62_90:                              ;   in Loop: Header=BB62_6 Depth=1
	s_mov_b64 s[30:31], s[22:23]
	s_mov_b64 s[34:35], s[22:23]
	s_and_saveexec_b64 s[16:17], s[24:25]
	s_cbranch_execnz .LBB62_403
	s_branch .LBB62_404
.LBB62_91:                              ;   in Loop: Header=BB62_6 Depth=1
	s_mov_b64 s[22:23], -1
	s_mov_b64 s[16:17], 0
                                        ; implicit-def: $sgpr26_sgpr27
                                        ; implicit-def: $vgpr35
	s_mov_b64 s[28:29], s[22:23]
	s_cbranch_execnz .LBB62_94
	s_branch .LBB62_104
.LBB62_92:                              ;   in Loop: Header=BB62_6 Depth=1
	s_or_b64 exec, exec, s[16:17]
	v_lshrrev_b32_e32 v35, 16, v10
	s_and_b64 s[16:17], s[26:27], exec
.LBB62_93:                              ;   in Loop: Header=BB62_6 Depth=1
	s_or_b64 exec, exec, s[22:23]
	s_mov_b64 s[26:27], -1
	s_mov_b64 s[22:23], 0
	s_mov_b64 s[28:29], s[22:23]
	s_branch .LBB62_104
.LBB62_94:                              ;   in Loop: Header=BB62_6 Depth=1
	s_mov_b64 s[16:17], 0
                                        ; implicit-def: $vgpr35
	s_mov_b64 s[22:23], exec
	v_readlane_b32 s20, v53, 60
	v_readlane_b32 s21, v53, 61
	s_and_b64 s[20:21], s[22:23], s[20:21]
	s_mov_b64 exec, s[20:21]
	s_cbranch_execz .LBB62_103
; %bb.95:                               ;   in Loop: Header=BB62_6 Depth=1
	v_mov_b32_e32 v10, v12
	v_mov_b32_e32 v4, v0
                                        ; implicit-def: $sgpr26_sgpr27
	s_branch .LBB62_97
.LBB62_96:                              ;   in Loop: Header=BB62_97 Depth=2
	s_or_b64 exec, exec, s[20:21]
	s_waitcnt lgkmcnt(0)
	s_barrier
	s_waitcnt vmcnt(0)
	ds_read_b32 v5, v11 offset:3072
	v_add_u32_e32 v4, s9, v4
	v_cmp_le_u32_e64 s[20:21], s86, v4
	v_add_u32_e32 v10, s84, v10
	s_waitcnt lgkmcnt(0)
	v_cmp_ne_u16_e32 vcc, 0, v5
	s_or_b64 s[20:21], s[20:21], vcc
	s_and_b64 s[20:21], exec, s[20:21]
	s_or_b64 s[16:17], s[20:21], s[16:17]
	s_andn2_b64 s[20:21], s[26:27], exec
	s_and_b64 s[26:27], vcc, exec
	s_or_b64 s[26:27], s[20:21], s[26:27]
	s_barrier
	s_andn2_b64 exec, exec, s[16:17]
	s_cbranch_execz .LBB62_102
.LBB62_97:                              ;   Parent Loop BB62_6 Depth=1
                                        ; =>  This Inner Loop Header: Depth=2
	v_cmp_gt_u32_e32 vcc, s60, v4
	v_mov_b32_e32 v5, 0
	s_and_saveexec_b64 s[28:29], vcc
	s_cbranch_execz .LBB62_99
; %bb.98:                               ;   in Loop: Header=BB62_97 Depth=2
	v_lshlrev_b64 v[36:37], 1, v[10:11]
	v_mov_b32_e32 v5, s8
	v_add_co_u32_e64 v36, s[20:21], s33, v36
	v_addc_co_u32_e64 v37, s[20:21], v5, v37, s[20:21]
	global_load_ushort v5, v[36:37], off
.LBB62_99:                              ;   in Loop: Header=BB62_97 Depth=2
	s_or_b64 exec, exec, s[28:29]
	s_and_saveexec_b64 s[20:21], vcc
	s_cbranch_execz .LBB62_96
; %bb.100:                              ;   in Loop: Header=BB62_97 Depth=2
	s_waitcnt vmcnt(0)
	v_add_u32_sdwa v35, sext(v5), s6 dst_sel:DWORD dst_unused:UNUSED_PAD src0_sel:WORD_0 src1_sel:DWORD
	v_and_b32_e32 v35, v35, v3
	v_cmp_eq_u32_e32 vcc, v35, v2
	s_and_b64 exec, exec, vcc
	s_cbranch_execz .LBB62_96
; %bb.101:                              ;   in Loop: Header=BB62_97 Depth=2
	v_perm_b32 v5, v5, 1, v30
	ds_write_b32 v11, v5 offset:3072
	s_branch .LBB62_96
.LBB62_102:                             ;   in Loop: Header=BB62_6 Depth=1
	s_or_b64 exec, exec, s[16:17]
	v_lshrrev_b32_e32 v35, 16, v5
	s_and_b64 s[16:17], s[26:27], exec
.LBB62_103:                             ;   in Loop: Header=BB62_6 Depth=1
	s_or_b64 exec, exec, s[22:23]
	s_mov_b64 s[28:29], -1
	s_mov_b64 s[22:23], 0
	s_mov_b64 s[26:27], 0
.LBB62_104:                             ;   in Loop: Header=BB62_6 Depth=1
	s_orn2_b64 s[16:17], s[16:17], exec
.LBB62_105:                             ;   in Loop: Header=BB62_6 Depth=1
	s_or_b64 exec, exec, s[24:25]
	s_mov_b64 s[30:31], 0
	s_mov_b64 s[24:25], 0
	;; [unrolled: 1-line block ×3, first 2 shown]
                                        ; implicit-def: $vgpr5
                                        ; implicit-def: $vgpr4
	s_and_saveexec_b64 s[34:35], s[16:17]
	s_cbranch_execz .LBB62_240
; %bb.106:                              ;   in Loop: Header=BB62_6 Depth=1
	s_xor_b64 s[24:25], s[36:37], -1
	v_mov_b32_e32 v4, 1
	v_mov_b32_e32 v5, 1
	s_and_saveexec_b64 s[16:17], s[24:25]
	s_cbranch_execz .LBB62_116
; %bb.107:                              ;   in Loop: Header=BB62_6 Depth=1
	v_cmp_ge_u32_e32 vcc, s5, v34
                                        ; implicit-def: $sgpr36
                                        ; implicit-def: $sgpr20_sgpr21
	s_and_saveexec_b64 s[24:25], vcc
	s_xor_b64 s[24:25], exec, s[24:25]
	s_cbranch_execz .LBB62_113
; %bb.108:                              ;   in Loop: Header=BB62_6 Depth=1
	ds_read_b32 v4, v11 offset:4096
	s_waitcnt lgkmcnt(0)
	v_cmp_ne_u32_e32 vcc, 0, v4
	s_cbranch_vccnz .LBB62_112
; %bb.109:                              ;   in Loop: Header=BB62_6 Depth=1
	s_mov_b64 s[20:21], exec
	v_readlane_b32 s36, v53, 22
	v_readlane_b32 s37, v53, 23
	s_and_b64 s[36:37], s[20:21], s[36:37]
	s_mov_b64 exec, s[36:37]
	s_cbranch_execz .LBB62_111
; %bb.110:                              ;   in Loop: Header=BB62_6 Depth=1
	v_mov_b32_e32 v4, s5
	ds_write_b32 v11, v4 offset:4100
.LBB62_111:                             ;   in Loop: Header=BB62_6 Depth=1
	s_or_b64 exec, exec, s[20:21]
	s_waitcnt lgkmcnt(0)
	s_barrier
.LBB62_112:                             ;   in Loop: Header=BB62_6 Depth=1
	v_and_b32_e32 v2, s10, v2
	v_or_b32_e32 v3, s4, v3
	s_mov_b64 s[20:21], 0
	s_mov_b32 s36, 8
.LBB62_113:                             ;   in Loop: Header=BB62_6 Depth=1
	s_or_saveexec_b64 s[24:25], s[24:25]
	v_mov_b32_e32 v5, s36
	v_mov_b32_e32 v4, v34
	s_xor_b64 exec, exec, s[24:25]
; %bb.114:                              ;   in Loop: Header=BB62_6 Depth=1
	v_subrev_u32_e32 v4, s5, v34
	v_mov_b32_e32 v5, 0
	s_or_b64 s[20:21], s[20:21], exec
; %bb.115:                              ;   in Loop: Header=BB62_6 Depth=1
	s_or_b64 exec, exec, s[24:25]
	s_and_b64 s[20:21], s[20:21], exec
.LBB62_116:                             ;   in Loop: Header=BB62_6 Depth=1
	s_or_b64 exec, exec, s[16:17]
	s_mov_b64 s[38:39], -1
                                        ; implicit-def: $sgpr16_sgpr17
                                        ; implicit-def: $sgpr36_sgpr37
                                        ; implicit-def: $sgpr42_sgpr43
	s_and_saveexec_b64 s[24:25], s[20:21]
	s_xor_b64 s[24:25], exec, s[24:25]
	s_cbranch_execz .LBB62_237
; %bb.117:                              ;   in Loop: Header=BB62_6 Depth=1
	s_cmp_eq_u32 s11, 1
	s_cselect_b64 s[16:17], -1, 0
	v_cmp_eq_u32_e32 vcc, 1, v4
	s_and_b64 s[44:45], s[16:17], vcc
	s_mov_b64 s[16:17], -1
                                        ; implicit-def: $sgpr36_sgpr37
                                        ; implicit-def: $sgpr40_sgpr41
                                        ; implicit-def: $sgpr38_sgpr39
	s_and_saveexec_b64 s[42:43], s[44:45]
	s_cbranch_execz .LBB62_143
; %bb.118:                              ;   in Loop: Header=BB62_6 Depth=1
	ds_read_b32 v5, v11 offset:4096
	s_waitcnt lgkmcnt(0)
	s_barrier
	v_readfirstlane_b32 s40, v5
	s_mov_b64 s[16:17], exec
	v_readlane_b32 s20, v53, 44
	v_readlane_b32 s21, v53, 45
	s_and_b64 s[20:21], s[16:17], s[20:21]
	s_mov_b64 exec, s[20:21]
	s_cbranch_execz .LBB62_120
; %bb.119:                              ;   in Loop: Header=BB62_6 Depth=1
	ds_write_b16 v20, v11
.LBB62_120:                             ;   in Loop: Header=BB62_6 Depth=1
	s_or_b64 exec, exec, s[16:17]
	v_and_b32_e32 v2, s10, v2
	v_lshl_or_b32 v2, 1, s62, v2
	v_or_b32_e32 v3, s4, v3
	s_cmp_eq_u32 s40, 0
	s_waitcnt lgkmcnt(0)
	s_barrier
	s_cbranch_scc1 .LBB62_129
; %bb.121:                              ;   in Loop: Header=BB62_6 Depth=1
	v_readlane_b32 s16, v53, 37
	s_add_i32 s16, s40, s16
	v_readlane_b32 s17, v53, 59
	s_mul_hi_u32 s17, s16, s17
	s_mul_i32 s17, s17, s9
	s_sub_i32 s17, s16, s17
	s_sub_i32 s20, s17, s9
	s_cmp_ge_u32 s17, s9
	s_cselect_b32 s17, s20, s17
	s_sub_i32 s20, s17, s9
	s_cmp_ge_u32 s17, s9
	s_cselect_b32 s17, s20, s17
	s_sub_i32 s41, s16, s17
	v_cmp_gt_u32_e32 vcc, s41, v0
	s_mov_b64 s[16:17], 0
                                        ; implicit-def: $vgpr35
	s_and_saveexec_b64 s[36:37], vcc
	s_cbranch_execz .LBB62_131
; %bb.122:                              ;   in Loop: Header=BB62_6 Depth=1
	v_mov_b32_e32 v5, v19
	v_mov_b32_e32 v10, v0
                                        ; implicit-def: $sgpr38_sgpr39
	s_branch .LBB62_124
.LBB62_123:                             ;   in Loop: Header=BB62_124 Depth=2
	s_or_b64 exec, exec, s[20:21]
	s_waitcnt lgkmcnt(0)
	s_barrier
	ds_read_b32 v35, v11 offset:3072
	v_add_u32_e32 v10, s9, v10
	v_cmp_le_u32_e64 s[20:21], s41, v10
	v_add_u32_e32 v5, s13, v5
	s_waitcnt lgkmcnt(0)
	v_cmp_ne_u16_e32 vcc, 0, v35
	s_or_b64 s[20:21], s[20:21], vcc
	s_and_b64 s[20:21], exec, s[20:21]
	s_or_b64 s[16:17], s[20:21], s[16:17]
	s_andn2_b64 s[20:21], s[38:39], exec
	s_and_b64 s[38:39], vcc, exec
	s_or_b64 s[38:39], s[20:21], s[38:39]
	s_barrier
	s_andn2_b64 exec, exec, s[16:17]
	s_cbranch_execz .LBB62_130
.LBB62_124:                             ;   Parent Loop BB62_6 Depth=1
                                        ; =>  This Inner Loop Header: Depth=2
	v_cmp_gt_u32_e32 vcc, s40, v10
	v_mov_b32_e32 v35, 0
	s_and_saveexec_b64 s[20:21], vcc
	s_cbranch_execz .LBB62_126
; %bb.125:                              ;   in Loop: Header=BB62_124 Depth=2
	ds_read_u16 v35, v5
.LBB62_126:                             ;   in Loop: Header=BB62_124 Depth=2
	s_or_b64 exec, exec, s[20:21]
	s_and_saveexec_b64 s[20:21], vcc
	s_cbranch_execz .LBB62_123
; %bb.127:                              ;   in Loop: Header=BB62_124 Depth=2
	s_waitcnt lgkmcnt(0)
	v_add_u32_sdwa v36, sext(v35), s6 dst_sel:DWORD dst_unused:UNUSED_PAD src0_sel:WORD_0 src1_sel:DWORD
	v_and_b32_e32 v36, v36, v3
	v_cmp_eq_u32_e32 vcc, v36, v2
	s_and_b64 exec, exec, vcc
	s_cbranch_execz .LBB62_123
; %bb.128:                              ;   in Loop: Header=BB62_124 Depth=2
	v_perm_b32 v35, v35, 1, v30
	ds_write_b32 v11, v35 offset:3072
	s_branch .LBB62_123
.LBB62_129:                             ;   in Loop: Header=BB62_6 Depth=1
	s_mov_b64 s[36:37], -1
	s_mov_b64 s[16:17], 0
                                        ; implicit-def: $sgpr38_sgpr39
                                        ; implicit-def: $vgpr35
	s_mov_b64 s[40:41], s[36:37]
	s_cbranch_execnz .LBB62_132
	s_branch .LBB62_142
.LBB62_130:                             ;   in Loop: Header=BB62_6 Depth=1
	s_or_b64 exec, exec, s[16:17]
	v_lshrrev_b32_e32 v35, 16, v35
	s_and_b64 s[16:17], s[38:39], exec
.LBB62_131:                             ;   in Loop: Header=BB62_6 Depth=1
	s_or_b64 exec, exec, s[36:37]
	s_mov_b64 s[38:39], -1
	s_mov_b64 s[36:37], 0
	s_mov_b64 s[40:41], s[36:37]
	s_branch .LBB62_142
.LBB62_132:                             ;   in Loop: Header=BB62_6 Depth=1
	s_mov_b64 s[16:17], 0
                                        ; implicit-def: $vgpr35
	s_mov_b64 s[36:37], exec
	v_readlane_b32 s20, v53, 60
	v_readlane_b32 s21, v53, 61
	s_and_b64 s[20:21], s[36:37], s[20:21]
	s_mov_b64 exec, s[20:21]
	s_cbranch_execz .LBB62_141
; %bb.133:                              ;   in Loop: Header=BB62_6 Depth=1
	v_mov_b32_e32 v10, v12
	v_mov_b32_e32 v5, v0
                                        ; implicit-def: $sgpr38_sgpr39
	s_branch .LBB62_135
.LBB62_134:                             ;   in Loop: Header=BB62_135 Depth=2
	s_or_b64 exec, exec, s[20:21]
	s_waitcnt lgkmcnt(0)
	s_barrier
	s_waitcnt vmcnt(0)
	ds_read_b32 v35, v11 offset:3072
	v_add_u32_e32 v5, s9, v5
	v_cmp_le_u32_e64 s[20:21], s86, v5
	v_add_u32_e32 v10, s84, v10
	s_waitcnt lgkmcnt(0)
	v_cmp_ne_u16_e32 vcc, 0, v35
	s_or_b64 s[20:21], s[20:21], vcc
	s_and_b64 s[20:21], exec, s[20:21]
	s_or_b64 s[16:17], s[20:21], s[16:17]
	s_andn2_b64 s[20:21], s[38:39], exec
	s_and_b64 s[38:39], vcc, exec
	s_or_b64 s[38:39], s[20:21], s[38:39]
	s_barrier
	s_andn2_b64 exec, exec, s[16:17]
	s_cbranch_execz .LBB62_140
.LBB62_135:                             ;   Parent Loop BB62_6 Depth=1
                                        ; =>  This Inner Loop Header: Depth=2
	v_cmp_gt_u32_e32 vcc, s60, v5
	v_mov_b32_e32 v35, 0
	s_and_saveexec_b64 s[40:41], vcc
	s_cbranch_execz .LBB62_137
; %bb.136:                              ;   in Loop: Header=BB62_135 Depth=2
	v_lshlrev_b64 v[36:37], 1, v[10:11]
	v_mov_b32_e32 v35, s8
	v_add_co_u32_e64 v36, s[20:21], s33, v36
	v_addc_co_u32_e64 v37, s[20:21], v35, v37, s[20:21]
	global_load_ushort v35, v[36:37], off
.LBB62_137:                             ;   in Loop: Header=BB62_135 Depth=2
	s_or_b64 exec, exec, s[40:41]
	s_and_saveexec_b64 s[20:21], vcc
	s_cbranch_execz .LBB62_134
; %bb.138:                              ;   in Loop: Header=BB62_135 Depth=2
	s_waitcnt vmcnt(0)
	v_add_u32_sdwa v36, sext(v35), s6 dst_sel:DWORD dst_unused:UNUSED_PAD src0_sel:WORD_0 src1_sel:DWORD
	v_and_b32_e32 v36, v36, v3
	v_cmp_eq_u32_e32 vcc, v36, v2
	s_and_b64 exec, exec, vcc
	s_cbranch_execz .LBB62_134
; %bb.139:                              ;   in Loop: Header=BB62_135 Depth=2
	v_perm_b32 v35, v35, 1, v30
	ds_write_b32 v11, v35 offset:3072
	s_branch .LBB62_134
.LBB62_140:                             ;   in Loop: Header=BB62_6 Depth=1
	s_or_b64 exec, exec, s[16:17]
	v_lshrrev_b32_e32 v35, 16, v35
	s_and_b64 s[16:17], s[38:39], exec
.LBB62_141:                             ;   in Loop: Header=BB62_6 Depth=1
	s_or_b64 exec, exec, s[36:37]
	s_mov_b64 s[40:41], -1
	s_mov_b64 s[36:37], 0
	s_mov_b64 s[38:39], 0
.LBB62_142:                             ;   in Loop: Header=BB62_6 Depth=1
	s_orn2_b64 s[16:17], s[16:17], exec
.LBB62_143:                             ;   in Loop: Header=BB62_6 Depth=1
	s_or_b64 exec, exec, s[42:43]
	s_mov_b64 s[20:21], 0
                                        ; implicit-def: $vgpr5
	s_and_saveexec_b64 s[42:43], s[16:17]
	s_cbranch_execz .LBB62_236
; %bb.144:                              ;   in Loop: Header=BB62_6 Depth=1
	s_xor_b64 s[20:21], s[44:45], -1
	s_mov_b64 s[48:49], 0
	v_mov_b32_e32 v36, 1
	v_mov_b32_e32 v5, 1
	s_and_saveexec_b64 s[16:17], s[20:21]
	s_cbranch_execz .LBB62_154
; %bb.145:                              ;   in Loop: Header=BB62_6 Depth=1
	v_cmp_ge_u32_e32 vcc, s11, v4
                                        ; implicit-def: $sgpr46
                                        ; implicit-def: $sgpr20_sgpr21
	s_and_saveexec_b64 s[44:45], vcc
	s_xor_b64 s[44:45], exec, s[44:45]
	s_cbranch_execz .LBB62_151
; %bb.146:                              ;   in Loop: Header=BB62_6 Depth=1
	ds_read_b32 v5, v11 offset:4096
	s_waitcnt lgkmcnt(0)
	v_cmp_ne_u32_e32 vcc, 0, v5
	s_cbranch_vccnz .LBB62_150
; %bb.147:                              ;   in Loop: Header=BB62_6 Depth=1
	s_mov_b64 s[20:21], exec
	v_readlane_b32 s46, v53, 22
	v_readlane_b32 s47, v53, 23
	s_and_b64 s[46:47], s[20:21], s[46:47]
	s_mov_b64 exec, s[46:47]
	s_cbranch_execz .LBB62_149
; %bb.148:                              ;   in Loop: Header=BB62_6 Depth=1
	v_mov_b32_e32 v5, s11
	ds_write_b32 v11, v5 offset:4100
.LBB62_149:                             ;   in Loop: Header=BB62_6 Depth=1
	s_or_b64 exec, exec, s[20:21]
	s_waitcnt lgkmcnt(0)
	s_barrier
.LBB62_150:                             ;   in Loop: Header=BB62_6 Depth=1
	v_and_b32_e32 v2, s10, v2
	v_lshl_or_b32 v2, 1, s62, v2
	v_or_b32_e32 v3, s4, v3
	s_mov_b64 s[20:21], 0
	s_mov_b32 s46, 8
.LBB62_151:                             ;   in Loop: Header=BB62_6 Depth=1
	s_or_saveexec_b64 s[44:45], s[44:45]
	v_mov_b32_e32 v5, s46
	s_xor_b64 exec, exec, s[44:45]
; %bb.152:                              ;   in Loop: Header=BB62_6 Depth=1
	v_subrev_u32_e32 v4, s11, v4
	v_mov_b32_e32 v5, 0
	s_or_b64 s[20:21], s[20:21], exec
; %bb.153:                              ;   in Loop: Header=BB62_6 Depth=1
	s_or_b64 exec, exec, s[44:45]
	s_and_b64 s[48:49], s[20:21], exec
	v_mov_b32_e32 v36, v4
.LBB62_154:                             ;   in Loop: Header=BB62_6 Depth=1
	s_or_b64 exec, exec, s[16:17]
	s_mov_b64 s[16:17], -1
                                        ; implicit-def: $sgpr20_sgpr21
                                        ; implicit-def: $sgpr46_sgpr47
                                        ; implicit-def: $sgpr52_sgpr53
	s_and_saveexec_b64 s[44:45], s[48:49]
	s_cbranch_execz .LBB62_235
; %bb.155:                              ;   in Loop: Header=BB62_6 Depth=1
	s_cmp_eq_u32 s63, 1
	s_cselect_b64 s[16:17], -1, 0
	v_cmp_eq_u32_e32 vcc, 1, v36
	s_and_b64 s[54:55], s[16:17], vcc
	s_mov_b64 s[20:21], -1
                                        ; implicit-def: $sgpr46_sgpr47
                                        ; implicit-def: $sgpr50_sgpr51
                                        ; implicit-def: $sgpr48_sgpr49
	s_and_saveexec_b64 s[52:53], s[54:55]
	s_cbranch_execz .LBB62_181
; %bb.156:                              ;   in Loop: Header=BB62_6 Depth=1
	ds_read_b32 v4, v11 offset:4096
	s_waitcnt lgkmcnt(0)
	s_barrier
	v_readfirstlane_b32 s50, v4
	s_mov_b64 s[16:17], exec
	v_readlane_b32 s20, v53, 44
	v_readlane_b32 s21, v53, 45
	s_and_b64 s[20:21], s[16:17], s[20:21]
	s_mov_b64 exec, s[20:21]
	s_cbranch_execz .LBB62_158
; %bb.157:                              ;   in Loop: Header=BB62_6 Depth=1
	ds_write_b16 v20, v11
.LBB62_158:                             ;   in Loop: Header=BB62_6 Depth=1
	s_or_b64 exec, exec, s[16:17]
	v_and_b32_e32 v2, s10, v2
	v_lshl_or_b32 v2, 2, s62, v2
	v_or_b32_e32 v3, s4, v3
	s_cmp_eq_u32 s50, 0
	s_waitcnt lgkmcnt(0)
	s_barrier
	s_cbranch_scc1 .LBB62_167
; %bb.159:                              ;   in Loop: Header=BB62_6 Depth=1
	v_readlane_b32 s16, v53, 37
	s_add_i32 s16, s50, s16
	v_readlane_b32 s17, v53, 59
	s_mul_hi_u32 s17, s16, s17
	s_mul_i32 s17, s17, s9
	s_sub_i32 s17, s16, s17
	s_sub_i32 s20, s17, s9
	s_cmp_ge_u32 s17, s9
	s_cselect_b32 s17, s20, s17
	s_sub_i32 s20, s17, s9
	s_cmp_ge_u32 s17, s9
	s_cselect_b32 s17, s20, s17
	s_sub_i32 s51, s16, s17
	v_cmp_gt_u32_e32 vcc, s51, v0
	s_mov_b64 s[16:17], 0
                                        ; implicit-def: $vgpr35
	s_and_saveexec_b64 s[46:47], vcc
	s_cbranch_execz .LBB62_169
; %bb.160:                              ;   in Loop: Header=BB62_6 Depth=1
	v_mov_b32_e32 v4, v19
	v_mov_b32_e32 v5, v0
                                        ; implicit-def: $sgpr48_sgpr49
	s_branch .LBB62_162
.LBB62_161:                             ;   in Loop: Header=BB62_162 Depth=2
	s_or_b64 exec, exec, s[20:21]
	s_waitcnt lgkmcnt(0)
	s_barrier
	ds_read_b32 v10, v11 offset:3072
	v_add_u32_e32 v5, s9, v5
	v_cmp_le_u32_e64 s[20:21], s51, v5
	v_add_u32_e32 v4, s13, v4
	s_waitcnt lgkmcnt(0)
	v_cmp_ne_u16_e32 vcc, 0, v10
	s_or_b64 s[20:21], s[20:21], vcc
	s_and_b64 s[20:21], exec, s[20:21]
	s_or_b64 s[16:17], s[20:21], s[16:17]
	s_andn2_b64 s[20:21], s[48:49], exec
	s_and_b64 s[48:49], vcc, exec
	s_or_b64 s[48:49], s[20:21], s[48:49]
	s_barrier
	s_andn2_b64 exec, exec, s[16:17]
	s_cbranch_execz .LBB62_168
.LBB62_162:                             ;   Parent Loop BB62_6 Depth=1
                                        ; =>  This Inner Loop Header: Depth=2
	v_cmp_gt_u32_e32 vcc, s50, v5
	v_mov_b32_e32 v10, 0
	s_and_saveexec_b64 s[20:21], vcc
	s_cbranch_execz .LBB62_164
; %bb.163:                              ;   in Loop: Header=BB62_162 Depth=2
	ds_read_u16 v10, v4
.LBB62_164:                             ;   in Loop: Header=BB62_162 Depth=2
	s_or_b64 exec, exec, s[20:21]
	s_and_saveexec_b64 s[20:21], vcc
	s_cbranch_execz .LBB62_161
; %bb.165:                              ;   in Loop: Header=BB62_162 Depth=2
	s_waitcnt lgkmcnt(0)
	v_add_u32_sdwa v35, sext(v10), s6 dst_sel:DWORD dst_unused:UNUSED_PAD src0_sel:WORD_0 src1_sel:DWORD
	v_and_b32_e32 v35, v35, v3
	v_cmp_eq_u32_e32 vcc, v35, v2
	s_and_b64 exec, exec, vcc
	s_cbranch_execz .LBB62_161
; %bb.166:                              ;   in Loop: Header=BB62_162 Depth=2
	v_perm_b32 v10, v10, 1, v30
	ds_write_b32 v11, v10 offset:3072
	s_branch .LBB62_161
.LBB62_167:                             ;   in Loop: Header=BB62_6 Depth=1
	s_mov_b64 s[46:47], -1
	s_mov_b64 s[16:17], 0
                                        ; implicit-def: $sgpr48_sgpr49
                                        ; implicit-def: $vgpr35
	s_mov_b64 s[50:51], s[46:47]
	s_cbranch_execnz .LBB62_170
	s_branch .LBB62_180
.LBB62_168:                             ;   in Loop: Header=BB62_6 Depth=1
	s_or_b64 exec, exec, s[16:17]
	v_lshrrev_b32_e32 v35, 16, v10
	s_and_b64 s[16:17], s[48:49], exec
.LBB62_169:                             ;   in Loop: Header=BB62_6 Depth=1
	s_or_b64 exec, exec, s[46:47]
	s_mov_b64 s[48:49], -1
	s_mov_b64 s[46:47], 0
	s_mov_b64 s[50:51], s[46:47]
	s_branch .LBB62_180
.LBB62_170:                             ;   in Loop: Header=BB62_6 Depth=1
	s_mov_b64 s[16:17], 0
                                        ; implicit-def: $vgpr35
	s_mov_b64 s[46:47], exec
	v_readlane_b32 s20, v53, 60
	v_readlane_b32 s21, v53, 61
	s_and_b64 s[20:21], s[46:47], s[20:21]
	s_mov_b64 exec, s[20:21]
	s_cbranch_execz .LBB62_179
; %bb.171:                              ;   in Loop: Header=BB62_6 Depth=1
	v_mov_b32_e32 v10, v12
	v_mov_b32_e32 v4, v0
                                        ; implicit-def: $sgpr48_sgpr49
	s_branch .LBB62_173
.LBB62_172:                             ;   in Loop: Header=BB62_173 Depth=2
	s_or_b64 exec, exec, s[20:21]
	s_waitcnt lgkmcnt(0)
	s_barrier
	s_waitcnt vmcnt(0)
	ds_read_b32 v5, v11 offset:3072
	v_add_u32_e32 v4, s9, v4
	v_cmp_le_u32_e64 s[20:21], s86, v4
	v_add_u32_e32 v10, s84, v10
	s_waitcnt lgkmcnt(0)
	v_cmp_ne_u16_e32 vcc, 0, v5
	s_or_b64 s[20:21], s[20:21], vcc
	s_and_b64 s[20:21], exec, s[20:21]
	s_or_b64 s[16:17], s[20:21], s[16:17]
	s_andn2_b64 s[20:21], s[48:49], exec
	s_and_b64 s[48:49], vcc, exec
	s_or_b64 s[48:49], s[20:21], s[48:49]
	s_barrier
	s_andn2_b64 exec, exec, s[16:17]
	s_cbranch_execz .LBB62_178
.LBB62_173:                             ;   Parent Loop BB62_6 Depth=1
                                        ; =>  This Inner Loop Header: Depth=2
	v_cmp_gt_u32_e32 vcc, s60, v4
	v_mov_b32_e32 v5, 0
	s_and_saveexec_b64 s[50:51], vcc
	s_cbranch_execz .LBB62_175
; %bb.174:                              ;   in Loop: Header=BB62_173 Depth=2
	v_lshlrev_b64 v[38:39], 1, v[10:11]
	v_mov_b32_e32 v5, s8
	v_add_co_u32_e64 v38, s[20:21], s33, v38
	v_addc_co_u32_e64 v39, s[20:21], v5, v39, s[20:21]
	global_load_ushort v5, v[38:39], off
.LBB62_175:                             ;   in Loop: Header=BB62_173 Depth=2
	s_or_b64 exec, exec, s[50:51]
	s_and_saveexec_b64 s[20:21], vcc
	s_cbranch_execz .LBB62_172
; %bb.176:                              ;   in Loop: Header=BB62_173 Depth=2
	s_waitcnt vmcnt(0)
	v_add_u32_sdwa v35, sext(v5), s6 dst_sel:DWORD dst_unused:UNUSED_PAD src0_sel:WORD_0 src1_sel:DWORD
	v_and_b32_e32 v35, v35, v3
	v_cmp_eq_u32_e32 vcc, v35, v2
	s_and_b64 exec, exec, vcc
	s_cbranch_execz .LBB62_172
; %bb.177:                              ;   in Loop: Header=BB62_173 Depth=2
	v_perm_b32 v5, v5, 1, v30
	ds_write_b32 v11, v5 offset:3072
	s_branch .LBB62_172
.LBB62_178:                             ;   in Loop: Header=BB62_6 Depth=1
	s_or_b64 exec, exec, s[16:17]
	v_lshrrev_b32_e32 v35, 16, v5
	s_and_b64 s[16:17], s[48:49], exec
.LBB62_179:                             ;   in Loop: Header=BB62_6 Depth=1
	s_or_b64 exec, exec, s[46:47]
	s_mov_b64 s[50:51], -1
	s_mov_b64 s[46:47], 0
	s_mov_b64 s[48:49], 0
.LBB62_180:                             ;   in Loop: Header=BB62_6 Depth=1
	s_orn2_b64 s[20:21], s[16:17], exec
.LBB62_181:                             ;   in Loop: Header=BB62_6 Depth=1
	s_or_b64 exec, exec, s[52:53]
	s_mov_b64 s[16:17], 0
                                        ; implicit-def: $vgpr5
	s_and_saveexec_b64 s[52:53], s[20:21]
	s_cbranch_execz .LBB62_234
; %bb.182:                              ;   in Loop: Header=BB62_6 Depth=1
	s_xor_b64 s[20:21], s[54:55], -1
	s_mov_b64 s[58:59], 0
	v_mov_b32_e32 v4, 1
	v_mov_b32_e32 v5, 1
	s_and_saveexec_b64 s[16:17], s[20:21]
	s_cbranch_execz .LBB62_192
; %bb.183:                              ;   in Loop: Header=BB62_6 Depth=1
	v_cmp_ge_u32_e32 vcc, s63, v36
                                        ; implicit-def: $sgpr56
                                        ; implicit-def: $sgpr20_sgpr21
	s_and_saveexec_b64 s[54:55], vcc
	s_xor_b64 s[54:55], exec, s[54:55]
	s_cbranch_execz .LBB62_189
; %bb.184:                              ;   in Loop: Header=BB62_6 Depth=1
	ds_read_b32 v4, v11 offset:4096
	s_waitcnt lgkmcnt(0)
	v_cmp_ne_u32_e32 vcc, 0, v4
	s_cbranch_vccnz .LBB62_188
; %bb.185:                              ;   in Loop: Header=BB62_6 Depth=1
	s_mov_b64 s[20:21], exec
	v_readlane_b32 s56, v53, 22
	v_readlane_b32 s57, v53, 23
	s_and_b64 s[56:57], s[20:21], s[56:57]
	s_mov_b64 exec, s[56:57]
	s_cbranch_execz .LBB62_187
; %bb.186:                              ;   in Loop: Header=BB62_6 Depth=1
	v_mov_b32_e32 v4, s63
	ds_write_b32 v11, v4 offset:4100
.LBB62_187:                             ;   in Loop: Header=BB62_6 Depth=1
	s_or_b64 exec, exec, s[20:21]
	s_waitcnt lgkmcnt(0)
	s_barrier
.LBB62_188:                             ;   in Loop: Header=BB62_6 Depth=1
	v_and_b32_e32 v2, s10, v2
	v_lshl_or_b32 v2, 2, s62, v2
	v_or_b32_e32 v3, s4, v3
	s_mov_b64 s[20:21], 0
	s_mov_b32 s56, 8
.LBB62_189:                             ;   in Loop: Header=BB62_6 Depth=1
	s_or_saveexec_b64 s[54:55], s[54:55]
	v_mov_b32_e32 v5, s56
	s_xor_b64 exec, exec, s[54:55]
; %bb.190:                              ;   in Loop: Header=BB62_6 Depth=1
	v_subrev_u32_e32 v36, s63, v36
	v_mov_b32_e32 v5, 0
	s_or_b64 s[20:21], s[20:21], exec
; %bb.191:                              ;   in Loop: Header=BB62_6 Depth=1
	s_or_b64 exec, exec, s[54:55]
	s_and_b64 s[58:59], s[20:21], exec
	v_mov_b32_e32 v4, v36
.LBB62_192:                             ;   in Loop: Header=BB62_6 Depth=1
	s_or_b64 exec, exec, s[16:17]
	s_mov_b64 s[56:57], -1
                                        ; implicit-def: $sgpr16_sgpr17
                                        ; implicit-def: $sgpr88_sgpr89
                                        ; implicit-def: $sgpr20_sgpr21
	s_and_saveexec_b64 s[54:55], s[58:59]
	s_cbranch_execz .LBB62_233
; %bb.193:                              ;   in Loop: Header=BB62_6 Depth=1
	s_cmp_eq_u32 s82, 1
	s_cselect_b64 s[16:17], -1, 0
	v_cmp_eq_u32_e32 vcc, 1, v4
	s_mov_b64 s[90:91], -1
	s_and_b64 s[56:57], s[16:17], vcc
                                        ; implicit-def: $sgpr16_sgpr17
                                        ; implicit-def: $sgpr88_sgpr89
                                        ; implicit-def: $sgpr20_sgpr21
	s_mov_b64 s[58:59], exec
                                        ; implicit-def: $vgpr52 : SGPR spill to VGPR lane
	v_writelane_b32 v53, s56, 63
	v_writelane_b32 v52, s57, 0
	s_and_b64 s[56:57], s[58:59], s[56:57]
	s_mov_b64 exec, s[56:57]
	s_cbranch_execz .LBB62_220
; %bb.194:                              ;   in Loop: Header=BB62_6 Depth=1
	ds_read_b32 v5, v11 offset:4096
	s_waitcnt lgkmcnt(0)
	s_barrier
	v_readfirstlane_b32 s83, v5
	s_mov_b64 s[16:17], exec
	v_readlane_b32 s20, v53, 44
	v_readlane_b32 s21, v53, 45
	s_and_b64 s[20:21], s[16:17], s[20:21]
	s_mov_b64 exec, s[20:21]
	s_cbranch_execz .LBB62_196
; %bb.195:                              ;   in Loop: Header=BB62_6 Depth=1
	ds_write_b16 v20, v11
.LBB62_196:                             ;   in Loop: Header=BB62_6 Depth=1
	s_or_b64 exec, exec, s[16:17]
	v_or_b32_e32 v2, s4, v2
	v_or_b32_e32 v3, s4, v3
	s_cmp_eq_u32 s83, 0
	s_waitcnt lgkmcnt(0)
	s_barrier
	s_cbranch_scc1 .LBB62_205
; %bb.197:                              ;   in Loop: Header=BB62_6 Depth=1
	v_readlane_b32 s16, v53, 37
	s_add_i32 s16, s83, s16
	v_readlane_b32 s17, v53, 59
	s_mul_hi_u32 s17, s16, s17
	s_mul_i32 s17, s17, s9
	s_sub_i32 s17, s16, s17
	s_sub_i32 s20, s17, s9
	s_cmp_ge_u32 s17, s9
	s_cselect_b32 s17, s20, s17
	s_sub_i32 s20, s17, s9
	s_cmp_ge_u32 s17, s9
	s_cselect_b32 s17, s20, s17
	s_sub_i32 s56, s16, s17
	s_mov_b64 s[90:91], 0
	v_cmp_gt_u32_e32 vcc, s56, v0
                                        ; implicit-def: $vgpr35
	s_mov_b64 s[16:17], exec
	v_writelane_b32 v52, s16, 1
	s_and_b64 s[20:21], s[16:17], vcc
	v_writelane_b32 v52, s17, 2
	s_mov_b64 exec, s[20:21]
	s_cbranch_execz .LBB62_207
; %bb.198:                              ;   in Loop: Header=BB62_6 Depth=1
	s_mov_b64 s[88:89], 0
	v_mov_b32_e32 v5, v19
	v_mov_b32_e32 v10, v0
                                        ; implicit-def: $sgpr90_sgpr91
	s_branch .LBB62_200
.LBB62_199:                             ;   in Loop: Header=BB62_200 Depth=2
	s_or_b64 exec, exec, s[20:21]
	s_waitcnt lgkmcnt(0)
	s_barrier
	ds_read_b32 v35, v11 offset:3072
	v_add_u32_e32 v10, s9, v10
	v_cmp_le_u32_e64 s[20:21], s56, v10
	v_add_u32_e32 v5, s13, v5
	s_waitcnt lgkmcnt(0)
	v_cmp_ne_u16_e32 vcc, 0, v35
	s_or_b64 s[16:17], s[20:21], vcc
	s_and_b64 s[16:17], exec, s[16:17]
	s_or_b64 s[88:89], s[16:17], s[88:89]
	s_andn2_b64 s[16:17], s[90:91], exec
	s_and_b64 s[20:21], vcc, exec
	s_or_b64 s[90:91], s[16:17], s[20:21]
	s_barrier
	s_andn2_b64 exec, exec, s[88:89]
	s_cbranch_execz .LBB62_206
.LBB62_200:                             ;   Parent Loop BB62_6 Depth=1
                                        ; =>  This Inner Loop Header: Depth=2
	v_cmp_gt_u32_e32 vcc, s83, v10
	v_mov_b32_e32 v35, 0
	s_and_saveexec_b64 s[20:21], vcc
	s_cbranch_execz .LBB62_202
; %bb.201:                              ;   in Loop: Header=BB62_200 Depth=2
	ds_read_u16 v35, v5
.LBB62_202:                             ;   in Loop: Header=BB62_200 Depth=2
	s_or_b64 exec, exec, s[20:21]
	s_and_saveexec_b64 s[20:21], vcc
	s_cbranch_execz .LBB62_199
; %bb.203:                              ;   in Loop: Header=BB62_200 Depth=2
	s_waitcnt lgkmcnt(0)
	v_add_u32_sdwa v36, sext(v35), s6 dst_sel:DWORD dst_unused:UNUSED_PAD src0_sel:WORD_0 src1_sel:DWORD
	v_and_b32_e32 v36, v36, v3
	v_cmp_eq_u32_e32 vcc, v36, v2
	s_and_b64 exec, exec, vcc
	s_cbranch_execz .LBB62_199
; %bb.204:                              ;   in Loop: Header=BB62_200 Depth=2
	v_perm_b32 v35, v35, 1, v30
	ds_write_b32 v11, v35 offset:3072
	s_branch .LBB62_199
.LBB62_205:                             ;   in Loop: Header=BB62_6 Depth=1
	s_mov_b64 s[16:17], -1
	s_mov_b64 s[90:91], 0
                                        ; implicit-def: $sgpr20_sgpr21
                                        ; implicit-def: $vgpr35
	s_branch .LBB62_208
.LBB62_206:                             ;   in Loop: Header=BB62_6 Depth=1
	s_or_b64 exec, exec, s[88:89]
	v_lshrrev_b32_e32 v35, 16, v35
	s_and_b64 s[90:91], s[90:91], exec
.LBB62_207:                             ;   in Loop: Header=BB62_6 Depth=1
	v_readlane_b32 s16, v52, 1
	v_readlane_b32 s17, v52, 2
	s_or_b64 exec, exec, s[16:17]
	s_mov_b64 s[20:21], -1
	s_mov_b64 s[16:17], 0
.LBB62_208:                             ;   in Loop: Header=BB62_6 Depth=1
	s_and_b64 vcc, exec, s[16:17]
	s_mov_b64 s[88:89], s[16:17]
	s_cbranch_vccz .LBB62_219
; %bb.209:                              ;   in Loop: Header=BB62_6 Depth=1
	s_mov_b64 s[90:91], 0
                                        ; implicit-def: $vgpr35
	s_mov_b64 s[56:57], exec
	v_readlane_b32 s16, v53, 60
	v_readlane_b32 s17, v53, 61
	s_and_b64 s[16:17], s[56:57], s[16:17]
	s_mov_b64 exec, s[16:17]
	s_cbranch_execz .LBB62_218
; %bb.210:                              ;   in Loop: Header=BB62_6 Depth=1
	s_mov_b64 s[88:89], 0
	v_mov_b32_e32 v10, v12
	v_mov_b32_e32 v5, v0
                                        ; implicit-def: $sgpr90_sgpr91
	s_branch .LBB62_212
.LBB62_211:                             ;   in Loop: Header=BB62_212 Depth=2
	s_or_b64 exec, exec, s[16:17]
	s_waitcnt lgkmcnt(0)
	s_barrier
	s_waitcnt vmcnt(0)
	ds_read_b32 v35, v11 offset:3072
	v_add_u32_e32 v5, s9, v5
	v_cmp_le_u32_e64 s[20:21], s86, v5
	v_add_u32_e32 v10, s84, v10
	s_waitcnt lgkmcnt(0)
	v_cmp_ne_u16_e32 vcc, 0, v35
	s_or_b64 s[16:17], s[20:21], vcc
	s_and_b64 s[16:17], exec, s[16:17]
	s_or_b64 s[88:89], s[16:17], s[88:89]
	s_andn2_b64 s[16:17], s[90:91], exec
	s_and_b64 s[20:21], vcc, exec
	s_or_b64 s[90:91], s[16:17], s[20:21]
	s_barrier
	s_andn2_b64 exec, exec, s[88:89]
	s_cbranch_execz .LBB62_217
.LBB62_212:                             ;   Parent Loop BB62_6 Depth=1
                                        ; =>  This Inner Loop Header: Depth=2
	v_cmp_gt_u32_e32 vcc, s60, v5
	v_mov_b32_e32 v35, 0
	s_and_saveexec_b64 s[16:17], vcc
	s_cbranch_execz .LBB62_214
; %bb.213:                              ;   in Loop: Header=BB62_212 Depth=2
	v_lshlrev_b64 v[36:37], 1, v[10:11]
	v_mov_b32_e32 v35, s8
	v_add_co_u32_e64 v36, s[20:21], s33, v36
	v_addc_co_u32_e64 v37, s[20:21], v35, v37, s[20:21]
	global_load_ushort v35, v[36:37], off
.LBB62_214:                             ;   in Loop: Header=BB62_212 Depth=2
	s_or_b64 exec, exec, s[16:17]
	s_and_saveexec_b64 s[16:17], vcc
	s_cbranch_execz .LBB62_211
; %bb.215:                              ;   in Loop: Header=BB62_212 Depth=2
	s_waitcnt vmcnt(0)
	v_add_u32_sdwa v36, sext(v35), s6 dst_sel:DWORD dst_unused:UNUSED_PAD src0_sel:WORD_0 src1_sel:DWORD
	v_and_b32_e32 v36, v36, v3
	v_cmp_eq_u32_e32 vcc, v36, v2
	s_and_b64 exec, exec, vcc
	s_cbranch_execz .LBB62_211
; %bb.216:                              ;   in Loop: Header=BB62_212 Depth=2
	v_perm_b32 v35, v35, 1, v30
	ds_write_b32 v11, v35 offset:3072
	s_branch .LBB62_211
.LBB62_217:                             ;   in Loop: Header=BB62_6 Depth=1
	s_or_b64 exec, exec, s[88:89]
	v_lshrrev_b32_e32 v35, 16, v35
	s_and_b64 s[90:91], s[90:91], exec
.LBB62_218:                             ;   in Loop: Header=BB62_6 Depth=1
	s_or_b64 exec, exec, s[56:57]
	s_mov_b64 s[88:89], -1
	s_mov_b64 s[16:17], 0
	s_mov_b64 s[20:21], 0
.LBB62_219:                             ;   in Loop: Header=BB62_6 Depth=1
	s_orn2_b64 s[90:91], s[90:91], exec
.LBB62_220:                             ;   in Loop: Header=BB62_6 Depth=1
	s_or_b64 exec, exec, s[58:59]
	s_mov_b64 vcc, 0
                                        ; implicit-def: $vgpr5
                                        ; implicit-def: $vgpr10
	s_and_saveexec_b64 s[58:59], s[90:91]
	s_cbranch_execz .LBB62_232
; %bb.221:                              ;   in Loop: Header=BB62_6 Depth=1
	v_readlane_b32 s56, v53, 63
	v_readlane_b32 s57, v52, 0
	s_xor_b64 s[90:91], s[56:57], -1
	v_mov_b32_e32 v5, 1
	v_mov_b32_e32 v10, 1
	s_and_saveexec_b64 s[56:57], s[90:91]
	s_cbranch_execz .LBB62_231
; %bb.222:                              ;   in Loop: Header=BB62_6 Depth=1
	v_cmp_ge_u32_e32 vcc, s82, v4
                                        ; implicit-def: $sgpr83
	s_and_saveexec_b64 s[90:91], vcc
	s_xor_b64 s[90:91], exec, s[90:91]
	s_cbranch_execz .LBB62_228
; %bb.223:                              ;   in Loop: Header=BB62_6 Depth=1
	ds_read_b32 v5, v11 offset:4096
	s_waitcnt lgkmcnt(0)
	v_cmp_ne_u32_e32 vcc, 0, v5
	s_cbranch_vccnz .LBB62_227
; %bb.224:                              ;   in Loop: Header=BB62_6 Depth=1
	v_writelane_b32 v52, s90, 3
	v_writelane_b32 v52, s91, 4
	s_mov_b64 s[90:91], exec
	v_writelane_b32 v52, s90, 5
	v_writelane_b32 v52, s91, 6
	v_readlane_b32 vcc_lo, v53, 22
	v_readlane_b32 s90, v52, 5
	v_readlane_b32 vcc_hi, v53, 23
	v_readlane_b32 s91, v52, 6
	s_and_b64 vcc, s[90:91], vcc
	s_mov_b64 exec, vcc
	s_cbranch_execz .LBB62_226
; %bb.225:                              ;   in Loop: Header=BB62_6 Depth=1
	v_mov_b32_e32 v5, s82
	ds_write_b32 v11, v5 offset:4100
.LBB62_226:                             ;   in Loop: Header=BB62_6 Depth=1
	v_readlane_b32 vcc_lo, v52, 5
	v_readlane_b32 vcc_hi, v52, 6
	s_or_b64 exec, exec, vcc
	v_readlane_b32 s90, v52, 3
	v_readlane_b32 s91, v52, 4
	s_waitcnt lgkmcnt(0)
	s_barrier
.LBB62_227:                             ;   in Loop: Header=BB62_6 Depth=1
	v_or_b32_e32 v2, s4, v2
	v_or_b32_e32 v3, s4, v3
	s_mov_b32 s83, 8
.LBB62_228:                             ;   in Loop: Header=BB62_6 Depth=1
	s_or_saveexec_b64 s[90:91], s[90:91]
	v_mov_b32_e32 v5, s83
	s_xor_b64 exec, exec, s[90:91]
; %bb.229:                              ;   in Loop: Header=BB62_6 Depth=1
	v_subrev_u32_e32 v4, s82, v4
	v_mov_b32_e32 v5, 8
; %bb.230:                              ;   in Loop: Header=BB62_6 Depth=1
	s_or_b64 exec, exec, s[90:91]
	v_mov_b32_e32 v10, v4
.LBB62_231:                             ;   in Loop: Header=BB62_6 Depth=1
	s_or_b64 exec, exec, s[56:57]
	s_mov_b64 vcc, exec
.LBB62_232:                             ;   in Loop: Header=BB62_6 Depth=1
	s_or_b64 exec, exec, s[58:59]
	s_orn2_b64 s[56:57], vcc, exec
	v_mov_b32_e32 v4, v10
.LBB62_233:                             ;   in Loop: Header=BB62_6 Depth=1
	s_or_b64 exec, exec, s[54:55]
	s_andn2_b64 s[46:47], s[46:47], exec
	s_and_b64 s[16:17], s[16:17], exec
	s_or_b64 s[46:47], s[46:47], s[16:17]
	s_andn2_b64 s[16:17], s[50:51], exec
	s_and_b64 s[50:51], s[88:89], exec
	s_or_b64 s[50:51], s[16:17], s[50:51]
	;; [unrolled: 3-line block ×3, first 2 shown]
	s_and_b64 s[16:17], s[56:57], exec
	v_mov_b32_e32 v36, v4
.LBB62_234:                             ;   in Loop: Header=BB62_6 Depth=1
	s_or_b64 exec, exec, s[52:53]
	s_and_b64 s[52:53], s[46:47], exec
	s_and_b64 s[46:47], s[50:51], exec
	;; [unrolled: 1-line block ×3, first 2 shown]
	s_orn2_b64 s[16:17], s[16:17], exec
.LBB62_235:                             ;   in Loop: Header=BB62_6 Depth=1
	s_or_b64 exec, exec, s[44:45]
	s_andn2_b64 s[36:37], s[36:37], exec
	s_and_b64 s[44:45], s[52:53], exec
	s_or_b64 s[36:37], s[36:37], s[44:45]
	s_andn2_b64 s[40:41], s[40:41], exec
	s_and_b64 s[44:45], s[46:47], exec
	s_andn2_b64 s[38:39], s[38:39], exec
	s_and_b64 s[20:21], s[20:21], exec
	s_or_b64 s[40:41], s[40:41], s[44:45]
	s_or_b64 s[38:39], s[38:39], s[20:21]
	s_and_b64 s[20:21], s[16:17], exec
	v_mov_b32_e32 v4, v36
.LBB62_236:                             ;   in Loop: Header=BB62_6 Depth=1
	s_or_b64 exec, exec, s[42:43]
	s_and_b64 s[42:43], s[36:37], exec
	s_and_b64 s[36:37], s[40:41], exec
	;; [unrolled: 1-line block ×3, first 2 shown]
	s_orn2_b64 s[38:39], s[20:21], exec
.LBB62_237:                             ;   in Loop: Header=BB62_6 Depth=1
	s_or_b64 exec, exec, s[24:25]
	s_mov_b64 s[24:25], 0
	s_mov_b64 s[20:21], 0
	s_and_saveexec_b64 s[40:41], s[38:39]
	s_xor_b64 s[38:39], exec, s[40:41]
; %bb.238:                              ;   in Loop: Header=BB62_6 Depth=1
	v_cmp_eq_u32_e32 vcc, 8, v5
	v_cmp_ne_u32_e64 s[20:21], 8, v5
	s_andn2_b64 s[42:43], s[42:43], exec
	s_andn2_b64 s[36:37], s[36:37], exec
	;; [unrolled: 1-line block ×3, first 2 shown]
	s_and_b64 s[20:21], s[20:21], exec
	s_and_b64 s[24:25], vcc, exec
; %bb.239:                              ;   in Loop: Header=BB62_6 Depth=1
	s_or_b64 exec, exec, s[38:39]
	s_andn2_b64 s[22:23], s[22:23], exec
	s_and_b64 s[38:39], s[42:43], exec
	s_andn2_b64 s[28:29], s[28:29], exec
	s_and_b64 s[36:37], s[36:37], exec
	;; [unrolled: 2-line block ×3, first 2 shown]
	s_or_b64 s[22:23], s[22:23], s[38:39]
	s_or_b64 s[28:29], s[28:29], s[36:37]
	;; [unrolled: 1-line block ×3, first 2 shown]
	s_and_b64 s[20:21], s[20:21], exec
	s_and_b64 s[24:25], s[24:25], exec
.LBB62_240:                             ;   in Loop: Header=BB62_6 Depth=1
	s_or_b64 exec, exec, s[34:35]
	s_and_b64 vcc, exec, s[30:31]
	s_cbranch_vccz .LBB62_90
.LBB62_241:                             ;   in Loop: Header=BB62_6 Depth=1
	s_cmp_eq_u32 s82, 1
	s_cselect_b64 s[16:17], -1, 0
	s_and_b64 s[28:29], s[16:17], s[18:19]
	s_mov_b64 s[16:17], -1
                                        ; implicit-def: $sgpr30_sgpr31
                                        ; implicit-def: $sgpr34_sgpr35
                                        ; implicit-def: $sgpr22_sgpr23
	s_and_saveexec_b64 s[26:27], s[28:29]
	s_cbranch_execz .LBB62_267
; %bb.242:                              ;   in Loop: Header=BB62_6 Depth=1
	ds_read_b32 v2, v11 offset:4096
	s_waitcnt lgkmcnt(0)
	s_barrier
	v_readfirstlane_b32 s34, v2
	s_mov_b64 s[16:17], exec
	v_readlane_b32 s18, v53, 44
	v_readlane_b32 s19, v53, 45
	s_and_b64 s[18:19], s[16:17], s[18:19]
	s_mov_b64 exec, s[18:19]
	s_cbranch_execz .LBB62_244
; %bb.243:                              ;   in Loop: Header=BB62_6 Depth=1
	ds_write_b16 v20, v11
.LBB62_244:                             ;   in Loop: Header=BB62_6 Depth=1
	s_or_b64 exec, exec, s[16:17]
	v_or_b32_e32 v32, s4, v32
	v_or_b32_e32 v31, s4, v31
	s_cmp_eq_u32 s34, 0
	s_waitcnt lgkmcnt(0)
	s_barrier
	s_cbranch_scc1 .LBB62_253
; %bb.245:                              ;   in Loop: Header=BB62_6 Depth=1
	v_readlane_b32 s16, v53, 37
	s_add_i32 s16, s34, s16
	v_readlane_b32 s17, v53, 59
	s_mul_hi_u32 s17, s16, s17
	s_mul_i32 s17, s17, s9
	s_sub_i32 s17, s16, s17
	s_sub_i32 s18, s17, s9
	s_cmp_ge_u32 s17, s9
	s_cselect_b32 s17, s18, s17
	s_sub_i32 s18, s17, s9
	s_cmp_ge_u32 s17, s9
	s_cselect_b32 s17, s18, s17
	s_sub_i32 s35, s16, s17
	v_cmp_gt_u32_e32 vcc, s35, v0
	s_mov_b64 s[16:17], 0
                                        ; implicit-def: $vgpr33
	s_and_saveexec_b64 s[22:23], vcc
	s_cbranch_execz .LBB62_255
; %bb.246:                              ;   in Loop: Header=BB62_6 Depth=1
	v_mov_b32_e32 v2, v19
	v_mov_b32_e32 v3, v0
                                        ; implicit-def: $sgpr30_sgpr31
	s_branch .LBB62_248
.LBB62_247:                             ;   in Loop: Header=BB62_248 Depth=2
	s_or_b64 exec, exec, s[18:19]
	s_waitcnt lgkmcnt(0)
	s_barrier
	ds_read_b32 v4, v11 offset:3072
	v_add_u32_e32 v3, s9, v3
	v_cmp_le_u32_e64 s[18:19], s35, v3
	v_add_u32_e32 v2, s13, v2
	s_waitcnt lgkmcnt(0)
	v_cmp_ne_u16_e32 vcc, 0, v4
	s_or_b64 s[18:19], s[18:19], vcc
	s_and_b64 s[18:19], exec, s[18:19]
	s_or_b64 s[16:17], s[18:19], s[16:17]
	s_andn2_b64 s[18:19], s[30:31], exec
	s_and_b64 s[30:31], vcc, exec
	s_or_b64 s[30:31], s[18:19], s[30:31]
	s_barrier
	s_andn2_b64 exec, exec, s[16:17]
	s_cbranch_execz .LBB62_254
.LBB62_248:                             ;   Parent Loop BB62_6 Depth=1
                                        ; =>  This Inner Loop Header: Depth=2
	v_cmp_gt_u32_e32 vcc, s34, v3
	v_mov_b32_e32 v4, 0
	s_and_saveexec_b64 s[18:19], vcc
	s_cbranch_execz .LBB62_250
; %bb.249:                              ;   in Loop: Header=BB62_248 Depth=2
	ds_read_u16 v4, v2
.LBB62_250:                             ;   in Loop: Header=BB62_248 Depth=2
	s_or_b64 exec, exec, s[18:19]
	s_and_saveexec_b64 s[18:19], vcc
	s_cbranch_execz .LBB62_247
; %bb.251:                              ;   in Loop: Header=BB62_248 Depth=2
	s_waitcnt lgkmcnt(0)
	v_add_u32_sdwa v5, sext(v4), s6 dst_sel:DWORD dst_unused:UNUSED_PAD src0_sel:WORD_0 src1_sel:DWORD
	v_and_b32_e32 v5, v5, v31
	v_cmp_eq_u32_e32 vcc, v5, v32
	s_and_b64 exec, exec, vcc
	s_cbranch_execz .LBB62_247
; %bb.252:                              ;   in Loop: Header=BB62_248 Depth=2
	v_perm_b32 v4, v4, 1, v30
	ds_write_b32 v11, v4 offset:3072
	s_branch .LBB62_247
.LBB62_253:                             ;   in Loop: Header=BB62_6 Depth=1
	s_mov_b64 s[30:31], -1
	s_mov_b64 s[16:17], 0
                                        ; implicit-def: $sgpr34_sgpr35
                                        ; implicit-def: $vgpr33
	s_mov_b64 s[22:23], s[30:31]
	s_cbranch_execnz .LBB62_256
	s_branch .LBB62_266
.LBB62_254:                             ;   in Loop: Header=BB62_6 Depth=1
	s_or_b64 exec, exec, s[16:17]
	v_lshrrev_b32_e32 v33, 16, v4
	s_and_b64 s[16:17], s[30:31], exec
.LBB62_255:                             ;   in Loop: Header=BB62_6 Depth=1
	s_or_b64 exec, exec, s[22:23]
	s_mov_b64 s[30:31], 0
	s_mov_b64 s[34:35], -1
	s_mov_b64 s[22:23], s[30:31]
	s_branch .LBB62_266
.LBB62_256:                             ;   in Loop: Header=BB62_6 Depth=1
	s_mov_b64 s[16:17], 0
                                        ; implicit-def: $vgpr33
	s_mov_b64 s[22:23], exec
	v_readlane_b32 s18, v53, 60
	v_readlane_b32 s19, v53, 61
	s_and_b64 s[18:19], s[22:23], s[18:19]
	s_mov_b64 exec, s[18:19]
	s_cbranch_execz .LBB62_265
; %bb.257:                              ;   in Loop: Header=BB62_6 Depth=1
	v_mov_b32_e32 v10, v12
	v_mov_b32_e32 v2, v0
                                        ; implicit-def: $sgpr30_sgpr31
	s_branch .LBB62_259
.LBB62_258:                             ;   in Loop: Header=BB62_259 Depth=2
	s_or_b64 exec, exec, s[18:19]
	s_waitcnt lgkmcnt(0)
	s_barrier
	s_waitcnt vmcnt(0)
	ds_read_b32 v3, v11 offset:3072
	v_add_u32_e32 v2, s9, v2
	v_cmp_le_u32_e64 s[18:19], s86, v2
	v_add_u32_e32 v10, s84, v10
	s_waitcnt lgkmcnt(0)
	v_cmp_ne_u16_e32 vcc, 0, v3
	s_or_b64 s[18:19], s[18:19], vcc
	s_and_b64 s[18:19], exec, s[18:19]
	s_or_b64 s[16:17], s[18:19], s[16:17]
	s_andn2_b64 s[18:19], s[30:31], exec
	s_and_b64 s[30:31], vcc, exec
	s_or_b64 s[30:31], s[18:19], s[30:31]
	s_barrier
	s_andn2_b64 exec, exec, s[16:17]
	s_cbranch_execz .LBB62_264
.LBB62_259:                             ;   Parent Loop BB62_6 Depth=1
                                        ; =>  This Inner Loop Header: Depth=2
	v_cmp_gt_u32_e32 vcc, s60, v2
	v_mov_b32_e32 v3, 0
	s_and_saveexec_b64 s[34:35], vcc
	s_cbranch_execz .LBB62_261
; %bb.260:                              ;   in Loop: Header=BB62_259 Depth=2
	v_lshlrev_b64 v[4:5], 1, v[10:11]
	v_mov_b32_e32 v3, s8
	v_add_co_u32_e64 v4, s[18:19], s33, v4
	v_addc_co_u32_e64 v5, s[18:19], v3, v5, s[18:19]
	global_load_ushort v3, v[4:5], off
.LBB62_261:                             ;   in Loop: Header=BB62_259 Depth=2
	s_or_b64 exec, exec, s[34:35]
	s_and_saveexec_b64 s[18:19], vcc
	s_cbranch_execz .LBB62_258
; %bb.262:                              ;   in Loop: Header=BB62_259 Depth=2
	s_waitcnt vmcnt(0)
	v_add_u32_sdwa v4, sext(v3), s6 dst_sel:DWORD dst_unused:UNUSED_PAD src0_sel:WORD_0 src1_sel:DWORD
	v_and_b32_e32 v4, v4, v31
	v_cmp_eq_u32_e32 vcc, v4, v32
	s_and_b64 exec, exec, vcc
	s_cbranch_execz .LBB62_258
; %bb.263:                              ;   in Loop: Header=BB62_259 Depth=2
	v_perm_b32 v3, v3, 1, v30
	ds_write_b32 v11, v3 offset:3072
	s_branch .LBB62_258
.LBB62_264:                             ;   in Loop: Header=BB62_6 Depth=1
	s_or_b64 exec, exec, s[16:17]
	v_lshrrev_b32_e32 v33, 16, v3
	s_and_b64 s[16:17], s[30:31], exec
.LBB62_265:                             ;   in Loop: Header=BB62_6 Depth=1
	s_or_b64 exec, exec, s[22:23]
	s_mov_b64 s[34:35], 0
	s_mov_b64 s[30:31], -1
	s_mov_b64 s[22:23], 0
.LBB62_266:                             ;   in Loop: Header=BB62_6 Depth=1
	s_orn2_b64 s[16:17], s[16:17], exec
.LBB62_267:                             ;   in Loop: Header=BB62_6 Depth=1
	s_or_b64 exec, exec, s[26:27]
                                        ; implicit-def: $vgpr5
                                        ; implicit-def: $vgpr4
                                        ; implicit-def: $vgpr2
                                        ; implicit-def: $vgpr3
                                        ; implicit-def: $vgpr35
	s_and_saveexec_b64 s[26:27], s[16:17]
	s_cbranch_execz .LBB62_402
; %bb.268:                              ;   in Loop: Header=BB62_6 Depth=1
	s_xor_b64 s[28:29], s[28:29], -1
	s_mov_b64 s[18:19], 0
	v_mov_b32_e32 v4, 1
	v_mov_b32_e32 v5, 1
	s_and_saveexec_b64 s[16:17], s[28:29]
	s_cbranch_execz .LBB62_278
; %bb.269:                              ;   in Loop: Header=BB62_6 Depth=1
	v_cmp_ge_u32_e32 vcc, s82, v34
                                        ; implicit-def: $sgpr36
                                        ; implicit-def: $sgpr18_sgpr19
	s_and_saveexec_b64 s[28:29], vcc
	s_xor_b64 s[28:29], exec, s[28:29]
	s_cbranch_execz .LBB62_275
; %bb.270:                              ;   in Loop: Header=BB62_6 Depth=1
	ds_read_b32 v2, v11 offset:4096
	s_waitcnt lgkmcnt(0)
	v_cmp_ne_u32_e32 vcc, 0, v2
	s_cbranch_vccnz .LBB62_274
; %bb.271:                              ;   in Loop: Header=BB62_6 Depth=1
	s_mov_b64 s[18:19], exec
	v_readlane_b32 s36, v53, 22
	v_readlane_b32 s37, v53, 23
	s_and_b64 s[36:37], s[18:19], s[36:37]
	s_mov_b64 exec, s[36:37]
	s_cbranch_execz .LBB62_273
; %bb.272:                              ;   in Loop: Header=BB62_6 Depth=1
	v_mov_b32_e32 v2, s82
	ds_write_b32 v11, v2 offset:4100
.LBB62_273:                             ;   in Loop: Header=BB62_6 Depth=1
	s_or_b64 exec, exec, s[18:19]
	s_waitcnt lgkmcnt(0)
	s_barrier
.LBB62_274:                             ;   in Loop: Header=BB62_6 Depth=1
	v_or_b32_e32 v32, s4, v32
	v_or_b32_e32 v31, s4, v31
	s_mov_b64 s[18:19], 0
	s_mov_b32 s36, 5
.LBB62_275:                             ;   in Loop: Header=BB62_6 Depth=1
	s_or_saveexec_b64 s[28:29], s[28:29]
	v_mov_b32_e32 v5, s36
	s_xor_b64 exec, exec, s[28:29]
; %bb.276:                              ;   in Loop: Header=BB62_6 Depth=1
	v_subrev_u32_e32 v34, s82, v34
	v_mov_b32_e32 v5, 0
	s_or_b64 s[18:19], s[18:19], exec
; %bb.277:                              ;   in Loop: Header=BB62_6 Depth=1
	s_or_b64 exec, exec, s[28:29]
	s_and_b64 s[18:19], s[18:19], exec
	v_mov_b32_e32 v4, v34
.LBB62_278:                             ;   in Loop: Header=BB62_6 Depth=1
	s_or_b64 exec, exec, s[16:17]
	s_mov_b64 s[38:39], -1
                                        ; implicit-def: $sgpr16_sgpr17
                                        ; implicit-def: $sgpr36_sgpr37
                                        ; implicit-def: $sgpr42_sgpr43
	s_and_saveexec_b64 s[28:29], s[18:19]
	s_xor_b64 s[28:29], exec, s[28:29]
	s_cbranch_execz .LBB62_399
; %bb.279:                              ;   in Loop: Header=BB62_6 Depth=1
	s_cmp_eq_u32 s63, 1
	s_cselect_b64 s[16:17], -1, 0
	v_cmp_eq_u32_e32 vcc, 1, v4
	s_and_b64 s[44:45], s[16:17], vcc
	s_mov_b64 s[16:17], -1
                                        ; implicit-def: $sgpr36_sgpr37
                                        ; implicit-def: $sgpr38_sgpr39
                                        ; implicit-def: $sgpr40_sgpr41
	s_and_saveexec_b64 s[42:43], s[44:45]
	s_cbranch_execz .LBB62_305
; %bb.280:                              ;   in Loop: Header=BB62_6 Depth=1
	ds_read_b32 v2, v11 offset:4096
	s_waitcnt lgkmcnt(0)
	s_barrier
	v_readfirstlane_b32 s40, v2
	s_mov_b64 s[16:17], exec
	v_readlane_b32 s18, v53, 44
	v_readlane_b32 s19, v53, 45
	s_and_b64 s[18:19], s[16:17], s[18:19]
	s_mov_b64 exec, s[18:19]
	s_cbranch_execz .LBB62_282
; %bb.281:                              ;   in Loop: Header=BB62_6 Depth=1
	ds_write_b16 v20, v11
.LBB62_282:                             ;   in Loop: Header=BB62_6 Depth=1
	s_or_b64 exec, exec, s[16:17]
	v_and_b32_e32 v2, s10, v32
	v_lshl_or_b32 v32, 2, s62, v2
	v_or_b32_e32 v31, s4, v31
	s_cmp_eq_u32 s40, 0
	s_waitcnt lgkmcnt(0)
	s_barrier
	s_cbranch_scc1 .LBB62_291
; %bb.283:                              ;   in Loop: Header=BB62_6 Depth=1
	v_readlane_b32 s16, v53, 37
	s_add_i32 s16, s40, s16
	v_readlane_b32 s17, v53, 59
	s_mul_hi_u32 s17, s16, s17
	s_mul_i32 s17, s17, s9
	s_sub_i32 s17, s16, s17
	s_sub_i32 s18, s17, s9
	s_cmp_ge_u32 s17, s9
	s_cselect_b32 s17, s18, s17
	s_sub_i32 s18, s17, s9
	s_cmp_ge_u32 s17, s9
	s_cselect_b32 s17, s18, s17
	s_sub_i32 s41, s16, s17
	v_cmp_gt_u32_e32 vcc, s41, v0
	s_mov_b64 s[16:17], 0
                                        ; implicit-def: $vgpr33
	s_and_saveexec_b64 s[36:37], vcc
	s_cbranch_execz .LBB62_293
; %bb.284:                              ;   in Loop: Header=BB62_6 Depth=1
	v_mov_b32_e32 v2, v19
	v_mov_b32_e32 v3, v0
                                        ; implicit-def: $sgpr38_sgpr39
	s_branch .LBB62_286
.LBB62_285:                             ;   in Loop: Header=BB62_286 Depth=2
	s_or_b64 exec, exec, s[18:19]
	s_waitcnt lgkmcnt(0)
	s_barrier
	ds_read_b32 v5, v11 offset:3072
	v_add_u32_e32 v3, s9, v3
	v_cmp_le_u32_e64 s[18:19], s41, v3
	v_add_u32_e32 v2, s13, v2
	s_waitcnt lgkmcnt(0)
	v_cmp_ne_u16_e32 vcc, 0, v5
	s_or_b64 s[18:19], s[18:19], vcc
	s_and_b64 s[18:19], exec, s[18:19]
	s_or_b64 s[16:17], s[18:19], s[16:17]
	s_andn2_b64 s[18:19], s[38:39], exec
	s_and_b64 s[38:39], vcc, exec
	s_or_b64 s[38:39], s[18:19], s[38:39]
	s_barrier
	s_andn2_b64 exec, exec, s[16:17]
	s_cbranch_execz .LBB62_292
.LBB62_286:                             ;   Parent Loop BB62_6 Depth=1
                                        ; =>  This Inner Loop Header: Depth=2
	v_cmp_gt_u32_e32 vcc, s40, v3
	v_mov_b32_e32 v5, 0
	s_and_saveexec_b64 s[18:19], vcc
	s_cbranch_execz .LBB62_288
; %bb.287:                              ;   in Loop: Header=BB62_286 Depth=2
	ds_read_u16 v5, v2
.LBB62_288:                             ;   in Loop: Header=BB62_286 Depth=2
	s_or_b64 exec, exec, s[18:19]
	s_and_saveexec_b64 s[18:19], vcc
	s_cbranch_execz .LBB62_285
; %bb.289:                              ;   in Loop: Header=BB62_286 Depth=2
	s_waitcnt lgkmcnt(0)
	v_add_u32_sdwa v10, sext(v5), s6 dst_sel:DWORD dst_unused:UNUSED_PAD src0_sel:WORD_0 src1_sel:DWORD
	v_and_b32_e32 v10, v10, v31
	v_cmp_eq_u32_e32 vcc, v10, v32
	s_and_b64 exec, exec, vcc
	s_cbranch_execz .LBB62_285
; %bb.290:                              ;   in Loop: Header=BB62_286 Depth=2
	v_perm_b32 v5, v5, 1, v30
	ds_write_b32 v11, v5 offset:3072
	s_branch .LBB62_285
.LBB62_291:                             ;   in Loop: Header=BB62_6 Depth=1
	s_mov_b64 s[36:37], -1
	s_mov_b64 s[16:17], 0
                                        ; implicit-def: $sgpr38_sgpr39
                                        ; implicit-def: $vgpr33
	s_mov_b64 s[40:41], s[36:37]
	s_cbranch_execnz .LBB62_294
	s_branch .LBB62_304
.LBB62_292:                             ;   in Loop: Header=BB62_6 Depth=1
	s_or_b64 exec, exec, s[16:17]
	v_lshrrev_b32_e32 v33, 16, v5
	s_and_b64 s[16:17], s[38:39], exec
.LBB62_293:                             ;   in Loop: Header=BB62_6 Depth=1
	s_or_b64 exec, exec, s[36:37]
	s_mov_b64 s[36:37], 0
	s_mov_b64 s[38:39], -1
	s_mov_b64 s[40:41], s[36:37]
	s_branch .LBB62_304
.LBB62_294:                             ;   in Loop: Header=BB62_6 Depth=1
	s_mov_b64 s[16:17], 0
                                        ; implicit-def: $vgpr33
	s_mov_b64 s[36:37], exec
	v_readlane_b32 s18, v53, 60
	v_readlane_b32 s19, v53, 61
	s_and_b64 s[18:19], s[36:37], s[18:19]
	s_mov_b64 exec, s[18:19]
	s_cbranch_execz .LBB62_303
; %bb.295:                              ;   in Loop: Header=BB62_6 Depth=1
	v_mov_b32_e32 v10, v12
	v_mov_b32_e32 v2, v0
                                        ; implicit-def: $sgpr38_sgpr39
	s_branch .LBB62_297
.LBB62_296:                             ;   in Loop: Header=BB62_297 Depth=2
	s_or_b64 exec, exec, s[18:19]
	s_waitcnt lgkmcnt(0)
	s_barrier
	s_waitcnt vmcnt(0)
	ds_read_b32 v3, v11 offset:3072
	v_add_u32_e32 v2, s9, v2
	v_cmp_le_u32_e64 s[18:19], s86, v2
	v_add_u32_e32 v10, s84, v10
	s_waitcnt lgkmcnt(0)
	v_cmp_ne_u16_e32 vcc, 0, v3
	s_or_b64 s[18:19], s[18:19], vcc
	s_and_b64 s[18:19], exec, s[18:19]
	s_or_b64 s[16:17], s[18:19], s[16:17]
	s_andn2_b64 s[18:19], s[38:39], exec
	s_and_b64 s[38:39], vcc, exec
	s_or_b64 s[38:39], s[18:19], s[38:39]
	s_barrier
	s_andn2_b64 exec, exec, s[16:17]
	s_cbranch_execz .LBB62_302
.LBB62_297:                             ;   Parent Loop BB62_6 Depth=1
                                        ; =>  This Inner Loop Header: Depth=2
	v_cmp_gt_u32_e32 vcc, s60, v2
	v_mov_b32_e32 v3, 0
	s_and_saveexec_b64 s[40:41], vcc
	s_cbranch_execz .LBB62_299
; %bb.298:                              ;   in Loop: Header=BB62_297 Depth=2
	v_lshlrev_b64 v[34:35], 1, v[10:11]
	v_mov_b32_e32 v3, s8
	v_add_co_u32_e64 v34, s[18:19], s33, v34
	v_addc_co_u32_e64 v35, s[18:19], v3, v35, s[18:19]
	global_load_ushort v3, v[34:35], off
.LBB62_299:                             ;   in Loop: Header=BB62_297 Depth=2
	s_or_b64 exec, exec, s[40:41]
	s_and_saveexec_b64 s[18:19], vcc
	s_cbranch_execz .LBB62_296
; %bb.300:                              ;   in Loop: Header=BB62_297 Depth=2
	s_waitcnt vmcnt(0)
	v_add_u32_sdwa v5, sext(v3), s6 dst_sel:DWORD dst_unused:UNUSED_PAD src0_sel:WORD_0 src1_sel:DWORD
	v_and_b32_e32 v5, v5, v31
	v_cmp_eq_u32_e32 vcc, v5, v32
	s_and_b64 exec, exec, vcc
	s_cbranch_execz .LBB62_296
; %bb.301:                              ;   in Loop: Header=BB62_297 Depth=2
	v_perm_b32 v3, v3, 1, v30
	ds_write_b32 v11, v3 offset:3072
	s_branch .LBB62_296
.LBB62_302:                             ;   in Loop: Header=BB62_6 Depth=1
	s_or_b64 exec, exec, s[16:17]
	v_lshrrev_b32_e32 v33, 16, v3
	s_and_b64 s[16:17], s[38:39], exec
.LBB62_303:                             ;   in Loop: Header=BB62_6 Depth=1
	s_or_b64 exec, exec, s[36:37]
	s_mov_b64 s[38:39], 0
	s_mov_b64 s[36:37], -1
	s_mov_b64 s[40:41], 0
.LBB62_304:                             ;   in Loop: Header=BB62_6 Depth=1
	s_orn2_b64 s[16:17], s[16:17], exec
.LBB62_305:                             ;   in Loop: Header=BB62_6 Depth=1
	s_or_b64 exec, exec, s[42:43]
	s_mov_b64 s[18:19], 0
                                        ; implicit-def: $vgpr5
	s_and_saveexec_b64 s[42:43], s[16:17]
	s_cbranch_execz .LBB62_398
; %bb.306:                              ;   in Loop: Header=BB62_6 Depth=1
	s_xor_b64 s[18:19], s[44:45], -1
	s_mov_b64 s[48:49], 0
	v_mov_b32_e32 v2, 1
	v_mov_b32_e32 v5, 1
	s_and_saveexec_b64 s[16:17], s[18:19]
	s_cbranch_execz .LBB62_316
; %bb.307:                              ;   in Loop: Header=BB62_6 Depth=1
	v_cmp_ge_u32_e32 vcc, s63, v4
                                        ; implicit-def: $sgpr46
                                        ; implicit-def: $sgpr18_sgpr19
	s_and_saveexec_b64 s[44:45], vcc
	s_xor_b64 s[44:45], exec, s[44:45]
	s_cbranch_execz .LBB62_313
; %bb.308:                              ;   in Loop: Header=BB62_6 Depth=1
	ds_read_b32 v2, v11 offset:4096
	s_waitcnt lgkmcnt(0)
	v_cmp_ne_u32_e32 vcc, 0, v2
	s_cbranch_vccnz .LBB62_312
; %bb.309:                              ;   in Loop: Header=BB62_6 Depth=1
	s_mov_b64 s[18:19], exec
	v_readlane_b32 s46, v53, 22
	v_readlane_b32 s47, v53, 23
	s_and_b64 s[46:47], s[18:19], s[46:47]
	s_mov_b64 exec, s[46:47]
	s_cbranch_execz .LBB62_311
; %bb.310:                              ;   in Loop: Header=BB62_6 Depth=1
	v_mov_b32_e32 v2, s63
	ds_write_b32 v11, v2 offset:4100
.LBB62_311:                             ;   in Loop: Header=BB62_6 Depth=1
	s_or_b64 exec, exec, s[18:19]
	s_waitcnt lgkmcnt(0)
	s_barrier
.LBB62_312:                             ;   in Loop: Header=BB62_6 Depth=1
	v_and_b32_e32 v2, s10, v32
	v_lshl_or_b32 v32, 2, s62, v2
	v_or_b32_e32 v31, s4, v31
	s_mov_b64 s[18:19], 0
	s_mov_b32 s46, 5
.LBB62_313:                             ;   in Loop: Header=BB62_6 Depth=1
	s_or_saveexec_b64 s[44:45], s[44:45]
	v_mov_b32_e32 v5, s46
	s_xor_b64 exec, exec, s[44:45]
; %bb.314:                              ;   in Loop: Header=BB62_6 Depth=1
	v_subrev_u32_e32 v4, s63, v4
	v_mov_b32_e32 v5, 0
	s_or_b64 s[18:19], s[18:19], exec
; %bb.315:                              ;   in Loop: Header=BB62_6 Depth=1
	s_or_b64 exec, exec, s[44:45]
	s_and_b64 s[48:49], s[18:19], exec
	v_mov_b32_e32 v2, v4
.LBB62_316:                             ;   in Loop: Header=BB62_6 Depth=1
	s_or_b64 exec, exec, s[16:17]
	s_mov_b64 s[16:17], -1
                                        ; implicit-def: $sgpr18_sgpr19
                                        ; implicit-def: $sgpr46_sgpr47
                                        ; implicit-def: $sgpr52_sgpr53
	s_and_saveexec_b64 s[44:45], s[48:49]
	s_cbranch_execz .LBB62_397
; %bb.317:                              ;   in Loop: Header=BB62_6 Depth=1
	s_cmp_eq_u32 s11, 1
	s_cselect_b64 s[16:17], -1, 0
	v_cmp_eq_u32_e32 vcc, 1, v2
	s_and_b64 s[54:55], s[16:17], vcc
	s_mov_b64 s[18:19], -1
                                        ; implicit-def: $sgpr46_sgpr47
                                        ; implicit-def: $sgpr48_sgpr49
                                        ; implicit-def: $sgpr50_sgpr51
	s_and_saveexec_b64 s[52:53], s[54:55]
	s_cbranch_execz .LBB62_343
; %bb.318:                              ;   in Loop: Header=BB62_6 Depth=1
	ds_read_b32 v3, v11 offset:4096
	s_waitcnt lgkmcnt(0)
	s_barrier
	v_readfirstlane_b32 s50, v3
	s_mov_b64 s[16:17], exec
	v_readlane_b32 s18, v53, 44
	v_readlane_b32 s19, v53, 45
	s_and_b64 s[18:19], s[16:17], s[18:19]
	s_mov_b64 exec, s[18:19]
	s_cbranch_execz .LBB62_320
; %bb.319:                              ;   in Loop: Header=BB62_6 Depth=1
	ds_write_b16 v20, v11
.LBB62_320:                             ;   in Loop: Header=BB62_6 Depth=1
	s_or_b64 exec, exec, s[16:17]
	v_and_b32_e32 v3, s10, v32
	v_lshl_or_b32 v32, 1, s62, v3
	v_or_b32_e32 v31, s4, v31
	s_cmp_eq_u32 s50, 0
	s_waitcnt lgkmcnt(0)
	s_barrier
	s_cbranch_scc1 .LBB62_329
; %bb.321:                              ;   in Loop: Header=BB62_6 Depth=1
	v_readlane_b32 s16, v53, 37
	s_add_i32 s16, s50, s16
	v_readlane_b32 s17, v53, 59
	s_mul_hi_u32 s17, s16, s17
	s_mul_i32 s17, s17, s9
	s_sub_i32 s17, s16, s17
	s_sub_i32 s18, s17, s9
	s_cmp_ge_u32 s17, s9
	s_cselect_b32 s17, s18, s17
	s_sub_i32 s18, s17, s9
	s_cmp_ge_u32 s17, s9
	s_cselect_b32 s17, s18, s17
	s_sub_i32 s51, s16, s17
	v_cmp_gt_u32_e32 vcc, s51, v0
	s_mov_b64 s[16:17], 0
                                        ; implicit-def: $vgpr33
	s_and_saveexec_b64 s[46:47], vcc
	s_cbranch_execz .LBB62_331
; %bb.322:                              ;   in Loop: Header=BB62_6 Depth=1
	v_mov_b32_e32 v3, v19
	v_mov_b32_e32 v4, v0
                                        ; implicit-def: $sgpr48_sgpr49
	s_branch .LBB62_324
.LBB62_323:                             ;   in Loop: Header=BB62_324 Depth=2
	s_or_b64 exec, exec, s[18:19]
	s_waitcnt lgkmcnt(0)
	s_barrier
	ds_read_b32 v5, v11 offset:3072
	v_add_u32_e32 v4, s9, v4
	v_cmp_le_u32_e64 s[18:19], s51, v4
	v_add_u32_e32 v3, s13, v3
	s_waitcnt lgkmcnt(0)
	v_cmp_ne_u16_e32 vcc, 0, v5
	s_or_b64 s[18:19], s[18:19], vcc
	s_and_b64 s[18:19], exec, s[18:19]
	s_or_b64 s[16:17], s[18:19], s[16:17]
	s_andn2_b64 s[18:19], s[48:49], exec
	s_and_b64 s[48:49], vcc, exec
	s_or_b64 s[48:49], s[18:19], s[48:49]
	s_barrier
	s_andn2_b64 exec, exec, s[16:17]
	s_cbranch_execz .LBB62_330
.LBB62_324:                             ;   Parent Loop BB62_6 Depth=1
                                        ; =>  This Inner Loop Header: Depth=2
	v_cmp_gt_u32_e32 vcc, s50, v4
	v_mov_b32_e32 v5, 0
	s_and_saveexec_b64 s[18:19], vcc
	s_cbranch_execz .LBB62_326
; %bb.325:                              ;   in Loop: Header=BB62_324 Depth=2
	ds_read_u16 v5, v3
.LBB62_326:                             ;   in Loop: Header=BB62_324 Depth=2
	s_or_b64 exec, exec, s[18:19]
	s_and_saveexec_b64 s[18:19], vcc
	s_cbranch_execz .LBB62_323
; %bb.327:                              ;   in Loop: Header=BB62_324 Depth=2
	s_waitcnt lgkmcnt(0)
	v_add_u32_sdwa v10, sext(v5), s6 dst_sel:DWORD dst_unused:UNUSED_PAD src0_sel:WORD_0 src1_sel:DWORD
	v_and_b32_e32 v10, v10, v31
	v_cmp_eq_u32_e32 vcc, v10, v32
	s_and_b64 exec, exec, vcc
	s_cbranch_execz .LBB62_323
; %bb.328:                              ;   in Loop: Header=BB62_324 Depth=2
	v_perm_b32 v5, v5, 1, v30
	ds_write_b32 v11, v5 offset:3072
	s_branch .LBB62_323
.LBB62_329:                             ;   in Loop: Header=BB62_6 Depth=1
	s_mov_b64 s[46:47], -1
	s_mov_b64 s[16:17], 0
                                        ; implicit-def: $sgpr48_sgpr49
                                        ; implicit-def: $vgpr33
	s_mov_b64 s[50:51], s[46:47]
	s_cbranch_execnz .LBB62_332
	s_branch .LBB62_342
.LBB62_330:                             ;   in Loop: Header=BB62_6 Depth=1
	s_or_b64 exec, exec, s[16:17]
	v_lshrrev_b32_e32 v33, 16, v5
	s_and_b64 s[16:17], s[48:49], exec
.LBB62_331:                             ;   in Loop: Header=BB62_6 Depth=1
	s_or_b64 exec, exec, s[46:47]
	s_mov_b64 s[46:47], 0
	s_mov_b64 s[48:49], -1
	s_mov_b64 s[50:51], s[46:47]
	s_branch .LBB62_342
.LBB62_332:                             ;   in Loop: Header=BB62_6 Depth=1
	s_mov_b64 s[16:17], 0
                                        ; implicit-def: $vgpr33
	s_mov_b64 s[46:47], exec
	v_readlane_b32 s18, v53, 60
	v_readlane_b32 s19, v53, 61
	s_and_b64 s[18:19], s[46:47], s[18:19]
	s_mov_b64 exec, s[18:19]
	s_cbranch_execz .LBB62_341
; %bb.333:                              ;   in Loop: Header=BB62_6 Depth=1
	v_mov_b32_e32 v10, v12
	v_mov_b32_e32 v3, v0
                                        ; implicit-def: $sgpr48_sgpr49
	s_branch .LBB62_335
.LBB62_334:                             ;   in Loop: Header=BB62_335 Depth=2
	s_or_b64 exec, exec, s[18:19]
	s_waitcnt lgkmcnt(0)
	s_barrier
	s_waitcnt vmcnt(0)
	ds_read_b32 v4, v11 offset:3072
	v_add_u32_e32 v3, s9, v3
	v_cmp_le_u32_e64 s[18:19], s86, v3
	v_add_u32_e32 v10, s84, v10
	s_waitcnt lgkmcnt(0)
	v_cmp_ne_u16_e32 vcc, 0, v4
	s_or_b64 s[18:19], s[18:19], vcc
	s_and_b64 s[18:19], exec, s[18:19]
	s_or_b64 s[16:17], s[18:19], s[16:17]
	s_andn2_b64 s[18:19], s[48:49], exec
	s_and_b64 s[48:49], vcc, exec
	s_or_b64 s[48:49], s[18:19], s[48:49]
	s_barrier
	s_andn2_b64 exec, exec, s[16:17]
	s_cbranch_execz .LBB62_340
.LBB62_335:                             ;   Parent Loop BB62_6 Depth=1
                                        ; =>  This Inner Loop Header: Depth=2
	v_cmp_gt_u32_e32 vcc, s60, v3
	v_mov_b32_e32 v4, 0
	s_and_saveexec_b64 s[50:51], vcc
	s_cbranch_execz .LBB62_337
; %bb.336:                              ;   in Loop: Header=BB62_335 Depth=2
	v_lshlrev_b64 v[4:5], 1, v[10:11]
	v_mov_b32_e32 v33, s8
	v_add_co_u32_e64 v4, s[18:19], s33, v4
	v_addc_co_u32_e64 v5, s[18:19], v33, v5, s[18:19]
	global_load_ushort v4, v[4:5], off
.LBB62_337:                             ;   in Loop: Header=BB62_335 Depth=2
	s_or_b64 exec, exec, s[50:51]
	s_and_saveexec_b64 s[18:19], vcc
	s_cbranch_execz .LBB62_334
; %bb.338:                              ;   in Loop: Header=BB62_335 Depth=2
	s_waitcnt vmcnt(0)
	v_add_u32_sdwa v5, sext(v4), s6 dst_sel:DWORD dst_unused:UNUSED_PAD src0_sel:WORD_0 src1_sel:DWORD
	v_and_b32_e32 v5, v5, v31
	v_cmp_eq_u32_e32 vcc, v5, v32
	s_and_b64 exec, exec, vcc
	s_cbranch_execz .LBB62_334
; %bb.339:                              ;   in Loop: Header=BB62_335 Depth=2
	v_perm_b32 v4, v4, 1, v30
	ds_write_b32 v11, v4 offset:3072
	s_branch .LBB62_334
.LBB62_340:                             ;   in Loop: Header=BB62_6 Depth=1
	s_or_b64 exec, exec, s[16:17]
	v_lshrrev_b32_e32 v33, 16, v4
	s_and_b64 s[16:17], s[48:49], exec
.LBB62_341:                             ;   in Loop: Header=BB62_6 Depth=1
	s_or_b64 exec, exec, s[46:47]
	s_mov_b64 s[48:49], 0
	s_mov_b64 s[46:47], -1
	s_mov_b64 s[50:51], 0
.LBB62_342:                             ;   in Loop: Header=BB62_6 Depth=1
	s_orn2_b64 s[18:19], s[16:17], exec
.LBB62_343:                             ;   in Loop: Header=BB62_6 Depth=1
	s_or_b64 exec, exec, s[52:53]
	s_mov_b64 s[16:17], 0
                                        ; implicit-def: $vgpr5
	s_and_saveexec_b64 s[52:53], s[18:19]
	s_cbranch_execz .LBB62_396
; %bb.344:                              ;   in Loop: Header=BB62_6 Depth=1
	s_xor_b64 s[18:19], s[54:55], -1
	s_mov_b64 s[58:59], 0
	v_mov_b32_e32 v3, 1
	v_mov_b32_e32 v5, 1
	s_and_saveexec_b64 s[16:17], s[18:19]
	s_cbranch_execz .LBB62_354
; %bb.345:                              ;   in Loop: Header=BB62_6 Depth=1
	v_cmp_ge_u32_e32 vcc, s11, v2
                                        ; implicit-def: $sgpr56
                                        ; implicit-def: $sgpr18_sgpr19
	s_and_saveexec_b64 s[54:55], vcc
	s_xor_b64 s[54:55], exec, s[54:55]
	s_cbranch_execz .LBB62_351
; %bb.346:                              ;   in Loop: Header=BB62_6 Depth=1
	ds_read_b32 v3, v11 offset:4096
	s_waitcnt lgkmcnt(0)
	v_cmp_ne_u32_e32 vcc, 0, v3
	s_cbranch_vccnz .LBB62_350
; %bb.347:                              ;   in Loop: Header=BB62_6 Depth=1
	s_mov_b64 s[18:19], exec
	v_readlane_b32 s56, v53, 22
	v_readlane_b32 s57, v53, 23
	s_and_b64 s[56:57], s[18:19], s[56:57]
	s_mov_b64 exec, s[56:57]
	s_cbranch_execz .LBB62_349
; %bb.348:                              ;   in Loop: Header=BB62_6 Depth=1
	v_mov_b32_e32 v3, s11
	ds_write_b32 v11, v3 offset:4100
.LBB62_349:                             ;   in Loop: Header=BB62_6 Depth=1
	s_or_b64 exec, exec, s[18:19]
	s_waitcnt lgkmcnt(0)
	s_barrier
.LBB62_350:                             ;   in Loop: Header=BB62_6 Depth=1
	v_and_b32_e32 v3, s10, v32
	v_lshl_or_b32 v32, 1, s62, v3
	v_or_b32_e32 v31, s4, v31
	s_mov_b64 s[18:19], 0
	s_mov_b32 s56, 5
.LBB62_351:                             ;   in Loop: Header=BB62_6 Depth=1
	s_or_saveexec_b64 s[54:55], s[54:55]
	v_mov_b32_e32 v5, s56
	s_xor_b64 exec, exec, s[54:55]
; %bb.352:                              ;   in Loop: Header=BB62_6 Depth=1
	v_subrev_u32_e32 v2, s11, v2
	v_mov_b32_e32 v5, 0
	s_or_b64 s[18:19], s[18:19], exec
; %bb.353:                              ;   in Loop: Header=BB62_6 Depth=1
	s_or_b64 exec, exec, s[54:55]
	s_and_b64 s[58:59], s[18:19], exec
	v_mov_b32_e32 v3, v2
.LBB62_354:                             ;   in Loop: Header=BB62_6 Depth=1
	s_or_b64 exec, exec, s[16:17]
	s_mov_b64 s[56:57], -1
                                        ; implicit-def: $sgpr16_sgpr17
                                        ; implicit-def: $sgpr18_sgpr19
                                        ; implicit-def: $sgpr88_sgpr89
	s_and_saveexec_b64 s[54:55], s[58:59]
	s_cbranch_execz .LBB62_395
; %bb.355:                              ;   in Loop: Header=BB62_6 Depth=1
	s_cmp_eq_u32 s5, 1
	s_cselect_b64 s[16:17], -1, 0
	v_cmp_eq_u32_e32 vcc, 1, v3
	s_and_b64 s[56:57], s[16:17], vcc
	s_mov_b64 s[90:91], -1
                                        ; implicit-def: $sgpr16_sgpr17
                                        ; implicit-def: $sgpr18_sgpr19
                                        ; implicit-def: $sgpr88_sgpr89
	s_and_saveexec_b64 s[58:59], s[56:57]
	s_cbranch_execz .LBB62_382
; %bb.356:                              ;   in Loop: Header=BB62_6 Depth=1
	ds_read_b32 v2, v11 offset:4096
	s_waitcnt lgkmcnt(0)
	s_barrier
	v_readfirstlane_b32 s11, v2
	s_mov_b64 s[16:17], exec
	v_readlane_b32 s18, v53, 44
	v_readlane_b32 s19, v53, 45
	s_and_b64 s[18:19], s[16:17], s[18:19]
	s_mov_b64 exec, s[18:19]
	s_cbranch_execz .LBB62_358
; %bb.357:                              ;   in Loop: Header=BB62_6 Depth=1
	ds_write_b16 v20, v11
.LBB62_358:                             ;   in Loop: Header=BB62_6 Depth=1
	s_or_b64 exec, exec, s[16:17]
	v_and_b32_e32 v32, s10, v32
	v_or_b32_e32 v31, s4, v31
	s_cmp_eq_u32 s11, 0
	s_waitcnt lgkmcnt(0)
	s_barrier
	s_cbranch_scc1 .LBB62_367
; %bb.359:                              ;   in Loop: Header=BB62_6 Depth=1
	v_readlane_b32 s16, v53, 37
	s_add_i32 s16, s11, s16
	v_readlane_b32 s17, v53, 59
	s_mul_hi_u32 s17, s16, s17
	s_mul_i32 s17, s17, s9
	s_sub_i32 s17, s16, s17
	s_sub_i32 s18, s17, s9
	s_cmp_ge_u32 s17, s9
	s_cselect_b32 s17, s18, s17
	s_sub_i32 s18, s17, s9
	s_cmp_ge_u32 s17, s9
	s_cselect_b32 s17, s18, s17
	s_sub_i32 s62, s16, s17
	v_cmp_gt_u32_e32 vcc, s62, v0
	s_mov_b64 s[90:91], 0
                                        ; implicit-def: $vgpr33
	s_and_saveexec_b64 s[16:17], vcc
	s_cbranch_execz .LBB62_369
; %bb.360:                              ;   in Loop: Header=BB62_6 Depth=1
	s_mov_b64 s[88:89], 0
	v_mov_b32_e32 v2, v19
	v_mov_b32_e32 v4, v0
                                        ; implicit-def: $sgpr90_sgpr91
	s_branch .LBB62_362
.LBB62_361:                             ;   in Loop: Header=BB62_362 Depth=2
	s_or_b64 exec, exec, s[18:19]
	s_waitcnt lgkmcnt(0)
	s_barrier
	ds_read_b32 v5, v11 offset:3072
	v_add_u32_e32 v4, s9, v4
	v_cmp_le_u32_e64 s[18:19], s62, v4
	v_add_u32_e32 v2, s13, v2
	s_waitcnt lgkmcnt(0)
	v_cmp_ne_u16_e32 vcc, 0, v5
	s_or_b64 s[18:19], s[18:19], vcc
	s_and_b64 s[18:19], exec, s[18:19]
	s_or_b64 s[88:89], s[18:19], s[88:89]
	s_andn2_b64 s[18:19], s[90:91], exec
	s_and_b64 s[82:83], vcc, exec
	s_or_b64 s[90:91], s[18:19], s[82:83]
	s_barrier
	s_andn2_b64 exec, exec, s[88:89]
	s_cbranch_execz .LBB62_368
.LBB62_362:                             ;   Parent Loop BB62_6 Depth=1
                                        ; =>  This Inner Loop Header: Depth=2
	v_cmp_gt_u32_e32 vcc, s11, v4
	v_mov_b32_e32 v5, 0
	s_and_saveexec_b64 s[18:19], vcc
	s_cbranch_execz .LBB62_364
; %bb.363:                              ;   in Loop: Header=BB62_362 Depth=2
	ds_read_u16 v5, v2
.LBB62_364:                             ;   in Loop: Header=BB62_362 Depth=2
	s_or_b64 exec, exec, s[18:19]
	s_and_saveexec_b64 s[18:19], vcc
	s_cbranch_execz .LBB62_361
; %bb.365:                              ;   in Loop: Header=BB62_362 Depth=2
	s_waitcnt lgkmcnt(0)
	v_add_u32_sdwa v10, sext(v5), s6 dst_sel:DWORD dst_unused:UNUSED_PAD src0_sel:WORD_0 src1_sel:DWORD
	v_and_b32_e32 v10, v10, v31
	v_cmp_eq_u32_e32 vcc, v10, v32
	s_and_b64 exec, exec, vcc
	s_cbranch_execz .LBB62_361
; %bb.366:                              ;   in Loop: Header=BB62_362 Depth=2
	v_perm_b32 v5, v5, 1, v30
	ds_write_b32 v11, v5 offset:3072
	s_branch .LBB62_361
.LBB62_367:                             ;   in Loop: Header=BB62_6 Depth=1
	s_mov_b64 s[16:17], -1
	s_mov_b64 s[90:91], 0
                                        ; implicit-def: $sgpr18_sgpr19
                                        ; implicit-def: $vgpr33
	s_branch .LBB62_370
.LBB62_368:                             ;   in Loop: Header=BB62_6 Depth=1
	s_or_b64 exec, exec, s[88:89]
	v_lshrrev_b32_e32 v33, 16, v5
	s_and_b64 s[90:91], s[90:91], exec
.LBB62_369:                             ;   in Loop: Header=BB62_6 Depth=1
	s_or_b64 exec, exec, s[16:17]
	s_mov_b64 s[16:17], 0
	s_mov_b64 s[18:19], -1
.LBB62_370:                             ;   in Loop: Header=BB62_6 Depth=1
	s_and_b64 vcc, exec, s[16:17]
	s_mov_b64 s[88:89], s[16:17]
	s_cbranch_vccz .LBB62_381
; %bb.371:                              ;   in Loop: Header=BB62_6 Depth=1
	s_mov_b64 s[90:91], 0
                                        ; implicit-def: $vgpr33
	s_mov_b64 s[62:63], exec
	v_readlane_b32 s16, v53, 60
	v_readlane_b32 s17, v53, 61
	s_and_b64 s[16:17], s[62:63], s[16:17]
	s_mov_b64 exec, s[16:17]
	s_cbranch_execz .LBB62_380
; %bb.372:                              ;   in Loop: Header=BB62_6 Depth=1
	s_mov_b64 s[88:89], 0
	v_mov_b32_e32 v10, v12
	v_mov_b32_e32 v2, v0
                                        ; implicit-def: $sgpr90_sgpr91
	s_branch .LBB62_374
.LBB62_373:                             ;   in Loop: Header=BB62_374 Depth=2
	s_or_b64 exec, exec, s[16:17]
	s_waitcnt lgkmcnt(0)
	s_barrier
	s_waitcnt vmcnt(0)
	ds_read_b32 v4, v11 offset:3072
	v_add_u32_e32 v2, s9, v2
	v_cmp_le_u32_e64 s[18:19], s86, v2
	v_add_u32_e32 v10, s84, v10
	s_waitcnt lgkmcnt(0)
	v_cmp_ne_u16_e32 vcc, 0, v4
	s_or_b64 s[16:17], s[18:19], vcc
	s_and_b64 s[16:17], exec, s[16:17]
	s_or_b64 s[88:89], s[16:17], s[88:89]
	s_andn2_b64 s[16:17], s[90:91], exec
	s_and_b64 s[18:19], vcc, exec
	s_or_b64 s[90:91], s[16:17], s[18:19]
	s_barrier
	s_andn2_b64 exec, exec, s[88:89]
	s_cbranch_execz .LBB62_379
.LBB62_374:                             ;   Parent Loop BB62_6 Depth=1
                                        ; =>  This Inner Loop Header: Depth=2
	v_cmp_gt_u32_e32 vcc, s60, v2
	v_mov_b32_e32 v4, 0
	s_and_saveexec_b64 s[16:17], vcc
	s_cbranch_execz .LBB62_376
; %bb.375:                              ;   in Loop: Header=BB62_374 Depth=2
	v_lshlrev_b64 v[4:5], 1, v[10:11]
	v_mov_b32_e32 v33, s8
	v_add_co_u32_e64 v4, s[18:19], s33, v4
	v_addc_co_u32_e64 v5, s[18:19], v33, v5, s[18:19]
	global_load_ushort v4, v[4:5], off
.LBB62_376:                             ;   in Loop: Header=BB62_374 Depth=2
	s_or_b64 exec, exec, s[16:17]
	s_and_saveexec_b64 s[16:17], vcc
	s_cbranch_execz .LBB62_373
; %bb.377:                              ;   in Loop: Header=BB62_374 Depth=2
	s_waitcnt vmcnt(0)
	v_add_u32_sdwa v5, sext(v4), s6 dst_sel:DWORD dst_unused:UNUSED_PAD src0_sel:WORD_0 src1_sel:DWORD
	v_and_b32_e32 v5, v5, v31
	v_cmp_eq_u32_e32 vcc, v5, v32
	s_and_b64 exec, exec, vcc
	s_cbranch_execz .LBB62_373
; %bb.378:                              ;   in Loop: Header=BB62_374 Depth=2
	v_perm_b32 v4, v4, 1, v30
	ds_write_b32 v11, v4 offset:3072
	s_branch .LBB62_373
.LBB62_379:                             ;   in Loop: Header=BB62_6 Depth=1
	s_or_b64 exec, exec, s[88:89]
	v_lshrrev_b32_e32 v33, 16, v4
	s_and_b64 s[90:91], s[90:91], exec
.LBB62_380:                             ;   in Loop: Header=BB62_6 Depth=1
	s_or_b64 exec, exec, s[62:63]
	s_mov_b64 s[18:19], 0
	s_mov_b64 s[16:17], -1
	s_mov_b64 s[88:89], 0
.LBB62_381:                             ;   in Loop: Header=BB62_6 Depth=1
	s_orn2_b64 s[90:91], s[90:91], exec
.LBB62_382:                             ;   in Loop: Header=BB62_6 Depth=1
	s_or_b64 exec, exec, s[58:59]
	s_mov_b64 vcc, 0
                                        ; implicit-def: $vgpr5
                                        ; implicit-def: $vgpr2
	s_and_saveexec_b64 s[58:59], s[90:91]
	s_cbranch_execz .LBB62_394
; %bb.383:                              ;   in Loop: Header=BB62_6 Depth=1
	s_xor_b64 s[62:63], s[56:57], -1
	v_mov_b32_e32 v5, 1
	v_mov_b32_e32 v2, 1
	s_and_saveexec_b64 s[56:57], s[62:63]
	s_cbranch_execz .LBB62_393
; %bb.384:                              ;   in Loop: Header=BB62_6 Depth=1
	v_cmp_ge_u32_e32 vcc, s5, v3
                                        ; implicit-def: $sgpr11
	s_and_saveexec_b64 s[62:63], vcc
	s_xor_b64 s[90:91], exec, s[62:63]
	s_cbranch_execz .LBB62_390
; %bb.385:                              ;   in Loop: Header=BB62_6 Depth=1
	ds_read_b32 v2, v11 offset:4096
	s_waitcnt lgkmcnt(0)
	v_cmp_ne_u32_e32 vcc, 0, v2
	s_cbranch_vccnz .LBB62_389
; %bb.386:                              ;   in Loop: Header=BB62_6 Depth=1
	s_mov_b64 vcc, exec
	v_readlane_b32 s62, v53, 22
	v_readlane_b32 s63, v53, 23
	s_and_b64 s[62:63], vcc, s[62:63]
	s_mov_b64 exec, s[62:63]
	s_cbranch_execz .LBB62_388
; %bb.387:                              ;   in Loop: Header=BB62_6 Depth=1
	v_mov_b32_e32 v2, s5
	ds_write_b32 v11, v2 offset:4100
.LBB62_388:                             ;   in Loop: Header=BB62_6 Depth=1
	s_or_b64 exec, exec, vcc
	s_waitcnt lgkmcnt(0)
	s_barrier
.LBB62_389:                             ;   in Loop: Header=BB62_6 Depth=1
	v_and_b32_e32 v32, s10, v32
	v_or_b32_e32 v31, s4, v31
	s_mov_b32 s11, 5
.LBB62_390:                             ;   in Loop: Header=BB62_6 Depth=1
	s_or_saveexec_b64 s[90:91], s[90:91]
	v_mov_b32_e32 v5, s11
	s_xor_b64 exec, exec, s[90:91]
; %bb.391:                              ;   in Loop: Header=BB62_6 Depth=1
	v_subrev_u32_e32 v3, s5, v3
	v_mov_b32_e32 v5, 5
; %bb.392:                              ;   in Loop: Header=BB62_6 Depth=1
	s_or_b64 exec, exec, s[90:91]
	v_mov_b32_e32 v2, v3
.LBB62_393:                             ;   in Loop: Header=BB62_6 Depth=1
	s_or_b64 exec, exec, s[56:57]
	s_mov_b64 vcc, exec
.LBB62_394:                             ;   in Loop: Header=BB62_6 Depth=1
	s_or_b64 exec, exec, s[58:59]
	s_orn2_b64 s[56:57], vcc, exec
	v_mov_b32_e32 v3, v2
.LBB62_395:                             ;   in Loop: Header=BB62_6 Depth=1
	s_or_b64 exec, exec, s[54:55]
	s_andn2_b64 s[4:5], s[46:47], exec
	s_and_b64 s[10:11], s[16:17], exec
	s_or_b64 s[46:47], s[4:5], s[10:11]
	s_andn2_b64 s[4:5], s[48:49], exec
	s_and_b64 s[10:11], s[18:19], exec
	s_or_b64 s[48:49], s[4:5], s[10:11]
	;; [unrolled: 3-line block ×3, first 2 shown]
	s_and_b64 s[16:17], s[56:57], exec
	v_mov_b32_e32 v2, v3
.LBB62_396:                             ;   in Loop: Header=BB62_6 Depth=1
	s_or_b64 exec, exec, s[52:53]
	s_and_b64 s[52:53], s[46:47], exec
	s_and_b64 s[46:47], s[48:49], exec
	;; [unrolled: 1-line block ×3, first 2 shown]
	s_orn2_b64 s[16:17], s[16:17], exec
.LBB62_397:                             ;   in Loop: Header=BB62_6 Depth=1
	s_or_b64 exec, exec, s[44:45]
	s_andn2_b64 s[4:5], s[36:37], exec
	s_and_b64 s[10:11], s[52:53], exec
	s_or_b64 s[36:37], s[4:5], s[10:11]
	s_andn2_b64 s[4:5], s[38:39], exec
	s_and_b64 s[10:11], s[46:47], exec
	s_or_b64 s[38:39], s[4:5], s[10:11]
	;; [unrolled: 3-line block ×3, first 2 shown]
	s_and_b64 s[18:19], s[16:17], exec
	v_mov_b32_e32 v4, v2
.LBB62_398:                             ;   in Loop: Header=BB62_6 Depth=1
	s_or_b64 exec, exec, s[42:43]
	s_and_b64 s[42:43], s[36:37], exec
	s_and_b64 s[36:37], s[38:39], exec
	s_and_b64 s[16:17], s[40:41], exec
	s_orn2_b64 s[38:39], s[18:19], exec
.LBB62_399:                             ;   in Loop: Header=BB62_6 Depth=1
	s_or_b64 exec, exec, s[28:29]
	s_mov_b64 s[18:19], s[24:25]
	s_mov_b64 s[28:29], s[20:21]
	s_and_saveexec_b64 s[40:41], s[38:39]
; %bb.400:                              ;   in Loop: Header=BB62_6 Depth=1
	v_cmp_ne_u32_e64 s[18:19], 5, v5
	v_cmp_eq_u32_e32 vcc, 5, v5
	s_andn2_b64 s[4:5], s[20:21], exec
	s_and_b64 s[10:11], s[18:19], exec
	s_or_b64 s[28:29], s[4:5], s[10:11]
	s_andn2_b64 s[4:5], s[24:25], exec
	s_and_b64 s[10:11], vcc, exec
	s_andn2_b64 s[42:43], s[42:43], exec
	s_andn2_b64 s[36:37], s[36:37], exec
	;; [unrolled: 1-line block ×3, first 2 shown]
	s_or_b64 s[18:19], s[4:5], s[10:11]
; %bb.401:                              ;   in Loop: Header=BB62_6 Depth=1
	s_or_b64 exec, exec, s[40:41]
	s_andn2_b64 s[4:5], s[30:31], exec
	s_and_b64 s[10:11], s[42:43], exec
	s_or_b64 s[30:31], s[4:5], s[10:11]
	s_andn2_b64 s[4:5], s[34:35], exec
	s_and_b64 s[10:11], s[36:37], exec
	s_or_b64 s[34:35], s[4:5], s[10:11]
	;; [unrolled: 3-line block ×5, first 2 shown]
	v_mov_b32_e32 v2, v32
	v_mov_b32_e32 v3, v31
	;; [unrolled: 1-line block ×3, first 2 shown]
.LBB62_402:                             ;   in Loop: Header=BB62_6 Depth=1
	s_or_b64 exec, exec, s[26:27]
	s_mov_b64 s[28:29], s[22:23]
	s_mov_b64 s[26:27], s[22:23]
	s_and_saveexec_b64 s[16:17], s[24:25]
.LBB62_403:                             ;   in Loop: Header=BB62_6 Depth=1
	v_mov_b32_e32 v5, 0
	s_andn2_b64 s[22:23], s[22:23], exec
	s_andn2_b64 s[30:31], s[30:31], exec
	;; [unrolled: 1-line block ×5, first 2 shown]
	s_or_b64 s[20:21], s[20:21], exec
.LBB62_404:                             ;   in Loop: Header=BB62_6 Depth=1
	s_or_b64 exec, exec, s[16:17]
	s_andn2_b64 s[4:5], s[72:73], exec
	s_and_b64 s[10:11], s[22:23], exec
	s_or_b64 s[72:73], s[4:5], s[10:11]
	s_andn2_b64 s[4:5], s[94:95], exec
	s_and_b64 s[10:11], s[30:31], exec
	s_or_b64 s[94:95], s[4:5], s[10:11]
	;; [unrolled: 3-line block ×4, first 2 shown]
	s_andn2_b64 s[4:5], s[76:77], exec
	s_and_b64 s[10:11], s[26:27], exec
	s_mov_b64 s[18:19], -1
	s_or_b64 s[76:77], s[4:5], s[10:11]
                                        ; implicit-def: $vgpr31
                                        ; implicit-def: $vgpr32
                                        ; implicit-def: $vgpr34
                                        ; implicit-def: $vgpr33
	s_and_saveexec_b64 s[4:5], s[20:21]
	s_xor_b64 s[16:17], exec, s[4:5]
	s_cbranch_execz .LBB62_5
; %bb.405:                              ;   in Loop: Header=BB62_6 Depth=1
	v_cmp_eq_u32_e32 vcc, 0, v5
	s_mov_b64 s[20:21], -1
	s_and_saveexec_b64 s[22:23], vcc
	s_cbranch_execz .LBB62_4
; %bb.406:                              ;   in Loop: Header=BB62_6 Depth=1
	s_xor_b32 s81, s81, 1
	s_add_i32 s10, s80, -2
	s_cmp_eq_u32 s80, 0
	s_cselect_b64 s[4:5], -1, 0
	s_xor_b64 s[20:21], exec, -1
	s_orn2_b64 s[18:19], s[4:5], exec
	s_mov_b32 s80, s10
	s_branch .LBB62_4
.LBB62_407:
	s_or_b64 exec, exec, s[74:75]
	s_xor_b64 s[16:17], s[2:3], -1
	s_xor_b64 s[20:21], s[68:69], -1
	s_xor_b64 s[18:19], s[66:67], -1
	s_xor_b64 s[4:5], s[64:65], -1
	s_xor_b64 s[2:3], s[70:71], -1
	s_mov_b64 s[12:13], 0
	s_and_saveexec_b64 s[6:7], s[4:5]
	s_xor_b64 s[10:11], exec, s[6:7]
	s_cbranch_execnz .LBB62_412
; %bb.408:
	s_andn2_saveexec_b64 s[0:1], s[10:11]
	s_cbranch_execnz .LBB62_431
.LBB62_409:
	s_or_b64 exec, exec, s[0:1]
	s_and_saveexec_b64 s[0:1], s[12:13]
.LBB62_410:
	; divergent unreachable
.LBB62_411:
	s_endpgm
.LBB62_412:
	s_mov_b64 s[14:15], 0
	s_and_saveexec_b64 s[4:5], s[18:19]
	s_xor_b64 s[12:13], exec, s[4:5]
	s_cbranch_execz .LBB62_429
; %bb.413:
	s_mov_b64 s[18:19], 0
	s_and_saveexec_b64 s[4:5], s[20:21]
	s_xor_b64 s[14:15], exec, s[4:5]
	s_cbranch_execz .LBB62_427
; %bb.414:
	s_and_saveexec_b64 s[4:5], s[16:17]
	s_xor_b64 s[16:17], exec, s[4:5]
	s_cbranch_execz .LBB62_425
; %bb.415:
	s_and_saveexec_b64 s[4:5], s[2:3]
	s_xor_b64 s[2:3], exec, s[4:5]
; %bb.416:
	v_xor_b32_e32 v35, 0xffff8000, v2
; %bb.417:
	s_or_b64 exec, exec, s[2:3]
	s_mov_b64 s[2:3], exec
	v_readlane_b32 s4, v53, 22
	v_readlane_b32 s5, v53, 23
	;; [unrolled: 1-line block ×3, first 2 shown]
	s_and_b64 s[4:5], s[2:3], s[4:5]
	v_readlane_b32 s35, v53, 28
	v_readlane_b32 s20, v53, 62
	s_mov_b64 exec, s[4:5]
	s_cbranch_execz .LBB62_419
; %bb.418:
	v_mov_b32_e32 v1, 0
	ds_write_b32 v1, v1 offset:4108
.LBB62_419:
	s_or_b64 exec, exec, s[2:3]
	v_mov_b32_e32 v1, 0
	s_waitcnt lgkmcnt(0)
	s_barrier
	s_mov_b64 s[2:3], exec
	v_readlane_b32 s4, v53, 42
	v_readlane_b32 s5, v53, 43
	s_and_b64 s[4:5], s[2:3], s[4:5]
	s_mov_b64 exec, s[4:5]
	s_cbranch_execz .LBB62_421
; %bb.420:
	global_load_ushort v1, v[8:9], off
.LBB62_421:
	s_or_b64 exec, exec, s[2:3]
	v_readlane_b32 s18, v53, 14
	v_readlane_b32 s19, v53, 15
	;; [unrolled: 1-line block ×3, first 2 shown]
	s_mul_i32 s2, s7, s19
	v_readlane_b32 s19, v53, 17
	s_mul_i32 s3, s19, s18
	s_add_i32 s42, s60, 63
	v_readlane_b32 s6, v53, 24
	s_sub_i32 s3, s7, s3
	s_andn2_b32 s42, s42, 63
	s_sub_i32 s2, s6, s2
	s_add_i32 s4, s19, 1
	s_sub_i32 s5, s3, s18
	s_cmp_ge_u32 s3, s18
	s_cselect_b32 s4, s4, s19
	s_cselect_b32 s3, s5, s3
	s_add_i32 s5, s4, 1
	s_cmp_ge_u32 s3, s18
	s_cselect_b32 s3, s5, s4
	v_readlane_b32 s24, v53, 6
	s_mul_i32 s4, s3, s18
	v_readlane_b32 s25, v53, 7
	v_readlane_b32 s26, v53, 8
	s_sub_i32 s4, s7, s4
	s_mul_i32 s2, s2, s26
	s_mul_i32 s4, s4, s25
	v_readlane_b32 s18, v53, 18
	s_add_i32 s2, s4, s2
	s_mul_i32 s3, s3, s24
	v_readlane_b32 s19, v53, 19
	v_readlane_b32 s21, v53, 20
	s_add_i32 s2, s2, s3
	s_mul_i32 s3, s21, s19
	s_sub_i32 s3, s6, s3
	v_readlane_b32 s4, v53, 0
	v_readlane_b32 s6, v53, 2
	;; [unrolled: 1-line block ×4, first 2 shown]
	s_mov_b32 s26, s6
	v_readlane_b32 s7, v53, 21
	s_mov_b64 s[24:25], s[4:5]
	s_mul_i32 s4, s7, s18
	s_sub_i32 s4, s21, s4
	s_add_i32 s5, s7, 1
	s_sub_i32 s6, s4, s18
	s_cmp_ge_u32 s4, s18
	s_cselect_b32 s5, s5, s7
	s_cselect_b32 s4, s6, s4
	s_add_i32 s6, s5, 1
	s_cmp_ge_u32 s4, s18
	s_cselect_b32 s4, s6, s5
	s_mul_i32 s5, s4, s18
	s_sub_i32 s5, s21, s5
	s_mul_i32 s3, s3, s26
	s_mul_i32 s5, s5, s25
	s_add_i32 s3, s5, s3
	s_mul_i32 s4, s4, s24
	s_add_i32 s4, s3, s4
	s_mov_b32 s3, 0
	s_lshl_b64 s[6:7], s[2:3], 1
	v_readlane_b32 s18, v53, 10
	v_readlane_b32 s19, v53, 11
	s_add_u32 s43, s18, s6
	s_mov_b32 s5, s3
	s_addc_u32 s44, s19, s7
	s_lshl_b64 s[2:3], s[4:5], 3
	v_readlane_b32 s4, v53, 4
	v_readlane_b32 s5, v53, 5
	s_add_u32 s45, s4, s2
	s_addc_u32 s46, s5, s3
	v_readlane_b32 s2, v53, 12
	v_readlane_b32 s3, v53, 13
	s_load_dword s47, s[2:3], 0x1c8
	s_load_dword s48, s[2:3], 0x2a8
	v_add_u32_e32 v4, s9, v0
	v_cmp_gt_u32_e32 vcc, s42, v0
	s_mov_b64 s[18:19], -1
	s_mov_b64 s[2:3], 0
	v_mul_lo_u32 v2, s20, v4
	s_mov_b64 s[4:5], 0
	v_readlane_b32 s27, v53, 9
	s_and_saveexec_b64 s[30:31], vcc
	s_cbranch_execnz .LBB62_432
; %bb.422:
	s_or_b64 exec, exec, s[30:31]
	s_and_saveexec_b64 s[40:41], s[18:19]
	s_cbranch_execnz .LBB62_447
.LBB62_423:
	s_or_b64 exec, exec, s[40:41]
	s_and_saveexec_b64 s[0:1], s[4:5]
	s_xor_b64 s[0:1], exec, s[0:1]
	s_cbranch_execnz .LBB62_469
.LBB62_424:
	s_or_b64 exec, exec, s[0:1]
	s_and_b64 s[18:19], s[2:3], exec
.LBB62_425:
	s_andn2_saveexec_b64 s[0:1], s[16:17]
	s_cbranch_execnz .LBB62_472
.LBB62_426:
	s_or_b64 exec, exec, s[0:1]
	s_and_b64 s[18:19], s[18:19], exec
.LBB62_427:
	s_andn2_saveexec_b64 s[0:1], s[14:15]
	s_cbranch_execnz .LBB62_471
.LBB62_428:
	s_or_b64 exec, exec, s[0:1]
	s_and_b64 s[14:15], s[18:19], exec
.LBB62_429:
	s_andn2_saveexec_b64 s[0:1], s[12:13]
	s_cbranch_execnz .LBB62_470
.LBB62_430:
	s_or_b64 exec, exec, s[0:1]
	s_and_b64 s[12:13], s[14:15], exec
	s_andn2_saveexec_b64 s[0:1], s[10:11]
	s_cbranch_execz .LBB62_409
.LBB62_431:
	s_or_b64 s[12:13], s[12:13], exec
	s_trap 2
	s_or_b64 exec, exec, s[0:1]
	s_and_saveexec_b64 s[0:1], s[12:13]
	s_cbranch_execnz .LBB62_410
	s_branch .LBB62_411
.LBB62_432:
	s_mov_b32 s6, 0x8000
	v_add_u32_sdwa v3, sext(v35), s6 dst_sel:DWORD dst_unused:UNUSED_PAD src0_sel:WORD_0 src1_sel:DWORD
	v_mul_lo_u32 v4, s20, v4
	s_mov_b64 s[18:19], 0
	v_mov_b32_e32 v5, 0
	v_mov_b32_e32 v10, v0
                                        ; implicit-def: $sgpr20_sgpr21
                                        ; implicit-def: $vgpr14
	s_branch .LBB62_434
.LBB62_433:                             ;   in Loop: Header=BB62_434 Depth=1
	s_or_b64 exec, exec, s[22:23]
	s_xor_b64 s[22:23], s[26:27], -1
	s_and_b64 s[4:5], exec, s[4:5]
	s_or_b64 s[18:19], s[4:5], s[18:19]
	s_andn2_b64 s[4:5], s[20:21], exec
	s_and_b64 s[20:21], s[22:23], exec
	s_or_b64 s[20:21], s[4:5], s[20:21]
	v_mov_b32_e32 v1, v15
	v_mov_b32_e32 v10, v12
	s_andn2_b64 exec, exec, s[18:19]
	s_cbranch_execz .LBB62_446
.LBB62_434:                             ; =>This Inner Loop Header: Depth=1
	v_add_u32_e32 v12, s9, v10
	v_cmp_gt_u32_e32 vcc, s60, v12
	v_mov_b32_e32 v15, 0
	s_and_saveexec_b64 s[4:5], vcc
	s_cbranch_execz .LBB62_436
; %bb.435:                              ;   in Loop: Header=BB62_434 Depth=1
	v_lshlrev_b64 v[16:17], 1, v[4:5]
	v_mov_b32_e32 v11, s8
	v_add_co_u32_e32 v16, vcc, s33, v16
	v_addc_co_u32_e32 v17, vcc, v11, v17, vcc
	global_load_ushort v15, v[16:17], off
.LBB62_436:                             ;   in Loop: Header=BB62_434 Depth=1
	s_or_b64 exec, exec, s[4:5]
	s_waitcnt vmcnt(0)
	v_add_u32_sdwa v11, sext(v1), s6 dst_sel:DWORD dst_unused:UNUSED_PAD src0_sel:WORD_0 src1_sel:DWORD
	v_cmp_gt_u32_e64 s[4:5], v11, v3
	v_cndmask_b32_e64 v16, 0, 1, s[4:5]
	v_cmp_lt_u32_e64 s[4:5], v11, v3
	v_cndmask_b32_e64 v11, 0, 1, s[4:5]
	v_cndmask_b32_e64 v11, v11, v16, s[34:35]
	v_and_b32_e32 v11, 1, v11
	v_cmp_gt_u32_e32 vcc, s60, v10
	v_cmp_eq_u32_e64 s[4:5], 1, v11
	s_and_b64 s[24:25], vcc, s[4:5]
	v_cndmask_b32_e64 v11, 0, 1, s[24:25]
	v_cmp_ne_u32_e32 vcc, 0, v11
	s_cmp_lg_u64 vcc, 0
	s_cselect_b64 s[4:5], -1, 0
	s_and_b64 s[4:5], s[0:1], s[4:5]
	s_and_saveexec_b64 s[22:23], s[4:5]
	s_cbranch_execz .LBB62_440
; %bb.437:                              ;   in Loop: Header=BB62_434 Depth=1
	s_mov_b64 s[28:29], exec
	v_mbcnt_lo_u32_b32 v11, s28, 0
	v_mbcnt_hi_u32_b32 v11, s29, v11
	s_bcnt1_i32_b64 s7, vcc
	v_cmp_eq_u32_e64 s[4:5], 0, v11
                                        ; implicit-def: $vgpr14
	s_and_saveexec_b64 s[26:27], s[4:5]
	s_cbranch_execz .LBB62_439
; %bb.438:                              ;   in Loop: Header=BB62_434 Depth=1
	s_bcnt1_i32_b64 s4, s[28:29]
	s_mul_i32 s4, s7, s4
	s_waitcnt lgkmcnt(0)
	v_mov_b32_e32 v14, s4
	ds_add_rtn_u32 v14, v5, v14 offset:4108
.LBB62_439:                             ;   in Loop: Header=BB62_434 Depth=1
	s_or_b64 exec, exec, s[26:27]
	s_waitcnt lgkmcnt(0)
	v_readfirstlane_b32 s4, v14
	v_mov_b32_e32 v14, s4
	v_mad_u32_u24 v14, s7, v11, v14
.LBB62_440:                             ;   in Loop: Header=BB62_434 Depth=1
	s_or_b64 exec, exec, s[22:23]
	s_waitcnt lgkmcnt(0)
	ds_bpermute_b32 v14, v13, v14
	s_mov_b64 s[4:5], -1
	s_mov_b64 s[28:29], -1
                                        ; implicit-def: $sgpr26_sgpr27
	s_and_saveexec_b64 s[22:23], s[24:25]
	s_cbranch_execz .LBB62_444
; %bb.441:                              ;   in Loop: Header=BB62_434 Depth=1
	v_and_b32_e32 v16, vcc_lo, v6
	v_and_b32_e32 v11, vcc_hi, v7
	v_bcnt_u32_b32 v16, v16, 0
	v_bcnt_u32_b32 v11, v11, v16
	s_waitcnt lgkmcnt(0)
	v_add_u32_e32 v11, v14, v11
	v_cmp_gt_u32_e32 vcc, s61, v11
	s_mov_b64 s[24:25], 0
	s_and_saveexec_b64 s[26:27], vcc
	s_cbranch_execz .LBB62_443
; %bb.442:                              ;   in Loop: Header=BB62_434 Depth=1
	v_mul_lo_u32 v16, v11, s47
	v_mov_b32_e32 v17, v5
	v_lshlrev_b64 v[16:17], 1, v[16:17]
	v_mul_lo_u32 v18, v11, s48
	v_mov_b32_e32 v11, s44
	v_add_co_u32_e32 v16, vcc, s43, v16
	v_addc_co_u32_e32 v17, vcc, v11, v17, vcc
	v_mov_b32_e32 v19, v5
	global_store_short v[16:17], v1, off
	v_lshlrev_b64 v[16:17], 3, v[18:19]
	v_mov_b32_e32 v1, s46
	v_add_co_u32_e32 v16, vcc, s45, v16
	s_mov_b64 s[24:25], exec
	v_mov_b32_e32 v11, v5
	v_addc_co_u32_e32 v17, vcc, v1, v17, vcc
	global_store_dwordx2 v[16:17], v[10:11], off
.LBB62_443:                             ;   in Loop: Header=BB62_434 Depth=1
	s_or_b64 exec, exec, s[26:27]
	s_mov_b64 s[26:27], -1
	s_orn2_b64 s[28:29], s[24:25], exec
.LBB62_444:                             ;   in Loop: Header=BB62_434 Depth=1
	s_or_b64 exec, exec, s[22:23]
	s_and_saveexec_b64 s[22:23], s[28:29]
	s_cbranch_execz .LBB62_433
; %bb.445:                              ;   in Loop: Header=BB62_434 Depth=1
	v_cmp_le_u32_e32 vcc, s42, v12
	v_add_u32_e32 v4, s84, v4
	s_andn2_b64 s[26:27], s[26:27], exec
	s_orn2_b64 s[4:5], vcc, exec
	s_branch .LBB62_433
.LBB62_446:
	s_or_b64 exec, exec, s[18:19]
	s_mov_b64 s[4:5], exec
	s_orn2_b64 s[18:19], s[20:21], exec
	s_or_b64 exec, exec, s[30:31]
	s_and_saveexec_b64 s[40:41], s[18:19]
	s_cbranch_execz .LBB62_423
.LBB62_447:
	v_mov_b32_e32 v3, 0
	s_waitcnt vmcnt(0)
	v_mov_b32_e32 v1, 0
	s_waitcnt lgkmcnt(0)
	s_barrier
	s_mov_b64 s[2:3], exec
	v_readlane_b32 s6, v53, 42
	v_readlane_b32 s7, v53, 43
	s_and_b64 s[6:7], s[2:3], s[6:7]
	s_mov_b64 exec, s[6:7]
	s_cbranch_execz .LBB62_449
; %bb.448:
	global_load_ushort v1, v[8:9], off
.LBB62_449:
	s_or_b64 exec, exec, s[2:3]
	s_mov_b64 s[18:19], 0
                                        ; implicit-def: $sgpr6_sgpr7
                                        ; implicit-def: $sgpr20_sgpr21
                                        ; implicit-def: $sgpr22_sgpr23
                                        ; implicit-def: $vgpr4
	s_branch .LBB62_452
.LBB62_450:                             ;   in Loop: Header=BB62_452 Depth=1
	s_or_b64 exec, exec, s[28:29]
	s_andn2_b64 s[2:3], s[22:23], exec
	s_and_b64 s[22:23], s[34:35], exec
	s_or_b64 s[22:23], s[2:3], s[22:23]
	s_andn2_b64 s[2:3], s[20:21], exec
	s_and_b64 s[20:21], s[26:27], exec
	s_or_b64 s[20:21], s[2:3], s[20:21]
	v_mov_b32_e32 v0, v5
.LBB62_451:                             ;   in Loop: Header=BB62_452 Depth=1
	s_or_b64 exec, exec, s[24:25]
	s_xor_b64 s[2:3], s[22:23], -1
	s_and_b64 s[24:25], exec, s[20:21]
	s_or_b64 s[18:19], s[24:25], s[18:19]
	s_andn2_b64 s[6:7], s[6:7], exec
	s_and_b64 s[2:3], s[2:3], exec
	s_or_b64 s[6:7], s[6:7], s[2:3]
	s_andn2_b64 exec, exec, s[18:19]
	s_cbranch_execz .LBB62_467
.LBB62_452:                             ; =>This Inner Loop Header: Depth=1
	v_cmp_gt_u32_e32 vcc, s42, v0
	s_or_b64 s[22:23], s[22:23], exec
	s_or_b64 s[20:21], s[20:21], exec
	s_and_saveexec_b64 s[24:25], vcc
	s_cbranch_execz .LBB62_451
; %bb.453:                              ;   in Loop: Header=BB62_452 Depth=1
	v_add_u32_e32 v5, s9, v0
	v_cmp_gt_u32_e32 vcc, s60, v5
	v_mov_b32_e32 v8, 0
	s_and_saveexec_b64 s[2:3], vcc
	s_cbranch_execz .LBB62_455
; %bb.454:                              ;   in Loop: Header=BB62_452 Depth=1
	v_lshlrev_b64 v[8:9], 1, v[2:3]
	v_mov_b32_e32 v10, s8
	v_add_co_u32_e32 v8, vcc, s33, v8
	v_addc_co_u32_e32 v9, vcc, v10, v9, vcc
	global_load_ushort v8, v[8:9], off
.LBB62_455:                             ;   in Loop: Header=BB62_452 Depth=1
	s_or_b64 exec, exec, s[2:3]
	v_cmp_gt_u32_e32 vcc, s60, v0
	s_waitcnt vmcnt(0)
	v_cmp_eq_u16_e64 s[2:3], v1, v35
	s_and_b64 s[28:29], vcc, s[2:3]
	v_cndmask_b32_e64 v9, 0, 1, s[28:29]
	v_cmp_ne_u32_e32 vcc, 0, v9
	s_cmp_lg_u64 vcc, 0
	s_cselect_b64 s[2:3], -1, 0
	s_and_b64 s[2:3], s[0:1], s[2:3]
	s_and_saveexec_b64 s[26:27], s[2:3]
	s_cbranch_execz .LBB62_459
; %bb.456:                              ;   in Loop: Header=BB62_452 Depth=1
	s_mov_b64 s[34:35], exec
	v_mbcnt_lo_u32_b32 v4, s34, 0
	v_mbcnt_hi_u32_b32 v4, s35, v4
	s_bcnt1_i32_b64 s36, vcc
	v_cmp_eq_u32_e64 s[2:3], 0, v4
                                        ; implicit-def: $vgpr9
	s_and_saveexec_b64 s[30:31], s[2:3]
	s_cbranch_execz .LBB62_458
; %bb.457:                              ;   in Loop: Header=BB62_452 Depth=1
	s_bcnt1_i32_b64 s2, s[34:35]
	s_mul_i32 s2, s36, s2
	v_mov_b32_e32 v9, s2
	ds_add_rtn_u32 v9, v3, v9 offset:4108
.LBB62_458:                             ;   in Loop: Header=BB62_452 Depth=1
	s_or_b64 exec, exec, s[30:31]
	s_waitcnt lgkmcnt(0)
	v_readfirstlane_b32 s2, v9
	v_mov_b32_e32 v9, s2
	v_mad_u32_u24 v4, s36, v4, v9
.LBB62_459:                             ;   in Loop: Header=BB62_452 Depth=1
	s_or_b64 exec, exec, s[26:27]
	ds_bpermute_b32 v4, v13, v4
	s_cmp_eq_u64 vcc, 0
	s_cselect_b64 s[30:31], -1, 0
	s_mov_b64 s[26:27], -1
	s_mov_b64 s[34:35], -1
	s_waitcnt lgkmcnt(0)
	v_cmp_gt_u32_e64 s[2:3], s61, v4
	s_or_b64 s[2:3], s[30:31], s[2:3]
	v_cndmask_b32_e64 v1, v1, v8, s[2:3]
	s_and_b64 s[36:37], s[28:29], s[2:3]
	s_mov_b64 s[30:31], -1
	s_and_saveexec_b64 s[28:29], s[36:37]
	s_cbranch_execz .LBB62_465
; %bb.460:                              ;   in Loop: Header=BB62_452 Depth=1
	v_and_b32_e32 v9, vcc_lo, v6
	v_and_b32_e32 v1, vcc_hi, v7
	v_bcnt_u32_b32 v9, v9, 0
	v_bcnt_u32_b32 v1, v1, v9
	v_sub_u32_e32 v9, s61, v4
	v_cmp_le_u32_e64 s[30:31], v9, v1
	v_cmp_gt_u32_e32 vcc, v9, v1
	s_mov_b64 s[36:37], -1
	s_and_saveexec_b64 s[34:35], vcc
	s_cbranch_execz .LBB62_464
; %bb.461:                              ;   in Loop: Header=BB62_452 Depth=1
	v_add_u32_e32 v1, v4, v1
	v_cmp_gt_u32_e32 vcc, s61, v1
	s_mov_b64 s[38:39], s[30:31]
	s_and_saveexec_b64 s[36:37], vcc
	s_cbranch_execz .LBB62_463
; %bb.462:                              ;   in Loop: Header=BB62_452 Depth=1
	v_mul_lo_u32 v10, v1, s47
	v_mov_b32_e32 v11, v3
	v_lshlrev_b64 v[10:11], 1, v[10:11]
	v_mul_lo_u32 v14, v1, s48
	v_mov_b32_e32 v1, s44
	v_add_co_u32_e32 v10, vcc, s43, v10
	v_addc_co_u32_e32 v11, vcc, v1, v11, vcc
	v_mov_b32_e32 v15, v3
	global_store_short v[10:11], v35, off
	v_lshlrev_b64 v[10:11], 3, v[14:15]
	v_mov_b32_e32 v9, s46
	v_add_co_u32_e32 v10, vcc, s45, v10
	v_mov_b32_e32 v1, v3
	v_addc_co_u32_e32 v11, vcc, v9, v11, vcc
	s_or_b64 s[38:39], s[30:31], exec
	global_store_dwordx2 v[10:11], v[0:1], off
.LBB62_463:                             ;   in Loop: Header=BB62_452 Depth=1
	s_or_b64 exec, exec, s[36:37]
	s_andn2_b64 s[30:31], s[30:31], exec
	s_and_b64 s[38:39], s[38:39], exec
	s_xor_b64 s[36:37], exec, -1
	s_or_b64 s[30:31], s[30:31], s[38:39]
.LBB62_464:                             ;   in Loop: Header=BB62_452 Depth=1
	s_or_b64 exec, exec, s[34:35]
	s_orn2_b64 s[34:35], s[36:37], exec
	s_or_b64 s[2:3], s[2:3], exec
	s_orn2_b64 s[30:31], s[30:31], exec
	v_mov_b32_e32 v1, v8
.LBB62_465:                             ;   in Loop: Header=BB62_452 Depth=1
	s_or_b64 exec, exec, s[28:29]
	s_and_saveexec_b64 s[28:29], s[30:31]
	s_cbranch_execz .LBB62_450
; %bb.466:                              ;   in Loop: Header=BB62_452 Depth=1
	s_xor_b64 s[2:3], s[2:3], -1
	v_add_u32_e32 v2, s84, v2
	s_or_b64 s[34:35], s[34:35], exec
	s_orn2_b64 s[26:27], s[2:3], exec
	s_branch .LBB62_450
.LBB62_467:
	s_or_b64 exec, exec, s[18:19]
	s_mov_b64 s[0:1], 0
	s_and_saveexec_b64 s[2:3], s[6:7]
	s_xor_b64 s[2:3], exec, s[2:3]
	s_cbranch_execnz .LBB62_473
.LBB62_468:
	s_or_b64 exec, exec, s[2:3]
	s_and_b64 s[2:3], s[0:1], exec
	s_andn2_b64 s[4:5], s[4:5], exec
	s_or_b64 exec, exec, s[40:41]
	s_and_saveexec_b64 s[0:1], s[4:5]
	s_xor_b64 s[0:1], exec, s[0:1]
	s_cbranch_execz .LBB62_424
.LBB62_469:
	s_or_b64 s[2:3], s[2:3], exec
	s_trap 2
	s_branch .LBB62_424
.LBB62_470:
	s_or_b64 s[14:15], s[14:15], exec
	s_trap 2
	s_branch .LBB62_430
.LBB62_471:
	s_or_b64 s[18:19], s[18:19], exec
	s_trap 2
	s_branch .LBB62_428
.LBB62_472:
	s_trap 2
	s_or_b64 s[18:19], s[18:19], exec
	s_branch .LBB62_426
.LBB62_473:
	s_mov_b64 s[0:1], exec
	s_trap 2
	s_branch .LBB62_468
	.section	.rodata,"a",@progbits
	.p2align	6, 0x0
	.amdhsa_kernel _ZN2at6native6sbtopk10gatherTopKIsjLi3ELb0EEEvNS_4cuda6detail10TensorInfoIKT_T0_EES8_S8_bS8_S8_NS5_IS6_S8_EES8_NS5_IlS8_EES8_PS6_
		.amdhsa_group_segment_fixed_size 4112
		.amdhsa_private_segment_fixed_size 0
		.amdhsa_kernarg_size 952
		.amdhsa_user_sgpr_count 6
		.amdhsa_user_sgpr_private_segment_buffer 1
		.amdhsa_user_sgpr_dispatch_ptr 0
		.amdhsa_user_sgpr_queue_ptr 0
		.amdhsa_user_sgpr_kernarg_segment_ptr 1
		.amdhsa_user_sgpr_dispatch_id 0
		.amdhsa_user_sgpr_flat_scratch_init 0
		.amdhsa_user_sgpr_kernarg_preload_length 0
		.amdhsa_user_sgpr_kernarg_preload_offset 0
		.amdhsa_user_sgpr_private_segment_size 0
		.amdhsa_uses_dynamic_stack 0
		.amdhsa_system_sgpr_private_segment_wavefront_offset 0
		.amdhsa_system_sgpr_workgroup_id_x 1
		.amdhsa_system_sgpr_workgroup_id_y 1
		.amdhsa_system_sgpr_workgroup_id_z 1
		.amdhsa_system_sgpr_workgroup_info 0
		.amdhsa_system_vgpr_workitem_id 0
		.amdhsa_next_free_vgpr 54
		.amdhsa_next_free_sgpr 96
		.amdhsa_accum_offset 56
		.amdhsa_reserve_vcc 1
		.amdhsa_reserve_flat_scratch 0
		.amdhsa_float_round_mode_32 0
		.amdhsa_float_round_mode_16_64 0
		.amdhsa_float_denorm_mode_32 3
		.amdhsa_float_denorm_mode_16_64 3
		.amdhsa_dx10_clamp 1
		.amdhsa_ieee_mode 1
		.amdhsa_fp16_overflow 0
		.amdhsa_tg_split 0
		.amdhsa_exception_fp_ieee_invalid_op 0
		.amdhsa_exception_fp_denorm_src 0
		.amdhsa_exception_fp_ieee_div_zero 0
		.amdhsa_exception_fp_ieee_overflow 0
		.amdhsa_exception_fp_ieee_underflow 0
		.amdhsa_exception_fp_ieee_inexact 0
		.amdhsa_exception_int_div_zero 0
	.end_amdhsa_kernel
	.section	.text._ZN2at6native6sbtopk10gatherTopKIsjLi3ELb0EEEvNS_4cuda6detail10TensorInfoIKT_T0_EES8_S8_bS8_S8_NS5_IS6_S8_EES8_NS5_IlS8_EES8_PS6_,"axG",@progbits,_ZN2at6native6sbtopk10gatherTopKIsjLi3ELb0EEEvNS_4cuda6detail10TensorInfoIKT_T0_EES8_S8_bS8_S8_NS5_IS6_S8_EES8_NS5_IlS8_EES8_PS6_,comdat
.Lfunc_end62:
	.size	_ZN2at6native6sbtopk10gatherTopKIsjLi3ELb0EEEvNS_4cuda6detail10TensorInfoIKT_T0_EES8_S8_bS8_S8_NS5_IS6_S8_EES8_NS5_IlS8_EES8_PS6_, .Lfunc_end62-_ZN2at6native6sbtopk10gatherTopKIsjLi3ELb0EEEvNS_4cuda6detail10TensorInfoIKT_T0_EES8_S8_bS8_S8_NS5_IS6_S8_EES8_NS5_IlS8_EES8_PS6_
                                        ; -- End function
	.section	.AMDGPU.csdata,"",@progbits
; Kernel info:
; codeLenInByte = 16420
; NumSgprs: 100
; NumVgprs: 54
; NumAgprs: 0
; TotalNumVgprs: 54
; ScratchSize: 0
; MemoryBound: 0
; FloatMode: 240
; IeeeMode: 1
; LDSByteSize: 4112 bytes/workgroup (compile time only)
; SGPRBlocks: 12
; VGPRBlocks: 6
; NumSGPRsForWavesPerEU: 100
; NumVGPRsForWavesPerEU: 54
; AccumOffset: 56
; Occupancy: 8
; WaveLimiterHint : 1
; COMPUTE_PGM_RSRC2:SCRATCH_EN: 0
; COMPUTE_PGM_RSRC2:USER_SGPR: 6
; COMPUTE_PGM_RSRC2:TRAP_HANDLER: 0
; COMPUTE_PGM_RSRC2:TGID_X_EN: 1
; COMPUTE_PGM_RSRC2:TGID_Y_EN: 1
; COMPUTE_PGM_RSRC2:TGID_Z_EN: 1
; COMPUTE_PGM_RSRC2:TIDIG_COMP_CNT: 0
; COMPUTE_PGM_RSRC3_GFX90A:ACCUM_OFFSET: 13
; COMPUTE_PGM_RSRC3_GFX90A:TG_SPLIT: 0
	.section	.text._ZN2at6native6mbtopk23computeBlockDigitCountsIsjjLin1EEEvNS_4cuda6detail10TensorInfoIKT_T0_EEjPjjS8_iijT1_PSB_Ps,"axG",@progbits,_ZN2at6native6mbtopk23computeBlockDigitCountsIsjjLin1EEEvNS_4cuda6detail10TensorInfoIKT_T0_EEjPjjS8_iijT1_PSB_Ps,comdat
	.protected	_ZN2at6native6mbtopk23computeBlockDigitCountsIsjjLin1EEEvNS_4cuda6detail10TensorInfoIKT_T0_EEjPjjS8_iijT1_PSB_Ps ; -- Begin function _ZN2at6native6mbtopk23computeBlockDigitCountsIsjjLin1EEEvNS_4cuda6detail10TensorInfoIKT_T0_EEjPjjS8_iijT1_PSB_Ps
	.globl	_ZN2at6native6mbtopk23computeBlockDigitCountsIsjjLin1EEEvNS_4cuda6detail10TensorInfoIKT_T0_EEjPjjS8_iijT1_PSB_Ps
	.p2align	8
	.type	_ZN2at6native6mbtopk23computeBlockDigitCountsIsjjLin1EEEvNS_4cuda6detail10TensorInfoIKT_T0_EEjPjjS8_iijT1_PSB_Ps,@function
_ZN2at6native6mbtopk23computeBlockDigitCountsIsjjLin1EEEvNS_4cuda6detail10TensorInfoIKT_T0_EEjPjjS8_iijT1_PSB_Ps: ; @_ZN2at6native6mbtopk23computeBlockDigitCountsIsjjLin1EEEvNS_4cuda6detail10TensorInfoIKT_T0_EEjPjjS8_iijT1_PSB_Ps
; %bb.0:
	s_load_dwordx2 s[10:11], s[4:5], 0xf8
	s_load_dwordx4 s[12:15], s[4:5], 0xe8
	s_load_dwordx2 s[0:1], s[4:5], 0x110
	s_mov_b32 s9, 0
	s_waitcnt lgkmcnt(0)
	v_cvt_f32_u32_e32 v1, s10
	s_sub_i32 s2, 0, s10
	s_mul_i32 s1, s1, s8
	s_add_i32 s1, s1, s7
	v_rcp_iflag_f32_e32 v1, v1
	s_mul_i32 s16, s1, s0
	s_add_i32 s16, s16, s6
	v_mul_f32_e32 v1, 0x4f7ffffe, v1
	v_cvt_u32_f32_e32 v1, v1
	v_readfirstlane_b32 s0, v1
	s_mul_i32 s2, s2, s0
	s_mul_hi_u32 s1, s0, s2
	s_add_i32 s0, s0, s1
	s_mul_hi_u32 s0, s16, s0
	s_mul_i32 s1, s0, s10
	s_sub_i32 s1, s16, s1
	s_add_i32 s2, s0, 1
	s_sub_i32 s3, s1, s10
	s_cmp_ge_u32 s1, s10
	s_cselect_b32 s0, s2, s0
	s_cselect_b32 s1, s3, s1
	s_add_i32 s2, s0, 1
	s_cmp_ge_u32 s1, s10
	s_cselect_b32 s8, s2, s0
	s_cmp_ge_u32 s8, s12
	s_cbranch_scc1 .LBB63_32
; %bb.1:
	s_load_dwordx4 s[0:3], s[4:5], 0x100
	s_load_dword s6, s[4:5], 0xd0
	s_lshl_b64 s[18:19], s[8:9], 2
	s_waitcnt lgkmcnt(0)
	s_add_u32 s0, s0, s18
	s_addc_u32 s1, s1, s19
	s_cmp_lt_i32 s6, 2
	s_mov_b32 s19, s8
	s_cbranch_scc1 .LBB63_4
; %bb.2:
	s_add_i32 s20, s6, -1
	s_mov_b32 s21, 0
	s_add_i32 s12, s6, 1
	s_lshl_b64 s[6:7], s[20:21], 2
	s_add_u32 s6, s6, s4
	s_addc_u32 s7, s7, s5
	s_add_u32 s6, s6, 8
	s_addc_u32 s7, s7, 0
	s_mov_b32 s19, s8
	s_mov_b32 s9, s21
.LBB63_3:                               ; =>This Inner Loop Header: Depth=1
	s_load_dword s17, s[6:7], 0x0
	s_load_dword s20, s[6:7], 0x64
	s_mov_b32 s18, s19
	s_waitcnt lgkmcnt(0)
	v_cvt_f32_u32_e32 v1, s17
	s_sub_i32 s19, 0, s17
	v_rcp_iflag_f32_e32 v1, v1
	v_mul_f32_e32 v1, 0x4f7ffffe, v1
	v_cvt_u32_f32_e32 v1, v1
	v_readfirstlane_b32 s21, v1
	s_mul_i32 s19, s19, s21
	s_mul_hi_u32 s19, s21, s19
	s_add_i32 s21, s21, s19
	s_mul_hi_u32 s19, s18, s21
	s_mul_i32 s21, s19, s17
	s_sub_i32 s21, s18, s21
	s_add_i32 s22, s19, 1
	s_sub_i32 s23, s21, s17
	s_cmp_ge_u32 s21, s17
	s_cselect_b32 s19, s22, s19
	s_cselect_b32 s21, s23, s21
	s_add_i32 s22, s19, 1
	s_cmp_ge_u32 s21, s17
	s_cselect_b32 s19, s22, s19
	s_mul_i32 s17, s19, s17
	s_sub_i32 s17, s18, s17
	s_mul_i32 s17, s20, s17
	s_add_i32 s12, s12, -1
	s_add_i32 s9, s17, s9
	s_add_u32 s6, s6, -4
	s_addc_u32 s7, s7, -1
	s_cmp_gt_u32 s12, 2
	s_cbranch_scc1 .LBB63_3
.LBB63_4:
	s_load_dword s12, s[0:1], 0x0
	s_movk_i32 s0, 0x100
	v_cmp_gt_u32_e32 vcc, s0, v0
	v_lshlrev_b32_e32 v1, 2, v0
	s_and_saveexec_b64 s[0:1], vcc
	s_cbranch_execz .LBB63_6
; %bb.5:
	v_mov_b32_e32 v2, 0
	ds_write_b32 v1, v2
.LBB63_6:
	s_or_b64 exec, exec, s[0:1]
	s_load_dword s17, s[4:5], 0xd8
	s_mul_i32 s0, s8, s10
	s_sub_i32 s0, s16, s0
	s_add_i32 s1, s0, 1
	s_mul_i32 s0, s15, s0
	s_lshl_b32 s18, s0, 8
	s_waitcnt lgkmcnt(0)
	s_sub_i32 s0, s17, s18
	s_add_u32 s0, s0, 0xff
	s_addc_u32 s6, 0, 0
	v_mov_b32_e32 v2, s0
	v_alignbit_b32 v2, s6, v2, 8
	s_cmp_lt_u32 s1, s10
	v_readfirstlane_b32 s0, v2
	s_cselect_b32 s10, s15, s0
	s_cmp_lt_i32 s10, 1
	s_mov_b32 s7, 0
	s_barrier
	s_cbranch_scc1 .LBB63_28
; %bb.7:
	s_load_dword s6, s[4:5], 0x6c
	s_load_dwordx2 s[0:1], s[4:5], 0x0
	s_waitcnt lgkmcnt(0)
	s_mul_i32 s4, s6, s19
	s_add_i32 s6, s4, s9
	s_lshl_b64 s[4:5], s[6:7], 1
	s_add_u32 s6, s0, s4
	s_addc_u32 s8, s1, s5
	s_and_b32 s9, s14, 0xff
	s_cmp_lt_u32 s10, 4
	s_cbranch_scc1 .LBB63_22
; %bb.8:
	v_add_u32_e32 v2, s18, v0
	v_add_u32_e32 v3, 0x200, v2
	;; [unrolled: 1-line block ×3, first 2 shown]
	v_mul_lo_u32 v6, s13, v3
	v_add_u32_e32 v3, 0x100, v2
	s_and_b32 s7, s10, 0x7ffffffc
	v_mul_lo_u32 v5, s13, v4
	s_lshl_b32 s14, s13, 10
	v_mul_lo_u32 v7, s13, v3
	v_mul_lo_u32 v8, s13, v2
	s_mov_b32 s15, 0
	v_mov_b32_e32 v3, 0
	v_mov_b32_e32 v9, 1
	s_mov_b32 s19, 0
	s_branch .LBB63_10
.LBB63_9:                               ;   in Loop: Header=BB63_10 Depth=1
	s_or_b64 exec, exec, s[4:5]
	s_add_i32 s19, s19, 4
	s_add_i32 s15, s15, s14
	s_cmp_eq_u32 s7, s19
	v_add_u32_e32 v4, 0x400, v4
	s_cbranch_scc1 .LBB63_22
.LBB63_10:                              ; =>This Inner Loop Header: Depth=1
	v_add_u32_e32 v2, 0xfffffd00, v4
	v_cmp_gt_u32_e64 s[0:1], s17, v2
	s_and_saveexec_b64 s[4:5], s[0:1]
	s_cbranch_execz .LBB63_13
; %bb.11:                               ;   in Loop: Header=BB63_10 Depth=1
	v_add_u32_e32 v2, s15, v8
	v_lshlrev_b64 v[10:11], 1, v[2:3]
	v_mov_b32_e32 v2, s8
	v_add_co_u32_e64 v10, s[0:1], s6, v10
	v_addc_co_u32_e64 v11, s[0:1], v2, v11, s[0:1]
	global_load_sshort v2, v[10:11], off
	s_waitcnt vmcnt(0)
	v_add_u32_e32 v2, 0x8000, v2
	v_xor_b32_e32 v10, s12, v2
	v_and_b32_e32 v10, s11, v10
	v_cmp_eq_u32_e64 s[0:1], 0, v10
	s_and_b64 exec, exec, s[0:1]
	s_cbranch_execz .LBB63_13
; %bb.12:                               ;   in Loop: Header=BB63_10 Depth=1
	v_bfe_u32 v2, v2, s9, 8
	v_lshlrev_b32_e32 v2, 2, v2
	ds_add_u32 v2, v9
.LBB63_13:                              ;   in Loop: Header=BB63_10 Depth=1
	s_or_b64 exec, exec, s[4:5]
	v_add_u32_e32 v2, 0xfffffe00, v4
	v_cmp_gt_u32_e64 s[0:1], s17, v2
	s_and_saveexec_b64 s[4:5], s[0:1]
	s_cbranch_execz .LBB63_16
; %bb.14:                               ;   in Loop: Header=BB63_10 Depth=1
	v_add_u32_e32 v2, s15, v7
	v_lshlrev_b64 v[10:11], 1, v[2:3]
	v_mov_b32_e32 v2, s8
	v_add_co_u32_e64 v10, s[0:1], s6, v10
	v_addc_co_u32_e64 v11, s[0:1], v2, v11, s[0:1]
	global_load_sshort v2, v[10:11], off
	s_waitcnt vmcnt(0)
	v_add_u32_e32 v2, 0x8000, v2
	v_xor_b32_e32 v10, s12, v2
	v_and_b32_e32 v10, s11, v10
	v_cmp_eq_u32_e64 s[0:1], 0, v10
	s_and_b64 exec, exec, s[0:1]
	s_cbranch_execz .LBB63_16
; %bb.15:                               ;   in Loop: Header=BB63_10 Depth=1
	v_bfe_u32 v2, v2, s9, 8
	v_lshlrev_b32_e32 v2, 2, v2
	ds_add_u32 v2, v9
.LBB63_16:                              ;   in Loop: Header=BB63_10 Depth=1
	s_or_b64 exec, exec, s[4:5]
	;; [unrolled: 24-line block ×3, first 2 shown]
	v_cmp_gt_u32_e64 s[0:1], s17, v4
	s_and_saveexec_b64 s[4:5], s[0:1]
	s_cbranch_execz .LBB63_9
; %bb.20:                               ;   in Loop: Header=BB63_10 Depth=1
	v_add_u32_e32 v2, s15, v5
	v_lshlrev_b64 v[10:11], 1, v[2:3]
	v_mov_b32_e32 v2, s8
	v_add_co_u32_e64 v10, s[0:1], s6, v10
	v_addc_co_u32_e64 v11, s[0:1], v2, v11, s[0:1]
	global_load_sshort v2, v[10:11], off
	s_waitcnt vmcnt(0)
	v_add_u32_e32 v2, 0x8000, v2
	v_xor_b32_e32 v10, s12, v2
	v_and_b32_e32 v10, s11, v10
	v_cmp_eq_u32_e64 s[0:1], 0, v10
	s_and_b64 exec, exec, s[0:1]
	s_cbranch_execz .LBB63_9
; %bb.21:                               ;   in Loop: Header=BB63_10 Depth=1
	v_bfe_u32 v2, v2, s9, 8
	v_lshlrev_b32_e32 v2, 2, v2
	ds_add_u32 v2, v9
	s_branch .LBB63_9
.LBB63_22:
	s_and_b32 s10, s10, 3
	s_cmp_eq_u32 s10, 0
	s_cbranch_scc1 .LBB63_28
; %bb.23:
	s_lshl_b32 s0, s7, 8
	s_add_i32 s0, s0, s18
	v_add_u32_e32 v4, s0, v0
	v_mul_lo_u32 v2, s13, v4
	s_lshl_b32 s7, s13, 8
	v_mov_b32_e32 v3, 0
	v_mov_b32_e32 v5, 1
	s_branch .LBB63_25
.LBB63_24:                              ;   in Loop: Header=BB63_25 Depth=1
	s_or_b64 exec, exec, s[4:5]
	s_add_i32 s10, s10, -1
	v_add_u32_e32 v2, s7, v2
	s_cmp_lg_u32 s10, 0
	v_add_u32_e32 v4, 0x100, v4
	s_cbranch_scc0 .LBB63_28
.LBB63_25:                              ; =>This Inner Loop Header: Depth=1
	v_cmp_gt_u32_e64 s[0:1], s17, v4
	s_and_saveexec_b64 s[4:5], s[0:1]
	s_cbranch_execz .LBB63_24
; %bb.26:                               ;   in Loop: Header=BB63_25 Depth=1
	v_lshlrev_b64 v[6:7], 1, v[2:3]
	v_mov_b32_e32 v8, s8
	v_add_co_u32_e64 v6, s[0:1], s6, v6
	v_addc_co_u32_e64 v7, s[0:1], v8, v7, s[0:1]
	global_load_sshort v6, v[6:7], off
	s_waitcnt vmcnt(0)
	v_add_u32_e32 v6, 0x8000, v6
	v_xor_b32_e32 v7, s12, v6
	v_and_b32_e32 v7, s11, v7
	v_cmp_eq_u32_e64 s[0:1], 0, v7
	s_and_b64 exec, exec, s[0:1]
	s_cbranch_execz .LBB63_24
; %bb.27:                               ;   in Loop: Header=BB63_25 Depth=1
	v_bfe_u32 v6, v6, s9, 8
	v_lshlrev_b32_e32 v6, 2, v6
	ds_add_u32 v6, v5
	s_branch .LBB63_24
.LBB63_28:
	v_mov_b32_e32 v2, 0
	s_waitcnt lgkmcnt(0)
	s_barrier
	s_and_saveexec_b64 s[0:1], vcc
	s_cbranch_execz .LBB63_30
; %bb.29:
	ds_read_b32 v2, v1
.LBB63_30:
	s_or_b64 exec, exec, s[0:1]
	s_and_saveexec_b64 s[0:1], vcc
	s_cbranch_execz .LBB63_32
; %bb.31:
	v_lshl_or_b32 v0, s16, 8, v0
	v_mov_b32_e32 v1, 0
	v_lshlrev_b64 v[0:1], 1, v[0:1]
	v_mov_b32_e32 v3, s3
	v_add_co_u32_e32 v0, vcc, s2, v0
	v_addc_co_u32_e32 v1, vcc, v3, v1, vcc
	s_waitcnt lgkmcnt(0)
	global_store_short v[0:1], v2, off
.LBB63_32:
	s_endpgm
	.section	.rodata,"a",@progbits
	.p2align	6, 0x0
	.amdhsa_kernel _ZN2at6native6mbtopk23computeBlockDigitCountsIsjjLin1EEEvNS_4cuda6detail10TensorInfoIKT_T0_EEjPjjS8_iijT1_PSB_Ps
		.amdhsa_group_segment_fixed_size 1024
		.amdhsa_private_segment_fixed_size 0
		.amdhsa_kernarg_size 528
		.amdhsa_user_sgpr_count 6
		.amdhsa_user_sgpr_private_segment_buffer 1
		.amdhsa_user_sgpr_dispatch_ptr 0
		.amdhsa_user_sgpr_queue_ptr 0
		.amdhsa_user_sgpr_kernarg_segment_ptr 1
		.amdhsa_user_sgpr_dispatch_id 0
		.amdhsa_user_sgpr_flat_scratch_init 0
		.amdhsa_user_sgpr_kernarg_preload_length 0
		.amdhsa_user_sgpr_kernarg_preload_offset 0
		.amdhsa_user_sgpr_private_segment_size 0
		.amdhsa_uses_dynamic_stack 0
		.amdhsa_system_sgpr_private_segment_wavefront_offset 0
		.amdhsa_system_sgpr_workgroup_id_x 1
		.amdhsa_system_sgpr_workgroup_id_y 1
		.amdhsa_system_sgpr_workgroup_id_z 1
		.amdhsa_system_sgpr_workgroup_info 0
		.amdhsa_system_vgpr_workitem_id 0
		.amdhsa_next_free_vgpr 12
		.amdhsa_next_free_sgpr 24
		.amdhsa_accum_offset 12
		.amdhsa_reserve_vcc 1
		.amdhsa_reserve_flat_scratch 0
		.amdhsa_float_round_mode_32 0
		.amdhsa_float_round_mode_16_64 0
		.amdhsa_float_denorm_mode_32 3
		.amdhsa_float_denorm_mode_16_64 3
		.amdhsa_dx10_clamp 1
		.amdhsa_ieee_mode 1
		.amdhsa_fp16_overflow 0
		.amdhsa_tg_split 0
		.amdhsa_exception_fp_ieee_invalid_op 0
		.amdhsa_exception_fp_denorm_src 0
		.amdhsa_exception_fp_ieee_div_zero 0
		.amdhsa_exception_fp_ieee_overflow 0
		.amdhsa_exception_fp_ieee_underflow 0
		.amdhsa_exception_fp_ieee_inexact 0
		.amdhsa_exception_int_div_zero 0
	.end_amdhsa_kernel
	.section	.text._ZN2at6native6mbtopk23computeBlockDigitCountsIsjjLin1EEEvNS_4cuda6detail10TensorInfoIKT_T0_EEjPjjS8_iijT1_PSB_Ps,"axG",@progbits,_ZN2at6native6mbtopk23computeBlockDigitCountsIsjjLin1EEEvNS_4cuda6detail10TensorInfoIKT_T0_EEjPjjS8_iijT1_PSB_Ps,comdat
.Lfunc_end63:
	.size	_ZN2at6native6mbtopk23computeBlockDigitCountsIsjjLin1EEEvNS_4cuda6detail10TensorInfoIKT_T0_EEjPjjS8_iijT1_PSB_Ps, .Lfunc_end63-_ZN2at6native6mbtopk23computeBlockDigitCountsIsjjLin1EEEvNS_4cuda6detail10TensorInfoIKT_T0_EEjPjjS8_iijT1_PSB_Ps
                                        ; -- End function
	.section	.AMDGPU.csdata,"",@progbits
; Kernel info:
; codeLenInByte = 1440
; NumSgprs: 28
; NumVgprs: 12
; NumAgprs: 0
; TotalNumVgprs: 12
; ScratchSize: 0
; MemoryBound: 0
; FloatMode: 240
; IeeeMode: 1
; LDSByteSize: 1024 bytes/workgroup (compile time only)
; SGPRBlocks: 3
; VGPRBlocks: 1
; NumSGPRsForWavesPerEU: 28
; NumVGPRsForWavesPerEU: 12
; AccumOffset: 12
; Occupancy: 8
; WaveLimiterHint : 1
; COMPUTE_PGM_RSRC2:SCRATCH_EN: 0
; COMPUTE_PGM_RSRC2:USER_SGPR: 6
; COMPUTE_PGM_RSRC2:TRAP_HANDLER: 0
; COMPUTE_PGM_RSRC2:TGID_X_EN: 1
; COMPUTE_PGM_RSRC2:TGID_Y_EN: 1
; COMPUTE_PGM_RSRC2:TGID_Z_EN: 1
; COMPUTE_PGM_RSRC2:TIDIG_COMP_CNT: 0
; COMPUTE_PGM_RSRC3_GFX90A:ACCUM_OFFSET: 2
; COMPUTE_PGM_RSRC3_GFX90A:TG_SPLIT: 0
	.section	.text._ZN2at6native6mbtopk10gatherTopKIsjLin1EEEvNS_4cuda6detail10TensorInfoIKT_T0_EES8_S8_bjS8_NS5_IS6_S8_EES8_NS5_IlS8_EES8_jjPS6_PjSD_j,"axG",@progbits,_ZN2at6native6mbtopk10gatherTopKIsjLin1EEEvNS_4cuda6detail10TensorInfoIKT_T0_EES8_S8_bjS8_NS5_IS6_S8_EES8_NS5_IlS8_EES8_jjPS6_PjSD_j,comdat
	.protected	_ZN2at6native6mbtopk10gatherTopKIsjLin1EEEvNS_4cuda6detail10TensorInfoIKT_T0_EES8_S8_bjS8_NS5_IS6_S8_EES8_NS5_IlS8_EES8_jjPS6_PjSD_j ; -- Begin function _ZN2at6native6mbtopk10gatherTopKIsjLin1EEEvNS_4cuda6detail10TensorInfoIKT_T0_EES8_S8_bjS8_NS5_IS6_S8_EES8_NS5_IlS8_EES8_jjPS6_PjSD_j
	.globl	_ZN2at6native6mbtopk10gatherTopKIsjLin1EEEvNS_4cuda6detail10TensorInfoIKT_T0_EES8_S8_bjS8_NS5_IS6_S8_EES8_NS5_IlS8_EES8_jjPS6_PjSD_j
	.p2align	8
	.type	_ZN2at6native6mbtopk10gatherTopKIsjLin1EEEvNS_4cuda6detail10TensorInfoIKT_T0_EES8_S8_bjS8_NS5_IS6_S8_EES8_NS5_IlS8_EES8_jjPS6_PjSD_j,@function
_ZN2at6native6mbtopk10gatherTopKIsjLin1EEEvNS_4cuda6detail10TensorInfoIKT_T0_EES8_S8_bjS8_NS5_IS6_S8_EES8_NS5_IlS8_EES8_jjPS6_PjSD_j: ; @_ZN2at6native6mbtopk10gatherTopKIsjLin1EEEvNS_4cuda6detail10TensorInfoIKT_T0_EES8_S8_bjS8_NS5_IS6_S8_EES8_NS5_IlS8_EES8_jjPS6_PjSD_j
; %bb.0:
	s_load_dwordx2 s[0:1], s[4:5], 0x2d8
	s_load_dword s2, s[4:5], 0x2d0
	s_waitcnt lgkmcnt(0)
	s_mul_i32 s1, s1, s8
	s_add_i32 s1, s1, s7
	s_mul_i32 s17, s1, s0
	s_add_i32 s17, s17, s6
	s_cmp_ge_u32 s17, s2
	s_cbranch_scc1 .LBB64_49
; %bb.1:
	s_load_dwordx4 s[8:11], s[4:5], 0x2a8
	s_load_dword s0, s[4:5], 0xd0
	s_mov_b32 s7, 0
	s_waitcnt lgkmcnt(0)
	v_cvt_f32_u32_e32 v1, s10
	s_sub_i32 s1, 0, s10
	v_rcp_iflag_f32_e32 v1, v1
	v_mul_f32_e32 v1, 0x4f7ffffe, v1
	v_cvt_u32_f32_e32 v1, v1
	v_readfirstlane_b32 s2, v1
	s_mul_i32 s1, s1, s2
	s_mul_hi_u32 s1, s2, s1
	s_add_i32 s2, s2, s1
	s_mul_hi_u32 s1, s17, s2
	s_mul_i32 s2, s1, s10
	s_sub_i32 s2, s17, s2
	s_add_i32 s3, s1, 1
	s_sub_i32 s6, s2, s10
	s_cmp_ge_u32 s2, s10
	s_cselect_b32 s1, s3, s1
	s_cselect_b32 s2, s6, s2
	s_add_i32 s3, s1, 1
	s_cmp_ge_u32 s2, s10
	s_cselect_b32 s20, s3, s1
	s_cmp_lt_i32 s0, 2
	s_mov_b32 s6, s20
	s_cbranch_scc1 .LBB64_4
; %bb.2:
	s_add_i32 s6, s0, -1
	s_add_i32 s2, s0, 1
	s_lshl_b64 s[0:1], s[6:7], 2
	s_add_u32 s0, s0, s4
	s_addc_u32 s1, s1, s5
	s_add_u32 s0, s0, 8
	s_addc_u32 s1, s1, 0
	s_mov_b32 s6, s20
.LBB64_3:                               ; =>This Inner Loop Header: Depth=1
	s_load_dword s3, s[0:1], 0x0
	s_load_dword s12, s[0:1], 0x64
	s_mov_b32 s11, s6
	s_waitcnt lgkmcnt(0)
	v_cvt_f32_u32_e32 v1, s3
	s_sub_i32 s6, 0, s3
	v_rcp_iflag_f32_e32 v1, v1
	v_mul_f32_e32 v1, 0x4f7ffffe, v1
	v_cvt_u32_f32_e32 v1, v1
	v_readfirstlane_b32 s13, v1
	s_mul_i32 s6, s6, s13
	s_mul_hi_u32 s6, s13, s6
	s_add_i32 s13, s13, s6
	s_mul_hi_u32 s6, s11, s13
	s_mul_i32 s13, s6, s3
	s_sub_i32 s13, s11, s13
	s_add_i32 s14, s6, 1
	s_sub_i32 s15, s13, s3
	s_cmp_ge_u32 s13, s3
	s_cselect_b32 s6, s14, s6
	s_cselect_b32 s13, s15, s13
	s_add_i32 s14, s6, 1
	s_cmp_ge_u32 s13, s3
	s_cselect_b32 s6, s14, s6
	s_mul_i32 s3, s6, s3
	s_sub_i32 s3, s11, s3
	s_mul_i32 s3, s12, s3
	s_add_i32 s2, s2, -1
	s_add_i32 s7, s3, s7
	s_add_u32 s0, s0, -4
	s_addc_u32 s1, s1, -1
	s_cmp_gt_u32 s2, 2
	s_cbranch_scc1 .LBB64_3
.LBB64_4:
	s_load_dword s2, s[4:5], 0x1c0
	s_add_u32 s0, s4, 0xf0
	s_addc_u32 s1, s5, 0
	s_mov_b32 s23, 0
	s_mov_b32 s22, s20
	s_waitcnt lgkmcnt(0)
	s_cmp_lt_i32 s2, 2
	s_cbranch_scc1 .LBB64_7
; %bb.5:
	s_add_i32 s22, s2, -1
	s_add_i32 s11, s2, 1
	s_lshl_b64 s[2:3], s[22:23], 2
	s_add_u32 s2, s2, s0
	s_addc_u32 s3, s3, s1
	s_add_u32 s2, s2, 8
	s_addc_u32 s3, s3, 0
	s_mov_b32 s22, s20
.LBB64_6:                               ; =>This Inner Loop Header: Depth=1
	s_load_dword s12, s[2:3], 0x0
	s_load_dword s14, s[2:3], 0x64
	s_mov_b32 s13, s22
	s_waitcnt lgkmcnt(0)
	v_cvt_f32_u32_e32 v1, s12
	s_sub_i32 s15, 0, s12
	v_rcp_iflag_f32_e32 v1, v1
	v_mul_f32_e32 v1, 0x4f7ffffe, v1
	v_cvt_u32_f32_e32 v1, v1
	v_readfirstlane_b32 s16, v1
	s_mul_i32 s15, s15, s16
	s_mul_hi_u32 s15, s16, s15
	s_add_i32 s16, s16, s15
	s_mul_hi_u32 s15, s22, s16
	s_mul_i32 s16, s15, s12
	s_sub_i32 s16, s22, s16
	s_add_i32 s18, s15, 1
	s_sub_i32 s19, s16, s12
	s_cmp_ge_u32 s16, s12
	s_cselect_b32 s15, s18, s15
	s_cselect_b32 s16, s19, s16
	s_add_i32 s18, s15, 1
	s_cmp_ge_u32 s16, s12
	s_cselect_b32 s22, s18, s15
	s_mul_i32 s12, s22, s12
	s_sub_i32 s12, s13, s12
	s_mul_i32 s12, s14, s12
	s_add_i32 s11, s11, -1
	s_add_i32 s23, s12, s23
	s_add_u32 s2, s2, -4
	s_addc_u32 s3, s3, -1
	s_cmp_gt_u32 s11, 2
	s_cbranch_scc1 .LBB64_6
.LBB64_7:
	s_load_dword s33, s[4:5], 0x6c
	s_load_dword s12, s[4:5], 0x2a0
	s_add_u32 s2, s4, 0x1d0
	s_addc_u32 s3, s5, 0
	s_mov_b32 s25, 0
	s_mov_b32 s24, s20
	s_waitcnt lgkmcnt(0)
	s_cmp_lt_i32 s12, 2
	s_cbranch_scc1 .LBB64_10
; %bb.8:
	s_add_i32 s24, s12, -1
	s_add_i32 s11, s12, 1
	s_lshl_b64 s[12:13], s[24:25], 2
	s_add_u32 s2, s12, s2
	s_addc_u32 s3, s13, s3
	s_add_u32 s2, s2, 8
	s_addc_u32 s3, s3, 0
	s_mov_b32 s24, s20
.LBB64_9:                               ; =>This Inner Loop Header: Depth=1
	s_load_dword s12, s[2:3], 0x0
	s_load_dword s14, s[2:3], 0x64
	s_mov_b32 s13, s24
	s_waitcnt lgkmcnt(0)
	v_cvt_f32_u32_e32 v1, s12
	s_sub_i32 s15, 0, s12
	v_rcp_iflag_f32_e32 v1, v1
	v_mul_f32_e32 v1, 0x4f7ffffe, v1
	v_cvt_u32_f32_e32 v1, v1
	v_readfirstlane_b32 s16, v1
	s_mul_i32 s15, s15, s16
	s_mul_hi_u32 s15, s16, s15
	s_add_i32 s16, s16, s15
	s_mul_hi_u32 s15, s24, s16
	s_mul_i32 s16, s15, s12
	s_sub_i32 s16, s24, s16
	s_add_i32 s18, s15, 1
	s_sub_i32 s19, s16, s12
	s_cmp_ge_u32 s16, s12
	s_cselect_b32 s15, s18, s15
	s_cselect_b32 s16, s19, s16
	s_add_i32 s18, s15, 1
	s_cmp_ge_u32 s16, s12
	s_cselect_b32 s24, s18, s15
	s_mul_i32 s12, s24, s12
	s_sub_i32 s12, s13, s12
	s_mul_i32 s12, s14, s12
	s_add_i32 s11, s11, -1
	s_add_i32 s25, s12, s25
	s_add_u32 s2, s2, -4
	s_addc_u32 s3, s3, -1
	s_cmp_gt_u32 s11, 2
	s_cbranch_scc1 .LBB64_9
.LBB64_10:
	s_load_dword s40, s[0:1], 0x6c
	s_load_dwordx4 s[12:15], s[4:5], 0x2b8
	s_mul_i32 s16, s20, s10
	s_mov_b32 s21, 0
	s_sub_i32 s11, s17, s16
	s_lshl_b64 s[0:1], s[20:21], 1
	s_waitcnt lgkmcnt(0)
	s_add_u32 s0, s12, s0
	s_addc_u32 s1, s13, s1
	v_mov_b32_e32 v1, 0
	global_load_ushort v5, v1, s[0:1]
	s_load_dwordx2 s[30:31], s[4:5], 0x0
	s_load_dwordx2 s[28:29], s[4:5], 0xf0
	;; [unrolled: 1-line block ×3, first 2 shown]
	v_cmp_ne_u32_e64 s[0:1], 0, v0
	v_cmp_eq_u32_e64 s[2:3], 0, v0
	s_and_saveexec_b64 s[12:13], s[2:3]
	s_cbranch_execz .LBB64_26
; %bb.11:
	s_load_dwordx2 s[34:35], s[4:5], 0x2c8
	s_mov_b32 s17, s21
	s_lshl_b64 s[36:37], s[16:17], 2
	s_add_u32 s16, s14, s36
	s_addc_u32 s17, s15, s37
	s_waitcnt lgkmcnt(0)
	s_add_u32 s18, s34, s36
	s_addc_u32 s19, s35, s37
	s_mov_b32 s20, 0
	s_mov_b32 s41, 0
	s_cmp_lt_u32 s10, 4
	s_cbranch_scc1 .LBB64_23
; %bb.12:
	s_mov_b32 s42, 0
.LBB64_13:                              ; =>This Inner Loop Header: Depth=1
	s_add_u32 s16, s14, s36
	s_addc_u32 s17, s15, s37
	s_load_dwordx4 s[16:19], s[16:17], 0x0
	s_add_u32 s38, s34, s36
	s_addc_u32 s39, s35, s37
	s_cmp_ge_u32 s42, s11
	s_cbranch_scc0 .LBB64_20
; %bb.14:                               ;   in Loop: Header=BB64_13 Depth=1
	s_add_i32 s43, s42, 1
	s_cmp_ge_u32 s43, s11
	s_cbranch_scc0 .LBB64_21
.LBB64_15:                              ;   in Loop: Header=BB64_13 Depth=1
	s_add_i32 s43, s43, 1
	s_cmp_ge_u32 s43, s11
	s_cbranch_scc0 .LBB64_22
.LBB64_16:                              ;   in Loop: Header=BB64_13 Depth=1
	s_add_i32 s43, s43, 1
	s_cmp_ge_u32 s43, s11
	s_cbranch_scc1 .LBB64_18
.LBB64_17:                              ;   in Loop: Header=BB64_13 Depth=1
	s_load_dword s38, s[38:39], 0xc
	s_waitcnt lgkmcnt(0)
	s_add_i32 s21, s21, s19
	s_add_i32 s20, s38, s20
.LBB64_18:                              ;   in Loop: Header=BB64_13 Depth=1
	s_waitcnt lgkmcnt(0)
	s_add_i32 s16, s16, s41
	s_add_i32 s16, s16, s17
	;; [unrolled: 1-line block ×4, first 2 shown]
	s_add_u32 s14, s14, 16
	s_addc_u32 s15, s15, 0
	s_add_u32 s34, s34, 16
	s_addc_u32 s35, s35, 0
	s_add_i32 s39, s43, 4
	s_add_u32 s18, s34, s36
	s_addc_u32 s19, s35, s37
	s_add_u32 s16, s14, s36
	s_addc_u32 s17, s15, s37
	s_add_i32 s38, s43, 1
	s_cmp_ge_u32 s39, s10
	s_cbranch_scc1 .LBB64_24
; %bb.19:                               ;   in Loop: Header=BB64_13 Depth=1
	s_mov_b32 s42, s38
	s_branch .LBB64_13
.LBB64_20:                              ;   in Loop: Header=BB64_13 Depth=1
	s_load_dword s43, s[38:39], 0x0
	s_waitcnt lgkmcnt(0)
	s_add_i32 s21, s16, s21
	s_add_i32 s20, s43, s20
	;; [unrolled: 1-line block ×3, first 2 shown]
	s_cmp_ge_u32 s43, s11
	s_cbranch_scc1 .LBB64_15
.LBB64_21:                              ;   in Loop: Header=BB64_13 Depth=1
	s_load_dword s44, s[38:39], 0x4
	s_waitcnt lgkmcnt(0)
	s_add_i32 s21, s21, s17
	s_add_i32 s20, s44, s20
	;; [unrolled: 1-line block ×3, first 2 shown]
	s_cmp_ge_u32 s43, s11
	s_cbranch_scc1 .LBB64_16
.LBB64_22:                              ;   in Loop: Header=BB64_13 Depth=1
	s_load_dword s44, s[38:39], 0x8
	s_waitcnt lgkmcnt(0)
	s_add_i32 s21, s21, s18
	s_add_i32 s20, s44, s20
	;; [unrolled: 1-line block ×3, first 2 shown]
	s_cmp_ge_u32 s43, s11
	s_cbranch_scc0 .LBB64_17
	s_branch .LBB64_18
.LBB64_23:
	s_mov_b32 s14, 0
	s_cmp_ge_u32 s14, s10
	s_cbranch_scc0 .LBB64_47
	s_branch .LBB64_25
.LBB64_24:
	s_add_i32 s14, s42, 4
	s_cmp_ge_u32 s14, s10
	s_cbranch_scc0 .LBB64_47
.LBB64_25:
	v_mov_b32_e32 v2, s20
	v_mov_b32_e32 v3, s41
	;; [unrolled: 1-line block ×4, first 2 shown]
	ds_write_b96 v1, v[2:4] offset:1056
.LBB64_26:
	s_or_b64 exec, exec, s[12:13]
	s_load_dword s16, s[4:5], 0x23c
	s_load_dwordx4 s[12:15], s[4:5], 0xd8
	s_mul_i32 s17, s9, s11
	s_lshl_b32 s34, s17, 8
	s_waitcnt lgkmcnt(0)
	s_add_i32 s15, s11, 1
	s_mov_b32 s11, 0
	s_sub_i32 s17, s12, s34
	s_add_u32 s17, s17, 0xff
	s_addc_u32 s18, 0, 0
	v_mov_b32_e32 v1, s17
	v_alignbit_b32 v1, s18, v1, 8
	s_cmp_lt_u32 s15, s10
	v_readfirstlane_b32 s10, v1
	s_cselect_b32 s9, s9, s10
	s_cmp_eq_u32 s9, 0
	s_barrier
	s_cbranch_scc1 .LBB64_49
; %bb.27:
	s_mul_i32 s10, s40, s22
	s_mul_i32 s6, s33, s6
	s_add_i32 s18, s10, s23
	s_add_i32 s10, s6, s7
	s_mul_i32 s6, s16, s24
	v_mov_b32_e32 v1, 0
	s_add_i32 s6, s6, s25
	s_lshl_b64 s[16:17], s[10:11], 1
	ds_read_b96 v[2:4], v1 offset:1056
	s_add_u32 s15, s30, s16
	s_mov_b32 s19, s11
	s_addc_u32 s16, s31, s17
	s_lshl_b64 s[18:19], s[18:19], 1
	s_add_u32 s17, s28, s18
	s_mov_b32 s7, s11
	s_addc_u32 s18, s29, s19
	s_lshl_b64 s[6:7], s[6:7], 3
	s_add_u32 s19, s26, s6
	s_waitcnt lgkmcnt(0)
	v_add_u32_e32 v7, v2, v3
	v_lshrrev_b32_e32 v2, 5, v0
	s_addc_u32 s20, s27, s7
	v_add_lshl_u32 v8, v2, v0, 2
	v_lshlrev_b32_e32 v2, 2, v0
	v_lshrrev_b32_e32 v3, 3, v0
	s_bitcmp1_b32 s14, 0
	s_load_dword s10, s[4:5], 0xe8
	s_load_dword s14, s[4:5], 0x1c8
	v_add_lshl_u32 v9, v3, v2, 2
	v_add_u32_e32 v2, -1, v0
	v_lshrrev_b32_e32 v3, 5, v2
	v_add_lshl_u32 v10, v3, v2, 2
	v_mbcnt_lo_u32_b32 v3, -1, 0
	s_mov_b32 s21, 0x8000
	v_add_u32_e32 v2, s34, v0
	v_mbcnt_hi_u32_b32 v11, -1, v3
	s_waitcnt vmcnt(0)
	v_add_u32_sdwa v6, sext(v5), s21 dst_sel:DWORD dst_unused:UNUSED_PAD src0_sel:WORD_0 src1_sel:DWORD
	s_cselect_b64 s[6:7], -1, 0
	v_cmp_gt_u32_e64 s[4:5], 64, v0
	s_waitcnt lgkmcnt(0)
	v_mul_lo_u32 v0, s10, v2
	s_lshl_b32 s22, s10, 8
	v_and_b32_e32 v12, 15, v11
	v_bfe_i32 v13, v11, 4, 1
	v_add_u32_e32 v14, -1, v11
	v_and_b32_e32 v15, 64, v11
                                        ; implicit-def: $vgpr16
	s_branch .LBB64_30
.LBB64_28:                              ;   in Loop: Header=BB64_30 Depth=1
	s_or_b64 exec, exec, s[10:11]
	v_add_u32_e32 v7, v19, v7
.LBB64_29:                              ;   in Loop: Header=BB64_30 Depth=1
	s_add_i32 s9, s9, -1
	v_add_u32_e32 v4, v18, v4
	v_add_u32_e32 v0, s22, v0
	s_cmp_lg_u32 s9, 0
	v_add_u32_e32 v2, 0x100, v2
	s_cbranch_scc0 .LBB64_49
.LBB64_30:                              ; =>This Inner Loop Header: Depth=1
	v_cmp_gt_u32_e32 vcc, s12, v2
	v_mov_b32_e32 v3, 0
	v_mov_b32_e32 v17, 0
	s_and_saveexec_b64 s[10:11], vcc
	s_cbranch_execz .LBB64_32
; %bb.31:                               ;   in Loop: Header=BB64_30 Depth=1
	v_lshlrev_b64 v[16:17], 1, v[0:1]
	v_mov_b32_e32 v3, s16
	v_add_co_u32_e32 v16, vcc, s15, v16
	v_addc_co_u32_e32 v17, vcc, v3, v17, vcc
	global_load_ushort v16, v[16:17], off
	s_waitcnt vmcnt(0)
	v_add_u32_sdwa v3, sext(v16), s21 dst_sel:DWORD dst_unused:UNUSED_PAD src0_sel:WORD_0 src1_sel:DWORD
	v_cmp_gt_u32_e32 vcc, v3, v6
	v_cndmask_b32_e64 v17, 0, 1, vcc
	v_cmp_lt_u32_e32 vcc, v3, v6
	v_cndmask_b32_e64 v3, 0, 1, vcc
	v_cndmask_b32_e64 v3, v3, v17, s[6:7]
	v_cmp_eq_u16_e32 vcc, v16, v5
	v_and_b32_e32 v3, 1, v3
	v_cndmask_b32_e64 v17, 0, 1, vcc
.LBB64_32:                              ;   in Loop: Header=BB64_30 Depth=1
	s_or_b64 exec, exec, s[10:11]
	ds_write_b32 v8, v3
	s_waitcnt lgkmcnt(0)
	s_barrier
	s_and_saveexec_b64 s[10:11], s[4:5]
	s_cbranch_execz .LBB64_34
; %bb.33:                               ;   in Loop: Header=BB64_30 Depth=1
	ds_read2_b32 v[18:19], v9 offset1:1
	ds_read2_b32 v[20:21], v9 offset0:2 offset1:3
	v_cmp_ne_u32_e32 vcc, 0, v12
	; wave barrier
	s_waitcnt lgkmcnt(1)
	v_add_u32_e32 v19, v19, v18
	s_waitcnt lgkmcnt(0)
	v_add3_u32 v19, v19, v20, v21
	s_nop 1
	v_mov_b32_dpp v20, v19 row_shr:1 row_mask:0xf bank_mask:0xf
	v_cndmask_b32_e32 v20, 0, v20, vcc
	v_add_u32_e32 v19, v20, v19
	v_cmp_lt_u32_e32 vcc, 1, v12
	s_nop 0
	v_mov_b32_dpp v20, v19 row_shr:2 row_mask:0xf bank_mask:0xf
	v_cndmask_b32_e32 v20, 0, v20, vcc
	v_add_u32_e32 v19, v19, v20
	v_cmp_lt_u32_e32 vcc, 3, v12
	;; [unrolled: 5-line block ×4, first 2 shown]
	s_nop 0
	v_mov_b32_dpp v20, v19 row_bcast:15 row_mask:0xf bank_mask:0xf
	v_and_b32_e32 v20, v13, v20
	v_add_u32_e32 v19, v19, v20
	s_nop 1
	v_mov_b32_dpp v20, v19 row_bcast:31 row_mask:0xf bank_mask:0xf
	v_cndmask_b32_e32 v20, 0, v20, vcc
	v_cmp_lt_i32_e32 vcc, v14, v15
	v_add_u32_e32 v19, v19, v20
	v_cndmask_b32_e32 v20, v14, v11, vcc
	v_lshlrev_b32_e32 v20, 2, v20
	ds_bpermute_b32 v19, v20, v19
	s_waitcnt lgkmcnt(0)
	v_add_u32_e32 v18, v19, v18
	v_cndmask_b32_e64 v20, v18, v3, s[2:3]
	ds_write_b32 v9, v20
	; wave barrier
	ds_read2_b32 v[18:19], v9 offset0:1 offset1:2
	ds_read_b32 v21, v9 offset:12
	s_waitcnt lgkmcnt(1)
	v_add_u32_e32 v18, v18, v20
	v_add_u32_e32 v19, v19, v18
	ds_write2_b32 v9, v18, v19 offset0:1 offset1:2
	s_waitcnt lgkmcnt(1)
	v_add_u32_e32 v18, v21, v19
	ds_write_b32 v9, v18 offset:12
.LBB64_34:                              ;   in Loop: Header=BB64_30 Depth=1
	s_or_b64 exec, exec, s[10:11]
	v_mov_b32_e32 v19, 0
	s_waitcnt lgkmcnt(0)
	s_barrier
	s_and_saveexec_b64 s[10:11], s[0:1]
	s_cbranch_execz .LBB64_36
; %bb.35:                               ;   in Loop: Header=BB64_30 Depth=1
	ds_read_b32 v19, v10
.LBB64_36:                              ;   in Loop: Header=BB64_30 Depth=1
	s_or_b64 exec, exec, s[10:11]
	ds_read_b32 v18, v1 offset:1048
	v_cmp_ne_u32_e32 vcc, 0, v3
	s_waitcnt lgkmcnt(0)
	s_barrier
	s_and_saveexec_b64 s[10:11], vcc
	s_cbranch_execz .LBB64_38
; %bb.37:                               ;   in Loop: Header=BB64_30 Depth=1
	v_add_u32_e32 v19, v19, v4
	v_mul_lo_u32 v20, v19, s14
	v_mov_b32_e32 v21, v1
	v_lshlrev_b64 v[20:21], 1, v[20:21]
	v_mov_b32_e32 v3, s18
	v_add_co_u32_e32 v20, vcc, s17, v20
	v_addc_co_u32_e32 v21, vcc, v3, v21, vcc
	global_store_short v[20:21], v16, off
	v_mul_lo_u32 v20, v19, s8
	v_mov_b32_e32 v21, v1
	v_lshlrev_b64 v[20:21], 3, v[20:21]
	v_mov_b32_e32 v19, s20
	v_add_co_u32_e32 v20, vcc, s19, v20
	v_mov_b32_e32 v3, v1
	v_addc_co_u32_e32 v21, vcc, v19, v21, vcc
	global_store_dwordx2 v[20:21], v[2:3], off
.LBB64_38:                              ;   in Loop: Header=BB64_30 Depth=1
	s_or_b64 exec, exec, s[10:11]
	v_cmp_le_u32_e32 vcc, s13, v7
	s_cbranch_vccnz .LBB64_29
; %bb.39:                               ;   in Loop: Header=BB64_30 Depth=1
	ds_write_b32 v8, v17
	s_waitcnt lgkmcnt(0)
	s_barrier
	s_and_saveexec_b64 s[10:11], s[4:5]
	s_cbranch_execz .LBB64_41
; %bb.40:                               ;   in Loop: Header=BB64_30 Depth=1
	ds_read2_b32 v[20:21], v9 offset1:1
	ds_read2_b32 v[22:23], v9 offset0:2 offset1:3
	v_cmp_ne_u32_e32 vcc, 0, v12
	; wave barrier
	s_waitcnt lgkmcnt(1)
	v_add_u32_e32 v3, v21, v20
	s_waitcnt lgkmcnt(0)
	v_add3_u32 v3, v3, v22, v23
	s_nop 1
	v_mov_b32_dpp v19, v3 row_shr:1 row_mask:0xf bank_mask:0xf
	v_cndmask_b32_e32 v19, 0, v19, vcc
	v_add_u32_e32 v3, v19, v3
	v_cmp_lt_u32_e32 vcc, 1, v12
	s_nop 0
	v_mov_b32_dpp v19, v3 row_shr:2 row_mask:0xf bank_mask:0xf
	v_cndmask_b32_e32 v19, 0, v19, vcc
	v_add_u32_e32 v3, v3, v19
	v_cmp_lt_u32_e32 vcc, 3, v12
	;; [unrolled: 5-line block ×4, first 2 shown]
	s_nop 0
	v_mov_b32_dpp v19, v3 row_bcast:15 row_mask:0xf bank_mask:0xf
	v_and_b32_e32 v19, v13, v19
	v_add_u32_e32 v3, v3, v19
	s_nop 1
	v_mov_b32_dpp v19, v3 row_bcast:31 row_mask:0xf bank_mask:0xf
	v_cndmask_b32_e32 v19, 0, v19, vcc
	v_cmp_lt_i32_e32 vcc, v14, v15
	v_add_u32_e32 v3, v3, v19
	v_cndmask_b32_e32 v19, v14, v11, vcc
	v_lshlrev_b32_e32 v19, 2, v19
	ds_bpermute_b32 v3, v19, v3
	s_waitcnt lgkmcnt(0)
	v_add_u32_e32 v3, v3, v20
	v_cndmask_b32_e64 v3, v3, v17, s[2:3]
	ds_write_b32 v9, v3
	; wave barrier
	ds_read2_b32 v[20:21], v9 offset0:1 offset1:2
	ds_read_b32 v19, v9 offset:12
	s_waitcnt lgkmcnt(1)
	v_add_u32_e32 v3, v20, v3
	v_add_u32_e32 v20, v21, v3
	ds_write2_b32 v9, v3, v20 offset0:1 offset1:2
	s_waitcnt lgkmcnt(1)
	v_add_u32_e32 v3, v19, v20
	ds_write_b32 v9, v3 offset:12
.LBB64_41:                              ;   in Loop: Header=BB64_30 Depth=1
	s_or_b64 exec, exec, s[10:11]
	v_mov_b32_e32 v3, 0
	s_waitcnt lgkmcnt(0)
	s_barrier
	s_and_saveexec_b64 s[10:11], s[0:1]
	s_cbranch_execz .LBB64_43
; %bb.42:                               ;   in Loop: Header=BB64_30 Depth=1
	ds_read_b32 v3, v10
.LBB64_43:                              ;   in Loop: Header=BB64_30 Depth=1
	s_or_b64 exec, exec, s[10:11]
	ds_read_b32 v19, v1 offset:1048
	v_cmp_ne_u32_e32 vcc, 0, v17
	s_waitcnt lgkmcnt(0)
	s_barrier
	s_and_saveexec_b64 s[10:11], vcc
	s_cbranch_execz .LBB64_28
; %bb.44:                               ;   in Loop: Header=BB64_30 Depth=1
	v_add_u32_e32 v17, v3, v7
	v_cmp_gt_u32_e32 vcc, s13, v17
	s_and_b64 exec, exec, vcc
	s_cbranch_execz .LBB64_28
; %bb.45:                               ;   in Loop: Header=BB64_30 Depth=1
	v_mul_lo_u32 v20, v17, s14
	v_mov_b32_e32 v21, v1
	v_lshlrev_b64 v[20:21], 1, v[20:21]
	v_mov_b32_e32 v3, s18
	v_add_co_u32_e32 v20, vcc, s17, v20
	v_addc_co_u32_e32 v21, vcc, v3, v21, vcc
	global_store_short v[20:21], v16, off
	v_mul_lo_u32 v20, v17, s8
	v_mov_b32_e32 v21, v1
	v_lshlrev_b64 v[20:21], 3, v[20:21]
	v_mov_b32_e32 v17, s20
	v_add_co_u32_e32 v20, vcc, s19, v20
	v_mov_b32_e32 v3, v1
	v_addc_co_u32_e32 v21, vcc, v17, v21, vcc
	global_store_dwordx2 v[20:21], v[2:3], off
	s_branch .LBB64_28
.LBB64_46:                              ;   in Loop: Header=BB64_47 Depth=1
	s_add_u32 s16, s16, 4
	s_addc_u32 s17, s17, 0
	s_waitcnt lgkmcnt(0)
	s_add_i32 s41, s15, s41
	s_add_u32 s18, s18, 4
	s_addc_u32 s19, s19, 0
	s_add_i32 s14, s14, 1
	s_cmp_lt_u32 s14, s10
	s_cbranch_scc0 .LBB64_25
.LBB64_47:                              ; =>This Inner Loop Header: Depth=1
	s_load_dword s15, s[16:17], 0x0
	s_cmp_ge_u32 s14, s11
	s_cbranch_scc1 .LBB64_46
; %bb.48:                               ;   in Loop: Header=BB64_47 Depth=1
	s_load_dword s34, s[18:19], 0x0
	s_waitcnt lgkmcnt(0)
	s_add_i32 s21, s15, s21
	s_add_i32 s20, s34, s20
	s_branch .LBB64_46
.LBB64_49:
	s_endpgm
	.section	.rodata,"a",@progbits
	.p2align	6, 0x0
	.amdhsa_kernel _ZN2at6native6mbtopk10gatherTopKIsjLin1EEEvNS_4cuda6detail10TensorInfoIKT_T0_EES8_S8_bjS8_NS5_IS6_S8_EES8_NS5_IlS8_EES8_jjPS6_PjSD_j
		.amdhsa_group_segment_fixed_size 1068
		.amdhsa_private_segment_fixed_size 0
		.amdhsa_kernarg_size 984
		.amdhsa_user_sgpr_count 6
		.amdhsa_user_sgpr_private_segment_buffer 1
		.amdhsa_user_sgpr_dispatch_ptr 0
		.amdhsa_user_sgpr_queue_ptr 0
		.amdhsa_user_sgpr_kernarg_segment_ptr 1
		.amdhsa_user_sgpr_dispatch_id 0
		.amdhsa_user_sgpr_flat_scratch_init 0
		.amdhsa_user_sgpr_kernarg_preload_length 0
		.amdhsa_user_sgpr_kernarg_preload_offset 0
		.amdhsa_user_sgpr_private_segment_size 0
		.amdhsa_uses_dynamic_stack 0
		.amdhsa_system_sgpr_private_segment_wavefront_offset 0
		.amdhsa_system_sgpr_workgroup_id_x 1
		.amdhsa_system_sgpr_workgroup_id_y 1
		.amdhsa_system_sgpr_workgroup_id_z 1
		.amdhsa_system_sgpr_workgroup_info 0
		.amdhsa_system_vgpr_workitem_id 0
		.amdhsa_next_free_vgpr 24
		.amdhsa_next_free_sgpr 45
		.amdhsa_accum_offset 24
		.amdhsa_reserve_vcc 1
		.amdhsa_reserve_flat_scratch 0
		.amdhsa_float_round_mode_32 0
		.amdhsa_float_round_mode_16_64 0
		.amdhsa_float_denorm_mode_32 3
		.amdhsa_float_denorm_mode_16_64 3
		.amdhsa_dx10_clamp 1
		.amdhsa_ieee_mode 1
		.amdhsa_fp16_overflow 0
		.amdhsa_tg_split 0
		.amdhsa_exception_fp_ieee_invalid_op 0
		.amdhsa_exception_fp_denorm_src 0
		.amdhsa_exception_fp_ieee_div_zero 0
		.amdhsa_exception_fp_ieee_overflow 0
		.amdhsa_exception_fp_ieee_underflow 0
		.amdhsa_exception_fp_ieee_inexact 0
		.amdhsa_exception_int_div_zero 0
	.end_amdhsa_kernel
	.section	.text._ZN2at6native6mbtopk10gatherTopKIsjLin1EEEvNS_4cuda6detail10TensorInfoIKT_T0_EES8_S8_bjS8_NS5_IS6_S8_EES8_NS5_IlS8_EES8_jjPS6_PjSD_j,"axG",@progbits,_ZN2at6native6mbtopk10gatherTopKIsjLin1EEEvNS_4cuda6detail10TensorInfoIKT_T0_EES8_S8_bjS8_NS5_IS6_S8_EES8_NS5_IlS8_EES8_jjPS6_PjSD_j,comdat
.Lfunc_end64:
	.size	_ZN2at6native6mbtopk10gatherTopKIsjLin1EEEvNS_4cuda6detail10TensorInfoIKT_T0_EES8_S8_bjS8_NS5_IS6_S8_EES8_NS5_IlS8_EES8_jjPS6_PjSD_j, .Lfunc_end64-_ZN2at6native6mbtopk10gatherTopKIsjLin1EEEvNS_4cuda6detail10TensorInfoIKT_T0_EES8_S8_bjS8_NS5_IS6_S8_EES8_NS5_IlS8_EES8_jjPS6_PjSD_j
                                        ; -- End function
	.section	.AMDGPU.csdata,"",@progbits
; Kernel info:
; codeLenInByte = 2744
; NumSgprs: 49
; NumVgprs: 24
; NumAgprs: 0
; TotalNumVgprs: 24
; ScratchSize: 0
; MemoryBound: 0
; FloatMode: 240
; IeeeMode: 1
; LDSByteSize: 1068 bytes/workgroup (compile time only)
; SGPRBlocks: 6
; VGPRBlocks: 2
; NumSGPRsForWavesPerEU: 49
; NumVGPRsForWavesPerEU: 24
; AccumOffset: 24
; Occupancy: 8
; WaveLimiterHint : 1
; COMPUTE_PGM_RSRC2:SCRATCH_EN: 0
; COMPUTE_PGM_RSRC2:USER_SGPR: 6
; COMPUTE_PGM_RSRC2:TRAP_HANDLER: 0
; COMPUTE_PGM_RSRC2:TGID_X_EN: 1
; COMPUTE_PGM_RSRC2:TGID_Y_EN: 1
; COMPUTE_PGM_RSRC2:TGID_Z_EN: 1
; COMPUTE_PGM_RSRC2:TIDIG_COMP_CNT: 0
; COMPUTE_PGM_RSRC3_GFX90A:ACCUM_OFFSET: 5
; COMPUTE_PGM_RSRC3_GFX90A:TG_SPLIT: 0
	.section	.text._ZN2at6native6sbtopk10gatherTopKIsjLin1ELb0EEEvNS_4cuda6detail10TensorInfoIKT_T0_EES8_S8_bS8_S8_NS5_IS6_S8_EES8_NS5_IlS8_EES8_PS6_,"axG",@progbits,_ZN2at6native6sbtopk10gatherTopKIsjLin1ELb0EEEvNS_4cuda6detail10TensorInfoIKT_T0_EES8_S8_bS8_S8_NS5_IS6_S8_EES8_NS5_IlS8_EES8_PS6_,comdat
	.protected	_ZN2at6native6sbtopk10gatherTopKIsjLin1ELb0EEEvNS_4cuda6detail10TensorInfoIKT_T0_EES8_S8_bS8_S8_NS5_IS6_S8_EES8_NS5_IlS8_EES8_PS6_ ; -- Begin function _ZN2at6native6sbtopk10gatherTopKIsjLin1ELb0EEEvNS_4cuda6detail10TensorInfoIKT_T0_EES8_S8_bS8_S8_NS5_IS6_S8_EES8_NS5_IlS8_EES8_PS6_
	.globl	_ZN2at6native6sbtopk10gatherTopKIsjLin1ELb0EEEvNS_4cuda6detail10TensorInfoIKT_T0_EES8_S8_bS8_S8_NS5_IS6_S8_EES8_NS5_IlS8_EES8_PS6_
	.p2align	8
	.type	_ZN2at6native6sbtopk10gatherTopKIsjLin1ELb0EEEvNS_4cuda6detail10TensorInfoIKT_T0_EES8_S8_bS8_S8_NS5_IS6_S8_EES8_NS5_IlS8_EES8_PS6_,@function
_ZN2at6native6sbtopk10gatherTopKIsjLin1ELb0EEEvNS_4cuda6detail10TensorInfoIKT_T0_EES8_S8_bS8_S8_NS5_IS6_S8_EES8_NS5_IlS8_EES8_PS6_: ; @_ZN2at6native6sbtopk10gatherTopKIsjLin1ELb0EEEvNS_4cuda6detail10TensorInfoIKT_T0_EES8_S8_bS8_S8_NS5_IS6_S8_EES8_NS5_IlS8_EES8_PS6_
; %bb.0:
	s_load_dwordx2 s[10:11], s[4:5], 0x2b8
	s_load_dwordx4 s[60:63], s[4:5], 0xd8
	s_mov_b64 s[20:21], s[4:5]
	s_add_u32 s2, s20, 0x2b8
	s_addc_u32 s3, s21, 0
	s_waitcnt lgkmcnt(0)
	s_mul_i32 s0, s11, s8
	s_add_i32 s0, s0, s7
	s_mul_i32 s0, s0, s10
	s_add_i32 s77, s0, s6
	s_cmp_ge_u32 s77, s63
	s_cbranch_scc1 .LBB65_420
; %bb.1:
	s_load_dword s5, s[20:21], 0xd0
	s_load_dword s19, s[20:21], 0xe8
	s_mov_b32 s1, 0
	s_mov_b32 s0, s77
	s_waitcnt lgkmcnt(0)
	s_cmp_lt_i32 s5, 2
	s_cbranch_scc1 .LBB65_4
; %bb.2:
	s_add_i32 s0, s5, -1
	s_add_i32 s4, s5, 1
	s_lshl_b64 s[8:9], s[0:1], 2
	s_add_u32 s0, s8, s20
	s_addc_u32 s5, s9, s21
	s_add_u32 s8, s0, 8
	s_addc_u32 s9, s5, 0
	s_mov_b32 s0, s77
.LBB65_3:                               ; =>This Inner Loop Header: Depth=1
	s_load_dword s5, s[8:9], 0x0
	s_load_dword s11, s[8:9], 0x64
	s_mov_b32 s7, s0
	s_waitcnt lgkmcnt(0)
	v_cvt_f32_u32_e32 v1, s5
	s_sub_i32 s0, 0, s5
	v_rcp_iflag_f32_e32 v1, v1
	v_mul_f32_e32 v1, 0x4f7ffffe, v1
	v_cvt_u32_f32_e32 v1, v1
	v_readfirstlane_b32 s12, v1
	s_mul_i32 s0, s0, s12
	s_mul_hi_u32 s0, s12, s0
	s_add_i32 s12, s12, s0
	s_mul_hi_u32 s0, s7, s12
	s_mul_i32 s12, s0, s5
	s_sub_i32 s12, s7, s12
	s_add_i32 s13, s0, 1
	s_sub_i32 s14, s12, s5
	s_cmp_ge_u32 s12, s5
	s_cselect_b32 s0, s13, s0
	s_cselect_b32 s12, s14, s12
	s_add_i32 s13, s0, 1
	s_cmp_ge_u32 s12, s5
	s_cselect_b32 s0, s13, s0
	s_mul_i32 s5, s0, s5
	s_sub_i32 s5, s7, s5
	s_mul_i32 s5, s11, s5
	s_add_i32 s4, s4, -1
	s_add_i32 s1, s5, s1
	s_add_u32 s8, s8, -4
	s_addc_u32 s9, s9, -1
	s_cmp_gt_u32 s4, 2
	s_cbranch_scc1 .LBB65_3
.LBB65_4:
	s_load_dword s5, s[20:21], 0x1c0
	s_add_u32 s8, s20, 0xf0
	s_addc_u32 s9, s21, 0
	s_mov_b32 s65, 0
	s_mov_b32 s78, s77
	s_waitcnt lgkmcnt(0)
	s_cmp_lt_i32 s5, 2
	s_cbranch_scc1 .LBB65_7
; %bb.5:
	s_add_i32 s64, s5, -1
	s_add_i32 s4, s5, 1
	s_lshl_b64 s[12:13], s[64:65], 2
	s_add_u32 s5, s12, s8
	s_addc_u32 s7, s13, s9
	s_add_u32 s12, s5, 8
	s_addc_u32 s13, s7, 0
	s_mov_b32 s78, s77
.LBB65_6:                               ; =>This Inner Loop Header: Depth=1
	s_load_dword s5, s[12:13], 0x0
	s_load_dword s11, s[12:13], 0x64
	s_mov_b32 s7, s78
	s_waitcnt lgkmcnt(0)
	v_cvt_f32_u32_e32 v1, s5
	s_sub_i32 s14, 0, s5
	v_rcp_iflag_f32_e32 v1, v1
	v_mul_f32_e32 v1, 0x4f7ffffe, v1
	v_cvt_u32_f32_e32 v1, v1
	v_readfirstlane_b32 s15, v1
	s_mul_i32 s14, s14, s15
	s_mul_hi_u32 s14, s15, s14
	s_add_i32 s15, s15, s14
	s_mul_hi_u32 s14, s78, s15
	s_mul_i32 s15, s14, s5
	s_sub_i32 s15, s78, s15
	s_add_i32 s16, s14, 1
	s_sub_i32 s17, s15, s5
	s_cmp_ge_u32 s15, s5
	s_cselect_b32 s14, s16, s14
	s_cselect_b32 s15, s17, s15
	s_add_i32 s16, s14, 1
	s_cmp_ge_u32 s15, s5
	s_cselect_b32 s78, s16, s14
	s_mul_i32 s5, s78, s5
	s_sub_i32 s5, s7, s5
	s_mul_i32 s5, s11, s5
	s_add_i32 s4, s4, -1
	s_add_i32 s65, s5, s65
	s_add_u32 s12, s12, -4
	s_addc_u32 s13, s13, -1
	s_cmp_gt_u32 s4, 2
	s_cbranch_scc1 .LBB65_6
.LBB65_7:
	s_load_dword s4, s[20:21], 0x6c
	s_load_dword s12, s[20:21], 0x2a0
	s_add_u32 s7, s20, 0x1d0
	s_addc_u32 s11, s21, 0
	s_mov_b32 s67, 0
	s_waitcnt lgkmcnt(0)
	s_cmp_lt_i32 s12, 2
	s_cbranch_scc1 .LBB65_10
; %bb.8:
	s_add_i32 s66, s12, -1
	s_add_i32 s5, s12, 1
	s_lshl_b64 s[12:13], s[66:67], 2
	s_add_u32 s7, s12, s7
	s_addc_u32 s11, s13, s11
	s_add_u32 s12, s7, 8
	s_addc_u32 s13, s11, 0
.LBB65_9:                               ; =>This Inner Loop Header: Depth=1
	s_load_dword s7, s[12:13], 0x0
	s_load_dword s14, s[12:13], 0x64
	s_mov_b32 s11, s77
	s_waitcnt lgkmcnt(0)
	v_cvt_f32_u32_e32 v1, s7
	s_sub_i32 s15, 0, s7
	v_rcp_iflag_f32_e32 v1, v1
	v_mul_f32_e32 v1, 0x4f7ffffe, v1
	v_cvt_u32_f32_e32 v1, v1
	v_readfirstlane_b32 s16, v1
	s_mul_i32 s15, s15, s16
	s_mul_hi_u32 s15, s16, s15
	s_add_i32 s16, s16, s15
	s_mul_hi_u32 s15, s77, s16
	s_mul_i32 s16, s15, s7
	s_sub_i32 s16, s77, s16
	s_add_i32 s17, s15, 1
	s_sub_i32 s18, s16, s7
	s_cmp_ge_u32 s16, s7
	s_cselect_b32 s15, s17, s15
	s_cselect_b32 s16, s18, s16
	s_add_i32 s17, s15, 1
	s_cmp_ge_u32 s16, s7
	s_cselect_b32 s77, s17, s15
	s_mul_i32 s7, s77, s7
	s_sub_i32 s7, s11, s7
	s_mul_i32 s7, s14, s7
	s_add_i32 s5, s5, -1
	s_add_i32 s67, s7, s67
	s_add_u32 s12, s12, -4
	s_addc_u32 s13, s13, -1
	s_cmp_gt_u32 s5, 2
	s_cbranch_scc1 .LBB65_9
.LBB65_10:
	s_load_dword s5, s[8:9], 0x6c
	s_nop 0
	s_load_dwordx2 s[8:9], s[20:21], 0x0
	s_load_dwordx2 s[12:13], s[20:21], 0xf0
                                        ; implicit-def: $vgpr52 : SGPR spill to VGPR lane
	s_mov_b32 s16, 0
	v_cmp_eq_u32_e64 s[14:15], 0, v0
	s_waitcnt lgkmcnt(0)
	v_writelane_b32 v52, s5, 0
	v_writelane_b32 v52, s12, 1
	;; [unrolled: 1-line block ×3, first 2 shown]
	s_load_dwordx2 s[12:13], s[20:21], 0x1d0
	s_waitcnt lgkmcnt(0)
	v_writelane_b32 v52, s12, 3
	v_writelane_b32 v52, s13, 4
	s_mov_b64 s[12:13], exec
	v_writelane_b32 v52, s14, 5
	v_writelane_b32 v52, s15, 6
	s_and_b64 s[14:15], s[12:13], s[14:15]
	s_mov_b64 exec, s[14:15]
	s_cbranch_execz .LBB65_12
; %bb.11:
	v_mov_b32_e32 v2, 0
	v_mov_b32_e32 v3, s60
	;; [unrolled: 1-line block ×3, first 2 shown]
	ds_write_b96 v2, v[2:4] offset:4096
.LBB65_12:
	s_or_b64 exec, exec, s[12:13]
	v_writelane_b32 v52, s20, 7
	s_load_dword s5, s[20:21], 0x23c
	s_mul_i32 s0, s4, s0
	s_add_i32 s0, s0, s1
	s_mov_b32 s1, s16
	s_lshl_b64 s[0:1], s[0:1], 1
	v_writelane_b32 v52, s21, 8
	s_add_u32 s33, s8, s0
	s_waitcnt lgkmcnt(0)
	v_writelane_b32 v52, s5, 9
	s_mov_b32 s4, 0
	s_addc_u32 s64, s9, s1
	v_writelane_b32 v52, s4, 10
	s_barrier
	s_load_dword s0, s[2:3], 0xc
	s_bitcmp1_b32 s62, 0
	v_writelane_b32 v52, s5, 11
	s_cselect_b64 s[4:5], -1, 0
	v_writelane_b32 v52, s4, 12
	v_writelane_b32 v52, s5, 13
	s_xor_b64 s[4:5], s[4:5], -1
	v_mbcnt_lo_u32_b32 v1, -1, 0
	v_writelane_b32 v52, s4, 14
	v_mbcnt_hi_u32_b32 v1, -1, v1
	v_writelane_b32 v52, s5, 15
	s_waitcnt lgkmcnt(0)
	s_and_b32 s66, s0, 0xffff
	s_bfe_u32 s5, s0, 0xa0006
	v_cmp_gt_u32_e32 vcc, 64, v0
	v_cmp_gt_i32_e64 s[0:1], 4, v1
	s_lshl_b32 s79, s66, 2
	s_and_b64 s[0:1], vcc, s[0:1]
	v_writelane_b32 v52, s0, 16
	s_cmpk_gt_u32 s60, 0x600
	v_writelane_b32 v52, s1, 17
	s_cselect_b64 s[0:1], -1, 0
	v_writelane_b32 v52, s0, 18
	s_cmp_gt_u32 s66, 63
	v_writelane_b32 v52, s1, 19
	s_cselect_b64 s[0:1], -1, 0
	v_writelane_b32 v52, s0, 20
	v_writelane_b32 v52, s1, 21
	s_add_i32 s0, s66, -1
	s_add_i32 s4, s0, s60
	s_cmp_lt_u32 s6, s10
	v_writelane_b32 v52, s0, 22
	s_cselect_b32 s0, 12, 18
	s_add_u32 s0, s2, s0
	s_addc_u32 s1, s3, 0
	v_writelane_b32 v52, s0, 23
	s_add_i32 s2, s5, -2
	v_writelane_b32 v52, s1, 24
	s_lshr_b32 s0, s2, 1
	s_add_i32 s3, s0, 1
	s_cmpk_gt_u32 s66, 0x7f
	v_mov_b32_e32 v11, 0
	s_cselect_b64 s[0:1], -1, 0
	v_writelane_b32 v52, s0, 25
	v_mul_lo_u32 v12, v0, s19
	v_mov_b32_e32 v13, v11
	v_writelane_b32 v52, s1, 26
	v_lshlrev_b64 v[2:3], 1, v[12:13]
	v_cmp_gt_u32_e64 s[6:7], s60, v0
	v_mov_b32_e32 v17, s64
	v_add_co_u32_e32 v8, vcc, s33, v2
	v_writelane_b32 v52, s6, 27
	v_lshrrev_b32_e32 v2, 4, v0
	v_addc_co_u32_e32 v9, vcc, v17, v3, vcc
	v_writelane_b32 v52, s7, 28
	v_and_b32_e32 v18, 60, v2
	v_cmp_gt_u32_e64 s[6:7], 2, v0
	v_lshlrev_b64 v[2:3], v1, -1
	v_writelane_b32 v52, s6, 29
	v_not_b32_e32 v6, v2
	v_cvt_f32_u32_e32 v2, s79
	v_writelane_b32 v52, s7, 30
	s_and_b32 s6, s5, 0x3fe
	s_and_b32 s7, s3, 7
	s_cmp_gt_u32 s2, 13
	s_cselect_b64 s[8:9], -1, 0
	v_writelane_b32 v52, s8, 31
	v_rcp_iflag_f32_e32 v2, v2
	v_writelane_b32 v52, s9, 32
	s_and_b32 s2, s3, -8
	v_writelane_b32 v52, s2, 33
	s_cmp_lg_u32 s7, 0
	v_writelane_b32 v52, s7, 34
	s_cselect_b64 s[2:3], -1, 0
	v_writelane_b32 v52, s2, 35
	v_mul_f32_e32 v2, 0x4f7ffffe, v2
	v_writelane_b32 v52, s3, 36
	v_cvt_u32_f32_e32 v2, v2
	v_writelane_b32 v52, s5, 37
	s_cmp_lg_u32 s6, s5
	v_writelane_b32 v52, s6, 38
	s_cselect_b64 s[2:3], -1, 0
	v_writelane_b32 v52, s2, 39
	v_writelane_b32 v52, s3, 40
	s_sub_i32 s2, 0, s79
	v_readfirstlane_b32 s3, v2
	s_mul_i32 s2, s2, s3
	s_mul_hi_u32 s2, s3, s2
	v_cvt_f32_u32_e32 v2, s66
	s_add_i32 s2, s3, s2
	v_writelane_b32 v52, s2, 41
	s_mul_hi_u32 s2, s60, s2
	s_mul_i32 s2, s2, s79
	s_sub_i32 s2, s60, s2
	v_rcp_iflag_f32_e32 v5, v2
	s_sub_i32 s3, s2, s79
	s_cmp_ge_u32 s2, s79
	s_cselect_b32 s2, s3, s2
	s_sub_i32 s3, s2, s79
	v_mul_f32_e32 v5, 0x4f7ffffe, v5
	s_cmp_ge_u32 s2, s79
	v_cvt_u32_f32_e32 v5, v5
	s_cselect_b32 s2, s3, s2
	v_lshlrev_b32_e32 v16, 2, v0
	s_sub_i32 s13, s60, s2
	v_cmp_gt_u32_e64 s[6:7], s13, v16
	v_writelane_b32 v52, s6, 42
	v_add_u32_e32 v21, s13, v0
	s_sub_i32 s3, 0, s66
	v_readfirstlane_b32 s5, v5
	v_writelane_b32 v52, s7, 43
	v_cmp_gt_u32_e64 s[6:7], s60, v21
	s_mul_i32 s3, s3, s5
	v_writelane_b32 v52, s6, 44
	s_mul_hi_u32 s3, s5, s3
	v_writelane_b32 v52, s7, 45
	s_add_i32 s3, s5, s3
	v_writelane_b32 v52, s3, 46
	s_mul_hi_u32 s3, s4, s3
	s_mul_i32 s3, s3, s66
	s_sub_i32 s3, s4, s3
	s_sub_i32 s5, s3, s66
	s_cmp_ge_u32 s3, s66
	s_cselect_b32 s3, s5, s3
	v_mul_lo_u32 v10, v21, s19
	s_sub_i32 s5, s3, s66
	v_not_b32_e32 v7, v3
	v_lshlrev_b64 v[2:3], 1, v[10:11]
	s_cmp_ge_u32 s3, s66
	v_add_co_u32_e32 v14, vcc, s33, v2
	s_cselect_b32 s3, s5, s3
	v_mul_lo_u32 v2, s19, v16
	s_sub_i32 s12, s4, s3
	v_add_u32_e32 v22, s19, v2
	v_or_b32_e32 v2, 2, v16
	v_cmp_gt_u32_e64 s[4:5], s12, v0
	v_mul_lo_u32 v23, s19, v2
	v_or_b32_e32 v2, 3, v16
	s_add_i32 s3, s66, s60
	v_writelane_b32 v52, s4, 47
	v_mul_lo_u32 v24, s19, v2
	v_add_u32_e32 v2, s3, v0
	v_lshlrev_b32_e32 v19, 1, v0
	v_lshlrev_b32_e32 v4, 2, v1
	v_mov_b32_e32 v10, s64
	v_writelane_b32 v52, s5, 48
	s_mul_i32 s76, s19, s66
	v_subrev_u32_e32 v2, s2, v2
	v_cmp_eq_u32_e64 s[0:1], 0, v1
	v_add_u32_e32 v20, 0xc00, v19
	v_and_b32_e32 v13, 0x100, v4
	v_addc_co_u32_e32 v15, vcc, v10, v3, vcc
	s_lshl_b32 s72, s76, 2
	v_lshlrev_b32_e32 v25, 2, v12
	v_writelane_b32 v52, s19, 49
	v_mul_lo_u32 v26, s19, v2
	v_lshlrev_b32_e32 v27, 3, v0
	s_lshl_b32 s73, s66, 3
	s_lshl_b32 s10, s66, 1
	v_or_b32_e32 v28, 0xc00, v4
	s_mov_b32 s62, 14
	s_mov_b64 s[90:91], 0
	v_mov_b32_e32 v34, s61
	s_mov_b32 s11, 0x8000
	v_mov_b32_e32 v29, 0xc00
	v_mov_b32_e32 v30, 0x5040100
	;; [unrolled: 1-line block ×3, first 2 shown]
	s_mov_b32 s4, 0
	v_mov_b32_e32 v32, 0
	v_mov_b32_e32 v31, 0
                                        ; implicit-def: $sgpr92_sgpr93
                                        ; implicit-def: $sgpr94_sgpr95
                                        ; implicit-def: $sgpr70_sgpr71
                                        ; implicit-def: $sgpr2_sgpr3
                                        ; implicit-def: $sgpr68_sgpr69
	v_writelane_b32 v52, s4, 50
                                        ; implicit-def: $sgpr84_sgpr85
                                        ; implicit-def: $sgpr86_sgpr87
                                        ; implicit-def: $sgpr88_sgpr89
                                        ; implicit-def: $sgpr80_sgpr81
                                        ; implicit-def: $sgpr82_sgpr83
	s_branch .LBB65_15
.LBB65_13:                              ;   in Loop: Header=BB65_15 Depth=1
	s_or_b64 exec, exec, s[18:19]
	s_andn2_b64 s[4:5], s[82:83], exec
	s_and_b64 s[14:15], s[16:17], exec
	s_or_b64 s[82:83], s[4:5], s[14:15]
	s_andn2_b64 s[80:81], s[80:81], exec
	s_andn2_b64 s[88:89], s[88:89], exec
	;; [unrolled: 1-line block ×4, first 2 shown]
	s_orn2_b64 s[8:9], s[8:9], exec
	v_mov_b32_e32 v31, v3
	v_mov_b32_e32 v32, v2
	;; [unrolled: 1-line block ×4, first 2 shown]
.LBB65_14:                              ;   in Loop: Header=BB65_15 Depth=1
	s_or_b64 exec, exec, s[6:7]
	s_and_b64 s[4:5], exec, s[8:9]
	s_or_b64 s[90:91], s[4:5], s[90:91]
	s_andn2_b64 s[4:5], s[68:69], exec
	s_and_b64 s[6:7], s[82:83], exec
	s_or_b64 s[68:69], s[4:5], s[6:7]
	s_andn2_b64 s[2:3], s[2:3], exec
	s_and_b64 s[4:5], s[80:81], exec
	;; [unrolled: 3-line block ×5, first 2 shown]
	s_or_b64 s[92:93], s[4:5], s[6:7]
	s_andn2_b64 exec, exec, s[90:91]
	s_cbranch_execz .LBB65_416
.LBB65_15:                              ; =>This Loop Header: Depth=1
                                        ;     Child Loop BB65_20 Depth 2
                                        ;     Child Loop BB65_38 Depth 2
	;; [unrolled: 1-line block ×25, first 2 shown]
	ds_read_b64 v[2:3], v11 offset:4096
	s_waitcnt lgkmcnt(0)
	v_readfirstlane_b32 s4, v2
	s_cmp_lg_u32 s4, 0
	s_cbranch_scc1 .LBB65_45
; %bb.16:                               ;   in Loop: Header=BB65_15 Depth=1
	v_readlane_b32 s4, v52, 18
	v_readlane_b32 s5, v52, 19
	s_and_b64 vcc, exec, s[4:5]
	s_cbranch_vccz .LBB65_28
; %bb.17:                               ;   in Loop: Header=BB65_15 Depth=1
	s_movk_i32 s4, 0x601
	v_cmp_gt_u32_e32 vcc, s4, v3
	s_mov_b64 s[6:7], 0
	s_mov_b64 s[8:9], 0
	s_cbranch_vccz .LBB65_29
; %bb.18:                               ;   in Loop: Header=BB65_15 Depth=1
	v_readlane_b32 s4, v52, 23
	v_readlane_b32 s5, v52, 24
	s_nop 4
	global_load_ushort v2, v11, s[4:5]
	global_load_ushort v3, v[8:9], off
	v_readlane_b32 s4, v52, 49
	s_waitcnt vmcnt(1)
	v_add_u32_e32 v5, v0, v2
	v_mul_lo_u32 v4, s4, v2
	v_mul_lo_u32 v10, s4, v5
	v_mov_b32_e32 v5, v0
	s_branch .LBB65_20
.LBB65_19:                              ;   in Loop: Header=BB65_20 Depth=2
	s_or_b64 exec, exec, s[16:17]
	v_add_u32_e32 v10, v10, v4
	v_mov_b32_e32 v3, v35
	s_andn2_b64 exec, exec, s[8:9]
	s_cbranch_execz .LBB65_30
.LBB65_20:                              ;   Parent Loop BB65_15 Depth=1
                                        ; =>  This Inner Loop Header: Depth=2
	v_add_u32_e32 v5, v5, v2
	v_cmp_gt_u32_e64 s[18:19], s60, v5
	v_cmp_le_u32_e32 vcc, s60, v5
	s_waitcnt lgkmcnt(0)
	v_mov_b32_e32 v36, 0
	v_mov_b32_e32 v35, 0
	s_and_saveexec_b64 s[16:17], s[18:19]
	s_cbranch_execz .LBB65_22
; %bb.21:                               ;   in Loop: Header=BB65_20 Depth=2
	v_lshlrev_b64 v[38:39], 1, v[10:11]
	v_add_co_u32_e64 v38, s[18:19], s33, v38
	v_addc_co_u32_e64 v39, s[18:19], v17, v39, s[18:19]
	global_load_ushort v35, v[38:39], off
.LBB65_22:                              ;   in Loop: Header=BB65_20 Depth=2
	s_or_b64 exec, exec, s[16:17]
	s_waitcnt vmcnt(0)
	v_add_u32_sdwa v37, sext(v3), s11 dst_sel:DWORD dst_unused:UNUSED_PAD src0_sel:WORD_0 src1_sel:DWORD
	v_and_b32_e32 v37, v37, v31
	v_cmp_eq_u32_e64 s[18:19], v37, v32
	s_cmp_lg_u64 s[18:19], 0
	s_cselect_b64 s[4:5], -1, 0
	s_and_b64 s[4:5], s[0:1], s[4:5]
	s_and_saveexec_b64 s[16:17], s[4:5]
	s_cbranch_execz .LBB65_26
; %bb.23:                               ;   in Loop: Header=BB65_20 Depth=2
	s_mov_b64 s[24:25], exec
	v_mbcnt_lo_u32_b32 v36, s24, 0
	v_mbcnt_hi_u32_b32 v36, s25, v36
	s_bcnt1_i32_b64 s4, s[18:19]
	v_cmp_eq_u32_e64 s[20:21], 0, v36
                                        ; implicit-def: $vgpr37
	s_and_saveexec_b64 s[22:23], s[20:21]
	s_cbranch_execz .LBB65_25
; %bb.24:                               ;   in Loop: Header=BB65_20 Depth=2
	s_bcnt1_i32_b64 s5, s[24:25]
	s_mul_i32 s5, s4, s5
	v_mov_b32_e32 v37, s5
	ds_add_rtn_u32 v37, v11, v37 offset:4104
.LBB65_25:                              ;   in Loop: Header=BB65_20 Depth=2
	s_or_b64 exec, exec, s[22:23]
	s_waitcnt lgkmcnt(0)
	v_readfirstlane_b32 s5, v37
	v_mov_b32_e32 v37, s5
	v_mad_u32_u24 v36, s4, v36, v37
.LBB65_26:                              ;   in Loop: Header=BB65_20 Depth=2
	s_or_b64 exec, exec, s[16:17]
	ds_bpermute_b32 v36, v13, v36
	s_and_b64 s[4:5], exec, vcc
	s_or_b64 s[8:9], s[4:5], s[8:9]
	s_and_saveexec_b64 s[16:17], s[18:19]
	s_cbranch_execz .LBB65_19
; %bb.27:                               ;   in Loop: Header=BB65_20 Depth=2
	v_and_b32_e32 v38, s18, v6
	v_and_b32_e32 v37, s19, v7
	v_bcnt_u32_b32 v38, v38, 0
	v_bcnt_u32_b32 v37, v37, v38
	v_lshlrev_b32_e32 v37, 1, v37
	s_waitcnt lgkmcnt(0)
	v_lshl_add_u32 v36, v36, 1, v37
	ds_write_b16 v36, v3
	s_branch .LBB65_19
.LBB65_28:                              ;   in Loop: Header=BB65_15 Depth=1
	s_mov_b64 s[8:9], 0
                                        ; implicit-def: $sgpr4
	s_cbranch_execnz .LBB65_33
	s_branch .LBB65_43
.LBB65_29:                              ;   in Loop: Header=BB65_15 Depth=1
	s_mov_b32 s4, 0
	s_and_b64 vcc, exec, s[6:7]
	s_cbranch_vccnz .LBB65_33
	s_branch .LBB65_43
.LBB65_30:                              ;   in Loop: Header=BB65_15 Depth=1
	s_or_b64 exec, exec, s[8:9]
	s_waitcnt lgkmcnt(0)
	s_barrier
	s_mov_b64 s[8:9], exec
	v_readlane_b32 s4, v52, 5
	v_readlane_b32 s5, v52, 6
	s_and_b64 s[4:5], s[8:9], s[4:5]
	s_mov_b64 exec, s[4:5]
	s_cbranch_execz .LBB65_32
; %bb.31:                               ;   in Loop: Header=BB65_15 Depth=1
	ds_read_b32 v2, v11 offset:4104
	s_waitcnt lgkmcnt(0)
	ds_write_b32 v11, v2 offset:4096
.LBB65_32:                              ;   in Loop: Header=BB65_15 Depth=1
	s_or_b64 exec, exec, s[8:9]
	s_waitcnt lgkmcnt(0)
	s_barrier
	s_mov_b64 s[8:9], -1
	s_mov_b32 s4, 0
	s_and_b64 vcc, exec, s[6:7]
	s_cbranch_vccz .LBB65_43
.LBB65_33:                              ;   in Loop: Header=BB65_15 Depth=1
	v_mov_b32_e32 v2, 0
	s_mov_b64 s[6:7], exec
	v_readlane_b32 s4, v52, 27
	v_readlane_b32 s5, v52, 28
	s_and_b64 s[4:5], s[6:7], s[4:5]
	s_mov_b64 exec, s[4:5]
	s_cbranch_execz .LBB65_35
; %bb.34:                               ;   in Loop: Header=BB65_15 Depth=1
	global_load_ushort v2, v[8:9], off
.LBB65_35:                              ;   in Loop: Header=BB65_15 Depth=1
	s_or_b64 exec, exec, s[6:7]
	s_mov_b64 s[6:7], exec
	v_readlane_b32 s4, v52, 27
	v_readlane_b32 s5, v52, 28
	s_and_b64 s[4:5], s[6:7], s[4:5]
	s_mov_b64 exec, s[4:5]
	s_cbranch_execz .LBB65_40
; %bb.36:                               ;   in Loop: Header=BB65_15 Depth=1
	v_readlane_b32 s4, v52, 23
	v_readlane_b32 s5, v52, 24
	s_mov_b64 s[8:9], 0
	v_mov_b32_e32 v4, v19
	v_mov_b32_e32 v36, v0
	s_nop 1
	global_load_ushort v3, v11, s[4:5]
	v_readlane_b32 s4, v52, 49
	s_waitcnt vmcnt(0)
	v_add_u32_e32 v10, v0, v3
	v_lshlrev_b32_e32 v5, 1, v3
	v_mul_lo_u32 v35, s4, v3
	v_mul_lo_u32 v10, s4, v10
	s_branch .LBB65_38
.LBB65_37:                              ;   in Loop: Header=BB65_38 Depth=2
	s_or_b64 exec, exec, s[16:17]
	s_and_b64 s[4:5], exec, vcc
	s_or_b64 s[8:9], s[4:5], s[8:9]
	ds_write_b16 v4, v2
	v_add_u32_e32 v4, v4, v5
	v_add_u32_e32 v10, v10, v35
	s_waitcnt vmcnt(0)
	v_mov_b32_e32 v2, v37
	s_andn2_b64 exec, exec, s[8:9]
	s_cbranch_execz .LBB65_40
.LBB65_38:                              ;   Parent Loop BB65_15 Depth=1
                                        ; =>  This Inner Loop Header: Depth=2
	v_add_u32_e32 v36, v36, v3
	v_cmp_gt_u32_e64 s[18:19], s60, v36
	v_cmp_le_u32_e32 vcc, s60, v36
	v_mov_b32_e32 v37, 0
	s_and_saveexec_b64 s[16:17], s[18:19]
	s_cbranch_execz .LBB65_37
; %bb.39:                               ;   in Loop: Header=BB65_38 Depth=2
	v_lshlrev_b64 v[38:39], 1, v[10:11]
	v_mov_b32_e32 v37, s64
	v_add_co_u32_e64 v38, s[18:19], s33, v38
	v_addc_co_u32_e64 v39, s[18:19], v37, v39, s[18:19]
	global_load_ushort v37, v[38:39], off
	s_branch .LBB65_37
.LBB65_40:                              ;   in Loop: Header=BB65_15 Depth=1
	s_or_b64 exec, exec, s[6:7]
	s_waitcnt lgkmcnt(0)
	s_barrier
	s_mov_b64 s[6:7], exec
	v_readlane_b32 s4, v52, 5
	v_readlane_b32 s5, v52, 6
	s_and_b64 s[4:5], s[6:7], s[4:5]
	s_mov_b64 exec, s[4:5]
	s_cbranch_execz .LBB65_42
; %bb.41:                               ;   in Loop: Header=BB65_15 Depth=1
	s_waitcnt vmcnt(0)
	v_mov_b32_e32 v2, s60
	ds_write_b32 v11, v2 offset:4096
.LBB65_42:                              ;   in Loop: Header=BB65_15 Depth=1
	s_or_b64 exec, exec, s[6:7]
	s_mov_b64 s[8:9], -1
	s_waitcnt lgkmcnt(0)
	s_barrier
                                        ; implicit-def: $sgpr4
.LBB65_43:                              ;   in Loop: Header=BB65_15 Depth=1
	s_and_b64 vcc, exec, s[8:9]
	s_cbranch_vccz .LBB65_45
; %bb.44:                               ;   in Loop: Header=BB65_15 Depth=1
	s_waitcnt vmcnt(0)
	ds_read_b32 v2, v11 offset:4096
	s_waitcnt lgkmcnt(0)
	v_readfirstlane_b32 s4, v2
.LBB65_45:                              ;   in Loop: Header=BB65_15 Depth=1
	s_cmp_lt_i32 s4, 1
	s_cbranch_scc0 .LBB65_57
; %bb.46:                               ;   in Loop: Header=BB65_15 Depth=1
	s_waitcnt vmcnt(0)
	v_mov_b32_e32 v2, 0
	s_mov_b32 s5, 0
	v_mov_b32_e32 v3, 0
	v_mov_b32_e32 v4, v2
	;; [unrolled: 1-line block ×3, first 2 shown]
	s_mov_b64 s[16:17], exec
	v_readlane_b32 s6, v52, 42
	v_readlane_b32 s7, v52, 43
	s_and_b64 s[6:7], s[16:17], s[6:7]
	s_mov_b64 exec, s[6:7]
	s_cbranch_execz .LBB65_50
; %bb.47:                               ;   in Loop: Header=BB65_15 Depth=1
	s_and_b32 s6, s62, 0xfe
	s_mov_b64 s[48:49], 0
	s_mov_b32 s7, 0
	s_mov_b32 s8, 0
	;; [unrolled: 1-line block ×4, first 2 shown]
	v_mov_b32_e32 v35, v16
.LBB65_48:                              ;   Parent Loop BB65_15 Depth=1
                                        ; =>  This Inner Loop Header: Depth=2
	v_add_u32_e32 v10, s5, v25
	v_lshlrev_b64 v[2:3], 1, v[10:11]
	v_mov_b32_e32 v38, s64
	v_add_u32_e32 v10, s5, v22
	v_add_co_u32_e64 v2, s[18:19], s33, v2
	v_lshlrev_b64 v[4:5], 1, v[10:11]
	v_addc_co_u32_e64 v3, s[18:19], v38, v3, s[18:19]
	v_add_u32_e32 v10, s5, v23
	v_add_co_u32_e64 v4, s[18:19], s33, v4
	v_lshlrev_b64 v[36:37], 1, v[10:11]
	v_add_u32_e32 v10, s5, v24
	v_addc_co_u32_e64 v5, s[18:19], v38, v5, s[18:19]
	global_load_sshort v39, v[2:3], off
	v_lshlrev_b64 v[2:3], 1, v[10:11]
	global_load_sshort v10, v[4:5], off
	v_add_co_u32_e64 v4, s[18:19], s33, v36
	v_addc_co_u32_e64 v5, s[18:19], v38, v37, s[18:19]
	v_add_co_u32_e64 v2, s[18:19], s33, v2
	global_load_sshort v4, v[4:5], off
	v_addc_co_u32_e64 v3, s[18:19], v38, v3, s[18:19]
	global_load_sshort v2, v[2:3], off
	v_add_u32_e32 v35, s79, v35
	v_cmp_le_u32_e32 vcc, s13, v35
	s_add_i32 s5, s5, s72
	s_waitcnt vmcnt(3)
	v_add_u32_e32 v3, 0x8000, v39
	s_waitcnt vmcnt(2)
	v_add_u32_e32 v5, 0x8000, v10
	v_and_b32_e32 v10, v3, v31
	v_bfe_u32 v3, v3, s6, 2
	v_cmp_eq_u32_e64 s[18:19], v10, v32
	v_cmp_eq_u32_e64 s[20:21], 0, v3
	v_and_b32_e32 v10, v5, v31
	v_bfe_u32 v5, v5, s6, 2
	v_cmp_eq_u32_e64 s[22:23], 1, v3
	s_and_b64 s[20:21], s[18:19], s[20:21]
	s_waitcnt vmcnt(1)
	v_add_u32_e32 v4, 0x8000, v4
	v_cmp_eq_u32_e64 s[24:25], 2, v3
	v_cmp_eq_u32_e64 s[26:27], 3, v3
	v_cmp_eq_u32_e64 s[30:31], 0, v5
	v_cmp_eq_u32_e64 s[34:35], 1, v5
	v_cmp_eq_u32_e64 s[36:37], 2, v5
	v_cmp_eq_u32_e64 s[38:39], 3, v5
	v_cndmask_b32_e64 v5, 0, 1, s[20:21]
	s_and_b64 s[20:21], s[18:19], s[22:23]
	s_waitcnt vmcnt(0)
	v_add_u32_e32 v2, 0x8000, v2
	v_cmp_eq_u32_e64 s[28:29], v10, v32
	v_and_b32_e32 v3, v4, v31
	v_bfe_u32 v4, v4, s6, 2
	v_cndmask_b32_e64 v10, 0, 1, s[20:21]
	s_and_b64 s[20:21], s[18:19], s[24:25]
	s_and_b64 s[18:19], s[18:19], s[26:27]
	v_cndmask_b32_e64 v36, 0, 1, s[20:21]
	v_cndmask_b32_e64 v37, 0, 1, s[18:19]
	v_cmp_eq_u32_e64 s[18:19], v3, v32
	v_and_b32_e32 v3, v2, v31
	v_bfe_u32 v2, v2, s6, 2
	v_cmp_eq_u32_e64 s[20:21], 0, v4
	s_and_b64 s[30:31], s[28:29], s[30:31]
	s_and_b64 s[34:35], s[28:29], s[34:35]
	;; [unrolled: 1-line block ×4, first 2 shown]
	v_cmp_eq_u32_e64 s[22:23], 1, v4
	v_cmp_eq_u32_e64 s[24:25], 2, v4
	;; [unrolled: 1-line block ×3, first 2 shown]
	v_cmp_ne_u32_e64 s[40:41], 0, v5
	v_cndmask_b32_e64 v5, 0, 1, s[34:35]
	v_cmp_ne_u32_e64 s[34:35], 0, v36
	v_cndmask_b32_e64 v36, 0, 1, s[28:29]
	v_cmp_eq_u32_e64 s[28:29], v3, v32
	v_cmp_eq_u32_e64 s[38:39], 0, v2
	s_and_b64 s[20:21], s[18:19], s[20:21]
	v_cmp_eq_u32_e64 s[42:43], 1, v2
	v_cmp_eq_u32_e64 s[44:45], 2, v2
	;; [unrolled: 1-line block ×3, first 2 shown]
	s_bcnt1_i32_b64 s15, s[40:41]
	v_cndmask_b32_e64 v2, 0, 1, s[20:21]
	s_and_b64 s[22:23], s[18:19], s[22:23]
	s_and_b64 s[24:25], s[18:19], s[24:25]
	;; [unrolled: 1-line block ×4, first 2 shown]
	v_cndmask_b32_e64 v4, 0, 1, s[30:31]
	v_cmp_ne_u32_e64 s[30:31], 0, v10
	v_cndmask_b32_e64 v10, 0, 1, s[36:37]
	v_cmp_ne_u32_e64 s[20:21], 0, v5
	v_cndmask_b32_e64 v3, 0, 1, s[22:23]
	v_cndmask_b32_e64 v5, 0, 1, s[18:19]
	v_cmp_ne_u32_e64 s[18:19], 0, v2
	v_cndmask_b32_e64 v2, 0, 1, s[26:27]
	s_add_i32 s26, s14, s15
	s_and_b64 s[14:15], s[28:29], s[42:43]
	v_cmp_ne_u32_e64 s[36:37], 0, v37
	v_cmp_ne_u32_e64 s[40:41], 0, v4
	s_bcnt1_i32_b64 s30, s[30:31]
	s_bcnt1_i32_b64 s31, s[34:35]
	v_cmp_ne_u32_e64 s[22:23], 0, v10
	v_cndmask_b32_e64 v4, 0, 1, s[24:25]
	s_bcnt1_i32_b64 s27, s[20:21]
	v_cmp_ne_u32_e64 s[20:21], 0, v3
	v_cndmask_b32_e64 v3, 0, 1, s[14:15]
	s_and_b64 s[14:15], s[28:29], s[44:45]
	s_bcnt1_i32_b64 s34, s[36:37]
	v_cmp_ne_u32_e64 s[24:25], 0, v36
	s_add_i32 s30, s9, s30
	s_bcnt1_i32_b64 s36, s[22:23]
	v_cmp_ne_u32_e64 s[22:23], 0, v4
	v_cndmask_b32_e64 v4, 0, 1, s[14:15]
	s_add_i32 s14, s8, s31
	s_and_b64 s[8:9], s[28:29], s[46:47]
	s_bcnt1_i32_b64 s35, s[40:41]
	s_bcnt1_i32_b64 s15, s[24:25]
	v_cmp_ne_u32_e64 s[24:25], 0, v5
	v_cndmask_b32_e64 v5, 0, 1, s[8:9]
	s_add_i32 s7, s7, s34
	s_bcnt1_i32_b64 s8, s[18:19]
	v_cmp_ne_u32_e64 s[18:19], 0, v2
	s_add_i32 s9, s26, s35
	s_bcnt1_i32_b64 s26, s[20:21]
	v_cmp_ne_u32_e64 s[20:21], 0, v3
	;; [unrolled: 3-line block ×4, first 2 shown]
	s_add_i32 s7, s7, s15
	s_bcnt1_i32_b64 s15, s[18:19]
	s_add_i32 s8, s9, s8
	s_bcnt1_i32_b64 s9, s[20:21]
	;; [unrolled: 2-line block ×4, first 2 shown]
	s_add_i32 s7, s7, s29
	s_add_i32 s14, s8, s15
	;; [unrolled: 1-line block ×5, first 2 shown]
	s_or_b64 s[48:49], vcc, s[48:49]
	v_mov_b32_e32 v2, s14
	v_mov_b32_e32 v3, s9
	;; [unrolled: 1-line block ×4, first 2 shown]
	s_andn2_b64 exec, exec, s[48:49]
	s_cbranch_execnz .LBB65_48
; %bb.49:                               ;   in Loop: Header=BB65_15 Depth=1
	s_or_b64 exec, exec, s[48:49]
.LBB65_50:                              ;   in Loop: Header=BB65_15 Depth=1
	s_or_b64 exec, exec, s[16:17]
	v_mov_b32_e32 v35, 0
	s_mov_b64 s[6:7], exec
	v_readlane_b32 s8, v52, 44
	v_readlane_b32 s9, v52, 45
	s_and_b64 s[8:9], s[6:7], s[8:9]
	s_mov_b64 exec, s[8:9]
	s_cbranch_execz .LBB65_52
; %bb.51:                               ;   in Loop: Header=BB65_15 Depth=1
	global_load_ushort v35, v[14:15], off
.LBB65_52:                              ;   in Loop: Header=BB65_15 Depth=1
	s_or_b64 exec, exec, s[6:7]
	s_mov_b64 s[6:7], 0
	s_mov_b64 s[16:17], 0
	s_mov_b64 s[8:9], exec
	v_readlane_b32 s14, v52, 44
	v_readlane_b32 s15, v52, 45
	s_and_b64 s[14:15], s[8:9], s[14:15]
	s_mov_b64 exec, s[14:15]
	s_cbranch_execz .LBB65_59
; %bb.53:                               ;   in Loop: Header=BB65_15 Depth=1
	s_and_b32 s5, s62, 0xfe
	v_mov_b32_e32 v10, v26
	v_mov_b32_e32 v36, v21
	s_branch .LBB65_55
.LBB65_54:                              ;   in Loop: Header=BB65_55 Depth=2
	s_or_b64 exec, exec, s[20:21]
	s_waitcnt vmcnt(0)
	v_add_u32_sdwa v35, sext(v35), s11 dst_sel:DWORD dst_unused:UNUSED_PAD src0_sel:WORD_0 src1_sel:DWORD
	s_and_b64 s[14:15], exec, vcc
	v_and_b32_e32 v38, v35, v31
	v_bfe_u32 v35, v35, s5, 2
	s_or_b64 s[16:17], s[14:15], s[16:17]
	v_cmp_eq_u32_e32 vcc, v38, v32
	v_cmp_eq_u32_e64 s[18:19], 0, v35
	s_and_b64 s[14:15], vcc, s[18:19]
	v_cndmask_b32_e64 v38, 0, 1, s[14:15]
	v_cmp_ne_u32_e64 s[18:19], 0, v38
	s_bcnt1_i32_b64 s14, s[18:19]
	v_cmp_eq_u32_e64 s[18:19], 1, v35
	v_add_u32_e32 v2, s14, v2
	s_and_b64 s[14:15], vcc, s[18:19]
	v_cndmask_b32_e64 v38, 0, 1, s[14:15]
	v_cmp_ne_u32_e64 s[18:19], 0, v38
	s_bcnt1_i32_b64 s14, s[18:19]
	v_cmp_eq_u32_e64 s[18:19], 2, v35
	v_add_u32_e32 v3, s14, v3
	;; [unrolled: 6-line block ×3, first 2 shown]
	s_and_b64 s[14:15], vcc, s[18:19]
	v_cndmask_b32_e64 v35, 0, 1, s[14:15]
	v_cmp_ne_u32_e32 vcc, 0, v35
	s_bcnt1_i32_b64 s14, vcc
	v_add_u32_e32 v5, s14, v5
	v_add_u32_e32 v10, s76, v10
	v_mov_b32_e32 v35, v37
	s_andn2_b64 exec, exec, s[16:17]
	s_cbranch_execz .LBB65_58
.LBB65_55:                              ;   Parent Loop BB65_15 Depth=1
                                        ; =>  This Inner Loop Header: Depth=2
	v_add_u32_e32 v36, s66, v36
	v_cmp_gt_u32_e64 s[18:19], s60, v36
	v_cmp_le_u32_e32 vcc, s60, v36
	v_mov_b32_e32 v37, 0
	s_and_saveexec_b64 s[20:21], s[18:19]
	s_cbranch_execz .LBB65_54
; %bb.56:                               ;   in Loop: Header=BB65_55 Depth=2
	v_lshlrev_b64 v[38:39], 1, v[10:11]
	v_mov_b32_e32 v37, s64
	v_add_co_u32_e64 v38, s[18:19], s33, v38
	v_addc_co_u32_e64 v39, s[18:19], v37, v39, s[18:19]
	global_load_ushort v37, v[38:39], off
	s_branch .LBB65_54
.LBB65_57:                              ;   in Loop: Header=BB65_15 Depth=1
	s_mov_b64 s[16:17], 0
                                        ; implicit-def: $vgpr5
	s_cbranch_execnz .LBB65_60
	s_branch .LBB65_69
.LBB65_58:                              ;   in Loop: Header=BB65_15 Depth=1
	s_or_b64 exec, exec, s[16:17]
	s_mov_b64 s[16:17], exec
.LBB65_59:                              ;   in Loop: Header=BB65_15 Depth=1
	s_or_b64 exec, exec, s[8:9]
	s_and_b64 vcc, exec, s[6:7]
	s_cbranch_vccz .LBB65_69
.LBB65_60:                              ;   in Loop: Header=BB65_15 Depth=1
	v_readlane_b32 s5, v52, 41
	s_mul_hi_u32 s5, s4, s5
	s_mul_i32 s5, s5, s79
	s_sub_i32 s5, s4, s5
	s_sub_i32 s6, s5, s79
	s_cmp_ge_u32 s5, s79
	s_cselect_b32 s5, s6, s5
	s_sub_i32 s6, s5, s79
	s_cmp_ge_u32 s5, s79
	s_cselect_b32 s5, s6, s5
	s_sub_i32 s5, s4, s5
	v_cmp_gt_u32_e32 vcc, s5, v16
	s_mov_b32 s15, 0
	s_waitcnt vmcnt(0)
	v_mov_b32_e32 v2, 0
	v_mov_b32_e32 v3, 0
	;; [unrolled: 1-line block ×4, first 2 shown]
	s_and_saveexec_b64 s[6:7], vcc
	s_cbranch_execz .LBB65_64
; %bb.61:                               ;   in Loop: Header=BB65_15 Depth=1
	s_and_b32 s14, s62, 0xfe
	s_mov_b64 s[8:9], 0
	v_mov_b32_e32 v10, v27
	s_mov_b32 s74, 0
	s_mov_b32 s75, 0
	;; [unrolled: 1-line block ×3, first 2 shown]
	v_mov_b32_e32 v35, v16
.LBB65_62:                              ;   Parent Loop BB65_15 Depth=1
                                        ; =>  This Inner Loop Header: Depth=2
	ds_read_b64 v[2:3], v10
	v_add_u32_e32 v35, s79, v35
	v_cmp_le_u32_e32 vcc, s5, v35
	v_add_u32_e32 v10, s73, v10
	s_waitcnt lgkmcnt(0)
	v_add_u32_sdwa v4, sext(v2), s11 dst_sel:DWORD dst_unused:UNUSED_PAD src0_sel:WORD_0 src1_sel:DWORD
	v_add_u32_sdwa v2, sext(v2), s11 dst_sel:DWORD dst_unused:UNUSED_PAD src0_sel:WORD_1 src1_sel:DWORD
	v_and_b32_e32 v36, v4, v31
	v_bfe_u32 v4, v4, s14, 2
	v_add_u32_sdwa v5, sext(v3), s11 dst_sel:DWORD dst_unused:UNUSED_PAD src0_sel:WORD_0 src1_sel:DWORD
	v_and_b32_e32 v37, v2, v31
	v_bfe_u32 v2, v2, s14, 2
	v_cmp_eq_u32_e64 s[18:19], v36, v32
	v_cmp_eq_u32_e64 s[26:27], 0, v4
	v_add_u32_sdwa v3, sext(v3), s11 dst_sel:DWORD dst_unused:UNUSED_PAD src0_sel:WORD_1 src1_sel:DWORD
	v_and_b32_e32 v38, v5, v31
	v_bfe_u32 v5, v5, s14, 2
	v_cmp_eq_u32_e64 s[20:21], v37, v32
	v_cmp_eq_u32_e64 s[28:29], 0, v2
	s_and_b64 s[26:27], s[18:19], s[26:27]
	v_and_b32_e32 v39, v3, v31
	v_bfe_u32 v3, v3, s14, 2
	v_cmp_eq_u32_e64 s[22:23], v38, v32
	v_cmp_eq_u32_e64 s[30:31], 0, v5
	;; [unrolled: 1-line block ×5, first 2 shown]
	v_cndmask_b32_e64 v2, 0, 1, s[26:27]
	s_and_b64 s[26:27], s[20:21], s[28:29]
	v_cmp_eq_u32_e64 s[24:25], v39, v32
	v_cmp_eq_u32_e64 s[34:35], 0, v3
	;; [unrolled: 1-line block ×5, first 2 shown]
	v_cndmask_b32_e64 v3, 0, 1, s[26:27]
	s_and_b64 s[26:27], s[22:23], s[30:31]
	v_cmp_eq_u32_e64 s[36:37], 1, v4
	v_cmp_eq_u32_e64 s[44:45], 2, v4
	v_cmp_eq_u32_e64 s[52:53], 3, v4
	v_cndmask_b32_e64 v4, 0, 1, s[26:27]
	s_and_b64 s[26:27], s[24:25], s[34:35]
	v_cmp_eq_u32_e64 s[40:41], 1, v5
	v_cmp_eq_u32_e64 s[48:49], 2, v5
	;; [unrolled: 1-line block ×3, first 2 shown]
	v_cndmask_b32_e64 v5, 0, 1, s[26:27]
	s_and_b64 s[26:27], s[18:19], s[36:37]
	v_cndmask_b32_e64 v36, 0, 1, s[26:27]
	s_and_b64 s[26:27], s[20:21], s[38:39]
	;; [unrolled: 2-line block ×5, first 2 shown]
	s_and_b64 s[18:19], s[18:19], s[52:53]
	v_cndmask_b32_e64 v40, 0, 1, s[26:27]
	s_and_b64 s[26:27], s[20:21], s[46:47]
	v_cndmask_b32_e64 v44, 0, 1, s[18:19]
	;; [unrolled: 2-line block ×7, first 2 shown]
	v_cndmask_b32_e64 v47, 0, 1, s[18:19]
	v_cmp_ne_u32_e64 s[18:19], 0, v2
	v_cmp_ne_u32_e64 s[20:21], 0, v3
	v_cmp_ne_u32_e64 s[22:23], 0, v4
	v_cmp_ne_u32_e64 s[24:25], 0, v5
	v_cmp_ne_u32_e64 s[26:27], 0, v36
	v_cmp_ne_u32_e64 s[30:31], 0, v38
	v_cmp_ne_u32_e64 s[36:37], 0, v40
	v_cmp_ne_u32_e64 s[44:45], 0, v44
	v_cmp_ne_u32_e64 s[28:29], 0, v37
	v_cmp_ne_u32_e64 s[38:39], 0, v41
	v_cmp_ne_u32_e64 s[46:47], 0, v45
	s_bcnt1_i32_b64 s18, s[18:19]
	s_bcnt1_i32_b64 s19, s[20:21]
	;; [unrolled: 1-line block ×8, first 2 shown]
	v_cmp_ne_u32_e64 s[34:35], 0, v39
	v_cmp_ne_u32_e64 s[40:41], 0, v42
	;; [unrolled: 1-line block ×3, first 2 shown]
	s_bcnt1_i32_b64 s23, s[28:29]
	s_bcnt1_i32_b64 s27, s[38:39]
	;; [unrolled: 1-line block ×3, first 2 shown]
	s_add_i32 s18, s63, s18
	s_add_i32 s22, s75, s22
	;; [unrolled: 1-line block ×4, first 2 shown]
	v_cmp_ne_u32_e64 s[42:43], 0, v43
	v_cmp_ne_u32_e64 s[50:51], 0, v47
	s_bcnt1_i32_b64 s25, s[34:35]
	s_bcnt1_i32_b64 s28, s[40:41]
	;; [unrolled: 1-line block ×3, first 2 shown]
	s_add_i32 s18, s18, s19
	s_add_i32 s19, s22, s23
	;; [unrolled: 1-line block ×4, first 2 shown]
	s_bcnt1_i32_b64 s29, s[42:43]
	s_bcnt1_i32_b64 s35, s[50:51]
	s_add_i32 s18, s18, s20
	s_add_i32 s19, s19, s24
	s_add_i32 s20, s22, s28
	s_add_i32 s15, s15, s34
	s_add_i32 s63, s18, s21
	s_add_i32 s75, s19, s25
	s_add_i32 s74, s20, s29
	s_add_i32 s15, s15, s35
	s_or_b64 s[8:9], vcc, s[8:9]
	v_mov_b32_e32 v2, s63
	v_mov_b32_e32 v3, s75
	;; [unrolled: 1-line block ×4, first 2 shown]
	s_andn2_b64 exec, exec, s[8:9]
	s_cbranch_execnz .LBB65_62
; %bb.63:                               ;   in Loop: Header=BB65_15 Depth=1
	s_or_b64 exec, exec, s[8:9]
.LBB65_64:                              ;   in Loop: Header=BB65_15 Depth=1
	s_or_b64 exec, exec, s[6:7]
	v_add_u32_e32 v10, s5, v0
	v_cmp_gt_u32_e32 vcc, s4, v10
	s_and_saveexec_b64 s[6:7], vcc
	s_cbranch_execz .LBB65_68
; %bb.65:                               ;   in Loop: Header=BB65_15 Depth=1
	s_and_b32 s5, s62, 0xfe
	v_lshlrev_b32_e32 v35, 1, v10
	s_mov_b64 s[8:9], 0
.LBB65_66:                              ;   Parent Loop BB65_15 Depth=1
                                        ; =>  This Inner Loop Header: Depth=2
	ds_read_i16 v36, v35
	v_add_u32_e32 v10, s66, v10
	v_cmp_le_u32_e32 vcc, s4, v10
	v_add_u32_e32 v35, s10, v35
	s_waitcnt lgkmcnt(0)
	v_add_u32_e32 v36, 0x8000, v36
	v_and_b32_e32 v37, v36, v31
	v_bfe_u32 v36, v36, s5, 2
	v_cmp_eq_u32_e64 s[18:19], v37, v32
	v_cmp_eq_u32_e64 s[20:21], 0, v36
	;; [unrolled: 1-line block ×3, first 2 shown]
	s_and_b64 s[14:15], s[18:19], s[20:21]
	v_cmp_eq_u32_e64 s[24:25], 2, v36
	v_cmp_eq_u32_e64 s[26:27], 3, v36
	v_cndmask_b32_e64 v36, 0, 1, s[14:15]
	s_and_b64 s[14:15], s[18:19], s[22:23]
	v_cndmask_b32_e64 v37, 0, 1, s[14:15]
	s_and_b64 s[14:15], s[18:19], s[24:25]
	;; [unrolled: 2-line block ×3, first 2 shown]
	v_cndmask_b32_e64 v39, 0, 1, s[14:15]
	v_cmp_ne_u32_e64 s[18:19], 0, v36
	v_cmp_ne_u32_e64 s[20:21], 0, v37
	v_cmp_ne_u32_e64 s[22:23], 0, v38
	v_cmp_ne_u32_e64 s[24:25], 0, v39
	s_bcnt1_i32_b64 s14, s[18:19]
	s_bcnt1_i32_b64 s15, s[20:21]
	;; [unrolled: 1-line block ×4, first 2 shown]
	v_add_u32_e32 v2, s14, v2
	v_add_u32_e32 v3, s15, v3
	;; [unrolled: 1-line block ×3, first 2 shown]
	s_or_b64 s[8:9], vcc, s[8:9]
	v_add_u32_e32 v5, s19, v5
	s_andn2_b64 exec, exec, s[8:9]
	s_cbranch_execnz .LBB65_66
; %bb.67:                               ;   in Loop: Header=BB65_15 Depth=1
	s_or_b64 exec, exec, s[8:9]
	s_or_b64 s[16:17], s[16:17], exec
.LBB65_68:                              ;   in Loop: Header=BB65_15 Depth=1
	s_or_b64 exec, exec, s[6:7]
.LBB65_69:                              ;   in Loop: Header=BB65_15 Depth=1
	s_and_saveexec_b64 s[6:7], s[16:17]
	s_or_b64 exec, exec, s[6:7]
	v_readlane_b32 s4, v52, 50
	s_lshl_b32 s4, s4, 6
	s_and_saveexec_b64 s[6:7], s[0:1]
	s_cbranch_execz .LBB65_71
; %bb.70:                               ;   in Loop: Header=BB65_15 Depth=1
	v_or_b32_e32 v10, s4, v18
	v_lshlrev_b32_e32 v10, 2, v10
	s_waitcnt vmcnt(0)
	ds_write_b128 v10, v[2:5] offset:3072
.LBB65_71:                              ;   in Loop: Header=BB65_15 Depth=1
	s_or_b64 exec, exec, s[6:7]
	s_waitcnt lgkmcnt(0)
	s_barrier
	s_mov_b64 s[6:7], exec
	v_readlane_b32 s8, v52, 16
	v_readlane_b32 s9, v52, 17
	s_and_b64 s[8:9], s[6:7], s[8:9]
	s_mov_b64 exec, s[8:9]
	s_cbranch_execz .LBB65_85
; %bb.72:                               ;   in Loop: Header=BB65_15 Depth=1
	v_readlane_b32 s8, v52, 20
	v_readlane_b32 s9, v52, 21
	v_add_u32_e32 v4, s4, v1
	s_andn2_b64 vcc, exec, s[8:9]
	s_waitcnt vmcnt(0)
	v_mov_b32_e32 v2, 0
	s_cbranch_vccnz .LBB65_84
; %bb.73:                               ;   in Loop: Header=BB65_15 Depth=1
	v_readlane_b32 s8, v52, 25
	v_readlane_b32 s9, v52, 26
	s_mov_b32 s5, 0
	s_and_b64 vcc, exec, s[8:9]
	v_mov_b32_e32 v2, 0
	s_cbranch_vccz .LBB65_77
; %bb.74:                               ;   in Loop: Header=BB65_15 Depth=1
	v_readlane_b32 s14, v52, 31
	v_readlane_b32 s8, v52, 10
	;; [unrolled: 1-line block ×3, first 2 shown]
	v_lshl_add_u32 v5, v4, 2, v29
	v_readlane_b32 s9, v52, 11
	s_andn2_b64 vcc, exec, s[14:15]
	s_cbranch_vccnz .LBB65_78
; %bb.75:                               ;   in Loop: Header=BB65_15 Depth=1
	v_writelane_b32 v52, s8, 10
	v_writelane_b32 v52, s9, 11
	s_mov_b32 s9, 1
	s_mov_b32 s8, 0
	v_mov_b32_e32 v2, 0
	v_readlane_b32 s5, v52, 33
	v_mov_b32_e32 v3, 0
.LBB65_76:                              ;   Parent Loop BB65_15 Depth=1
                                        ; =>  This Inner Loop Header: Depth=2
	v_lshl_add_u32 v10, s8, 4, v5
	v_lshl_add_u32 v35, s9, 4, v5
	ds_read2_b32 v[36:37], v10 offset1:8
	ds_read2_b32 v[38:39], v35 offset1:8
	ds_read2_b32 v[40:41], v10 offset0:16 offset1:24
	ds_read2_b32 v[42:43], v35 offset0:16 offset1:24
	;; [unrolled: 1-line block ×6, first 2 shown]
	s_waitcnt lgkmcnt(7)
	v_add3_u32 v2, v36, v2, v37
	s_waitcnt lgkmcnt(6)
	v_add3_u32 v3, v38, v3, v39
	;; [unrolled: 2-line block ×3, first 2 shown]
	v_add3_u32 v2, v40, v2, v41
	s_add_i32 s9, s9, 16
	s_add_i32 s8, s8, 16
	s_add_i32 s5, s5, -8
	s_waitcnt lgkmcnt(3)
	v_add3_u32 v2, v44, v2, v45
	s_waitcnt lgkmcnt(2)
	v_add3_u32 v3, v46, v3, v47
	s_cmp_lg_u32 s5, 0
	s_waitcnt lgkmcnt(0)
	v_add3_u32 v3, v50, v3, v51
	v_add3_u32 v2, v48, v2, v49
	s_cbranch_scc1 .LBB65_76
	s_branch .LBB65_79
.LBB65_77:                              ;   in Loop: Header=BB65_15 Depth=1
	s_cbranch_execnz .LBB65_82
	s_branch .LBB65_84
.LBB65_78:                              ;   in Loop: Header=BB65_15 Depth=1
	s_mov_b32 s14, s8
	s_mov_b32 s9, s8
	v_writelane_b32 v52, s14, 10
	v_pk_mov_b32 v[2:3], s[8:9], s[8:9] op_sel:[0,1]
	s_mov_b32 s9, 1
	v_writelane_b32 v52, s15, 11
.LBB65_79:                              ;   in Loop: Header=BB65_15 Depth=1
	v_readlane_b32 s14, v52, 35
	v_readlane_b32 s15, v52, 36
	s_andn2_b64 vcc, exec, s[14:15]
	v_readlane_b32 s5, v52, 34
	s_cbranch_vccnz .LBB65_81
.LBB65_80:                              ;   Parent Loop BB65_15 Depth=1
                                        ; =>  This Inner Loop Header: Depth=2
	v_lshl_add_u32 v10, s8, 4, v5
	v_lshl_add_u32 v35, s9, 4, v5
	ds_read_b32 v35, v35
	ds_read_b32 v10, v10
	s_add_i32 s9, s9, 2
	s_add_i32 s8, s8, 2
	s_add_i32 s5, s5, -1
	s_cmp_lg_u32 s5, 0
	s_waitcnt lgkmcnt(1)
	v_add_u32_e32 v3, v35, v3
	s_waitcnt lgkmcnt(0)
	v_add_u32_e32 v2, v10, v2
	s_cbranch_scc1 .LBB65_80
.LBB65_81:                              ;   in Loop: Header=BB65_15 Depth=1
	v_readlane_b32 s8, v52, 39
	v_add_u32_e32 v2, v2, v3
	v_readlane_b32 s5, v52, 38
	v_readlane_b32 s9, v52, 40
	s_and_b64 vcc, exec, s[8:9]
	s_cbranch_vccz .LBB65_84
.LBB65_82:                              ;   in Loop: Header=BB65_15 Depth=1
	v_readlane_b32 s8, v52, 50
	s_lshl_b32 s8, s8, 8
	s_lshl_b32 s9, s5, 4
	s_add_i32 s8, s8, s9
	v_add_u32_e32 v3, s8, v28
	v_readlane_b32 s8, v52, 37
	s_sub_i32 s5, s8, s5
.LBB65_83:                              ;   Parent Loop BB65_15 Depth=1
                                        ; =>  This Inner Loop Header: Depth=2
	ds_read_b32 v5, v3
	s_add_i32 s5, s5, -1
	v_add_u32_e32 v3, 16, v3
	s_cmp_eq_u32 s5, 0
	s_waitcnt lgkmcnt(0)
	v_add_u32_e32 v2, v5, v2
	s_cbranch_scc0 .LBB65_83
.LBB65_84:                              ;   in Loop: Header=BB65_15 Depth=1
	v_lshlrev_b32_e32 v3, 2, v4
	ds_write_b32 v3, v2 offset:3072
.LBB65_85:                              ;   in Loop: Header=BB65_15 Depth=1
	s_or_b64 exec, exec, s[6:7]
	s_lshl_b32 s4, s4, 2
	s_waitcnt vmcnt(0)
	v_mov_b32_e32 v2, s4
	s_waitcnt lgkmcnt(0)
	s_barrier
	ds_read_b128 v[2:5], v2 offset:3072
	s_and_b32 s74, s62, 0xfe
	v_readlane_b32 s6, v52, 14
	s_lshl_b32 s53, 3, s74
	v_readlane_b32 s7, v52, 15
	s_waitcnt lgkmcnt(0)
	v_readfirstlane_b32 s52, v2
	v_readfirstlane_b32 s5, v3
	v_readfirstlane_b32 s75, v4
	v_readfirstlane_b32 s14, v5
	s_not_b32 s4, s53
	s_andn2_b64 vcc, exec, s[6:7]
	v_cmp_eq_u32_e64 s[18:19], 1, v34
	s_cbranch_vccnz .LBB65_98
; %bb.86:                               ;   in Loop: Header=BB65_15 Depth=1
	s_cmp_eq_u32 s52, 1
	s_cselect_b64 s[6:7], -1, 0
	s_and_b64 s[16:17], s[6:7], s[18:19]
	s_mov_b64 s[8:9], -1
	v_mov_b32_e32 v2, v32
	v_mov_b32_e32 v3, v31
	;; [unrolled: 1-line block ×3, first 2 shown]
                                        ; implicit-def: $sgpr22_sgpr23
                                        ; implicit-def: $sgpr28_sgpr29
                                        ; implicit-def: $sgpr26_sgpr27
	s_and_saveexec_b64 s[6:7], s[16:17]
	s_cbranch_execz .LBB65_114
; %bb.87:                               ;   in Loop: Header=BB65_15 Depth=1
	ds_read_b32 v2, v11 offset:4096
	s_waitcnt lgkmcnt(0)
	s_barrier
	v_readfirstlane_b32 s15, v2
	s_mov_b64 s[8:9], exec
	v_readlane_b32 s20, v52, 29
	v_readlane_b32 s21, v52, 30
	s_and_b64 s[20:21], s[8:9], s[20:21]
	s_mov_b64 exec, s[20:21]
	s_cbranch_execz .LBB65_89
; %bb.88:                               ;   in Loop: Header=BB65_15 Depth=1
	ds_write_b16 v20, v11
.LBB65_89:                              ;   in Loop: Header=BB65_15 Depth=1
	s_or_b64 exec, exec, s[8:9]
	v_and_b32_e32 v2, s4, v32
	v_or_b32_e32 v3, s53, v31
	s_cmp_eq_u32 s15, 0
	s_waitcnt lgkmcnt(0)
	s_barrier
	s_cbranch_scc1 .LBB65_100
; %bb.90:                               ;   in Loop: Header=BB65_15 Depth=1
	v_readlane_b32 s8, v52, 22
	s_add_i32 s8, s15, s8
	v_readlane_b32 s9, v52, 46
	s_mul_hi_u32 s9, s8, s9
	s_mul_i32 s9, s9, s66
	s_sub_i32 s9, s8, s9
	s_sub_i32 s20, s9, s66
	s_cmp_ge_u32 s9, s66
	s_cselect_b32 s9, s20, s9
	s_sub_i32 s20, s9, s66
	s_cmp_ge_u32 s9, s66
	s_cselect_b32 s9, s20, s9
	s_sub_i32 s26, s8, s9
	v_cmp_gt_u32_e32 vcc, s26, v0
	s_mov_b64 s[8:9], 0
                                        ; implicit-def: $vgpr35
	s_and_saveexec_b64 s[22:23], vcc
	s_cbranch_execz .LBB65_102
; %bb.91:                               ;   in Loop: Header=BB65_15 Depth=1
	v_mov_b32_e32 v4, v19
	v_mov_b32_e32 v5, v0
                                        ; implicit-def: $sgpr24_sgpr25
	s_branch .LBB65_93
.LBB65_92:                              ;   in Loop: Header=BB65_93 Depth=2
	s_or_b64 exec, exec, s[20:21]
	s_waitcnt lgkmcnt(0)
	s_barrier
	ds_read_b32 v10, v11 offset:3072
	v_add_u32_e32 v5, s66, v5
	v_cmp_le_u32_e64 s[20:21], s26, v5
	v_add_u32_e32 v4, s10, v4
	s_waitcnt lgkmcnt(0)
	v_cmp_ne_u16_e32 vcc, 0, v10
	s_or_b64 s[20:21], s[20:21], vcc
	s_and_b64 s[20:21], exec, s[20:21]
	s_or_b64 s[8:9], s[20:21], s[8:9]
	s_andn2_b64 s[20:21], s[24:25], exec
	s_and_b64 s[24:25], vcc, exec
	s_or_b64 s[24:25], s[20:21], s[24:25]
	s_barrier
	s_andn2_b64 exec, exec, s[8:9]
	s_cbranch_execz .LBB65_101
.LBB65_93:                              ;   Parent Loop BB65_15 Depth=1
                                        ; =>  This Inner Loop Header: Depth=2
	v_cmp_gt_u32_e32 vcc, s15, v5
	v_mov_b32_e32 v10, 0
	s_and_saveexec_b64 s[20:21], vcc
	s_cbranch_execz .LBB65_95
; %bb.94:                               ;   in Loop: Header=BB65_93 Depth=2
	ds_read_u16 v10, v4
.LBB65_95:                              ;   in Loop: Header=BB65_93 Depth=2
	s_or_b64 exec, exec, s[20:21]
	s_and_saveexec_b64 s[20:21], vcc
	s_cbranch_execz .LBB65_92
; %bb.96:                               ;   in Loop: Header=BB65_93 Depth=2
	s_waitcnt lgkmcnt(0)
	v_add_u32_sdwa v35, sext(v10), s11 dst_sel:DWORD dst_unused:UNUSED_PAD src0_sel:WORD_0 src1_sel:DWORD
	v_and_b32_e32 v35, v35, v3
	v_cmp_eq_u32_e32 vcc, v35, v2
	s_and_b64 exec, exec, vcc
	s_cbranch_execz .LBB65_92
; %bb.97:                               ;   in Loop: Header=BB65_93 Depth=2
	v_perm_b32 v10, v10, 1, v30
	ds_write_b32 v11, v10 offset:3072
	s_branch .LBB65_92
.LBB65_98:                              ;   in Loop: Header=BB65_15 Depth=1
	s_mov_b64 s[24:25], 0
	s_mov_b64 s[20:21], 0
                                        ; implicit-def: $sgpr26_sgpr27
                                        ; implicit-def: $sgpr28_sgpr29
                                        ; implicit-def: $sgpr22_sgpr23
                                        ; implicit-def: $vgpr5
                                        ; implicit-def: $vgpr4
                                        ; implicit-def: $vgpr2
                                        ; implicit-def: $vgpr3
                                        ; implicit-def: $vgpr35
	s_cbranch_execnz .LBB65_250
.LBB65_99:                              ;   in Loop: Header=BB65_15 Depth=1
	s_mov_b64 s[30:31], s[22:23]
	s_mov_b64 s[34:35], s[22:23]
	s_and_saveexec_b64 s[6:7], s[24:25]
	s_cbranch_execnz .LBB65_412
	s_branch .LBB65_413
.LBB65_100:                             ;   in Loop: Header=BB65_15 Depth=1
	s_mov_b64 s[22:23], -1
	s_mov_b64 s[8:9], 0
                                        ; implicit-def: $sgpr26_sgpr27
                                        ; implicit-def: $vgpr35
	s_mov_b64 s[28:29], s[22:23]
	s_cbranch_execnz .LBB65_103
	s_branch .LBB65_113
.LBB65_101:                             ;   in Loop: Header=BB65_15 Depth=1
	s_or_b64 exec, exec, s[8:9]
	v_lshrrev_b32_e32 v35, 16, v10
	s_and_b64 s[8:9], s[24:25], exec
.LBB65_102:                             ;   in Loop: Header=BB65_15 Depth=1
	s_or_b64 exec, exec, s[22:23]
	s_mov_b64 s[26:27], -1
	s_mov_b64 s[22:23], 0
	s_mov_b64 s[28:29], s[22:23]
	s_branch .LBB65_113
.LBB65_103:                             ;   in Loop: Header=BB65_15 Depth=1
	s_mov_b64 s[8:9], 0
                                        ; implicit-def: $vgpr35
	s_mov_b64 s[22:23], exec
	v_readlane_b32 s20, v52, 47
	v_readlane_b32 s21, v52, 48
	s_and_b64 s[20:21], s[22:23], s[20:21]
	s_mov_b64 exec, s[20:21]
	s_cbranch_execz .LBB65_112
; %bb.104:                              ;   in Loop: Header=BB65_15 Depth=1
	v_mov_b32_e32 v10, v12
	v_mov_b32_e32 v4, v0
                                        ; implicit-def: $sgpr24_sgpr25
	s_branch .LBB65_106
.LBB65_105:                             ;   in Loop: Header=BB65_106 Depth=2
	s_or_b64 exec, exec, s[20:21]
	s_waitcnt lgkmcnt(0)
	s_barrier
	s_waitcnt vmcnt(0)
	ds_read_b32 v5, v11 offset:3072
	v_add_u32_e32 v4, s66, v4
	v_cmp_le_u32_e64 s[20:21], s12, v4
	v_add_u32_e32 v10, s76, v10
	s_waitcnt lgkmcnt(0)
	v_cmp_ne_u16_e32 vcc, 0, v5
	s_or_b64 s[20:21], s[20:21], vcc
	s_and_b64 s[20:21], exec, s[20:21]
	s_or_b64 s[8:9], s[20:21], s[8:9]
	s_andn2_b64 s[20:21], s[24:25], exec
	s_and_b64 s[24:25], vcc, exec
	s_or_b64 s[24:25], s[20:21], s[24:25]
	s_barrier
	s_andn2_b64 exec, exec, s[8:9]
	s_cbranch_execz .LBB65_111
.LBB65_106:                             ;   Parent Loop BB65_15 Depth=1
                                        ; =>  This Inner Loop Header: Depth=2
	v_cmp_gt_u32_e32 vcc, s60, v4
	v_mov_b32_e32 v5, 0
	s_and_saveexec_b64 s[26:27], vcc
	s_cbranch_execz .LBB65_108
; %bb.107:                              ;   in Loop: Header=BB65_106 Depth=2
	v_lshlrev_b64 v[36:37], 1, v[10:11]
	v_mov_b32_e32 v5, s64
	v_add_co_u32_e64 v36, s[20:21], s33, v36
	v_addc_co_u32_e64 v37, s[20:21], v5, v37, s[20:21]
	global_load_ushort v5, v[36:37], off
.LBB65_108:                             ;   in Loop: Header=BB65_106 Depth=2
	s_or_b64 exec, exec, s[26:27]
	s_and_saveexec_b64 s[20:21], vcc
	s_cbranch_execz .LBB65_105
; %bb.109:                              ;   in Loop: Header=BB65_106 Depth=2
	s_waitcnt vmcnt(0)
	v_add_u32_sdwa v35, sext(v5), s11 dst_sel:DWORD dst_unused:UNUSED_PAD src0_sel:WORD_0 src1_sel:DWORD
	v_and_b32_e32 v35, v35, v3
	v_cmp_eq_u32_e32 vcc, v35, v2
	s_and_b64 exec, exec, vcc
	s_cbranch_execz .LBB65_105
; %bb.110:                              ;   in Loop: Header=BB65_106 Depth=2
	v_perm_b32 v5, v5, 1, v30
	ds_write_b32 v11, v5 offset:3072
	s_branch .LBB65_105
.LBB65_111:                             ;   in Loop: Header=BB65_15 Depth=1
	s_or_b64 exec, exec, s[8:9]
	v_lshrrev_b32_e32 v35, 16, v5
	s_and_b64 s[8:9], s[24:25], exec
.LBB65_112:                             ;   in Loop: Header=BB65_15 Depth=1
	s_or_b64 exec, exec, s[22:23]
	s_mov_b64 s[28:29], -1
	s_mov_b64 s[22:23], 0
	s_mov_b64 s[26:27], 0
.LBB65_113:                             ;   in Loop: Header=BB65_15 Depth=1
	s_orn2_b64 s[8:9], s[8:9], exec
.LBB65_114:                             ;   in Loop: Header=BB65_15 Depth=1
	s_or_b64 exec, exec, s[6:7]
	s_mov_b64 s[30:31], 0
	s_mov_b64 s[24:25], 0
	;; [unrolled: 1-line block ×3, first 2 shown]
                                        ; implicit-def: $vgpr5
                                        ; implicit-def: $vgpr4
	s_and_saveexec_b64 s[34:35], s[8:9]
	s_cbranch_execz .LBB65_249
; %bb.115:                              ;   in Loop: Header=BB65_15 Depth=1
	s_xor_b64 s[8:9], s[16:17], -1
	v_mov_b32_e32 v4, 1
	v_mov_b32_e32 v5, 1
	s_and_saveexec_b64 s[6:7], s[8:9]
	s_cbranch_execz .LBB65_125
; %bb.116:                              ;   in Loop: Header=BB65_15 Depth=1
	v_cmp_ge_u32_e32 vcc, s52, v34
                                        ; implicit-def: $sgpr15
                                        ; implicit-def: $sgpr8_sgpr9
	s_and_saveexec_b64 s[16:17], vcc
	s_xor_b64 s[16:17], exec, s[16:17]
	s_cbranch_execz .LBB65_122
; %bb.117:                              ;   in Loop: Header=BB65_15 Depth=1
	ds_read_b32 v4, v11 offset:4096
	s_waitcnt lgkmcnt(0)
	v_cmp_ne_u32_e32 vcc, 0, v4
	s_cbranch_vccnz .LBB65_121
; %bb.118:                              ;   in Loop: Header=BB65_15 Depth=1
	s_mov_b64 s[8:9], exec
	v_readlane_b32 s20, v52, 5
	v_readlane_b32 s21, v52, 6
	s_and_b64 s[20:21], s[8:9], s[20:21]
	s_mov_b64 exec, s[20:21]
	s_cbranch_execz .LBB65_120
; %bb.119:                              ;   in Loop: Header=BB65_15 Depth=1
	v_mov_b32_e32 v4, s52
	ds_write_b32 v11, v4 offset:4100
.LBB65_120:                             ;   in Loop: Header=BB65_15 Depth=1
	s_or_b64 exec, exec, s[8:9]
	s_waitcnt lgkmcnt(0)
	s_barrier
.LBB65_121:                             ;   in Loop: Header=BB65_15 Depth=1
	v_and_b32_e32 v2, s4, v2
	v_or_b32_e32 v3, s53, v3
	s_mov_b64 s[8:9], 0
	s_mov_b32 s15, 8
.LBB65_122:                             ;   in Loop: Header=BB65_15 Depth=1
	s_or_saveexec_b64 s[16:17], s[16:17]
	v_mov_b32_e32 v5, s15
	v_mov_b32_e32 v4, v34
	s_xor_b64 exec, exec, s[16:17]
; %bb.123:                              ;   in Loop: Header=BB65_15 Depth=1
	v_subrev_u32_e32 v4, s52, v34
	v_mov_b32_e32 v5, 0
	s_or_b64 s[8:9], s[8:9], exec
; %bb.124:                              ;   in Loop: Header=BB65_15 Depth=1
	s_or_b64 exec, exec, s[16:17]
	s_and_b64 s[20:21], s[8:9], exec
.LBB65_125:                             ;   in Loop: Header=BB65_15 Depth=1
	s_or_b64 exec, exec, s[6:7]
	s_mov_b64 s[36:37], -1
                                        ; implicit-def: $sgpr6_sgpr7
                                        ; implicit-def: $sgpr8_sgpr9
                                        ; implicit-def: $sgpr16_sgpr17
	s_and_saveexec_b64 s[24:25], s[20:21]
	s_xor_b64 s[24:25], exec, s[24:25]
	s_cbranch_execz .LBB65_246
; %bb.126:                              ;   in Loop: Header=BB65_15 Depth=1
	s_cmp_eq_u32 s5, 1
	s_cselect_b64 s[6:7], -1, 0
	v_cmp_eq_u32_e32 vcc, 1, v4
	s_and_b64 s[16:17], s[6:7], vcc
	s_mov_b64 s[8:9], -1
                                        ; implicit-def: $sgpr36_sgpr37
                                        ; implicit-def: $sgpr40_sgpr41
                                        ; implicit-def: $sgpr38_sgpr39
	s_and_saveexec_b64 s[6:7], s[16:17]
	s_cbranch_execz .LBB65_152
; %bb.127:                              ;   in Loop: Header=BB65_15 Depth=1
	ds_read_b32 v5, v11 offset:4096
	s_waitcnt lgkmcnt(0)
	s_barrier
	v_readfirstlane_b32 s15, v5
	s_mov_b64 s[8:9], exec
	v_readlane_b32 s20, v52, 29
	v_readlane_b32 s21, v52, 30
	s_and_b64 s[20:21], s[8:9], s[20:21]
	s_mov_b64 exec, s[20:21]
	s_cbranch_execz .LBB65_129
; %bb.128:                              ;   in Loop: Header=BB65_15 Depth=1
	ds_write_b16 v20, v11
.LBB65_129:                             ;   in Loop: Header=BB65_15 Depth=1
	s_or_b64 exec, exec, s[8:9]
	v_and_b32_e32 v2, s4, v2
	v_lshl_or_b32 v2, 1, s74, v2
	v_or_b32_e32 v3, s53, v3
	s_cmp_eq_u32 s15, 0
	s_waitcnt lgkmcnt(0)
	s_barrier
	s_cbranch_scc1 .LBB65_138
; %bb.130:                              ;   in Loop: Header=BB65_15 Depth=1
	v_readlane_b32 s8, v52, 22
	s_add_i32 s8, s15, s8
	v_readlane_b32 s9, v52, 46
	s_mul_hi_u32 s9, s8, s9
	s_mul_i32 s9, s9, s66
	s_sub_i32 s9, s8, s9
	s_sub_i32 s20, s9, s66
	s_cmp_ge_u32 s9, s66
	s_cselect_b32 s9, s20, s9
	s_sub_i32 s20, s9, s66
	s_cmp_ge_u32 s9, s66
	s_cselect_b32 s9, s20, s9
	s_sub_i32 s40, s8, s9
	v_cmp_gt_u32_e32 vcc, s40, v0
	s_mov_b64 s[8:9], 0
                                        ; implicit-def: $vgpr35
	s_and_saveexec_b64 s[36:37], vcc
	s_cbranch_execz .LBB65_140
; %bb.131:                              ;   in Loop: Header=BB65_15 Depth=1
	v_mov_b32_e32 v5, v19
	v_mov_b32_e32 v10, v0
                                        ; implicit-def: $sgpr38_sgpr39
	s_branch .LBB65_133
.LBB65_132:                             ;   in Loop: Header=BB65_133 Depth=2
	s_or_b64 exec, exec, s[20:21]
	s_waitcnt lgkmcnt(0)
	s_barrier
	ds_read_b32 v35, v11 offset:3072
	v_add_u32_e32 v10, s66, v10
	v_cmp_le_u32_e64 s[20:21], s40, v10
	v_add_u32_e32 v5, s10, v5
	s_waitcnt lgkmcnt(0)
	v_cmp_ne_u16_e32 vcc, 0, v35
	s_or_b64 s[20:21], s[20:21], vcc
	s_and_b64 s[20:21], exec, s[20:21]
	s_or_b64 s[8:9], s[20:21], s[8:9]
	s_andn2_b64 s[20:21], s[38:39], exec
	s_and_b64 s[38:39], vcc, exec
	s_or_b64 s[38:39], s[20:21], s[38:39]
	s_barrier
	s_andn2_b64 exec, exec, s[8:9]
	s_cbranch_execz .LBB65_139
.LBB65_133:                             ;   Parent Loop BB65_15 Depth=1
                                        ; =>  This Inner Loop Header: Depth=2
	v_cmp_gt_u32_e32 vcc, s15, v10
	v_mov_b32_e32 v35, 0
	s_and_saveexec_b64 s[20:21], vcc
	s_cbranch_execz .LBB65_135
; %bb.134:                              ;   in Loop: Header=BB65_133 Depth=2
	ds_read_u16 v35, v5
.LBB65_135:                             ;   in Loop: Header=BB65_133 Depth=2
	s_or_b64 exec, exec, s[20:21]
	s_and_saveexec_b64 s[20:21], vcc
	s_cbranch_execz .LBB65_132
; %bb.136:                              ;   in Loop: Header=BB65_133 Depth=2
	s_waitcnt lgkmcnt(0)
	v_add_u32_sdwa v36, sext(v35), s11 dst_sel:DWORD dst_unused:UNUSED_PAD src0_sel:WORD_0 src1_sel:DWORD
	v_and_b32_e32 v36, v36, v3
	v_cmp_eq_u32_e32 vcc, v36, v2
	s_and_b64 exec, exec, vcc
	s_cbranch_execz .LBB65_132
; %bb.137:                              ;   in Loop: Header=BB65_133 Depth=2
	v_perm_b32 v35, v35, 1, v30
	ds_write_b32 v11, v35 offset:3072
	s_branch .LBB65_132
.LBB65_138:                             ;   in Loop: Header=BB65_15 Depth=1
	s_mov_b64 s[36:37], -1
	s_mov_b64 s[8:9], 0
                                        ; implicit-def: $sgpr38_sgpr39
                                        ; implicit-def: $vgpr35
	s_mov_b64 s[40:41], s[36:37]
	s_cbranch_execnz .LBB65_141
	s_branch .LBB65_151
.LBB65_139:                             ;   in Loop: Header=BB65_15 Depth=1
	s_or_b64 exec, exec, s[8:9]
	v_lshrrev_b32_e32 v35, 16, v35
	s_and_b64 s[8:9], s[38:39], exec
.LBB65_140:                             ;   in Loop: Header=BB65_15 Depth=1
	s_or_b64 exec, exec, s[36:37]
	s_mov_b64 s[38:39], -1
	s_mov_b64 s[36:37], 0
	s_mov_b64 s[40:41], s[36:37]
	s_branch .LBB65_151
.LBB65_141:                             ;   in Loop: Header=BB65_15 Depth=1
	s_mov_b64 s[8:9], 0
                                        ; implicit-def: $vgpr35
	s_mov_b64 s[36:37], exec
	v_readlane_b32 s20, v52, 47
	v_readlane_b32 s21, v52, 48
	s_and_b64 s[20:21], s[36:37], s[20:21]
	s_mov_b64 exec, s[20:21]
	s_cbranch_execz .LBB65_150
; %bb.142:                              ;   in Loop: Header=BB65_15 Depth=1
	v_mov_b32_e32 v10, v12
	v_mov_b32_e32 v5, v0
                                        ; implicit-def: $sgpr38_sgpr39
	s_branch .LBB65_144
.LBB65_143:                             ;   in Loop: Header=BB65_144 Depth=2
	s_or_b64 exec, exec, s[20:21]
	s_waitcnt lgkmcnt(0)
	s_barrier
	s_waitcnt vmcnt(0)
	ds_read_b32 v35, v11 offset:3072
	v_add_u32_e32 v5, s66, v5
	v_cmp_le_u32_e64 s[20:21], s12, v5
	v_add_u32_e32 v10, s76, v10
	s_waitcnt lgkmcnt(0)
	v_cmp_ne_u16_e32 vcc, 0, v35
	s_or_b64 s[20:21], s[20:21], vcc
	s_and_b64 s[20:21], exec, s[20:21]
	s_or_b64 s[8:9], s[20:21], s[8:9]
	s_andn2_b64 s[20:21], s[38:39], exec
	s_and_b64 s[38:39], vcc, exec
	s_or_b64 s[38:39], s[20:21], s[38:39]
	s_barrier
	s_andn2_b64 exec, exec, s[8:9]
	s_cbranch_execz .LBB65_149
.LBB65_144:                             ;   Parent Loop BB65_15 Depth=1
                                        ; =>  This Inner Loop Header: Depth=2
	v_cmp_gt_u32_e32 vcc, s60, v5
	v_mov_b32_e32 v35, 0
	s_and_saveexec_b64 s[40:41], vcc
	s_cbranch_execz .LBB65_146
; %bb.145:                              ;   in Loop: Header=BB65_144 Depth=2
	v_lshlrev_b64 v[36:37], 1, v[10:11]
	v_mov_b32_e32 v35, s64
	v_add_co_u32_e64 v36, s[20:21], s33, v36
	v_addc_co_u32_e64 v37, s[20:21], v35, v37, s[20:21]
	global_load_ushort v35, v[36:37], off
.LBB65_146:                             ;   in Loop: Header=BB65_144 Depth=2
	s_or_b64 exec, exec, s[40:41]
	s_and_saveexec_b64 s[20:21], vcc
	s_cbranch_execz .LBB65_143
; %bb.147:                              ;   in Loop: Header=BB65_144 Depth=2
	s_waitcnt vmcnt(0)
	v_add_u32_sdwa v36, sext(v35), s11 dst_sel:DWORD dst_unused:UNUSED_PAD src0_sel:WORD_0 src1_sel:DWORD
	v_and_b32_e32 v36, v36, v3
	v_cmp_eq_u32_e32 vcc, v36, v2
	s_and_b64 exec, exec, vcc
	s_cbranch_execz .LBB65_143
; %bb.148:                              ;   in Loop: Header=BB65_144 Depth=2
	v_perm_b32 v35, v35, 1, v30
	ds_write_b32 v11, v35 offset:3072
	s_branch .LBB65_143
.LBB65_149:                             ;   in Loop: Header=BB65_15 Depth=1
	s_or_b64 exec, exec, s[8:9]
	v_lshrrev_b32_e32 v35, 16, v35
	s_and_b64 s[8:9], s[38:39], exec
.LBB65_150:                             ;   in Loop: Header=BB65_15 Depth=1
	s_or_b64 exec, exec, s[36:37]
	s_mov_b64 s[40:41], -1
	s_mov_b64 s[36:37], 0
	s_mov_b64 s[38:39], 0
.LBB65_151:                             ;   in Loop: Header=BB65_15 Depth=1
	s_orn2_b64 s[8:9], s[8:9], exec
.LBB65_152:                             ;   in Loop: Header=BB65_15 Depth=1
	s_or_b64 exec, exec, s[6:7]
	s_mov_b64 s[20:21], 0
                                        ; implicit-def: $vgpr5
	s_and_saveexec_b64 s[42:43], s[8:9]
	s_cbranch_execz .LBB65_245
; %bb.153:                              ;   in Loop: Header=BB65_15 Depth=1
	s_xor_b64 s[8:9], s[16:17], -1
	s_mov_b64 s[46:47], 0
	v_mov_b32_e32 v36, 1
	v_mov_b32_e32 v5, 1
	s_and_saveexec_b64 s[6:7], s[8:9]
	s_cbranch_execz .LBB65_163
; %bb.154:                              ;   in Loop: Header=BB65_15 Depth=1
	v_cmp_ge_u32_e32 vcc, s5, v4
                                        ; implicit-def: $sgpr15
                                        ; implicit-def: $sgpr8_sgpr9
	s_and_saveexec_b64 s[16:17], vcc
	s_xor_b64 s[16:17], exec, s[16:17]
	s_cbranch_execz .LBB65_160
; %bb.155:                              ;   in Loop: Header=BB65_15 Depth=1
	ds_read_b32 v5, v11 offset:4096
	s_waitcnt lgkmcnt(0)
	v_cmp_ne_u32_e32 vcc, 0, v5
	s_cbranch_vccnz .LBB65_159
; %bb.156:                              ;   in Loop: Header=BB65_15 Depth=1
	s_mov_b64 s[8:9], exec
	v_readlane_b32 s20, v52, 5
	v_readlane_b32 s21, v52, 6
	s_and_b64 s[20:21], s[8:9], s[20:21]
	s_mov_b64 exec, s[20:21]
	s_cbranch_execz .LBB65_158
; %bb.157:                              ;   in Loop: Header=BB65_15 Depth=1
	v_mov_b32_e32 v5, s5
	ds_write_b32 v11, v5 offset:4100
.LBB65_158:                             ;   in Loop: Header=BB65_15 Depth=1
	s_or_b64 exec, exec, s[8:9]
	s_waitcnt lgkmcnt(0)
	s_barrier
.LBB65_159:                             ;   in Loop: Header=BB65_15 Depth=1
	v_and_b32_e32 v2, s4, v2
	v_lshl_or_b32 v2, 1, s74, v2
	v_or_b32_e32 v3, s53, v3
	s_mov_b64 s[8:9], 0
	s_mov_b32 s15, 8
.LBB65_160:                             ;   in Loop: Header=BB65_15 Depth=1
	s_or_saveexec_b64 s[16:17], s[16:17]
	v_mov_b32_e32 v5, s15
	s_xor_b64 exec, exec, s[16:17]
; %bb.161:                              ;   in Loop: Header=BB65_15 Depth=1
	v_subrev_u32_e32 v4, s5, v4
	v_mov_b32_e32 v5, 0
	s_or_b64 s[8:9], s[8:9], exec
; %bb.162:                              ;   in Loop: Header=BB65_15 Depth=1
	s_or_b64 exec, exec, s[16:17]
	s_and_b64 s[46:47], s[8:9], exec
	v_mov_b32_e32 v36, v4
.LBB65_163:                             ;   in Loop: Header=BB65_15 Depth=1
	s_or_b64 exec, exec, s[6:7]
	s_mov_b64 s[6:7], -1
                                        ; implicit-def: $sgpr8_sgpr9
                                        ; implicit-def: $sgpr16_sgpr17
                                        ; implicit-def: $sgpr20_sgpr21
	s_and_saveexec_b64 s[44:45], s[46:47]
	s_cbranch_execz .LBB65_244
; %bb.164:                              ;   in Loop: Header=BB65_15 Depth=1
	s_cmp_eq_u32 s75, 1
	s_cselect_b64 s[6:7], -1, 0
	v_cmp_eq_u32_e32 vcc, 1, v36
	s_and_b64 s[16:17], s[6:7], vcc
	s_mov_b64 s[8:9], -1
                                        ; implicit-def: $sgpr46_sgpr47
                                        ; implicit-def: $sgpr50_sgpr51
                                        ; implicit-def: $sgpr6_sgpr7
                                        ; kill: killed $sgpr6_sgpr7
	s_and_saveexec_b64 s[6:7], s[16:17]
	s_cbranch_execz .LBB65_190
; %bb.165:                              ;   in Loop: Header=BB65_15 Depth=1
	ds_read_b32 v4, v11 offset:4096
	s_waitcnt lgkmcnt(0)
	s_barrier
	v_readfirstlane_b32 s15, v4
	s_mov_b64 s[8:9], exec
	v_readlane_b32 s20, v52, 29
	v_readlane_b32 s21, v52, 30
	s_and_b64 s[20:21], s[8:9], s[20:21]
	s_mov_b64 exec, s[20:21]
	s_cbranch_execz .LBB65_167
; %bb.166:                              ;   in Loop: Header=BB65_15 Depth=1
	ds_write_b16 v20, v11
.LBB65_167:                             ;   in Loop: Header=BB65_15 Depth=1
	s_or_b64 exec, exec, s[8:9]
	v_and_b32_e32 v2, s4, v2
	v_lshl_or_b32 v2, 2, s74, v2
	v_or_b32_e32 v3, s53, v3
	s_cmp_eq_u32 s15, 0
	s_waitcnt lgkmcnt(0)
	s_barrier
	s_cbranch_scc1 .LBB65_176
; %bb.168:                              ;   in Loop: Header=BB65_15 Depth=1
	v_readlane_b32 s8, v52, 22
	s_add_i32 s8, s15, s8
	v_readlane_b32 s9, v52, 46
	s_mul_hi_u32 s9, s8, s9
	s_mul_i32 s9, s9, s66
	s_sub_i32 s9, s8, s9
	s_sub_i32 s20, s9, s66
	s_cmp_ge_u32 s9, s66
	s_cselect_b32 s9, s20, s9
	s_sub_i32 s20, s9, s66
	s_cmp_ge_u32 s9, s66
	s_cselect_b32 s9, s20, s9
	s_sub_i32 s50, s8, s9
	v_cmp_gt_u32_e32 vcc, s50, v0
	s_mov_b64 s[8:9], 0
                                        ; implicit-def: $vgpr35
	s_and_saveexec_b64 s[46:47], vcc
	s_cbranch_execz .LBB65_178
; %bb.169:                              ;   in Loop: Header=BB65_15 Depth=1
	v_mov_b32_e32 v4, v19
	v_mov_b32_e32 v5, v0
                                        ; implicit-def: $sgpr48_sgpr49
	s_branch .LBB65_171
.LBB65_170:                             ;   in Loop: Header=BB65_171 Depth=2
	s_or_b64 exec, exec, s[20:21]
	s_waitcnt lgkmcnt(0)
	s_barrier
	ds_read_b32 v10, v11 offset:3072
	v_add_u32_e32 v5, s66, v5
	v_cmp_le_u32_e64 s[20:21], s50, v5
	v_add_u32_e32 v4, s10, v4
	s_waitcnt lgkmcnt(0)
	v_cmp_ne_u16_e32 vcc, 0, v10
	s_or_b64 s[20:21], s[20:21], vcc
	s_and_b64 s[20:21], exec, s[20:21]
	s_or_b64 s[8:9], s[20:21], s[8:9]
	s_andn2_b64 s[20:21], s[48:49], exec
	s_and_b64 s[48:49], vcc, exec
	s_or_b64 s[48:49], s[20:21], s[48:49]
	s_barrier
	s_andn2_b64 exec, exec, s[8:9]
	s_cbranch_execz .LBB65_177
.LBB65_171:                             ;   Parent Loop BB65_15 Depth=1
                                        ; =>  This Inner Loop Header: Depth=2
	v_cmp_gt_u32_e32 vcc, s15, v5
	v_mov_b32_e32 v10, 0
	s_and_saveexec_b64 s[20:21], vcc
	s_cbranch_execz .LBB65_173
; %bb.172:                              ;   in Loop: Header=BB65_171 Depth=2
	ds_read_u16 v10, v4
.LBB65_173:                             ;   in Loop: Header=BB65_171 Depth=2
	s_or_b64 exec, exec, s[20:21]
	s_and_saveexec_b64 s[20:21], vcc
	s_cbranch_execz .LBB65_170
; %bb.174:                              ;   in Loop: Header=BB65_171 Depth=2
	s_waitcnt lgkmcnt(0)
	v_add_u32_sdwa v35, sext(v10), s11 dst_sel:DWORD dst_unused:UNUSED_PAD src0_sel:WORD_0 src1_sel:DWORD
	v_and_b32_e32 v35, v35, v3
	v_cmp_eq_u32_e32 vcc, v35, v2
	s_and_b64 exec, exec, vcc
	s_cbranch_execz .LBB65_170
; %bb.175:                              ;   in Loop: Header=BB65_171 Depth=2
	v_perm_b32 v10, v10, 1, v30
	ds_write_b32 v11, v10 offset:3072
	s_branch .LBB65_170
.LBB65_176:                             ;   in Loop: Header=BB65_15 Depth=1
	s_mov_b64 s[46:47], -1
	s_mov_b64 s[8:9], 0
                                        ; implicit-def: $sgpr20_sgpr21
                                        ; implicit-def: $vgpr35
	s_mov_b64 s[50:51], s[46:47]
	s_cbranch_execnz .LBB65_179
	s_branch .LBB65_189
.LBB65_177:                             ;   in Loop: Header=BB65_15 Depth=1
	s_or_b64 exec, exec, s[8:9]
	v_lshrrev_b32_e32 v35, 16, v10
	s_and_b64 s[8:9], s[48:49], exec
.LBB65_178:                             ;   in Loop: Header=BB65_15 Depth=1
	s_or_b64 exec, exec, s[46:47]
	s_mov_b64 s[20:21], -1
	s_mov_b64 s[46:47], 0
	s_mov_b64 s[50:51], s[46:47]
	s_branch .LBB65_189
.LBB65_179:                             ;   in Loop: Header=BB65_15 Depth=1
	s_mov_b64 s[8:9], 0
                                        ; implicit-def: $vgpr35
	s_mov_b64 s[46:47], exec
	v_readlane_b32 s20, v52, 47
	v_readlane_b32 s21, v52, 48
	s_and_b64 s[20:21], s[46:47], s[20:21]
	s_mov_b64 exec, s[20:21]
	s_cbranch_execz .LBB65_188
; %bb.180:                              ;   in Loop: Header=BB65_15 Depth=1
	v_mov_b32_e32 v10, v12
	v_mov_b32_e32 v4, v0
                                        ; implicit-def: $sgpr48_sgpr49
	s_branch .LBB65_182
.LBB65_181:                             ;   in Loop: Header=BB65_182 Depth=2
	s_or_b64 exec, exec, s[20:21]
	s_waitcnt lgkmcnt(0)
	s_barrier
	s_waitcnt vmcnt(0)
	ds_read_b32 v5, v11 offset:3072
	v_add_u32_e32 v4, s66, v4
	v_cmp_le_u32_e64 s[20:21], s12, v4
	v_add_u32_e32 v10, s76, v10
	s_waitcnt lgkmcnt(0)
	v_cmp_ne_u16_e32 vcc, 0, v5
	s_or_b64 s[20:21], s[20:21], vcc
	s_and_b64 s[20:21], exec, s[20:21]
	s_or_b64 s[8:9], s[20:21], s[8:9]
	s_andn2_b64 s[20:21], s[48:49], exec
	s_and_b64 s[48:49], vcc, exec
	s_or_b64 s[48:49], s[20:21], s[48:49]
	s_barrier
	s_andn2_b64 exec, exec, s[8:9]
	s_cbranch_execz .LBB65_187
.LBB65_182:                             ;   Parent Loop BB65_15 Depth=1
                                        ; =>  This Inner Loop Header: Depth=2
	v_cmp_gt_u32_e32 vcc, s60, v4
	v_mov_b32_e32 v5, 0
	s_and_saveexec_b64 s[50:51], vcc
	s_cbranch_execz .LBB65_184
; %bb.183:                              ;   in Loop: Header=BB65_182 Depth=2
	v_lshlrev_b64 v[38:39], 1, v[10:11]
	v_mov_b32_e32 v5, s64
	v_add_co_u32_e64 v38, s[20:21], s33, v38
	v_addc_co_u32_e64 v39, s[20:21], v5, v39, s[20:21]
	global_load_ushort v5, v[38:39], off
.LBB65_184:                             ;   in Loop: Header=BB65_182 Depth=2
	s_or_b64 exec, exec, s[50:51]
	s_and_saveexec_b64 s[20:21], vcc
	s_cbranch_execz .LBB65_181
; %bb.185:                              ;   in Loop: Header=BB65_182 Depth=2
	s_waitcnt vmcnt(0)
	v_add_u32_sdwa v35, sext(v5), s11 dst_sel:DWORD dst_unused:UNUSED_PAD src0_sel:WORD_0 src1_sel:DWORD
	v_and_b32_e32 v35, v35, v3
	v_cmp_eq_u32_e32 vcc, v35, v2
	s_and_b64 exec, exec, vcc
	s_cbranch_execz .LBB65_181
; %bb.186:                              ;   in Loop: Header=BB65_182 Depth=2
	v_perm_b32 v5, v5, 1, v30
	ds_write_b32 v11, v5 offset:3072
	s_branch .LBB65_181
.LBB65_187:                             ;   in Loop: Header=BB65_15 Depth=1
	s_or_b64 exec, exec, s[8:9]
	v_lshrrev_b32_e32 v35, 16, v5
	s_and_b64 s[8:9], s[48:49], exec
.LBB65_188:                             ;   in Loop: Header=BB65_15 Depth=1
	s_or_b64 exec, exec, s[46:47]
	s_mov_b64 s[50:51], -1
	s_mov_b64 s[46:47], 0
	s_mov_b64 s[20:21], 0
.LBB65_189:                             ;   in Loop: Header=BB65_15 Depth=1
	v_writelane_b32 v52, s20, 53
	s_orn2_b64 s[8:9], s[8:9], exec
	v_writelane_b32 v52, s21, 54
.LBB65_190:                             ;   in Loop: Header=BB65_15 Depth=1
	s_or_b64 exec, exec, s[6:7]
	s_mov_b64 s[6:7], 0
                                        ; implicit-def: $vgpr5
	s_and_saveexec_b64 s[48:49], s[8:9]
	s_cbranch_execz .LBB65_243
; %bb.191:                              ;   in Loop: Header=BB65_15 Depth=1
	s_xor_b64 s[8:9], s[16:17], -1
	s_mov_b64 s[54:55], 0
	v_mov_b32_e32 v4, 1
	v_mov_b32_e32 v5, 1
	s_and_saveexec_b64 s[6:7], s[8:9]
	s_cbranch_execz .LBB65_201
; %bb.192:                              ;   in Loop: Header=BB65_15 Depth=1
	v_cmp_ge_u32_e32 vcc, s75, v36
                                        ; implicit-def: $sgpr15
                                        ; implicit-def: $sgpr8_sgpr9
	s_and_saveexec_b64 s[16:17], vcc
	s_xor_b64 s[16:17], exec, s[16:17]
	s_cbranch_execz .LBB65_198
; %bb.193:                              ;   in Loop: Header=BB65_15 Depth=1
	ds_read_b32 v4, v11 offset:4096
	s_waitcnt lgkmcnt(0)
	v_cmp_ne_u32_e32 vcc, 0, v4
	s_cbranch_vccnz .LBB65_197
; %bb.194:                              ;   in Loop: Header=BB65_15 Depth=1
	s_mov_b64 s[8:9], exec
	v_readlane_b32 s20, v52, 5
	v_readlane_b32 s21, v52, 6
	s_and_b64 s[20:21], s[8:9], s[20:21]
	s_mov_b64 exec, s[20:21]
	s_cbranch_execz .LBB65_196
; %bb.195:                              ;   in Loop: Header=BB65_15 Depth=1
	v_mov_b32_e32 v4, s75
	ds_write_b32 v11, v4 offset:4100
.LBB65_196:                             ;   in Loop: Header=BB65_15 Depth=1
	s_or_b64 exec, exec, s[8:9]
	s_waitcnt lgkmcnt(0)
	s_barrier
.LBB65_197:                             ;   in Loop: Header=BB65_15 Depth=1
	v_and_b32_e32 v2, s4, v2
	v_lshl_or_b32 v2, 2, s74, v2
	v_or_b32_e32 v3, s53, v3
	s_mov_b64 s[8:9], 0
	s_mov_b32 s15, 8
.LBB65_198:                             ;   in Loop: Header=BB65_15 Depth=1
	s_or_saveexec_b64 s[16:17], s[16:17]
	v_mov_b32_e32 v5, s15
	s_xor_b64 exec, exec, s[16:17]
; %bb.199:                              ;   in Loop: Header=BB65_15 Depth=1
	v_subrev_u32_e32 v36, s75, v36
	v_mov_b32_e32 v5, 0
	s_or_b64 s[8:9], s[8:9], exec
; %bb.200:                              ;   in Loop: Header=BB65_15 Depth=1
	s_or_b64 exec, exec, s[16:17]
	s_and_b64 s[54:55], s[8:9], exec
	v_mov_b32_e32 v4, v36
.LBB65_201:                             ;   in Loop: Header=BB65_15 Depth=1
	s_or_b64 exec, exec, s[6:7]
	s_mov_b64 s[6:7], -1
                                        ; implicit-def: $sgpr8_sgpr9
                                        ; implicit-def: $sgpr56_sgpr57
                                        ; implicit-def: $sgpr20_sgpr21
	s_and_saveexec_b64 s[16:17], s[54:55]
	s_cbranch_execz .LBB65_242
; %bb.202:                              ;   in Loop: Header=BB65_15 Depth=1
	s_cmp_eq_u32 s14, 1
	s_cselect_b64 s[6:7], -1, 0
	v_cmp_eq_u32_e32 vcc, 1, v4
	s_and_b64 s[54:55], s[6:7], vcc
	s_mov_b64 s[58:59], -1
	v_writelane_b32 v52, s54, 55
                                        ; implicit-def: $sgpr8_sgpr9
                                        ; implicit-def: $sgpr56_sgpr57
                                        ; implicit-def: $sgpr20_sgpr21
	v_writelane_b32 v52, s55, 56
	s_and_saveexec_b64 s[6:7], s[54:55]
	s_cbranch_execz .LBB65_229
; %bb.203:                              ;   in Loop: Header=BB65_15 Depth=1
	ds_read_b32 v5, v11 offset:4096
	s_waitcnt lgkmcnt(0)
	s_barrier
	v_readfirstlane_b32 s15, v5
	s_mov_b64 s[8:9], exec
	v_readlane_b32 s20, v52, 29
	v_readlane_b32 s21, v52, 30
	s_and_b64 s[20:21], s[8:9], s[20:21]
	s_mov_b64 exec, s[20:21]
	s_cbranch_execz .LBB65_205
; %bb.204:                              ;   in Loop: Header=BB65_15 Depth=1
	ds_write_b16 v20, v11
.LBB65_205:                             ;   in Loop: Header=BB65_15 Depth=1
	s_or_b64 exec, exec, s[8:9]
	v_or_b32_e32 v2, s53, v2
	v_or_b32_e32 v3, s53, v3
	s_cmp_eq_u32 s15, 0
	s_waitcnt lgkmcnt(0)
	s_barrier
	s_cbranch_scc1 .LBB65_214
; %bb.206:                              ;   in Loop: Header=BB65_15 Depth=1
	v_readlane_b32 s8, v52, 22
	s_add_i32 s8, s15, s8
	v_readlane_b32 s9, v52, 46
	s_mul_hi_u32 s9, s8, s9
	s_mul_i32 s9, s9, s66
	s_sub_i32 s9, s8, s9
	s_sub_i32 s20, s9, s66
	s_cmp_ge_u32 s9, s66
	s_cselect_b32 s9, s20, s9
	s_sub_i32 s20, s9, s66
	s_cmp_ge_u32 s9, s66
	s_cselect_b32 s9, s20, s9
	s_sub_i32 s63, s8, s9
	v_cmp_gt_u32_e32 vcc, s63, v0
	s_mov_b64 s[58:59], 0
                                        ; implicit-def: $vgpr35
	s_and_saveexec_b64 s[8:9], vcc
	s_cbranch_execz .LBB65_216
; %bb.207:                              ;   in Loop: Header=BB65_15 Depth=1
	s_mov_b64 s[56:57], 0
	v_mov_b32_e32 v5, v19
	v_mov_b32_e32 v10, v0
                                        ; implicit-def: $sgpr58_sgpr59
	s_branch .LBB65_209
.LBB65_208:                             ;   in Loop: Header=BB65_209 Depth=2
	s_or_b64 exec, exec, s[20:21]
	s_waitcnt lgkmcnt(0)
	s_barrier
	ds_read_b32 v35, v11 offset:3072
	v_add_u32_e32 v10, s66, v10
	v_cmp_le_u32_e64 s[20:21], s63, v10
	v_add_u32_e32 v5, s10, v5
	s_waitcnt lgkmcnt(0)
	v_cmp_ne_u16_e32 vcc, 0, v35
	s_or_b64 s[20:21], s[20:21], vcc
	s_and_b64 s[20:21], exec, s[20:21]
	s_or_b64 s[56:57], s[20:21], s[56:57]
	s_andn2_b64 s[20:21], s[58:59], exec
	s_and_b64 s[54:55], vcc, exec
	s_or_b64 s[58:59], s[20:21], s[54:55]
	s_barrier
	s_andn2_b64 exec, exec, s[56:57]
	s_cbranch_execz .LBB65_215
.LBB65_209:                             ;   Parent Loop BB65_15 Depth=1
                                        ; =>  This Inner Loop Header: Depth=2
	v_cmp_gt_u32_e32 vcc, s15, v10
	v_mov_b32_e32 v35, 0
	s_and_saveexec_b64 s[20:21], vcc
	s_cbranch_execz .LBB65_211
; %bb.210:                              ;   in Loop: Header=BB65_209 Depth=2
	ds_read_u16 v35, v5
.LBB65_211:                             ;   in Loop: Header=BB65_209 Depth=2
	s_or_b64 exec, exec, s[20:21]
	s_and_saveexec_b64 s[20:21], vcc
	s_cbranch_execz .LBB65_208
; %bb.212:                              ;   in Loop: Header=BB65_209 Depth=2
	s_waitcnt lgkmcnt(0)
	v_add_u32_sdwa v36, sext(v35), s11 dst_sel:DWORD dst_unused:UNUSED_PAD src0_sel:WORD_0 src1_sel:DWORD
	v_and_b32_e32 v36, v36, v3
	v_cmp_eq_u32_e32 vcc, v36, v2
	s_and_b64 exec, exec, vcc
	s_cbranch_execz .LBB65_208
; %bb.213:                              ;   in Loop: Header=BB65_209 Depth=2
	v_perm_b32 v35, v35, 1, v30
	ds_write_b32 v11, v35 offset:3072
	s_branch .LBB65_208
.LBB65_214:                             ;   in Loop: Header=BB65_15 Depth=1
	s_mov_b64 s[8:9], -1
	s_mov_b64 s[58:59], 0
                                        ; implicit-def: $sgpr20_sgpr21
                                        ; implicit-def: $vgpr35
	s_branch .LBB65_217
.LBB65_215:                             ;   in Loop: Header=BB65_15 Depth=1
	s_or_b64 exec, exec, s[56:57]
	v_lshrrev_b32_e32 v35, 16, v35
	s_and_b64 s[58:59], s[58:59], exec
.LBB65_216:                             ;   in Loop: Header=BB65_15 Depth=1
	s_or_b64 exec, exec, s[8:9]
	s_mov_b64 s[20:21], -1
	s_mov_b64 s[8:9], 0
.LBB65_217:                             ;   in Loop: Header=BB65_15 Depth=1
	s_and_b64 vcc, exec, s[8:9]
	s_mov_b64 s[56:57], s[8:9]
	s_cbranch_vccz .LBB65_228
; %bb.218:                              ;   in Loop: Header=BB65_15 Depth=1
	s_mov_b64 s[58:59], 0
                                        ; implicit-def: $vgpr35
	s_mov_b64 s[54:55], exec
	v_readlane_b32 s8, v52, 47
	v_readlane_b32 s9, v52, 48
	s_and_b64 s[8:9], s[54:55], s[8:9]
	s_mov_b64 exec, s[8:9]
	s_cbranch_execz .LBB65_227
; %bb.219:                              ;   in Loop: Header=BB65_15 Depth=1
	s_mov_b64 s[56:57], 0
	v_mov_b32_e32 v10, v12
	v_mov_b32_e32 v5, v0
                                        ; implicit-def: $sgpr58_sgpr59
	s_branch .LBB65_221
.LBB65_220:                             ;   in Loop: Header=BB65_221 Depth=2
	s_or_b64 exec, exec, s[8:9]
	s_waitcnt lgkmcnt(0)
	s_barrier
	s_waitcnt vmcnt(0)
	ds_read_b32 v35, v11 offset:3072
	v_add_u32_e32 v5, s66, v5
	v_cmp_le_u32_e64 s[20:21], s12, v5
	v_add_u32_e32 v10, s76, v10
	s_waitcnt lgkmcnt(0)
	v_cmp_ne_u16_e32 vcc, 0, v35
	s_or_b64 s[8:9], s[20:21], vcc
	s_and_b64 s[8:9], exec, s[8:9]
	s_or_b64 s[56:57], s[8:9], s[56:57]
	s_andn2_b64 s[8:9], s[58:59], exec
	s_and_b64 s[20:21], vcc, exec
	s_or_b64 s[58:59], s[8:9], s[20:21]
	s_barrier
	s_andn2_b64 exec, exec, s[56:57]
	s_cbranch_execz .LBB65_226
.LBB65_221:                             ;   Parent Loop BB65_15 Depth=1
                                        ; =>  This Inner Loop Header: Depth=2
	v_cmp_gt_u32_e32 vcc, s60, v5
	v_mov_b32_e32 v35, 0
	s_and_saveexec_b64 s[8:9], vcc
	s_cbranch_execz .LBB65_223
; %bb.222:                              ;   in Loop: Header=BB65_221 Depth=2
	v_lshlrev_b64 v[36:37], 1, v[10:11]
	v_mov_b32_e32 v35, s64
	v_add_co_u32_e64 v36, s[20:21], s33, v36
	v_addc_co_u32_e64 v37, s[20:21], v35, v37, s[20:21]
	global_load_ushort v35, v[36:37], off
.LBB65_223:                             ;   in Loop: Header=BB65_221 Depth=2
	s_or_b64 exec, exec, s[8:9]
	s_and_saveexec_b64 s[8:9], vcc
	s_cbranch_execz .LBB65_220
; %bb.224:                              ;   in Loop: Header=BB65_221 Depth=2
	s_waitcnt vmcnt(0)
	v_add_u32_sdwa v36, sext(v35), s11 dst_sel:DWORD dst_unused:UNUSED_PAD src0_sel:WORD_0 src1_sel:DWORD
	v_and_b32_e32 v36, v36, v3
	v_cmp_eq_u32_e32 vcc, v36, v2
	s_and_b64 exec, exec, vcc
	s_cbranch_execz .LBB65_220
; %bb.225:                              ;   in Loop: Header=BB65_221 Depth=2
	v_perm_b32 v35, v35, 1, v30
	ds_write_b32 v11, v35 offset:3072
	s_branch .LBB65_220
.LBB65_226:                             ;   in Loop: Header=BB65_15 Depth=1
	s_or_b64 exec, exec, s[56:57]
	v_lshrrev_b32_e32 v35, 16, v35
	s_and_b64 s[58:59], s[58:59], exec
.LBB65_227:                             ;   in Loop: Header=BB65_15 Depth=1
	s_or_b64 exec, exec, s[54:55]
	s_mov_b64 s[56:57], -1
	s_mov_b64 s[8:9], 0
	s_mov_b64 s[20:21], 0
.LBB65_228:                             ;   in Loop: Header=BB65_15 Depth=1
	s_orn2_b64 s[58:59], s[58:59], exec
.LBB65_229:                             ;   in Loop: Header=BB65_15 Depth=1
	s_or_b64 exec, exec, s[6:7]
	s_mov_b64 vcc, 0
                                        ; implicit-def: $vgpr5
                                        ; implicit-def: $vgpr10
	s_and_saveexec_b64 s[6:7], s[58:59]
	s_cbranch_execz .LBB65_241
; %bb.230:                              ;   in Loop: Header=BB65_15 Depth=1
	v_readlane_b32 s54, v52, 55
	v_readlane_b32 s55, v52, 56
	s_xor_b64 s[58:59], s[54:55], -1
	v_mov_b32_e32 v5, 1
	v_mov_b32_e32 v10, 1
	s_and_saveexec_b64 s[54:55], s[58:59]
	s_cbranch_execz .LBB65_240
; %bb.231:                              ;   in Loop: Header=BB65_15 Depth=1
	v_cmp_ge_u32_e32 vcc, s14, v4
                                        ; implicit-def: $sgpr15
	s_and_saveexec_b64 s[58:59], vcc
	s_xor_b64 s[58:59], exec, s[58:59]
	s_cbranch_execz .LBB65_237
; %bb.232:                              ;   in Loop: Header=BB65_15 Depth=1
	ds_read_b32 v5, v11 offset:4096
	s_waitcnt lgkmcnt(0)
	v_cmp_ne_u32_e32 vcc, 0, v5
	s_cbranch_vccnz .LBB65_236
; %bb.233:                              ;   in Loop: Header=BB65_15 Depth=1
	v_writelane_b32 v52, s58, 57
	v_writelane_b32 v52, s59, 58
	s_mov_b64 s[58:59], exec
	v_writelane_b32 v52, s58, 59
	v_writelane_b32 v52, s59, 60
	v_readlane_b32 vcc_lo, v52, 5
	v_readlane_b32 s58, v52, 59
	v_readlane_b32 vcc_hi, v52, 6
	v_readlane_b32 s59, v52, 60
	s_and_b64 vcc, s[58:59], vcc
	s_mov_b64 exec, vcc
	s_cbranch_execz .LBB65_235
; %bb.234:                              ;   in Loop: Header=BB65_15 Depth=1
	v_mov_b32_e32 v5, s14
	ds_write_b32 v11, v5 offset:4100
.LBB65_235:                             ;   in Loop: Header=BB65_15 Depth=1
	v_readlane_b32 vcc_lo, v52, 59
	v_readlane_b32 vcc_hi, v52, 60
	s_or_b64 exec, exec, vcc
	v_readlane_b32 s58, v52, 57
	v_readlane_b32 s59, v52, 58
	s_waitcnt lgkmcnt(0)
	s_barrier
.LBB65_236:                             ;   in Loop: Header=BB65_15 Depth=1
	v_or_b32_e32 v2, s53, v2
	v_or_b32_e32 v3, s53, v3
	s_mov_b32 s15, 8
.LBB65_237:                             ;   in Loop: Header=BB65_15 Depth=1
	s_or_saveexec_b64 s[58:59], s[58:59]
	v_mov_b32_e32 v5, s15
	s_xor_b64 exec, exec, s[58:59]
; %bb.238:                              ;   in Loop: Header=BB65_15 Depth=1
	v_subrev_u32_e32 v4, s14, v4
	v_mov_b32_e32 v5, 8
; %bb.239:                              ;   in Loop: Header=BB65_15 Depth=1
	s_or_b64 exec, exec, s[58:59]
	v_mov_b32_e32 v10, v4
.LBB65_240:                             ;   in Loop: Header=BB65_15 Depth=1
	s_or_b64 exec, exec, s[54:55]
	s_mov_b64 vcc, exec
.LBB65_241:                             ;   in Loop: Header=BB65_15 Depth=1
	s_or_b64 exec, exec, s[6:7]
	s_orn2_b64 s[6:7], vcc, exec
	v_mov_b32_e32 v4, v10
.LBB65_242:                             ;   in Loop: Header=BB65_15 Depth=1
	s_or_b64 exec, exec, s[16:17]
	s_andn2_b64 s[16:17], s[46:47], exec
	s_and_b64 s[8:9], s[8:9], exec
	s_or_b64 s[46:47], s[16:17], s[8:9]
	s_andn2_b64 s[8:9], s[50:51], exec
	s_and_b64 s[16:17], s[56:57], exec
	s_or_b64 s[50:51], s[8:9], s[16:17]
	v_readlane_b32 s8, v52, 53
	v_readlane_b32 s9, v52, 54
	s_andn2_b64 s[8:9], s[8:9], exec
	s_and_b64 s[16:17], s[20:21], exec
	s_or_b64 s[8:9], s[8:9], s[16:17]
	v_writelane_b32 v52, s8, 53
	s_and_b64 s[6:7], s[6:7], exec
	v_mov_b32_e32 v36, v4
	v_writelane_b32 v52, s9, 54
.LBB65_243:                             ;   in Loop: Header=BB65_15 Depth=1
	s_or_b64 exec, exec, s[48:49]
	v_readlane_b32 s8, v52, 53
	v_readlane_b32 s9, v52, 54
	s_and_b64 s[20:21], s[46:47], exec
	s_and_b64 s[16:17], s[50:51], exec
	s_and_b64 s[8:9], s[8:9], exec
	s_orn2_b64 s[6:7], s[6:7], exec
.LBB65_244:                             ;   in Loop: Header=BB65_15 Depth=1
	s_or_b64 exec, exec, s[44:45]
	s_andn2_b64 s[36:37], s[36:37], exec
	s_and_b64 s[20:21], s[20:21], exec
	s_or_b64 s[36:37], s[36:37], s[20:21]
	s_andn2_b64 s[20:21], s[40:41], exec
	s_and_b64 s[16:17], s[16:17], exec
	s_or_b64 s[40:41], s[20:21], s[16:17]
	;; [unrolled: 3-line block ×3, first 2 shown]
	s_and_b64 s[20:21], s[6:7], exec
	v_mov_b32_e32 v4, v36
.LBB65_245:                             ;   in Loop: Header=BB65_15 Depth=1
	s_or_b64 exec, exec, s[42:43]
	s_and_b64 s[16:17], s[36:37], exec
	s_and_b64 s[8:9], s[40:41], exec
	;; [unrolled: 1-line block ×3, first 2 shown]
	s_orn2_b64 s[36:37], s[20:21], exec
.LBB65_246:                             ;   in Loop: Header=BB65_15 Depth=1
	s_or_b64 exec, exec, s[24:25]
	s_mov_b64 s[24:25], 0
	s_mov_b64 s[20:21], 0
	s_and_saveexec_b64 s[38:39], s[36:37]
	s_xor_b64 s[36:37], exec, s[38:39]
; %bb.247:                              ;   in Loop: Header=BB65_15 Depth=1
	v_cmp_eq_u32_e32 vcc, 8, v5
	v_cmp_ne_u32_e64 s[20:21], 8, v5
	s_andn2_b64 s[16:17], s[16:17], exec
	s_andn2_b64 s[8:9], s[8:9], exec
	s_andn2_b64 s[6:7], s[6:7], exec
	s_and_b64 s[20:21], s[20:21], exec
	s_and_b64 s[24:25], vcc, exec
; %bb.248:                              ;   in Loop: Header=BB65_15 Depth=1
	s_or_b64 exec, exec, s[36:37]
	s_andn2_b64 s[22:23], s[22:23], exec
	s_and_b64 s[16:17], s[16:17], exec
	s_or_b64 s[22:23], s[22:23], s[16:17]
	s_andn2_b64 s[16:17], s[28:29], exec
	s_and_b64 s[8:9], s[8:9], exec
	s_or_b64 s[28:29], s[16:17], s[8:9]
	s_andn2_b64 s[8:9], s[26:27], exec
	s_and_b64 s[6:7], s[6:7], exec
	s_or_b64 s[26:27], s[8:9], s[6:7]
	s_and_b64 s[20:21], s[20:21], exec
	s_and_b64 s[24:25], s[24:25], exec
.LBB65_249:                             ;   in Loop: Header=BB65_15 Depth=1
	s_or_b64 exec, exec, s[34:35]
	s_and_b64 vcc, exec, s[30:31]
	s_cbranch_vccz .LBB65_99
.LBB65_250:                             ;   in Loop: Header=BB65_15 Depth=1
	s_cmp_eq_u32 s14, 1
	s_cselect_b64 s[6:7], -1, 0
	s_and_b64 s[16:17], s[6:7], s[18:19]
	s_mov_b64 s[8:9], -1
                                        ; implicit-def: $sgpr30_sgpr31
                                        ; implicit-def: $sgpr34_sgpr35
                                        ; implicit-def: $sgpr22_sgpr23
	s_and_saveexec_b64 s[6:7], s[16:17]
	s_cbranch_execz .LBB65_276
; %bb.251:                              ;   in Loop: Header=BB65_15 Depth=1
	ds_read_b32 v2, v11 offset:4096
	s_waitcnt lgkmcnt(0)
	s_barrier
	v_readfirstlane_b32 s15, v2
	s_mov_b64 s[8:9], exec
	v_readlane_b32 s18, v52, 29
	v_readlane_b32 s19, v52, 30
	s_and_b64 s[18:19], s[8:9], s[18:19]
	s_mov_b64 exec, s[18:19]
	s_cbranch_execz .LBB65_253
; %bb.252:                              ;   in Loop: Header=BB65_15 Depth=1
	ds_write_b16 v20, v11
.LBB65_253:                             ;   in Loop: Header=BB65_15 Depth=1
	s_or_b64 exec, exec, s[8:9]
	v_or_b32_e32 v32, s53, v32
	v_or_b32_e32 v31, s53, v31
	s_cmp_eq_u32 s15, 0
	s_waitcnt lgkmcnt(0)
	s_barrier
	s_cbranch_scc1 .LBB65_262
; %bb.254:                              ;   in Loop: Header=BB65_15 Depth=1
	v_readlane_b32 s8, v52, 22
	s_add_i32 s8, s15, s8
	v_readlane_b32 s9, v52, 46
	s_mul_hi_u32 s9, s8, s9
	s_mul_i32 s9, s9, s66
	s_sub_i32 s9, s8, s9
	s_sub_i32 s18, s9, s66
	s_cmp_ge_u32 s9, s66
	s_cselect_b32 s9, s18, s9
	s_sub_i32 s18, s9, s66
	s_cmp_ge_u32 s9, s66
	s_cselect_b32 s9, s18, s9
	s_sub_i32 s28, s8, s9
	v_cmp_gt_u32_e32 vcc, s28, v0
	s_mov_b64 s[8:9], 0
                                        ; implicit-def: $vgpr33
	s_and_saveexec_b64 s[22:23], vcc
	s_cbranch_execz .LBB65_264
; %bb.255:                              ;   in Loop: Header=BB65_15 Depth=1
	v_mov_b32_e32 v2, v19
	v_mov_b32_e32 v3, v0
                                        ; implicit-def: $sgpr26_sgpr27
	s_branch .LBB65_257
.LBB65_256:                             ;   in Loop: Header=BB65_257 Depth=2
	s_or_b64 exec, exec, s[18:19]
	s_waitcnt lgkmcnt(0)
	s_barrier
	ds_read_b32 v4, v11 offset:3072
	v_add_u32_e32 v3, s66, v3
	v_cmp_le_u32_e64 s[18:19], s28, v3
	v_add_u32_e32 v2, s10, v2
	s_waitcnt lgkmcnt(0)
	v_cmp_ne_u16_e32 vcc, 0, v4
	s_or_b64 s[18:19], s[18:19], vcc
	s_and_b64 s[18:19], exec, s[18:19]
	s_or_b64 s[8:9], s[18:19], s[8:9]
	s_andn2_b64 s[18:19], s[26:27], exec
	s_and_b64 s[26:27], vcc, exec
	s_or_b64 s[26:27], s[18:19], s[26:27]
	s_barrier
	s_andn2_b64 exec, exec, s[8:9]
	s_cbranch_execz .LBB65_263
.LBB65_257:                             ;   Parent Loop BB65_15 Depth=1
                                        ; =>  This Inner Loop Header: Depth=2
	v_cmp_gt_u32_e32 vcc, s15, v3
	v_mov_b32_e32 v4, 0
	s_and_saveexec_b64 s[18:19], vcc
	s_cbranch_execz .LBB65_259
; %bb.258:                              ;   in Loop: Header=BB65_257 Depth=2
	ds_read_u16 v4, v2
.LBB65_259:                             ;   in Loop: Header=BB65_257 Depth=2
	s_or_b64 exec, exec, s[18:19]
	s_and_saveexec_b64 s[18:19], vcc
	s_cbranch_execz .LBB65_256
; %bb.260:                              ;   in Loop: Header=BB65_257 Depth=2
	s_waitcnt lgkmcnt(0)
	v_add_u32_sdwa v5, sext(v4), s11 dst_sel:DWORD dst_unused:UNUSED_PAD src0_sel:WORD_0 src1_sel:DWORD
	v_and_b32_e32 v5, v5, v31
	v_cmp_eq_u32_e32 vcc, v5, v32
	s_and_b64 exec, exec, vcc
	s_cbranch_execz .LBB65_256
; %bb.261:                              ;   in Loop: Header=BB65_257 Depth=2
	v_perm_b32 v4, v4, 1, v30
	ds_write_b32 v11, v4 offset:3072
	s_branch .LBB65_256
.LBB65_262:                             ;   in Loop: Header=BB65_15 Depth=1
	s_mov_b64 s[30:31], -1
	s_mov_b64 s[8:9], 0
                                        ; implicit-def: $sgpr34_sgpr35
                                        ; implicit-def: $vgpr33
	s_mov_b64 s[22:23], s[30:31]
	s_cbranch_execnz .LBB65_265
	s_branch .LBB65_275
.LBB65_263:                             ;   in Loop: Header=BB65_15 Depth=1
	s_or_b64 exec, exec, s[8:9]
	v_lshrrev_b32_e32 v33, 16, v4
	s_and_b64 s[8:9], s[26:27], exec
.LBB65_264:                             ;   in Loop: Header=BB65_15 Depth=1
	s_or_b64 exec, exec, s[22:23]
	s_mov_b64 s[30:31], 0
	s_mov_b64 s[34:35], -1
	s_mov_b64 s[22:23], s[30:31]
	s_branch .LBB65_275
.LBB65_265:                             ;   in Loop: Header=BB65_15 Depth=1
	s_mov_b64 s[8:9], 0
                                        ; implicit-def: $vgpr33
	s_mov_b64 s[22:23], exec
	v_readlane_b32 s18, v52, 47
	v_readlane_b32 s19, v52, 48
	s_and_b64 s[18:19], s[22:23], s[18:19]
	s_mov_b64 exec, s[18:19]
	s_cbranch_execz .LBB65_274
; %bb.266:                              ;   in Loop: Header=BB65_15 Depth=1
	v_mov_b32_e32 v10, v12
	v_mov_b32_e32 v2, v0
                                        ; implicit-def: $sgpr26_sgpr27
	s_branch .LBB65_268
.LBB65_267:                             ;   in Loop: Header=BB65_268 Depth=2
	s_or_b64 exec, exec, s[18:19]
	s_waitcnt lgkmcnt(0)
	s_barrier
	s_waitcnt vmcnt(0)
	ds_read_b32 v3, v11 offset:3072
	v_add_u32_e32 v2, s66, v2
	v_cmp_le_u32_e64 s[18:19], s12, v2
	v_add_u32_e32 v10, s76, v10
	s_waitcnt lgkmcnt(0)
	v_cmp_ne_u16_e32 vcc, 0, v3
	s_or_b64 s[18:19], s[18:19], vcc
	s_and_b64 s[18:19], exec, s[18:19]
	s_or_b64 s[8:9], s[18:19], s[8:9]
	s_andn2_b64 s[18:19], s[26:27], exec
	s_and_b64 s[26:27], vcc, exec
	s_or_b64 s[26:27], s[18:19], s[26:27]
	s_barrier
	s_andn2_b64 exec, exec, s[8:9]
	s_cbranch_execz .LBB65_273
.LBB65_268:                             ;   Parent Loop BB65_15 Depth=1
                                        ; =>  This Inner Loop Header: Depth=2
	v_cmp_gt_u32_e32 vcc, s60, v2
	v_mov_b32_e32 v3, 0
	s_and_saveexec_b64 s[28:29], vcc
	s_cbranch_execz .LBB65_270
; %bb.269:                              ;   in Loop: Header=BB65_268 Depth=2
	v_lshlrev_b64 v[4:5], 1, v[10:11]
	v_mov_b32_e32 v3, s64
	v_add_co_u32_e64 v4, s[18:19], s33, v4
	v_addc_co_u32_e64 v5, s[18:19], v3, v5, s[18:19]
	global_load_ushort v3, v[4:5], off
.LBB65_270:                             ;   in Loop: Header=BB65_268 Depth=2
	s_or_b64 exec, exec, s[28:29]
	s_and_saveexec_b64 s[18:19], vcc
	s_cbranch_execz .LBB65_267
; %bb.271:                              ;   in Loop: Header=BB65_268 Depth=2
	s_waitcnt vmcnt(0)
	v_add_u32_sdwa v4, sext(v3), s11 dst_sel:DWORD dst_unused:UNUSED_PAD src0_sel:WORD_0 src1_sel:DWORD
	v_and_b32_e32 v4, v4, v31
	v_cmp_eq_u32_e32 vcc, v4, v32
	s_and_b64 exec, exec, vcc
	s_cbranch_execz .LBB65_267
; %bb.272:                              ;   in Loop: Header=BB65_268 Depth=2
	v_perm_b32 v3, v3, 1, v30
	ds_write_b32 v11, v3 offset:3072
	s_branch .LBB65_267
.LBB65_273:                             ;   in Loop: Header=BB65_15 Depth=1
	s_or_b64 exec, exec, s[8:9]
	v_lshrrev_b32_e32 v33, 16, v3
	s_and_b64 s[8:9], s[26:27], exec
.LBB65_274:                             ;   in Loop: Header=BB65_15 Depth=1
	s_or_b64 exec, exec, s[22:23]
	s_mov_b64 s[34:35], 0
	s_mov_b64 s[30:31], -1
	s_mov_b64 s[22:23], 0
.LBB65_275:                             ;   in Loop: Header=BB65_15 Depth=1
	s_orn2_b64 s[8:9], s[8:9], exec
.LBB65_276:                             ;   in Loop: Header=BB65_15 Depth=1
	s_or_b64 exec, exec, s[6:7]
                                        ; implicit-def: $vgpr5
                                        ; implicit-def: $vgpr4
                                        ; implicit-def: $vgpr2
                                        ; implicit-def: $vgpr3
                                        ; implicit-def: $vgpr35
	s_and_saveexec_b64 s[26:27], s[8:9]
	s_cbranch_execz .LBB65_411
; %bb.277:                              ;   in Loop: Header=BB65_15 Depth=1
	s_xor_b64 s[8:9], s[16:17], -1
	s_mov_b64 s[18:19], 0
	v_mov_b32_e32 v4, 1
	v_mov_b32_e32 v5, 1
	s_and_saveexec_b64 s[6:7], s[8:9]
	s_cbranch_execz .LBB65_287
; %bb.278:                              ;   in Loop: Header=BB65_15 Depth=1
	v_cmp_ge_u32_e32 vcc, s14, v34
                                        ; implicit-def: $sgpr15
                                        ; implicit-def: $sgpr8_sgpr9
	s_and_saveexec_b64 s[16:17], vcc
	s_xor_b64 s[16:17], exec, s[16:17]
	s_cbranch_execz .LBB65_284
; %bb.279:                              ;   in Loop: Header=BB65_15 Depth=1
	ds_read_b32 v2, v11 offset:4096
	s_waitcnt lgkmcnt(0)
	v_cmp_ne_u32_e32 vcc, 0, v2
	s_cbranch_vccnz .LBB65_283
; %bb.280:                              ;   in Loop: Header=BB65_15 Depth=1
	s_mov_b64 s[8:9], exec
	v_readlane_b32 s18, v52, 5
	v_readlane_b32 s19, v52, 6
	s_and_b64 s[18:19], s[8:9], s[18:19]
	s_mov_b64 exec, s[18:19]
	s_cbranch_execz .LBB65_282
; %bb.281:                              ;   in Loop: Header=BB65_15 Depth=1
	v_mov_b32_e32 v2, s14
	ds_write_b32 v11, v2 offset:4100
.LBB65_282:                             ;   in Loop: Header=BB65_15 Depth=1
	s_or_b64 exec, exec, s[8:9]
	s_waitcnt lgkmcnt(0)
	s_barrier
.LBB65_283:                             ;   in Loop: Header=BB65_15 Depth=1
	v_or_b32_e32 v32, s53, v32
	v_or_b32_e32 v31, s53, v31
	s_mov_b64 s[8:9], 0
	s_mov_b32 s15, 5
.LBB65_284:                             ;   in Loop: Header=BB65_15 Depth=1
	s_or_saveexec_b64 s[16:17], s[16:17]
	v_mov_b32_e32 v5, s15
	s_xor_b64 exec, exec, s[16:17]
; %bb.285:                              ;   in Loop: Header=BB65_15 Depth=1
	v_subrev_u32_e32 v34, s14, v34
	v_mov_b32_e32 v5, 0
	s_or_b64 s[8:9], s[8:9], exec
; %bb.286:                              ;   in Loop: Header=BB65_15 Depth=1
	s_or_b64 exec, exec, s[16:17]
	s_and_b64 s[18:19], s[8:9], exec
	v_mov_b32_e32 v4, v34
.LBB65_287:                             ;   in Loop: Header=BB65_15 Depth=1
	s_or_b64 exec, exec, s[6:7]
	s_mov_b64 s[36:37], -1
                                        ; implicit-def: $sgpr6_sgpr7
                                        ; implicit-def: $sgpr8_sgpr9
                                        ; implicit-def: $sgpr16_sgpr17
	s_and_saveexec_b64 s[14:15], s[18:19]
	s_xor_b64 s[28:29], exec, s[14:15]
	s_cbranch_execz .LBB65_408
; %bb.288:                              ;   in Loop: Header=BB65_15 Depth=1
	s_cmp_eq_u32 s75, 1
	s_cselect_b64 s[6:7], -1, 0
	v_cmp_eq_u32_e32 vcc, 1, v4
	s_and_b64 s[16:17], s[6:7], vcc
	s_mov_b64 s[8:9], -1
                                        ; implicit-def: $sgpr36_sgpr37
                                        ; implicit-def: $sgpr38_sgpr39
                                        ; implicit-def: $sgpr40_sgpr41
	s_and_saveexec_b64 s[6:7], s[16:17]
	s_cbranch_execz .LBB65_314
; %bb.289:                              ;   in Loop: Header=BB65_15 Depth=1
	ds_read_b32 v2, v11 offset:4096
	s_waitcnt lgkmcnt(0)
	s_barrier
	v_readfirstlane_b32 s14, v2
	s_mov_b64 s[8:9], exec
	v_readlane_b32 s18, v52, 29
	v_readlane_b32 s19, v52, 30
	s_and_b64 s[18:19], s[8:9], s[18:19]
	s_mov_b64 exec, s[18:19]
	s_cbranch_execz .LBB65_291
; %bb.290:                              ;   in Loop: Header=BB65_15 Depth=1
	ds_write_b16 v20, v11
.LBB65_291:                             ;   in Loop: Header=BB65_15 Depth=1
	s_or_b64 exec, exec, s[8:9]
	v_and_b32_e32 v2, s4, v32
	v_lshl_or_b32 v32, 2, s74, v2
	v_or_b32_e32 v31, s53, v31
	s_cmp_eq_u32 s14, 0
	s_waitcnt lgkmcnt(0)
	s_barrier
	s_cbranch_scc1 .LBB65_300
; %bb.292:                              ;   in Loop: Header=BB65_15 Depth=1
	v_readlane_b32 s8, v52, 22
	s_add_i32 s8, s14, s8
	v_readlane_b32 s9, v52, 46
	s_mul_hi_u32 s9, s8, s9
	s_mul_i32 s9, s9, s66
	s_sub_i32 s9, s8, s9
	s_sub_i32 s15, s9, s66
	s_cmp_ge_u32 s9, s66
	s_cselect_b32 s9, s15, s9
	s_sub_i32 s15, s9, s66
	s_cmp_ge_u32 s9, s66
	s_cselect_b32 s9, s15, s9
	s_sub_i32 s15, s8, s9
	v_cmp_gt_u32_e32 vcc, s15, v0
	s_mov_b64 s[8:9], 0
                                        ; implicit-def: $vgpr33
	s_and_saveexec_b64 s[36:37], vcc
	s_cbranch_execz .LBB65_302
; %bb.293:                              ;   in Loop: Header=BB65_15 Depth=1
	v_mov_b32_e32 v2, v19
	v_mov_b32_e32 v3, v0
                                        ; implicit-def: $sgpr38_sgpr39
	s_branch .LBB65_295
.LBB65_294:                             ;   in Loop: Header=BB65_295 Depth=2
	s_or_b64 exec, exec, s[18:19]
	s_waitcnt lgkmcnt(0)
	s_barrier
	ds_read_b32 v5, v11 offset:3072
	v_add_u32_e32 v3, s66, v3
	v_cmp_le_u32_e64 s[18:19], s15, v3
	v_add_u32_e32 v2, s10, v2
	s_waitcnt lgkmcnt(0)
	v_cmp_ne_u16_e32 vcc, 0, v5
	s_or_b64 s[18:19], s[18:19], vcc
	s_and_b64 s[18:19], exec, s[18:19]
	s_or_b64 s[8:9], s[18:19], s[8:9]
	s_andn2_b64 s[18:19], s[38:39], exec
	s_and_b64 s[38:39], vcc, exec
	s_or_b64 s[38:39], s[18:19], s[38:39]
	s_barrier
	s_andn2_b64 exec, exec, s[8:9]
	s_cbranch_execz .LBB65_301
.LBB65_295:                             ;   Parent Loop BB65_15 Depth=1
                                        ; =>  This Inner Loop Header: Depth=2
	v_cmp_gt_u32_e32 vcc, s14, v3
	v_mov_b32_e32 v5, 0
	s_and_saveexec_b64 s[18:19], vcc
	s_cbranch_execz .LBB65_297
; %bb.296:                              ;   in Loop: Header=BB65_295 Depth=2
	ds_read_u16 v5, v2
.LBB65_297:                             ;   in Loop: Header=BB65_295 Depth=2
	s_or_b64 exec, exec, s[18:19]
	s_and_saveexec_b64 s[18:19], vcc
	s_cbranch_execz .LBB65_294
; %bb.298:                              ;   in Loop: Header=BB65_295 Depth=2
	s_waitcnt lgkmcnt(0)
	v_add_u32_sdwa v10, sext(v5), s11 dst_sel:DWORD dst_unused:UNUSED_PAD src0_sel:WORD_0 src1_sel:DWORD
	v_and_b32_e32 v10, v10, v31
	v_cmp_eq_u32_e32 vcc, v10, v32
	s_and_b64 exec, exec, vcc
	s_cbranch_execz .LBB65_294
; %bb.299:                              ;   in Loop: Header=BB65_295 Depth=2
	v_perm_b32 v5, v5, 1, v30
	ds_write_b32 v11, v5 offset:3072
	s_branch .LBB65_294
.LBB65_300:                             ;   in Loop: Header=BB65_15 Depth=1
	s_mov_b64 s[36:37], -1
	s_mov_b64 s[8:9], 0
                                        ; implicit-def: $sgpr38_sgpr39
                                        ; implicit-def: $vgpr33
	s_mov_b64 s[40:41], s[36:37]
	s_cbranch_execnz .LBB65_303
	s_branch .LBB65_313
.LBB65_301:                             ;   in Loop: Header=BB65_15 Depth=1
	s_or_b64 exec, exec, s[8:9]
	v_lshrrev_b32_e32 v33, 16, v5
	s_and_b64 s[8:9], s[38:39], exec
.LBB65_302:                             ;   in Loop: Header=BB65_15 Depth=1
	s_or_b64 exec, exec, s[36:37]
	s_mov_b64 s[36:37], 0
	s_mov_b64 s[38:39], -1
	s_mov_b64 s[40:41], s[36:37]
	s_branch .LBB65_313
.LBB65_303:                             ;   in Loop: Header=BB65_15 Depth=1
	s_mov_b64 s[8:9], 0
                                        ; implicit-def: $vgpr33
	s_mov_b64 s[36:37], exec
	v_readlane_b32 s14, v52, 47
	v_readlane_b32 s15, v52, 48
	s_and_b64 s[14:15], s[36:37], s[14:15]
	s_mov_b64 exec, s[14:15]
	s_cbranch_execz .LBB65_312
; %bb.304:                              ;   in Loop: Header=BB65_15 Depth=1
	v_mov_b32_e32 v10, v12
	v_mov_b32_e32 v2, v0
                                        ; implicit-def: $sgpr38_sgpr39
	s_branch .LBB65_306
.LBB65_305:                             ;   in Loop: Header=BB65_306 Depth=2
	s_or_b64 exec, exec, s[18:19]
	s_waitcnt lgkmcnt(0)
	s_barrier
	s_waitcnt vmcnt(0)
	ds_read_b32 v3, v11 offset:3072
	v_add_u32_e32 v2, s66, v2
	v_cmp_le_u32_e64 s[18:19], s12, v2
	v_add_u32_e32 v10, s76, v10
	s_waitcnt lgkmcnt(0)
	v_cmp_ne_u16_e32 vcc, 0, v3
	s_or_b64 s[14:15], s[18:19], vcc
	s_and_b64 s[14:15], exec, s[14:15]
	s_or_b64 s[8:9], s[14:15], s[8:9]
	s_andn2_b64 s[14:15], s[38:39], exec
	s_and_b64 s[18:19], vcc, exec
	s_or_b64 s[38:39], s[14:15], s[18:19]
	s_barrier
	s_andn2_b64 exec, exec, s[8:9]
	s_cbranch_execz .LBB65_311
.LBB65_306:                             ;   Parent Loop BB65_15 Depth=1
                                        ; =>  This Inner Loop Header: Depth=2
	v_cmp_gt_u32_e32 vcc, s60, v2
	v_mov_b32_e32 v3, 0
	s_and_saveexec_b64 s[40:41], vcc
	s_cbranch_execz .LBB65_308
; %bb.307:                              ;   in Loop: Header=BB65_306 Depth=2
	v_lshlrev_b64 v[34:35], 1, v[10:11]
	v_mov_b32_e32 v3, s64
	v_add_co_u32_e64 v34, s[18:19], s33, v34
	v_addc_co_u32_e64 v35, s[18:19], v3, v35, s[18:19]
	global_load_ushort v3, v[34:35], off
.LBB65_308:                             ;   in Loop: Header=BB65_306 Depth=2
	s_or_b64 exec, exec, s[40:41]
	s_and_saveexec_b64 s[18:19], vcc
	s_cbranch_execz .LBB65_305
; %bb.309:                              ;   in Loop: Header=BB65_306 Depth=2
	s_waitcnt vmcnt(0)
	v_add_u32_sdwa v5, sext(v3), s11 dst_sel:DWORD dst_unused:UNUSED_PAD src0_sel:WORD_0 src1_sel:DWORD
	v_and_b32_e32 v5, v5, v31
	v_cmp_eq_u32_e32 vcc, v5, v32
	s_and_b64 exec, exec, vcc
	s_cbranch_execz .LBB65_305
; %bb.310:                              ;   in Loop: Header=BB65_306 Depth=2
	v_perm_b32 v3, v3, 1, v30
	ds_write_b32 v11, v3 offset:3072
	s_branch .LBB65_305
.LBB65_311:                             ;   in Loop: Header=BB65_15 Depth=1
	s_or_b64 exec, exec, s[8:9]
	v_lshrrev_b32_e32 v33, 16, v3
	s_and_b64 s[8:9], s[38:39], exec
.LBB65_312:                             ;   in Loop: Header=BB65_15 Depth=1
	s_or_b64 exec, exec, s[36:37]
	s_mov_b64 s[38:39], 0
	s_mov_b64 s[36:37], -1
	s_mov_b64 s[40:41], 0
.LBB65_313:                             ;   in Loop: Header=BB65_15 Depth=1
	s_orn2_b64 s[8:9], s[8:9], exec
.LBB65_314:                             ;   in Loop: Header=BB65_15 Depth=1
	s_or_b64 exec, exec, s[6:7]
	s_mov_b64 s[18:19], 0
                                        ; implicit-def: $vgpr5
	s_and_saveexec_b64 s[42:43], s[8:9]
	s_cbranch_execz .LBB65_407
; %bb.315:                              ;   in Loop: Header=BB65_15 Depth=1
	s_xor_b64 s[8:9], s[16:17], -1
	s_mov_b64 s[46:47], 0
	v_mov_b32_e32 v2, 1
	v_mov_b32_e32 v5, 1
	s_and_saveexec_b64 s[6:7], s[8:9]
	s_cbranch_execz .LBB65_325
; %bb.316:                              ;   in Loop: Header=BB65_15 Depth=1
	v_cmp_ge_u32_e32 vcc, s75, v4
                                        ; implicit-def: $sgpr14
                                        ; implicit-def: $sgpr8_sgpr9
	s_and_saveexec_b64 s[16:17], vcc
	s_xor_b64 s[16:17], exec, s[16:17]
	s_cbranch_execz .LBB65_322
; %bb.317:                              ;   in Loop: Header=BB65_15 Depth=1
	ds_read_b32 v2, v11 offset:4096
	s_waitcnt lgkmcnt(0)
	v_cmp_ne_u32_e32 vcc, 0, v2
	s_cbranch_vccnz .LBB65_321
; %bb.318:                              ;   in Loop: Header=BB65_15 Depth=1
	s_mov_b64 s[8:9], exec
	v_readlane_b32 s14, v52, 5
	v_readlane_b32 s15, v52, 6
	s_and_b64 s[14:15], s[8:9], s[14:15]
	s_mov_b64 exec, s[14:15]
	s_cbranch_execz .LBB65_320
; %bb.319:                              ;   in Loop: Header=BB65_15 Depth=1
	v_mov_b32_e32 v2, s75
	ds_write_b32 v11, v2 offset:4100
.LBB65_320:                             ;   in Loop: Header=BB65_15 Depth=1
	s_or_b64 exec, exec, s[8:9]
	s_waitcnt lgkmcnt(0)
	s_barrier
.LBB65_321:                             ;   in Loop: Header=BB65_15 Depth=1
	v_and_b32_e32 v2, s4, v32
	v_lshl_or_b32 v32, 2, s74, v2
	v_or_b32_e32 v31, s53, v31
	s_mov_b64 s[8:9], 0
	s_mov_b32 s14, 5
.LBB65_322:                             ;   in Loop: Header=BB65_15 Depth=1
	s_or_saveexec_b64 s[16:17], s[16:17]
	v_mov_b32_e32 v5, s14
	s_xor_b64 exec, exec, s[16:17]
; %bb.323:                              ;   in Loop: Header=BB65_15 Depth=1
	v_subrev_u32_e32 v4, s75, v4
	v_mov_b32_e32 v5, 0
	s_or_b64 s[8:9], s[8:9], exec
; %bb.324:                              ;   in Loop: Header=BB65_15 Depth=1
	s_or_b64 exec, exec, s[16:17]
	s_and_b64 s[46:47], s[8:9], exec
	v_mov_b32_e32 v2, v4
.LBB65_325:                             ;   in Loop: Header=BB65_15 Depth=1
	s_or_b64 exec, exec, s[6:7]
	s_mov_b64 s[6:7], -1
                                        ; implicit-def: $sgpr8_sgpr9
                                        ; implicit-def: $sgpr16_sgpr17
                                        ; implicit-def: $sgpr18_sgpr19
	s_and_saveexec_b64 s[44:45], s[46:47]
	s_cbranch_execz .LBB65_406
; %bb.326:                              ;   in Loop: Header=BB65_15 Depth=1
	s_cmp_eq_u32 s5, 1
	s_cselect_b64 s[6:7], -1, 0
	v_cmp_eq_u32_e32 vcc, 1, v2
	s_and_b64 s[16:17], s[6:7], vcc
	s_mov_b64 s[8:9], -1
                                        ; implicit-def: $sgpr46_sgpr47
                                        ; implicit-def: $sgpr6_sgpr7
                                        ; kill: killed $sgpr6_sgpr7
                                        ; implicit-def: $sgpr50_sgpr51
	s_and_saveexec_b64 s[6:7], s[16:17]
	s_cbranch_execz .LBB65_352
; %bb.327:                              ;   in Loop: Header=BB65_15 Depth=1
	ds_read_b32 v3, v11 offset:4096
	s_waitcnt lgkmcnt(0)
	s_barrier
	v_readfirstlane_b32 s14, v3
	s_mov_b64 s[8:9], exec
	v_readlane_b32 s18, v52, 29
	v_readlane_b32 s19, v52, 30
	s_and_b64 s[18:19], s[8:9], s[18:19]
	s_mov_b64 exec, s[18:19]
	s_cbranch_execz .LBB65_329
; %bb.328:                              ;   in Loop: Header=BB65_15 Depth=1
	ds_write_b16 v20, v11
.LBB65_329:                             ;   in Loop: Header=BB65_15 Depth=1
	s_or_b64 exec, exec, s[8:9]
	v_and_b32_e32 v3, s4, v32
	v_lshl_or_b32 v32, 1, s74, v3
	v_or_b32_e32 v31, s53, v31
	s_cmp_eq_u32 s14, 0
	s_waitcnt lgkmcnt(0)
	s_barrier
	s_cbranch_scc1 .LBB65_338
; %bb.330:                              ;   in Loop: Header=BB65_15 Depth=1
	v_readlane_b32 s8, v52, 22
	s_add_i32 s8, s14, s8
	v_readlane_b32 s9, v52, 46
	s_mul_hi_u32 s9, s8, s9
	s_mul_i32 s9, s9, s66
	s_sub_i32 s9, s8, s9
	s_sub_i32 s15, s9, s66
	s_cmp_ge_u32 s9, s66
	s_cselect_b32 s9, s15, s9
	s_sub_i32 s15, s9, s66
	s_cmp_ge_u32 s9, s66
	s_cselect_b32 s9, s15, s9
	s_sub_i32 s15, s8, s9
	v_cmp_gt_u32_e32 vcc, s15, v0
	s_mov_b64 s[8:9], 0
                                        ; implicit-def: $vgpr33
	s_and_saveexec_b64 s[46:47], vcc
	s_cbranch_execz .LBB65_340
; %bb.331:                              ;   in Loop: Header=BB65_15 Depth=1
	v_mov_b32_e32 v3, v19
	v_mov_b32_e32 v4, v0
                                        ; implicit-def: $sgpr48_sgpr49
	s_branch .LBB65_333
.LBB65_332:                             ;   in Loop: Header=BB65_333 Depth=2
	s_or_b64 exec, exec, s[18:19]
	s_waitcnt lgkmcnt(0)
	s_barrier
	ds_read_b32 v5, v11 offset:3072
	v_add_u32_e32 v4, s66, v4
	v_cmp_le_u32_e64 s[18:19], s15, v4
	v_add_u32_e32 v3, s10, v3
	s_waitcnt lgkmcnt(0)
	v_cmp_ne_u16_e32 vcc, 0, v5
	s_or_b64 s[18:19], s[18:19], vcc
	s_and_b64 s[18:19], exec, s[18:19]
	s_or_b64 s[8:9], s[18:19], s[8:9]
	s_andn2_b64 s[18:19], s[48:49], exec
	s_and_b64 s[48:49], vcc, exec
	s_or_b64 s[48:49], s[18:19], s[48:49]
	s_barrier
	s_andn2_b64 exec, exec, s[8:9]
	s_cbranch_execz .LBB65_339
.LBB65_333:                             ;   Parent Loop BB65_15 Depth=1
                                        ; =>  This Inner Loop Header: Depth=2
	v_cmp_gt_u32_e32 vcc, s14, v4
	v_mov_b32_e32 v5, 0
	s_and_saveexec_b64 s[18:19], vcc
	s_cbranch_execz .LBB65_335
; %bb.334:                              ;   in Loop: Header=BB65_333 Depth=2
	ds_read_u16 v5, v3
.LBB65_335:                             ;   in Loop: Header=BB65_333 Depth=2
	s_or_b64 exec, exec, s[18:19]
	s_and_saveexec_b64 s[18:19], vcc
	s_cbranch_execz .LBB65_332
; %bb.336:                              ;   in Loop: Header=BB65_333 Depth=2
	s_waitcnt lgkmcnt(0)
	v_add_u32_sdwa v10, sext(v5), s11 dst_sel:DWORD dst_unused:UNUSED_PAD src0_sel:WORD_0 src1_sel:DWORD
	v_and_b32_e32 v10, v10, v31
	v_cmp_eq_u32_e32 vcc, v10, v32
	s_and_b64 exec, exec, vcc
	s_cbranch_execz .LBB65_332
; %bb.337:                              ;   in Loop: Header=BB65_333 Depth=2
	v_perm_b32 v5, v5, 1, v30
	ds_write_b32 v11, v5 offset:3072
	s_branch .LBB65_332
.LBB65_338:                             ;   in Loop: Header=BB65_15 Depth=1
	s_mov_b64 s[46:47], -1
	s_mov_b64 s[8:9], 0
                                        ; implicit-def: $sgpr14_sgpr15
                                        ; kill: killed $sgpr14_sgpr15
                                        ; implicit-def: $vgpr33
	s_mov_b64 s[50:51], s[46:47]
	s_cbranch_execnz .LBB65_341
	s_branch .LBB65_351
.LBB65_339:                             ;   in Loop: Header=BB65_15 Depth=1
	s_or_b64 exec, exec, s[8:9]
	v_lshrrev_b32_e32 v33, 16, v5
	s_and_b64 s[8:9], s[48:49], exec
.LBB65_340:                             ;   in Loop: Header=BB65_15 Depth=1
	s_or_b64 exec, exec, s[46:47]
	s_mov_b64 s[14:15], -1
	s_mov_b64 s[46:47], 0
	v_writelane_b32 v52, s14, 51
	v_writelane_b32 v52, s15, 52
	s_mov_b64 s[50:51], s[46:47]
	s_branch .LBB65_351
.LBB65_341:                             ;   in Loop: Header=BB65_15 Depth=1
	s_mov_b64 s[8:9], 0
                                        ; implicit-def: $vgpr33
	s_mov_b64 s[46:47], exec
	v_readlane_b32 s14, v52, 47
	v_readlane_b32 s15, v52, 48
	s_and_b64 s[14:15], s[46:47], s[14:15]
	s_mov_b64 exec, s[14:15]
	s_cbranch_execz .LBB65_350
; %bb.342:                              ;   in Loop: Header=BB65_15 Depth=1
	v_mov_b32_e32 v10, v12
	v_mov_b32_e32 v3, v0
                                        ; implicit-def: $sgpr48_sgpr49
	s_branch .LBB65_344
.LBB65_343:                             ;   in Loop: Header=BB65_344 Depth=2
	s_or_b64 exec, exec, s[18:19]
	s_waitcnt lgkmcnt(0)
	s_barrier
	s_waitcnt vmcnt(0)
	ds_read_b32 v4, v11 offset:3072
	v_add_u32_e32 v3, s66, v3
	v_cmp_le_u32_e64 s[18:19], s12, v3
	v_add_u32_e32 v10, s76, v10
	s_waitcnt lgkmcnt(0)
	v_cmp_ne_u16_e32 vcc, 0, v4
	s_or_b64 s[14:15], s[18:19], vcc
	s_and_b64 s[14:15], exec, s[14:15]
	s_or_b64 s[8:9], s[14:15], s[8:9]
	s_andn2_b64 s[14:15], s[48:49], exec
	s_and_b64 s[18:19], vcc, exec
	s_or_b64 s[48:49], s[14:15], s[18:19]
	s_barrier
	s_andn2_b64 exec, exec, s[8:9]
	s_cbranch_execz .LBB65_349
.LBB65_344:                             ;   Parent Loop BB65_15 Depth=1
                                        ; =>  This Inner Loop Header: Depth=2
	v_cmp_gt_u32_e32 vcc, s60, v3
	v_mov_b32_e32 v4, 0
	s_and_saveexec_b64 s[50:51], vcc
	s_cbranch_execz .LBB65_346
; %bb.345:                              ;   in Loop: Header=BB65_344 Depth=2
	v_lshlrev_b64 v[4:5], 1, v[10:11]
	v_mov_b32_e32 v33, s64
	v_add_co_u32_e64 v4, s[18:19], s33, v4
	v_addc_co_u32_e64 v5, s[18:19], v33, v5, s[18:19]
	global_load_ushort v4, v[4:5], off
.LBB65_346:                             ;   in Loop: Header=BB65_344 Depth=2
	s_or_b64 exec, exec, s[50:51]
	s_and_saveexec_b64 s[18:19], vcc
	s_cbranch_execz .LBB65_343
; %bb.347:                              ;   in Loop: Header=BB65_344 Depth=2
	s_waitcnt vmcnt(0)
	v_add_u32_sdwa v5, sext(v4), s11 dst_sel:DWORD dst_unused:UNUSED_PAD src0_sel:WORD_0 src1_sel:DWORD
	v_and_b32_e32 v5, v5, v31
	v_cmp_eq_u32_e32 vcc, v5, v32
	s_and_b64 exec, exec, vcc
	s_cbranch_execz .LBB65_343
; %bb.348:                              ;   in Loop: Header=BB65_344 Depth=2
	v_perm_b32 v4, v4, 1, v30
	ds_write_b32 v11, v4 offset:3072
	s_branch .LBB65_343
.LBB65_349:                             ;   in Loop: Header=BB65_15 Depth=1
	s_or_b64 exec, exec, s[8:9]
	v_lshrrev_b32_e32 v33, 16, v4
	s_and_b64 s[8:9], s[48:49], exec
.LBB65_350:                             ;   in Loop: Header=BB65_15 Depth=1
	s_or_b64 exec, exec, s[46:47]
	s_mov_b64 s[14:15], 0
	v_writelane_b32 v52, s14, 51
	s_mov_b64 s[46:47], -1
	s_mov_b64 s[50:51], 0
	v_writelane_b32 v52, s15, 52
.LBB65_351:                             ;   in Loop: Header=BB65_15 Depth=1
	s_orn2_b64 s[8:9], s[8:9], exec
.LBB65_352:                             ;   in Loop: Header=BB65_15 Depth=1
	s_or_b64 exec, exec, s[6:7]
	s_mov_b64 s[6:7], 0
                                        ; implicit-def: $vgpr5
	s_and_saveexec_b64 s[48:49], s[8:9]
	s_cbranch_execz .LBB65_405
; %bb.353:                              ;   in Loop: Header=BB65_15 Depth=1
	s_xor_b64 s[8:9], s[16:17], -1
	s_mov_b64 s[54:55], 0
	v_mov_b32_e32 v3, 1
	v_mov_b32_e32 v5, 1
	s_and_saveexec_b64 s[6:7], s[8:9]
	s_cbranch_execz .LBB65_363
; %bb.354:                              ;   in Loop: Header=BB65_15 Depth=1
	v_cmp_ge_u32_e32 vcc, s5, v2
                                        ; implicit-def: $sgpr14
                                        ; implicit-def: $sgpr8_sgpr9
	s_and_saveexec_b64 s[16:17], vcc
	s_xor_b64 s[16:17], exec, s[16:17]
	s_cbranch_execz .LBB65_360
; %bb.355:                              ;   in Loop: Header=BB65_15 Depth=1
	ds_read_b32 v3, v11 offset:4096
	s_waitcnt lgkmcnt(0)
	v_cmp_ne_u32_e32 vcc, 0, v3
	s_cbranch_vccnz .LBB65_359
; %bb.356:                              ;   in Loop: Header=BB65_15 Depth=1
	s_mov_b64 s[8:9], exec
	v_readlane_b32 s14, v52, 5
	v_readlane_b32 s15, v52, 6
	s_and_b64 s[14:15], s[8:9], s[14:15]
	s_mov_b64 exec, s[14:15]
	s_cbranch_execz .LBB65_358
; %bb.357:                              ;   in Loop: Header=BB65_15 Depth=1
	v_mov_b32_e32 v3, s5
	ds_write_b32 v11, v3 offset:4100
.LBB65_358:                             ;   in Loop: Header=BB65_15 Depth=1
	s_or_b64 exec, exec, s[8:9]
	s_waitcnt lgkmcnt(0)
	s_barrier
.LBB65_359:                             ;   in Loop: Header=BB65_15 Depth=1
	v_and_b32_e32 v3, s4, v32
	v_lshl_or_b32 v32, 1, s74, v3
	v_or_b32_e32 v31, s53, v31
	s_mov_b64 s[8:9], 0
	s_mov_b32 s14, 5
.LBB65_360:                             ;   in Loop: Header=BB65_15 Depth=1
	s_or_saveexec_b64 s[16:17], s[16:17]
	v_mov_b32_e32 v5, s14
	s_xor_b64 exec, exec, s[16:17]
; %bb.361:                              ;   in Loop: Header=BB65_15 Depth=1
	v_subrev_u32_e32 v2, s5, v2
	v_mov_b32_e32 v5, 0
	s_or_b64 s[8:9], s[8:9], exec
; %bb.362:                              ;   in Loop: Header=BB65_15 Depth=1
	s_or_b64 exec, exec, s[16:17]
	s_and_b64 s[54:55], s[8:9], exec
	v_mov_b32_e32 v3, v2
.LBB65_363:                             ;   in Loop: Header=BB65_15 Depth=1
	s_or_b64 exec, exec, s[6:7]
	s_mov_b64 s[6:7], -1
                                        ; implicit-def: $sgpr8_sgpr9
                                        ; implicit-def: $sgpr18_sgpr19
                                        ; implicit-def: $sgpr56_sgpr57
	s_and_saveexec_b64 s[16:17], s[54:55]
	s_cbranch_execz .LBB65_404
; %bb.364:                              ;   in Loop: Header=BB65_15 Depth=1
	s_cmp_eq_u32 s52, 1
	s_cselect_b64 s[6:7], -1, 0
	v_cmp_eq_u32_e32 vcc, 1, v3
	s_and_b64 s[54:55], s[6:7], vcc
	s_mov_b64 s[58:59], -1
                                        ; implicit-def: $sgpr8_sgpr9
                                        ; implicit-def: $sgpr18_sgpr19
                                        ; implicit-def: $sgpr56_sgpr57
	s_and_saveexec_b64 s[6:7], s[54:55]
	s_cbranch_execz .LBB65_391
; %bb.365:                              ;   in Loop: Header=BB65_15 Depth=1
	ds_read_b32 v2, v11 offset:4096
	s_waitcnt lgkmcnt(0)
	s_barrier
	v_readfirstlane_b32 s5, v2
	s_mov_b64 s[8:9], exec
	v_readlane_b32 s14, v52, 29
	v_readlane_b32 s15, v52, 30
	s_and_b64 s[14:15], s[8:9], s[14:15]
	s_mov_b64 exec, s[14:15]
	s_cbranch_execz .LBB65_367
; %bb.366:                              ;   in Loop: Header=BB65_15 Depth=1
	ds_write_b16 v20, v11
.LBB65_367:                             ;   in Loop: Header=BB65_15 Depth=1
	s_or_b64 exec, exec, s[8:9]
	v_and_b32_e32 v32, s4, v32
	v_or_b32_e32 v31, s53, v31
	s_cmp_eq_u32 s5, 0
	s_waitcnt lgkmcnt(0)
	s_barrier
	s_cbranch_scc1 .LBB65_376
; %bb.368:                              ;   in Loop: Header=BB65_15 Depth=1
	v_readlane_b32 s8, v52, 22
	s_add_i32 s8, s5, s8
	v_readlane_b32 s9, v52, 46
	s_mul_hi_u32 s9, s8, s9
	s_mul_i32 s9, s9, s66
	s_sub_i32 s9, s8, s9
	s_sub_i32 s14, s9, s66
	s_cmp_ge_u32 s9, s66
	s_cselect_b32 s9, s14, s9
	s_sub_i32 s14, s9, s66
	s_cmp_ge_u32 s9, s66
	s_cselect_b32 s9, s14, s9
	s_sub_i32 s14, s8, s9
	v_cmp_gt_u32_e32 vcc, s14, v0
	s_mov_b64 s[58:59], 0
                                        ; implicit-def: $vgpr33
	s_and_saveexec_b64 s[8:9], vcc
	s_cbranch_execz .LBB65_378
; %bb.369:                              ;   in Loop: Header=BB65_15 Depth=1
	s_mov_b64 s[56:57], 0
	v_mov_b32_e32 v2, v19
	v_mov_b32_e32 v4, v0
                                        ; implicit-def: $sgpr58_sgpr59
	s_branch .LBB65_371
.LBB65_370:                             ;   in Loop: Header=BB65_371 Depth=2
	s_or_b64 exec, exec, s[18:19]
	s_waitcnt lgkmcnt(0)
	s_barrier
	ds_read_b32 v5, v11 offset:3072
	v_add_u32_e32 v4, s66, v4
	v_cmp_le_u32_e64 s[18:19], s14, v4
	v_add_u32_e32 v2, s10, v2
	s_waitcnt lgkmcnt(0)
	v_cmp_ne_u16_e32 vcc, 0, v5
	s_or_b64 s[18:19], s[18:19], vcc
	s_and_b64 s[18:19], exec, s[18:19]
	s_or_b64 s[56:57], s[18:19], s[56:57]
	s_andn2_b64 s[18:19], s[58:59], exec
	s_and_b64 s[58:59], vcc, exec
	s_or_b64 s[58:59], s[18:19], s[58:59]
	s_barrier
	s_andn2_b64 exec, exec, s[56:57]
	s_cbranch_execz .LBB65_377
.LBB65_371:                             ;   Parent Loop BB65_15 Depth=1
                                        ; =>  This Inner Loop Header: Depth=2
	v_cmp_gt_u32_e32 vcc, s5, v4
	v_mov_b32_e32 v5, 0
	s_and_saveexec_b64 s[18:19], vcc
	s_cbranch_execz .LBB65_373
; %bb.372:                              ;   in Loop: Header=BB65_371 Depth=2
	ds_read_u16 v5, v2
.LBB65_373:                             ;   in Loop: Header=BB65_371 Depth=2
	s_or_b64 exec, exec, s[18:19]
	s_and_saveexec_b64 s[18:19], vcc
	s_cbranch_execz .LBB65_370
; %bb.374:                              ;   in Loop: Header=BB65_371 Depth=2
	s_waitcnt lgkmcnt(0)
	v_add_u32_sdwa v10, sext(v5), s11 dst_sel:DWORD dst_unused:UNUSED_PAD src0_sel:WORD_0 src1_sel:DWORD
	v_and_b32_e32 v10, v10, v31
	v_cmp_eq_u32_e32 vcc, v10, v32
	s_and_b64 exec, exec, vcc
	s_cbranch_execz .LBB65_370
; %bb.375:                              ;   in Loop: Header=BB65_371 Depth=2
	v_perm_b32 v5, v5, 1, v30
	ds_write_b32 v11, v5 offset:3072
	s_branch .LBB65_370
.LBB65_376:                             ;   in Loop: Header=BB65_15 Depth=1
	s_mov_b64 s[8:9], -1
	s_mov_b64 s[58:59], 0
                                        ; implicit-def: $sgpr18_sgpr19
                                        ; implicit-def: $vgpr33
	s_branch .LBB65_379
.LBB65_377:                             ;   in Loop: Header=BB65_15 Depth=1
	s_or_b64 exec, exec, s[56:57]
	v_lshrrev_b32_e32 v33, 16, v5
	s_and_b64 s[58:59], s[58:59], exec
.LBB65_378:                             ;   in Loop: Header=BB65_15 Depth=1
	s_or_b64 exec, exec, s[8:9]
	s_mov_b64 s[8:9], 0
	s_mov_b64 s[18:19], -1
.LBB65_379:                             ;   in Loop: Header=BB65_15 Depth=1
	s_and_b64 vcc, exec, s[8:9]
	s_mov_b64 s[56:57], s[8:9]
	s_cbranch_vccz .LBB65_390
; %bb.380:                              ;   in Loop: Header=BB65_15 Depth=1
	s_mov_b64 s[58:59], 0
                                        ; implicit-def: $vgpr33
	s_mov_b64 s[74:75], exec
	v_readlane_b32 s8, v52, 47
	v_readlane_b32 s9, v52, 48
	s_and_b64 s[8:9], s[74:75], s[8:9]
	s_mov_b64 exec, s[8:9]
	s_cbranch_execz .LBB65_389
; %bb.381:                              ;   in Loop: Header=BB65_15 Depth=1
	s_mov_b64 s[56:57], 0
	v_mov_b32_e32 v10, v12
	v_mov_b32_e32 v2, v0
                                        ; implicit-def: $sgpr58_sgpr59
	s_branch .LBB65_383
.LBB65_382:                             ;   in Loop: Header=BB65_383 Depth=2
	s_or_b64 exec, exec, s[8:9]
	s_waitcnt lgkmcnt(0)
	s_barrier
	s_waitcnt vmcnt(0)
	ds_read_b32 v4, v11 offset:3072
	v_add_u32_e32 v2, s66, v2
	v_cmp_le_u32_e64 s[18:19], s12, v2
	v_add_u32_e32 v10, s76, v10
	s_waitcnt lgkmcnt(0)
	v_cmp_ne_u16_e32 vcc, 0, v4
	s_or_b64 s[8:9], s[18:19], vcc
	s_and_b64 s[8:9], exec, s[8:9]
	s_or_b64 s[56:57], s[8:9], s[56:57]
	s_andn2_b64 s[8:9], s[58:59], exec
	s_and_b64 s[14:15], vcc, exec
	s_or_b64 s[58:59], s[8:9], s[14:15]
	s_barrier
	s_andn2_b64 exec, exec, s[56:57]
	s_cbranch_execz .LBB65_388
.LBB65_383:                             ;   Parent Loop BB65_15 Depth=1
                                        ; =>  This Inner Loop Header: Depth=2
	v_cmp_gt_u32_e32 vcc, s60, v2
	v_mov_b32_e32 v4, 0
	s_and_saveexec_b64 s[8:9], vcc
	s_cbranch_execz .LBB65_385
; %bb.384:                              ;   in Loop: Header=BB65_383 Depth=2
	v_lshlrev_b64 v[4:5], 1, v[10:11]
	v_mov_b32_e32 v33, s64
	v_add_co_u32_e64 v4, s[18:19], s33, v4
	v_addc_co_u32_e64 v5, s[18:19], v33, v5, s[18:19]
	global_load_ushort v4, v[4:5], off
.LBB65_385:                             ;   in Loop: Header=BB65_383 Depth=2
	s_or_b64 exec, exec, s[8:9]
	s_and_saveexec_b64 s[8:9], vcc
	s_cbranch_execz .LBB65_382
; %bb.386:                              ;   in Loop: Header=BB65_383 Depth=2
	s_waitcnt vmcnt(0)
	v_add_u32_sdwa v5, sext(v4), s11 dst_sel:DWORD dst_unused:UNUSED_PAD src0_sel:WORD_0 src1_sel:DWORD
	v_and_b32_e32 v5, v5, v31
	v_cmp_eq_u32_e32 vcc, v5, v32
	s_and_b64 exec, exec, vcc
	s_cbranch_execz .LBB65_382
; %bb.387:                              ;   in Loop: Header=BB65_383 Depth=2
	v_perm_b32 v4, v4, 1, v30
	ds_write_b32 v11, v4 offset:3072
	s_branch .LBB65_382
.LBB65_388:                             ;   in Loop: Header=BB65_15 Depth=1
	s_or_b64 exec, exec, s[56:57]
	v_lshrrev_b32_e32 v33, 16, v4
	s_and_b64 s[58:59], s[58:59], exec
.LBB65_389:                             ;   in Loop: Header=BB65_15 Depth=1
	s_or_b64 exec, exec, s[74:75]
	s_mov_b64 s[18:19], 0
	s_mov_b64 s[8:9], -1
	s_mov_b64 s[56:57], 0
.LBB65_390:                             ;   in Loop: Header=BB65_15 Depth=1
	s_orn2_b64 s[58:59], s[58:59], exec
.LBB65_391:                             ;   in Loop: Header=BB65_15 Depth=1
	s_or_b64 exec, exec, s[6:7]
	s_mov_b64 vcc, 0
                                        ; implicit-def: $vgpr5
                                        ; implicit-def: $vgpr2
	s_and_saveexec_b64 s[6:7], s[58:59]
	s_cbranch_execz .LBB65_403
; %bb.392:                              ;   in Loop: Header=BB65_15 Depth=1
	s_xor_b64 s[14:15], s[54:55], -1
	v_mov_b32_e32 v5, 1
	v_mov_b32_e32 v2, 1
	s_and_saveexec_b64 s[54:55], s[14:15]
	s_cbranch_execz .LBB65_402
; %bb.393:                              ;   in Loop: Header=BB65_15 Depth=1
	v_cmp_ge_u32_e32 vcc, s52, v3
                                        ; implicit-def: $sgpr5
	s_and_saveexec_b64 s[14:15], vcc
	s_xor_b64 s[58:59], exec, s[14:15]
	s_cbranch_execz .LBB65_399
; %bb.394:                              ;   in Loop: Header=BB65_15 Depth=1
	ds_read_b32 v2, v11 offset:4096
	s_waitcnt lgkmcnt(0)
	v_cmp_ne_u32_e32 vcc, 0, v2
	s_cbranch_vccnz .LBB65_398
; %bb.395:                              ;   in Loop: Header=BB65_15 Depth=1
	s_mov_b64 vcc, exec
	v_readlane_b32 s14, v52, 5
	v_readlane_b32 s15, v52, 6
	s_and_b64 s[14:15], vcc, s[14:15]
	s_mov_b64 exec, s[14:15]
	s_cbranch_execz .LBB65_397
; %bb.396:                              ;   in Loop: Header=BB65_15 Depth=1
	v_mov_b32_e32 v2, s52
	ds_write_b32 v11, v2 offset:4100
.LBB65_397:                             ;   in Loop: Header=BB65_15 Depth=1
	s_or_b64 exec, exec, vcc
	s_waitcnt lgkmcnt(0)
	s_barrier
.LBB65_398:                             ;   in Loop: Header=BB65_15 Depth=1
	v_and_b32_e32 v32, s4, v32
	v_or_b32_e32 v31, s53, v31
	s_mov_b32 s5, 5
.LBB65_399:                             ;   in Loop: Header=BB65_15 Depth=1
	s_or_saveexec_b64 s[58:59], s[58:59]
	v_mov_b32_e32 v5, s5
	s_xor_b64 exec, exec, s[58:59]
; %bb.400:                              ;   in Loop: Header=BB65_15 Depth=1
	v_subrev_u32_e32 v3, s52, v3
	v_mov_b32_e32 v5, 5
; %bb.401:                              ;   in Loop: Header=BB65_15 Depth=1
	s_or_b64 exec, exec, s[58:59]
	v_mov_b32_e32 v2, v3
.LBB65_402:                             ;   in Loop: Header=BB65_15 Depth=1
	s_or_b64 exec, exec, s[54:55]
	s_mov_b64 vcc, exec
.LBB65_403:                             ;   in Loop: Header=BB65_15 Depth=1
	s_or_b64 exec, exec, s[6:7]
	s_orn2_b64 s[6:7], vcc, exec
	v_mov_b32_e32 v3, v2
.LBB65_404:                             ;   in Loop: Header=BB65_15 Depth=1
	s_or_b64 exec, exec, s[16:17]
	s_andn2_b64 s[4:5], s[46:47], exec
	s_and_b64 s[8:9], s[8:9], exec
	s_or_b64 s[46:47], s[4:5], s[8:9]
	v_readlane_b32 s4, v52, 51
	v_readlane_b32 s5, v52, 52
	s_andn2_b64 s[4:5], s[4:5], exec
	s_and_b64 s[8:9], s[18:19], exec
	s_or_b64 s[4:5], s[4:5], s[8:9]
	v_writelane_b32 v52, s4, 51
	v_writelane_b32 v52, s5, 52
	s_andn2_b64 s[4:5], s[50:51], exec
	s_and_b64 s[8:9], s[56:57], exec
	s_or_b64 s[50:51], s[4:5], s[8:9]
	s_and_b64 s[6:7], s[6:7], exec
	v_mov_b32_e32 v2, v3
.LBB65_405:                             ;   in Loop: Header=BB65_15 Depth=1
	s_or_b64 exec, exec, s[48:49]
	v_readlane_b32 s4, v52, 51
	v_readlane_b32 s5, v52, 52
	s_and_b64 s[18:19], s[46:47], exec
	s_and_b64 s[16:17], s[4:5], exec
	;; [unrolled: 1-line block ×3, first 2 shown]
	s_orn2_b64 s[6:7], s[6:7], exec
.LBB65_406:                             ;   in Loop: Header=BB65_15 Depth=1
	s_or_b64 exec, exec, s[44:45]
	s_andn2_b64 s[4:5], s[36:37], exec
	s_and_b64 s[14:15], s[18:19], exec
	s_or_b64 s[36:37], s[4:5], s[14:15]
	s_andn2_b64 s[4:5], s[38:39], exec
	s_and_b64 s[14:15], s[16:17], exec
	s_or_b64 s[38:39], s[4:5], s[14:15]
	;; [unrolled: 3-line block ×3, first 2 shown]
	s_and_b64 s[18:19], s[6:7], exec
	v_mov_b32_e32 v4, v2
.LBB65_407:                             ;   in Loop: Header=BB65_15 Depth=1
	s_or_b64 exec, exec, s[42:43]
	s_and_b64 s[16:17], s[36:37], exec
	s_and_b64 s[8:9], s[38:39], exec
	;; [unrolled: 1-line block ×3, first 2 shown]
	s_orn2_b64 s[36:37], s[18:19], exec
.LBB65_408:                             ;   in Loop: Header=BB65_15 Depth=1
	s_or_b64 exec, exec, s[28:29]
	s_mov_b64 s[18:19], s[24:25]
	s_mov_b64 s[28:29], s[20:21]
	s_and_saveexec_b64 s[38:39], s[36:37]
; %bb.409:                              ;   in Loop: Header=BB65_15 Depth=1
	v_cmp_ne_u32_e64 s[18:19], 5, v5
	v_cmp_eq_u32_e32 vcc, 5, v5
	s_andn2_b64 s[4:5], s[20:21], exec
	s_and_b64 s[14:15], s[18:19], exec
	s_or_b64 s[28:29], s[4:5], s[14:15]
	s_andn2_b64 s[4:5], s[24:25], exec
	s_and_b64 s[14:15], vcc, exec
	s_andn2_b64 s[16:17], s[16:17], exec
	s_andn2_b64 s[8:9], s[8:9], exec
	;; [unrolled: 1-line block ×3, first 2 shown]
	s_or_b64 s[18:19], s[4:5], s[14:15]
; %bb.410:                              ;   in Loop: Header=BB65_15 Depth=1
	s_or_b64 exec, exec, s[38:39]
	s_andn2_b64 s[4:5], s[30:31], exec
	s_and_b64 s[14:15], s[16:17], exec
	s_or_b64 s[30:31], s[4:5], s[14:15]
	s_andn2_b64 s[4:5], s[34:35], exec
	s_and_b64 s[8:9], s[8:9], exec
	s_or_b64 s[34:35], s[4:5], s[8:9]
	;; [unrolled: 3-line block ×5, first 2 shown]
	v_mov_b32_e32 v2, v32
	v_mov_b32_e32 v3, v31
	v_mov_b32_e32 v35, v33
.LBB65_411:                             ;   in Loop: Header=BB65_15 Depth=1
	s_or_b64 exec, exec, s[26:27]
	s_mov_b64 s[28:29], s[22:23]
	s_mov_b64 s[26:27], s[22:23]
	s_and_saveexec_b64 s[6:7], s[24:25]
.LBB65_412:                             ;   in Loop: Header=BB65_15 Depth=1
	v_mov_b32_e32 v5, 0
	s_andn2_b64 s[22:23], s[22:23], exec
	s_andn2_b64 s[30:31], s[30:31], exec
	;; [unrolled: 1-line block ×5, first 2 shown]
	s_or_b64 s[20:21], s[20:21], exec
.LBB65_413:                             ;   in Loop: Header=BB65_15 Depth=1
	s_or_b64 exec, exec, s[6:7]
	s_andn2_b64 s[4:5], s[82:83], exec
	s_and_b64 s[6:7], s[22:23], exec
	s_or_b64 s[82:83], s[4:5], s[6:7]
	s_andn2_b64 s[4:5], s[80:81], exec
	s_and_b64 s[6:7], s[30:31], exec
	s_or_b64 s[80:81], s[4:5], s[6:7]
	;; [unrolled: 3-line block ×4, first 2 shown]
	s_andn2_b64 s[4:5], s[84:85], exec
	s_and_b64 s[6:7], s[26:27], exec
	s_mov_b64 s[8:9], -1
	s_or_b64 s[84:85], s[4:5], s[6:7]
                                        ; implicit-def: $vgpr31
                                        ; implicit-def: $vgpr32
                                        ; implicit-def: $vgpr34
                                        ; implicit-def: $vgpr33
	s_and_saveexec_b64 s[4:5], s[20:21]
	s_xor_b64 s[6:7], exec, s[4:5]
	s_cbranch_execz .LBB65_14
; %bb.414:                              ;   in Loop: Header=BB65_15 Depth=1
	v_cmp_eq_u32_e32 vcc, 0, v5
	s_mov_b64 s[16:17], -1
	s_and_saveexec_b64 s[18:19], vcc
	s_cbranch_execz .LBB65_13
; %bb.415:                              ;   in Loop: Header=BB65_15 Depth=1
	v_readlane_b32 s4, v52, 50
	s_xor_b32 s4, s4, 1
	s_add_i32 s14, s62, -2
	s_cmp_eq_u32 s62, 0
	v_writelane_b32 v52, s4, 50
	s_cselect_b64 s[4:5], -1, 0
	s_xor_b64 s[16:17], exec, -1
	s_orn2_b64 s[8:9], s[4:5], exec
	s_mov_b32 s62, s14
	s_branch .LBB65_13
.LBB65_416:
	s_or_b64 exec, exec, s[90:91]
	s_xor_b64 s[6:7], s[2:3], -1
	s_xor_b64 s[14:15], s[70:71], -1
	;; [unrolled: 1-line block ×5, first 2 shown]
	s_mov_b64 s[8:9], 0
	s_and_saveexec_b64 s[10:11], s[4:5]
	s_xor_b64 s[10:11], exec, s[10:11]
	s_cbranch_execnz .LBB65_421
; %bb.417:
	s_andn2_saveexec_b64 s[0:1], s[10:11]
	s_cbranch_execnz .LBB65_440
.LBB65_418:
	s_or_b64 exec, exec, s[0:1]
	s_and_saveexec_b64 s[0:1], s[8:9]
.LBB65_419:
	; divergent unreachable
.LBB65_420:
	s_endpgm
.LBB65_421:
	s_and_saveexec_b64 s[4:5], s[12:13]
	s_xor_b64 s[12:13], exec, s[4:5]
	s_cbranch_execz .LBB65_438
; %bb.422:
	s_and_saveexec_b64 s[4:5], s[14:15]
	s_xor_b64 s[14:15], exec, s[4:5]
	s_cbranch_execz .LBB65_436
; %bb.423:
	;; [unrolled: 4-line block ×3, first 2 shown]
	s_and_saveexec_b64 s[4:5], s[2:3]
	s_xor_b64 s[2:3], exec, s[4:5]
; %bb.425:
	v_xor_b32_e32 v35, 0xffff8000, v2
; %bb.426:
	s_or_b64 exec, exec, s[2:3]
	s_mov_b64 s[2:3], exec
	v_readlane_b32 s4, v52, 5
	v_readlane_b32 s5, v52, 6
	;; [unrolled: 1-line block ×4, first 2 shown]
	s_and_b64 s[4:5], s[2:3], s[4:5]
	v_readlane_b32 s9, v52, 8
	v_readlane_b32 s20, v52, 49
	;; [unrolled: 1-line block ×3, first 2 shown]
	s_mov_b64 exec, s[4:5]
	s_cbranch_execz .LBB65_428
; %bb.427:
	v_mov_b32_e32 v1, 0
	ds_write_b32 v1, v1 offset:4108
.LBB65_428:
	s_or_b64 exec, exec, s[2:3]
	v_mov_b32_e32 v3, 0
	s_waitcnt lgkmcnt(0)
	s_barrier
	s_mov_b64 s[2:3], exec
	v_readlane_b32 s4, v52, 27
	v_readlane_b32 s5, v52, 28
	s_and_b64 s[4:5], s[2:3], s[4:5]
	s_mov_b64 exec, s[4:5]
	s_cbranch_execz .LBB65_430
; %bb.429:
	global_load_ushort v3, v[8:9], off
.LBB65_430:
	s_or_b64 exec, exec, s[2:3]
	v_readlane_b32 s2, v52, 0
	v_readlane_b32 s3, v52, 9
	s_mul_i32 s2, s2, s78
	s_mul_i32 s3, s3, s77
	s_add_i32 s40, s60, 63
	s_add_i32 s2, s2, s65
	;; [unrolled: 1-line block ×3, first 2 shown]
	s_mov_b32 s3, 0
	s_andn2_b32 s40, s40, 63
	s_lshl_b64 s[6:7], s[2:3], 1
	v_readlane_b32 s18, v52, 1
	s_load_dword s45, s[8:9], 0x1c8
	s_load_dword s46, s[8:9], 0x2a8
	v_readlane_b32 s19, v52, 2
	s_add_u32 s41, s18, s6
	s_mov_b32 s5, s3
	s_addc_u32 s42, s19, s7
	s_lshl_b64 s[2:3], s[4:5], 3
	v_readlane_b32 s4, v52, 3
	v_readlane_b32 s5, v52, 4
	s_add_u32 s43, s4, s2
	v_add_u32_e32 v4, s66, v0
	s_addc_u32 s44, s5, s3
	v_cmp_gt_u32_e32 vcc, s40, v0
	s_mov_b64 s[18:19], -1
	s_mov_b64 s[2:3], 0
	v_mul_lo_u32 v2, s20, v4
	s_mov_b64 s[4:5], 0
	s_and_saveexec_b64 s[6:7], vcc
	s_cbranch_execnz .LBB65_441
; %bb.431:
	s_or_b64 exec, exec, s[6:7]
	s_and_saveexec_b64 s[8:9], s[18:19]
	s_cbranch_execnz .LBB65_456
.LBB65_432:
	s_or_b64 exec, exec, s[8:9]
	s_and_saveexec_b64 s[0:1], s[4:5]
	s_xor_b64 s[0:1], exec, s[0:1]
	s_cbranch_execnz .LBB65_478
.LBB65_433:
	s_or_b64 exec, exec, s[0:1]
	s_and_b64 s[8:9], s[2:3], exec
.LBB65_434:
	s_andn2_saveexec_b64 s[0:1], s[16:17]
	s_cbranch_execnz .LBB65_481
.LBB65_435:
	s_or_b64 exec, exec, s[0:1]
	s_and_b64 s[8:9], s[8:9], exec
.LBB65_436:
	s_andn2_saveexec_b64 s[0:1], s[14:15]
	s_cbranch_execnz .LBB65_480
.LBB65_437:
	s_or_b64 exec, exec, s[0:1]
	s_and_b64 s[8:9], s[8:9], exec
.LBB65_438:
	s_andn2_saveexec_b64 s[0:1], s[12:13]
	s_cbranch_execnz .LBB65_479
.LBB65_439:
	s_or_b64 exec, exec, s[0:1]
	s_and_b64 s[8:9], s[8:9], exec
	s_andn2_saveexec_b64 s[0:1], s[10:11]
	s_cbranch_execz .LBB65_418
.LBB65_440:
	s_or_b64 s[8:9], s[8:9], exec
	s_trap 2
	s_or_b64 exec, exec, s[0:1]
	s_and_saveexec_b64 s[0:1], s[8:9]
	s_cbranch_execnz .LBB65_419
	s_branch .LBB65_420
.LBB65_441:
	s_mov_b32 s28, 0x8000
	v_add_u32_sdwa v1, sext(v35), s28 dst_sel:DWORD dst_unused:UNUSED_PAD src0_sel:WORD_0 src1_sel:DWORD
	v_mul_lo_u32 v4, s20, v4
	s_mov_b64 s[8:9], 0
	v_mov_b32_e32 v5, 0
	v_mov_b32_e32 v10, v0
                                        ; implicit-def: $sgpr18_sgpr19
                                        ; implicit-def: $vgpr14
	s_branch .LBB65_443
.LBB65_442:                             ;   in Loop: Header=BB65_443 Depth=1
	s_or_b64 exec, exec, s[20:21]
	s_xor_b64 s[20:21], s[24:25], -1
	s_and_b64 s[4:5], exec, s[4:5]
	s_or_b64 s[8:9], s[4:5], s[8:9]
	s_andn2_b64 s[4:5], s[18:19], exec
	s_and_b64 s[18:19], s[20:21], exec
	s_or_b64 s[18:19], s[4:5], s[18:19]
	v_mov_b32_e32 v3, v15
	v_mov_b32_e32 v10, v12
	s_andn2_b64 exec, exec, s[8:9]
	s_cbranch_execz .LBB65_455
.LBB65_443:                             ; =>This Inner Loop Header: Depth=1
	v_add_u32_e32 v12, s66, v10
	v_cmp_gt_u32_e32 vcc, s60, v12
	v_mov_b32_e32 v15, 0
	s_and_saveexec_b64 s[4:5], vcc
	s_cbranch_execz .LBB65_445
; %bb.444:                              ;   in Loop: Header=BB65_443 Depth=1
	v_lshlrev_b64 v[16:17], 1, v[4:5]
	v_mov_b32_e32 v11, s64
	v_add_co_u32_e32 v16, vcc, s33, v16
	v_addc_co_u32_e32 v17, vcc, v11, v17, vcc
	global_load_ushort v15, v[16:17], off
.LBB65_445:                             ;   in Loop: Header=BB65_443 Depth=1
	s_or_b64 exec, exec, s[4:5]
	s_waitcnt vmcnt(0)
	v_add_u32_sdwa v11, sext(v3), s28 dst_sel:DWORD dst_unused:UNUSED_PAD src0_sel:WORD_0 src1_sel:DWORD
	v_cmp_gt_u32_e64 s[4:5], v11, v1
	v_cndmask_b32_e64 v16, 0, 1, s[4:5]
	v_cmp_lt_u32_e64 s[4:5], v11, v1
	v_cndmask_b32_e64 v11, 0, 1, s[4:5]
	v_cndmask_b32_e64 v11, v11, v16, s[30:31]
	v_and_b32_e32 v11, 1, v11
	v_cmp_gt_u32_e32 vcc, s60, v10
	v_cmp_eq_u32_e64 s[4:5], 1, v11
	s_and_b64 s[22:23], vcc, s[4:5]
	v_cndmask_b32_e64 v11, 0, 1, s[22:23]
	v_cmp_ne_u32_e32 vcc, 0, v11
	s_cmp_lg_u64 vcc, 0
	s_cselect_b64 s[4:5], -1, 0
	s_and_b64 s[4:5], s[0:1], s[4:5]
	s_and_saveexec_b64 s[20:21], s[4:5]
	s_cbranch_execz .LBB65_449
; %bb.446:                              ;   in Loop: Header=BB65_443 Depth=1
	s_mov_b64 s[26:27], exec
	v_mbcnt_lo_u32_b32 v11, s26, 0
	v_mbcnt_hi_u32_b32 v11, s27, v11
	s_bcnt1_i32_b64 s29, vcc
	v_cmp_eq_u32_e64 s[4:5], 0, v11
                                        ; implicit-def: $vgpr14
	s_and_saveexec_b64 s[24:25], s[4:5]
	s_cbranch_execz .LBB65_448
; %bb.447:                              ;   in Loop: Header=BB65_443 Depth=1
	s_bcnt1_i32_b64 s4, s[26:27]
	s_mul_i32 s4, s29, s4
	s_waitcnt lgkmcnt(0)
	v_mov_b32_e32 v14, s4
	ds_add_rtn_u32 v14, v5, v14 offset:4108
.LBB65_448:                             ;   in Loop: Header=BB65_443 Depth=1
	s_or_b64 exec, exec, s[24:25]
	s_waitcnt lgkmcnt(0)
	v_readfirstlane_b32 s4, v14
	v_mov_b32_e32 v14, s4
	v_mad_u32_u24 v14, s29, v11, v14
.LBB65_449:                             ;   in Loop: Header=BB65_443 Depth=1
	s_or_b64 exec, exec, s[20:21]
	s_waitcnt lgkmcnt(0)
	ds_bpermute_b32 v14, v13, v14
	s_mov_b64 s[4:5], -1
	s_mov_b64 s[26:27], -1
                                        ; implicit-def: $sgpr24_sgpr25
	s_and_saveexec_b64 s[20:21], s[22:23]
	s_cbranch_execz .LBB65_453
; %bb.450:                              ;   in Loop: Header=BB65_443 Depth=1
	v_and_b32_e32 v16, vcc_lo, v6
	v_and_b32_e32 v11, vcc_hi, v7
	v_bcnt_u32_b32 v16, v16, 0
	v_bcnt_u32_b32 v11, v11, v16
	s_waitcnt lgkmcnt(0)
	v_add_u32_e32 v11, v14, v11
	v_cmp_gt_u32_e32 vcc, s61, v11
	s_mov_b64 s[22:23], 0
	s_and_saveexec_b64 s[24:25], vcc
	s_cbranch_execz .LBB65_452
; %bb.451:                              ;   in Loop: Header=BB65_443 Depth=1
	v_mul_lo_u32 v16, v11, s45
	v_mov_b32_e32 v17, v5
	v_lshlrev_b64 v[16:17], 1, v[16:17]
	v_mul_lo_u32 v18, v11, s46
	v_mov_b32_e32 v11, s42
	v_add_co_u32_e32 v16, vcc, s41, v16
	v_addc_co_u32_e32 v17, vcc, v11, v17, vcc
	v_mov_b32_e32 v19, v5
	global_store_short v[16:17], v3, off
	v_lshlrev_b64 v[16:17], 3, v[18:19]
	v_mov_b32_e32 v3, s44
	v_add_co_u32_e32 v16, vcc, s43, v16
	s_mov_b64 s[22:23], exec
	v_mov_b32_e32 v11, v5
	v_addc_co_u32_e32 v17, vcc, v3, v17, vcc
	global_store_dwordx2 v[16:17], v[10:11], off
.LBB65_452:                             ;   in Loop: Header=BB65_443 Depth=1
	s_or_b64 exec, exec, s[24:25]
	s_mov_b64 s[24:25], -1
	s_orn2_b64 s[26:27], s[22:23], exec
.LBB65_453:                             ;   in Loop: Header=BB65_443 Depth=1
	s_or_b64 exec, exec, s[20:21]
	s_and_saveexec_b64 s[20:21], s[26:27]
	s_cbranch_execz .LBB65_442
; %bb.454:                              ;   in Loop: Header=BB65_443 Depth=1
	v_cmp_le_u32_e32 vcc, s40, v12
	v_add_u32_e32 v4, s76, v4
	s_andn2_b64 s[24:25], s[24:25], exec
	s_orn2_b64 s[4:5], vcc, exec
	s_branch .LBB65_442
.LBB65_455:
	s_or_b64 exec, exec, s[8:9]
	s_mov_b64 s[4:5], exec
	s_orn2_b64 s[18:19], s[18:19], exec
	s_or_b64 exec, exec, s[6:7]
	s_and_saveexec_b64 s[8:9], s[18:19]
	s_cbranch_execz .LBB65_432
.LBB65_456:
	s_waitcnt vmcnt(0)
	v_mov_b32_e32 v3, 0
	v_mov_b32_e32 v1, 0
	s_waitcnt lgkmcnt(0)
	s_barrier
	s_mov_b64 s[2:3], exec
	v_readlane_b32 s6, v52, 27
	v_readlane_b32 s7, v52, 28
	s_and_b64 s[6:7], s[2:3], s[6:7]
	s_mov_b64 exec, s[6:7]
	s_cbranch_execz .LBB65_458
; %bb.457:
	global_load_ushort v1, v[8:9], off
.LBB65_458:
	s_or_b64 exec, exec, s[2:3]
	s_mov_b64 s[18:19], 0
                                        ; implicit-def: $sgpr6_sgpr7
                                        ; implicit-def: $sgpr20_sgpr21
                                        ; implicit-def: $sgpr22_sgpr23
                                        ; implicit-def: $vgpr4
	s_branch .LBB65_461
.LBB65_459:                             ;   in Loop: Header=BB65_461 Depth=1
	s_or_b64 exec, exec, s[28:29]
	s_andn2_b64 s[2:3], s[22:23], exec
	s_and_b64 s[22:23], s[34:35], exec
	s_or_b64 s[22:23], s[2:3], s[22:23]
	s_andn2_b64 s[2:3], s[20:21], exec
	s_and_b64 s[20:21], s[26:27], exec
	s_or_b64 s[20:21], s[2:3], s[20:21]
	v_mov_b32_e32 v0, v5
.LBB65_460:                             ;   in Loop: Header=BB65_461 Depth=1
	s_or_b64 exec, exec, s[24:25]
	s_xor_b64 s[2:3], s[22:23], -1
	s_and_b64 s[24:25], exec, s[20:21]
	s_or_b64 s[18:19], s[24:25], s[18:19]
	s_andn2_b64 s[6:7], s[6:7], exec
	s_and_b64 s[2:3], s[2:3], exec
	s_or_b64 s[6:7], s[6:7], s[2:3]
	s_andn2_b64 exec, exec, s[18:19]
	s_cbranch_execz .LBB65_476
.LBB65_461:                             ; =>This Inner Loop Header: Depth=1
	v_cmp_gt_u32_e32 vcc, s40, v0
	s_or_b64 s[22:23], s[22:23], exec
	s_or_b64 s[20:21], s[20:21], exec
	s_and_saveexec_b64 s[24:25], vcc
	s_cbranch_execz .LBB65_460
; %bb.462:                              ;   in Loop: Header=BB65_461 Depth=1
	v_add_u32_e32 v5, s66, v0
	v_cmp_gt_u32_e32 vcc, s60, v5
	v_mov_b32_e32 v8, 0
	s_and_saveexec_b64 s[2:3], vcc
	s_cbranch_execz .LBB65_464
; %bb.463:                              ;   in Loop: Header=BB65_461 Depth=1
	v_lshlrev_b64 v[8:9], 1, v[2:3]
	v_mov_b32_e32 v10, s64
	v_add_co_u32_e32 v8, vcc, s33, v8
	v_addc_co_u32_e32 v9, vcc, v10, v9, vcc
	global_load_ushort v8, v[8:9], off
.LBB65_464:                             ;   in Loop: Header=BB65_461 Depth=1
	s_or_b64 exec, exec, s[2:3]
	v_cmp_gt_u32_e32 vcc, s60, v0
	s_waitcnt vmcnt(0)
	v_cmp_eq_u16_e64 s[2:3], v1, v35
	s_and_b64 s[28:29], vcc, s[2:3]
	v_cndmask_b32_e64 v9, 0, 1, s[28:29]
	v_cmp_ne_u32_e32 vcc, 0, v9
	s_cmp_lg_u64 vcc, 0
	s_cselect_b64 s[2:3], -1, 0
	s_and_b64 s[2:3], s[0:1], s[2:3]
	s_and_saveexec_b64 s[26:27], s[2:3]
	s_cbranch_execz .LBB65_468
; %bb.465:                              ;   in Loop: Header=BB65_461 Depth=1
	s_mov_b64 s[34:35], exec
	v_mbcnt_lo_u32_b32 v4, s34, 0
	v_mbcnt_hi_u32_b32 v4, s35, v4
	s_bcnt1_i32_b64 s36, vcc
	v_cmp_eq_u32_e64 s[2:3], 0, v4
                                        ; implicit-def: $vgpr9
	s_and_saveexec_b64 s[30:31], s[2:3]
	s_cbranch_execz .LBB65_467
; %bb.466:                              ;   in Loop: Header=BB65_461 Depth=1
	s_bcnt1_i32_b64 s2, s[34:35]
	s_mul_i32 s2, s36, s2
	v_mov_b32_e32 v9, s2
	ds_add_rtn_u32 v9, v3, v9 offset:4108
.LBB65_467:                             ;   in Loop: Header=BB65_461 Depth=1
	s_or_b64 exec, exec, s[30:31]
	s_waitcnt lgkmcnt(0)
	v_readfirstlane_b32 s2, v9
	v_mov_b32_e32 v9, s2
	v_mad_u32_u24 v4, s36, v4, v9
.LBB65_468:                             ;   in Loop: Header=BB65_461 Depth=1
	s_or_b64 exec, exec, s[26:27]
	ds_bpermute_b32 v4, v13, v4
	s_cmp_eq_u64 vcc, 0
	s_cselect_b64 s[30:31], -1, 0
	s_mov_b64 s[26:27], -1
	s_mov_b64 s[34:35], -1
	s_waitcnt lgkmcnt(0)
	v_cmp_gt_u32_e64 s[2:3], s61, v4
	s_or_b64 s[2:3], s[30:31], s[2:3]
	v_cndmask_b32_e64 v1, v1, v8, s[2:3]
	s_and_b64 s[36:37], s[28:29], s[2:3]
	s_mov_b64 s[30:31], -1
	s_and_saveexec_b64 s[28:29], s[36:37]
	s_cbranch_execz .LBB65_474
; %bb.469:                              ;   in Loop: Header=BB65_461 Depth=1
	v_and_b32_e32 v9, vcc_lo, v6
	v_and_b32_e32 v1, vcc_hi, v7
	v_bcnt_u32_b32 v9, v9, 0
	v_bcnt_u32_b32 v1, v1, v9
	v_sub_u32_e32 v9, s61, v4
	v_cmp_le_u32_e64 s[30:31], v9, v1
	v_cmp_gt_u32_e32 vcc, v9, v1
	s_mov_b64 s[36:37], -1
	s_and_saveexec_b64 s[34:35], vcc
	s_cbranch_execz .LBB65_473
; %bb.470:                              ;   in Loop: Header=BB65_461 Depth=1
	v_add_u32_e32 v1, v4, v1
	v_cmp_gt_u32_e32 vcc, s61, v1
	s_mov_b64 s[38:39], s[30:31]
	s_and_saveexec_b64 s[36:37], vcc
	s_cbranch_execz .LBB65_472
; %bb.471:                              ;   in Loop: Header=BB65_461 Depth=1
	v_mul_lo_u32 v10, v1, s45
	v_mov_b32_e32 v11, v3
	v_lshlrev_b64 v[10:11], 1, v[10:11]
	v_mul_lo_u32 v14, v1, s46
	v_mov_b32_e32 v1, s42
	v_add_co_u32_e32 v10, vcc, s41, v10
	v_addc_co_u32_e32 v11, vcc, v1, v11, vcc
	v_mov_b32_e32 v15, v3
	global_store_short v[10:11], v35, off
	v_lshlrev_b64 v[10:11], 3, v[14:15]
	v_mov_b32_e32 v9, s44
	v_add_co_u32_e32 v10, vcc, s43, v10
	v_mov_b32_e32 v1, v3
	v_addc_co_u32_e32 v11, vcc, v9, v11, vcc
	s_or_b64 s[38:39], s[30:31], exec
	global_store_dwordx2 v[10:11], v[0:1], off
.LBB65_472:                             ;   in Loop: Header=BB65_461 Depth=1
	s_or_b64 exec, exec, s[36:37]
	s_andn2_b64 s[30:31], s[30:31], exec
	s_and_b64 s[38:39], s[38:39], exec
	s_xor_b64 s[36:37], exec, -1
	s_or_b64 s[30:31], s[30:31], s[38:39]
.LBB65_473:                             ;   in Loop: Header=BB65_461 Depth=1
	s_or_b64 exec, exec, s[34:35]
	s_orn2_b64 s[34:35], s[36:37], exec
	s_or_b64 s[2:3], s[2:3], exec
	s_orn2_b64 s[30:31], s[30:31], exec
	v_mov_b32_e32 v1, v8
.LBB65_474:                             ;   in Loop: Header=BB65_461 Depth=1
	s_or_b64 exec, exec, s[28:29]
	s_and_saveexec_b64 s[28:29], s[30:31]
	s_cbranch_execz .LBB65_459
; %bb.475:                              ;   in Loop: Header=BB65_461 Depth=1
	s_xor_b64 s[2:3], s[2:3], -1
	v_add_u32_e32 v2, s76, v2
	s_or_b64 s[34:35], s[34:35], exec
	s_orn2_b64 s[26:27], s[2:3], exec
	s_branch .LBB65_459
.LBB65_476:
	s_or_b64 exec, exec, s[18:19]
	s_mov_b64 s[0:1], 0
	s_and_saveexec_b64 s[2:3], s[6:7]
	s_xor_b64 s[2:3], exec, s[2:3]
	s_cbranch_execnz .LBB65_482
.LBB65_477:
	s_or_b64 exec, exec, s[2:3]
	s_and_b64 s[2:3], s[0:1], exec
	s_andn2_b64 s[4:5], s[4:5], exec
	s_or_b64 exec, exec, s[8:9]
	s_and_saveexec_b64 s[0:1], s[4:5]
	s_xor_b64 s[0:1], exec, s[0:1]
	s_cbranch_execz .LBB65_433
.LBB65_478:
	s_or_b64 s[2:3], s[2:3], exec
	s_trap 2
	s_branch .LBB65_433
.LBB65_479:
	s_or_b64 s[8:9], s[8:9], exec
	s_trap 2
	s_branch .LBB65_439
.LBB65_480:
	s_or_b64 s[8:9], s[8:9], exec
	s_trap 2
	s_branch .LBB65_437
.LBB65_481:
	s_trap 2
	s_or_b64 s[8:9], s[8:9], exec
	s_branch .LBB65_435
.LBB65_482:
	s_mov_b64 s[0:1], exec
	s_trap 2
	s_branch .LBB65_477
	.section	.rodata,"a",@progbits
	.p2align	6, 0x0
	.amdhsa_kernel _ZN2at6native6sbtopk10gatherTopKIsjLin1ELb0EEEvNS_4cuda6detail10TensorInfoIKT_T0_EES8_S8_bS8_S8_NS5_IS6_S8_EES8_NS5_IlS8_EES8_PS6_
		.amdhsa_group_segment_fixed_size 4112
		.amdhsa_private_segment_fixed_size 0
		.amdhsa_kernarg_size 952
		.amdhsa_user_sgpr_count 6
		.amdhsa_user_sgpr_private_segment_buffer 1
		.amdhsa_user_sgpr_dispatch_ptr 0
		.amdhsa_user_sgpr_queue_ptr 0
		.amdhsa_user_sgpr_kernarg_segment_ptr 1
		.amdhsa_user_sgpr_dispatch_id 0
		.amdhsa_user_sgpr_flat_scratch_init 0
		.amdhsa_user_sgpr_kernarg_preload_length 0
		.amdhsa_user_sgpr_kernarg_preload_offset 0
		.amdhsa_user_sgpr_private_segment_size 0
		.amdhsa_uses_dynamic_stack 0
		.amdhsa_system_sgpr_private_segment_wavefront_offset 0
		.amdhsa_system_sgpr_workgroup_id_x 1
		.amdhsa_system_sgpr_workgroup_id_y 1
		.amdhsa_system_sgpr_workgroup_id_z 1
		.amdhsa_system_sgpr_workgroup_info 0
		.amdhsa_system_vgpr_workitem_id 0
		.amdhsa_next_free_vgpr 53
		.amdhsa_next_free_sgpr 96
		.amdhsa_accum_offset 56
		.amdhsa_reserve_vcc 1
		.amdhsa_reserve_flat_scratch 0
		.amdhsa_float_round_mode_32 0
		.amdhsa_float_round_mode_16_64 0
		.amdhsa_float_denorm_mode_32 3
		.amdhsa_float_denorm_mode_16_64 3
		.amdhsa_dx10_clamp 1
		.amdhsa_ieee_mode 1
		.amdhsa_fp16_overflow 0
		.amdhsa_tg_split 0
		.amdhsa_exception_fp_ieee_invalid_op 0
		.amdhsa_exception_fp_denorm_src 0
		.amdhsa_exception_fp_ieee_div_zero 0
		.amdhsa_exception_fp_ieee_overflow 0
		.amdhsa_exception_fp_ieee_underflow 0
		.amdhsa_exception_fp_ieee_inexact 0
		.amdhsa_exception_int_div_zero 0
	.end_amdhsa_kernel
	.section	.text._ZN2at6native6sbtopk10gatherTopKIsjLin1ELb0EEEvNS_4cuda6detail10TensorInfoIKT_T0_EES8_S8_bS8_S8_NS5_IS6_S8_EES8_NS5_IlS8_EES8_PS6_,"axG",@progbits,_ZN2at6native6sbtopk10gatherTopKIsjLin1ELb0EEEvNS_4cuda6detail10TensorInfoIKT_T0_EES8_S8_bS8_S8_NS5_IS6_S8_EES8_NS5_IlS8_EES8_PS6_,comdat
.Lfunc_end65:
	.size	_ZN2at6native6sbtopk10gatherTopKIsjLin1ELb0EEEvNS_4cuda6detail10TensorInfoIKT_T0_EES8_S8_bS8_S8_NS5_IS6_S8_EES8_NS5_IlS8_EES8_PS6_, .Lfunc_end65-_ZN2at6native6sbtopk10gatherTopKIsjLin1ELb0EEEvNS_4cuda6detail10TensorInfoIKT_T0_EES8_S8_bS8_S8_NS5_IS6_S8_EES8_NS5_IlS8_EES8_PS6_
                                        ; -- End function
	.section	.AMDGPU.csdata,"",@progbits
; Kernel info:
; codeLenInByte = 16368
; NumSgprs: 100
; NumVgprs: 53
; NumAgprs: 0
; TotalNumVgprs: 53
; ScratchSize: 0
; MemoryBound: 0
; FloatMode: 240
; IeeeMode: 1
; LDSByteSize: 4112 bytes/workgroup (compile time only)
; SGPRBlocks: 12
; VGPRBlocks: 6
; NumSGPRsForWavesPerEU: 100
; NumVGPRsForWavesPerEU: 53
; AccumOffset: 56
; Occupancy: 8
; WaveLimiterHint : 1
; COMPUTE_PGM_RSRC2:SCRATCH_EN: 0
; COMPUTE_PGM_RSRC2:USER_SGPR: 6
; COMPUTE_PGM_RSRC2:TRAP_HANDLER: 0
; COMPUTE_PGM_RSRC2:TGID_X_EN: 1
; COMPUTE_PGM_RSRC2:TGID_Y_EN: 1
; COMPUTE_PGM_RSRC2:TGID_Z_EN: 1
; COMPUTE_PGM_RSRC2:TIDIG_COMP_CNT: 0
; COMPUTE_PGM_RSRC3_GFX90A:ACCUM_OFFSET: 13
; COMPUTE_PGM_RSRC3_GFX90A:TG_SPLIT: 0
	.section	.text._ZN2at6native6mbtopk23computeBlockDigitCountsIdjmLi1EEEvNS_4cuda6detail10TensorInfoIKT_T0_EEjPjjS8_iijT1_PSB_Ps,"axG",@progbits,_ZN2at6native6mbtopk23computeBlockDigitCountsIdjmLi1EEEvNS_4cuda6detail10TensorInfoIKT_T0_EEjPjjS8_iijT1_PSB_Ps,comdat
	.protected	_ZN2at6native6mbtopk23computeBlockDigitCountsIdjmLi1EEEvNS_4cuda6detail10TensorInfoIKT_T0_EEjPjjS8_iijT1_PSB_Ps ; -- Begin function _ZN2at6native6mbtopk23computeBlockDigitCountsIdjmLi1EEEvNS_4cuda6detail10TensorInfoIKT_T0_EEjPjjS8_iijT1_PSB_Ps
	.globl	_ZN2at6native6mbtopk23computeBlockDigitCountsIdjmLi1EEEvNS_4cuda6detail10TensorInfoIKT_T0_EEjPjjS8_iijT1_PSB_Ps
	.p2align	8
	.type	_ZN2at6native6mbtopk23computeBlockDigitCountsIdjmLi1EEEvNS_4cuda6detail10TensorInfoIKT_T0_EEjPjjS8_iijT1_PSB_Ps,@function
_ZN2at6native6mbtopk23computeBlockDigitCountsIdjmLi1EEEvNS_4cuda6detail10TensorInfoIKT_T0_EEjPjjS8_iijT1_PSB_Ps: ; @_ZN2at6native6mbtopk23computeBlockDigitCountsIdjmLi1EEEvNS_4cuda6detail10TensorInfoIKT_T0_EEjPjjS8_iijT1_PSB_Ps
; %bb.0:
	s_load_dword s17, s[4:5], 0xf8
	s_load_dwordx4 s[12:15], s[4:5], 0xe8
	s_load_dwordx2 s[0:1], s[4:5], 0x118
	s_waitcnt lgkmcnt(0)
	v_cvt_f32_u32_e32 v1, s17
	s_sub_i32 s2, 0, s17
	s_mul_i32 s1, s1, s8
	s_add_i32 s1, s1, s7
	v_rcp_iflag_f32_e32 v1, v1
	s_mul_i32 s16, s1, s0
	s_add_i32 s16, s16, s6
	v_mul_f32_e32 v1, 0x4f7ffffe, v1
	v_cvt_u32_f32_e32 v1, v1
	v_readfirstlane_b32 s0, v1
	s_mul_i32 s2, s2, s0
	s_mul_hi_u32 s1, s0, s2
	s_add_i32 s0, s0, s1
	s_mul_hi_u32 s0, s16, s0
	s_mul_i32 s1, s0, s17
	s_sub_i32 s1, s16, s1
	s_add_i32 s2, s0, 1
	s_sub_i32 s3, s1, s17
	s_cmp_ge_u32 s1, s17
	s_cselect_b32 s0, s2, s0
	s_cselect_b32 s1, s3, s1
	s_add_i32 s2, s0, 1
	s_cmp_ge_u32 s1, s17
	s_cselect_b32 s0, s2, s0
	s_cmp_ge_u32 s0, s12
	s_mov_b32 s1, 0
	s_cbranch_scc1 .LBB66_23
; %bb.1:
	s_load_dwordx4 s[8:11], s[4:5], 0x100
	s_load_dwordx2 s[2:3], s[4:5], 0x110
	s_lshl_b64 s[6:7], s[0:1], 3
	s_movk_i32 s1, 0x100
	v_cmp_gt_u32_e32 vcc, s1, v0
	s_waitcnt lgkmcnt(0)
	s_add_u32 s10, s10, s6
	s_addc_u32 s11, s11, s7
	v_lshlrev_b32_e32 v1, 2, v0
	s_and_saveexec_b64 s[6:7], vcc
	s_cbranch_execz .LBB66_3
; %bb.2:
	v_mov_b32_e32 v2, 0
	ds_write_b32 v1, v2
.LBB66_3:
	s_or_b64 exec, exec, s[6:7]
	s_load_dword s12, s[4:5], 0xd8
	s_mul_i32 s1, s0, s17
	s_sub_i32 s1, s16, s1
	s_add_i32 s6, s1, 1
	s_mul_i32 s1, s15, s1
	s_lshl_b32 s18, s1, 8
	s_waitcnt lgkmcnt(0)
	s_sub_i32 s1, s12, s18
	s_add_u32 s1, s1, 0xff
	s_addc_u32 s7, 0, 0
	v_mov_b32_e32 v2, s1
	v_alignbit_b32 v2, s7, v2, 8
	s_cmp_lt_u32 s6, s17
	v_readfirstlane_b32 s1, v2
	s_cselect_b32 s15, s15, s1
	s_cmp_lt_i32 s15, 1
	s_mov_b32 s1, 0
	s_barrier
	s_cbranch_scc1 .LBB66_19
; %bb.4:
	s_load_dword s17, s[4:5], 0x6c
	s_load_dwordx2 s[20:21], s[4:5], 0x0
	s_load_dwordx2 s[6:7], s[10:11], 0x0
	v_add_u32_e32 v6, s18, v0
	s_waitcnt lgkmcnt(0)
	s_mul_i32 s0, s17, s0
	s_lshl_b64 s[4:5], s[0:1], 3
	s_add_u32 s11, s20, s4
	s_addc_u32 s17, s21, s5
	s_and_b32 s10, s14, 0xff
	s_cmp_eq_u32 s15, 1
	s_cbranch_scc1 .LBB66_14
; %bb.5:
	v_add_u32_e32 v2, 0x100, v6
	s_and_b32 s14, s15, 0x7ffffffe
	v_mul_lo_u32 v7, s13, v2
	s_lshl_b32 s18, s13, 9
	v_mul_lo_u32 v8, s13, v6
	s_mov_b32 s19, 0
	v_mov_b32_e32 v3, 0
	v_mov_b32_e32 v9, 1
	;; [unrolled: 1-line block ×4, first 2 shown]
	s_mov_b32 s20, 0
	s_branch .LBB66_7
.LBB66_6:                               ;   in Loop: Header=BB66_7 Depth=1
	s_or_b64 exec, exec, s[4:5]
	s_add_i32 s20, s20, 2
	s_add_i32 s19, s19, s18
	s_cmp_eq_u32 s14, s20
	v_add_u32_e32 v11, 0x200, v11
	s_cbranch_scc1 .LBB66_13
.LBB66_7:                               ; =>This Inner Loop Header: Depth=1
	v_cmp_gt_u32_e64 s[0:1], s12, v11
	s_and_saveexec_b64 s[4:5], s[0:1]
	s_cbranch_execz .LBB66_10
; %bb.8:                                ;   in Loop: Header=BB66_7 Depth=1
	v_add_u32_e32 v2, s19, v8
	v_lshlrev_b64 v[4:5], 3, v[2:3]
	v_mov_b32_e32 v2, s17
	v_add_co_u32_e64 v4, s[0:1], s11, v4
	v_addc_co_u32_e64 v5, s[0:1], v2, v5, s[0:1]
	global_load_dwordx2 v[4:5], v[4:5], off
	s_waitcnt vmcnt(0)
	v_ashrrev_i32_e32 v2, 31, v5
	v_or_b32_e32 v12, 0x80000000, v2
	v_xor_b32_e32 v2, v2, v4
	v_xor_b32_e32 v12, v12, v5
	v_cmp_o_f64_e64 s[0:1], v[4:5], v[4:5]
	v_cndmask_b32_e64 v5, -1, v12, s[0:1]
	v_cndmask_b32_e64 v4, -1, v2, s[0:1]
	v_xor_b32_e32 v2, s7, v5
	v_xor_b32_e32 v12, s6, v4
	v_and_b32_e32 v13, s9, v2
	v_and_b32_e32 v12, s8, v12
	v_cmp_eq_u64_e64 s[0:1], 0, v[12:13]
	s_and_b64 exec, exec, s[0:1]
	s_cbranch_execz .LBB66_10
; %bb.9:                                ;   in Loop: Header=BB66_7 Depth=1
	v_lshrrev_b64 v[4:5], s10, v[4:5]
	v_lshlrev_b32_sdwa v2, v10, v4 dst_sel:DWORD dst_unused:UNUSED_PAD src0_sel:DWORD src1_sel:BYTE_0
	ds_add_u32 v2, v9
.LBB66_10:                              ;   in Loop: Header=BB66_7 Depth=1
	s_or_b64 exec, exec, s[4:5]
	v_add_u32_e32 v2, 0x100, v11
	v_cmp_gt_u32_e64 s[0:1], s12, v2
	s_and_saveexec_b64 s[4:5], s[0:1]
	s_cbranch_execz .LBB66_6
; %bb.11:                               ;   in Loop: Header=BB66_7 Depth=1
	v_add_u32_e32 v2, s19, v7
	v_lshlrev_b64 v[4:5], 3, v[2:3]
	v_mov_b32_e32 v2, s17
	v_add_co_u32_e64 v4, s[0:1], s11, v4
	v_addc_co_u32_e64 v5, s[0:1], v2, v5, s[0:1]
	global_load_dwordx2 v[4:5], v[4:5], off
	s_waitcnt vmcnt(0)
	v_ashrrev_i32_e32 v2, 31, v5
	v_or_b32_e32 v12, 0x80000000, v2
	v_xor_b32_e32 v2, v2, v4
	v_xor_b32_e32 v12, v12, v5
	v_cmp_o_f64_e64 s[0:1], v[4:5], v[4:5]
	v_cndmask_b32_e64 v5, -1, v12, s[0:1]
	v_cndmask_b32_e64 v4, -1, v2, s[0:1]
	v_xor_b32_e32 v2, s7, v5
	v_xor_b32_e32 v12, s6, v4
	v_and_b32_e32 v13, s9, v2
	v_and_b32_e32 v12, s8, v12
	v_cmp_eq_u64_e64 s[0:1], 0, v[12:13]
	s_and_b64 exec, exec, s[0:1]
	s_cbranch_execz .LBB66_6
; %bb.12:                               ;   in Loop: Header=BB66_7 Depth=1
	v_lshrrev_b64 v[4:5], s10, v[4:5]
	v_lshlrev_b32_sdwa v2, v10, v4 dst_sel:DWORD dst_unused:UNUSED_PAD src0_sel:DWORD src1_sel:BYTE_0
	ds_add_u32 v2, v9
	s_branch .LBB66_6
.LBB66_13:
	s_lshl_b32 s1, s14, 8
.LBB66_14:
	s_bitcmp0_b32 s15, 0
	s_cbranch_scc1 .LBB66_19
; %bb.15:
	v_add_u32_e32 v2, s1, v6
	v_cmp_gt_u32_e64 s[0:1], s12, v2
	s_and_saveexec_b64 s[4:5], s[0:1]
	s_cbranch_execz .LBB66_18
; %bb.16:
	v_mul_lo_u32 v2, v2, s13
	v_mov_b32_e32 v3, 0
	v_lshlrev_b64 v[2:3], 3, v[2:3]
	v_mov_b32_e32 v4, s17
	v_add_co_u32_e64 v2, s[0:1], s11, v2
	v_addc_co_u32_e64 v3, s[0:1], v4, v3, s[0:1]
	global_load_dwordx2 v[2:3], v[2:3], off
	s_waitcnt vmcnt(0)
	v_ashrrev_i32_e32 v4, 31, v3
	v_or_b32_e32 v5, 0x80000000, v4
	v_xor_b32_e32 v4, v4, v2
	v_xor_b32_e32 v5, v5, v3
	v_cmp_o_f64_e64 s[0:1], v[2:3], v[2:3]
	v_cndmask_b32_e64 v3, -1, v5, s[0:1]
	v_cndmask_b32_e64 v2, -1, v4, s[0:1]
	v_xor_b32_e32 v4, s7, v3
	v_xor_b32_e32 v6, s6, v2
	v_and_b32_e32 v5, s9, v4
	v_and_b32_e32 v4, s8, v6
	v_cmp_eq_u64_e64 s[0:1], 0, v[4:5]
	s_and_b64 exec, exec, s[0:1]
	s_cbranch_execz .LBB66_18
; %bb.17:
	v_lshrrev_b64 v[2:3], s10, v[2:3]
	v_mov_b32_e32 v3, 2
	v_lshlrev_b32_sdwa v2, v3, v2 dst_sel:DWORD dst_unused:UNUSED_PAD src0_sel:DWORD src1_sel:BYTE_0
	v_mov_b32_e32 v3, 1
	ds_add_u32 v2, v3
.LBB66_18:
	s_or_b64 exec, exec, s[4:5]
.LBB66_19:
	v_mov_b32_e32 v2, 0
	s_waitcnt lgkmcnt(0)
	s_barrier
	s_and_saveexec_b64 s[0:1], vcc
	s_cbranch_execz .LBB66_21
; %bb.20:
	ds_read_b32 v2, v1
.LBB66_21:
	s_or_b64 exec, exec, s[0:1]
	s_and_saveexec_b64 s[0:1], vcc
	s_cbranch_execz .LBB66_23
; %bb.22:
	v_lshl_or_b32 v0, s16, 8, v0
	v_mov_b32_e32 v1, 0
	v_lshlrev_b64 v[0:1], 1, v[0:1]
	v_mov_b32_e32 v3, s3
	v_add_co_u32_e32 v0, vcc, s2, v0
	v_addc_co_u32_e32 v1, vcc, v3, v1, vcc
	s_waitcnt lgkmcnt(0)
	global_store_short v[0:1], v2, off
.LBB66_23:
	s_endpgm
	.section	.rodata,"a",@progbits
	.p2align	6, 0x0
	.amdhsa_kernel _ZN2at6native6mbtopk23computeBlockDigitCountsIdjmLi1EEEvNS_4cuda6detail10TensorInfoIKT_T0_EEjPjjS8_iijT1_PSB_Ps
		.amdhsa_group_segment_fixed_size 1024
		.amdhsa_private_segment_fixed_size 0
		.amdhsa_kernarg_size 536
		.amdhsa_user_sgpr_count 6
		.amdhsa_user_sgpr_private_segment_buffer 1
		.amdhsa_user_sgpr_dispatch_ptr 0
		.amdhsa_user_sgpr_queue_ptr 0
		.amdhsa_user_sgpr_kernarg_segment_ptr 1
		.amdhsa_user_sgpr_dispatch_id 0
		.amdhsa_user_sgpr_flat_scratch_init 0
		.amdhsa_user_sgpr_kernarg_preload_length 0
		.amdhsa_user_sgpr_kernarg_preload_offset 0
		.amdhsa_user_sgpr_private_segment_size 0
		.amdhsa_uses_dynamic_stack 0
		.amdhsa_system_sgpr_private_segment_wavefront_offset 0
		.amdhsa_system_sgpr_workgroup_id_x 1
		.amdhsa_system_sgpr_workgroup_id_y 1
		.amdhsa_system_sgpr_workgroup_id_z 1
		.amdhsa_system_sgpr_workgroup_info 0
		.amdhsa_system_vgpr_workitem_id 0
		.amdhsa_next_free_vgpr 14
		.amdhsa_next_free_sgpr 22
		.amdhsa_accum_offset 16
		.amdhsa_reserve_vcc 1
		.amdhsa_reserve_flat_scratch 0
		.amdhsa_float_round_mode_32 0
		.amdhsa_float_round_mode_16_64 0
		.amdhsa_float_denorm_mode_32 3
		.amdhsa_float_denorm_mode_16_64 3
		.amdhsa_dx10_clamp 1
		.amdhsa_ieee_mode 1
		.amdhsa_fp16_overflow 0
		.amdhsa_tg_split 0
		.amdhsa_exception_fp_ieee_invalid_op 0
		.amdhsa_exception_fp_denorm_src 0
		.amdhsa_exception_fp_ieee_div_zero 0
		.amdhsa_exception_fp_ieee_overflow 0
		.amdhsa_exception_fp_ieee_underflow 0
		.amdhsa_exception_fp_ieee_inexact 0
		.amdhsa_exception_int_div_zero 0
	.end_amdhsa_kernel
	.section	.text._ZN2at6native6mbtopk23computeBlockDigitCountsIdjmLi1EEEvNS_4cuda6detail10TensorInfoIKT_T0_EEjPjjS8_iijT1_PSB_Ps,"axG",@progbits,_ZN2at6native6mbtopk23computeBlockDigitCountsIdjmLi1EEEvNS_4cuda6detail10TensorInfoIKT_T0_EEjPjjS8_iijT1_PSB_Ps,comdat
.Lfunc_end66:
	.size	_ZN2at6native6mbtopk23computeBlockDigitCountsIdjmLi1EEEvNS_4cuda6detail10TensorInfoIKT_T0_EEjPjjS8_iijT1_PSB_Ps, .Lfunc_end66-_ZN2at6native6mbtopk23computeBlockDigitCountsIdjmLi1EEEvNS_4cuda6detail10TensorInfoIKT_T0_EEjPjjS8_iijT1_PSB_Ps
                                        ; -- End function
	.section	.AMDGPU.csdata,"",@progbits
; Kernel info:
; codeLenInByte = 1072
; NumSgprs: 26
; NumVgprs: 14
; NumAgprs: 0
; TotalNumVgprs: 14
; ScratchSize: 0
; MemoryBound: 0
; FloatMode: 240
; IeeeMode: 1
; LDSByteSize: 1024 bytes/workgroup (compile time only)
; SGPRBlocks: 3
; VGPRBlocks: 1
; NumSGPRsForWavesPerEU: 26
; NumVGPRsForWavesPerEU: 14
; AccumOffset: 16
; Occupancy: 8
; WaveLimiterHint : 1
; COMPUTE_PGM_RSRC2:SCRATCH_EN: 0
; COMPUTE_PGM_RSRC2:USER_SGPR: 6
; COMPUTE_PGM_RSRC2:TRAP_HANDLER: 0
; COMPUTE_PGM_RSRC2:TGID_X_EN: 1
; COMPUTE_PGM_RSRC2:TGID_Y_EN: 1
; COMPUTE_PGM_RSRC2:TGID_Z_EN: 1
; COMPUTE_PGM_RSRC2:TIDIG_COMP_CNT: 0
; COMPUTE_PGM_RSRC3_GFX90A:ACCUM_OFFSET: 3
; COMPUTE_PGM_RSRC3_GFX90A:TG_SPLIT: 0
	.section	.text._ZN2at6native6mbtopk29computeBlockwiseWithinKCountsImdEEvPT_PsPjjibS6_PT0_S6_S4_S6_j,"axG",@progbits,_ZN2at6native6mbtopk29computeBlockwiseWithinKCountsImdEEvPT_PsPjjibS6_PT0_S6_S4_S6_j,comdat
	.protected	_ZN2at6native6mbtopk29computeBlockwiseWithinKCountsImdEEvPT_PsPjjibS6_PT0_S6_S4_S6_j ; -- Begin function _ZN2at6native6mbtopk29computeBlockwiseWithinKCountsImdEEvPT_PsPjjibS6_PT0_S6_S4_S6_j
	.globl	_ZN2at6native6mbtopk29computeBlockwiseWithinKCountsImdEEvPT_PsPjjibS6_PT0_S6_S4_S6_j
	.p2align	8
	.type	_ZN2at6native6mbtopk29computeBlockwiseWithinKCountsImdEEvPT_PsPjjibS6_PT0_S6_S4_S6_j,@function
_ZN2at6native6mbtopk29computeBlockwiseWithinKCountsImdEEvPT_PsPjjibS6_PT0_S6_S4_S6_j: ; @_ZN2at6native6mbtopk29computeBlockwiseWithinKCountsImdEEvPT_PsPjjibS6_PT0_S6_S4_S6_j
; %bb.0:
	s_load_dwordx4 s[16:19], s[4:5], 0x18
	s_load_dword s2, s[4:5], 0x50
	s_load_dwordx2 s[0:1], s[4:5], 0x58
	s_waitcnt lgkmcnt(0)
	v_cvt_f32_u32_e32 v1, s16
	s_mul_i32 s1, s1, s8
	s_add_i32 s1, s1, s7
	v_rcp_iflag_f32_e32 v1, v1
	s_mul_i32 s0, s1, s0
	s_add_i32 s6, s0, s6
	s_cmp_ge_u32 s6, s2
	v_mul_f32_e32 v1, 0x4f7ffffe, v1
	v_cvt_u32_f32_e32 v1, v1
	v_readfirstlane_b32 s0, v1
	s_cbranch_scc1 .LBB67_49
; %bb.1:
	s_sub_i32 s1, 0, s16
	s_mul_i32 s1, s1, s0
	s_mul_hi_u32 s1, s0, s1
	s_add_i32 s0, s0, s1
	s_mul_hi_u32 s2, s6, s0
	s_mul_i32 s3, s2, s16
	s_sub_i32 s3, s6, s3
	s_add_i32 s8, s2, 1
	s_sub_i32 s9, s3, s16
	s_cmp_ge_u32 s3, s16
	s_load_dwordx4 s[20:23], s[4:5], 0x0
	s_load_dwordx2 s[0:1], s[4:5], 0x10
	s_cselect_b32 s2, s8, s2
	s_cselect_b32 s3, s9, s3
	s_add_i32 s8, s2, 1
	s_mov_b32 s7, 0
	s_cmp_ge_u32 s3, s16
	s_cselect_b32 s26, s8, s2
	s_mov_b32 s27, s7
	s_lshl_b64 s[24:25], s[26:27], 2
	s_waitcnt lgkmcnt(0)
	s_add_u32 s0, s0, s24
	s_addc_u32 s1, s1, s25
	s_load_dword s19, s[0:1], 0x0
	s_movk_i32 s0, 0x100
	v_cmp_gt_u32_e64 s[0:1], s0, v0
	s_and_saveexec_b64 s[2:3], s[0:1]
	s_cbranch_execz .LBB67_17
; %bb.2:
	s_mul_i32 s8, s26, s16
	s_lshl_b32 s8, s8, 8
	s_mov_b32 s9, s7
	s_lshl_b64 s[12:13], s[8:9], 1
	s_add_u32 s8, s22, s12
	s_addc_u32 s9, s23, s13
	v_lshlrev_b32_e32 v4, 1, v0
	v_mov_b32_e32 v3, s9
	v_add_co_u32_e32 v2, vcc, s8, v4
	v_mov_b32_e32 v1, 0
	s_cmp_lt_u32 s16, 4
	v_addc_co_u32_e32 v3, vcc, 0, v3, vcc
	s_cbranch_scc1 .LBB67_7
; %bb.3:
	s_add_i32 s8, s16, -4
	s_mov_b32 s14, 0
	s_cmp_gt_u32 s8, 3
	v_mov_b32_e32 v1, 0
	s_cbranch_scc0 .LBB67_8
; %bb.4:
	s_lshr_b32 s8, s8, 2
	s_add_i32 s8, s8, 1
	s_and_b32 s10, s8, 0x7ffffffe
	s_add_u32 s12, s22, s12
	s_addc_u32 s13, s23, s13
	v_mov_b32_e32 v5, s13
	v_add_co_u32_e32 v4, vcc, s12, v4
	s_mov_b32 s9, 0
	v_addc_co_u32_e32 v5, vcc, 0, v5, vcc
	s_mov_b32 s11, s9
	v_add_co_u32_e32 v4, vcc, 0xe00, v4
	v_mov_b32_e32 v1, 0
	v_addc_co_u32_e32 v5, vcc, 0, v5, vcc
	s_mov_b64 s[12:13], s[10:11]
	v_mov_b32_e32 v6, 0
.LBB67_5:                               ; =>This Inner Loop Header: Depth=1
	global_load_sshort v7, v[4:5], off offset:-3584
	global_load_sshort v8, v[4:5], off offset:-3072
	;; [unrolled: 1-line block ×6, first 2 shown]
	global_load_sshort v13, v[4:5], off
	global_load_sshort v14, v[4:5], off offset:-2048
	s_add_u32 s12, s12, -2
	v_add_co_u32_e32 v4, vcc, 0x1000, v4
	s_addc_u32 s13, s13, -1
	v_addc_co_u32_e32 v5, vcc, 0, v5, vcc
	s_cmp_lg_u64 s[12:13], 0
	s_waitcnt vmcnt(6)
	v_add3_u32 v1, v1, v7, v8
	s_waitcnt vmcnt(3)
	v_add3_u32 v6, v6, v10, v11
	;; [unrolled: 2-line block ×4, first 2 shown]
	s_cbranch_scc1 .LBB67_5
; %bb.6:
	s_lshl_b64 s[12:13], s[10:11], 11
	s_lshl_b32 s14, s10, 2
	v_mov_b32_e32 v4, s13
	v_add_co_u32_e32 v2, vcc, s12, v2
	s_cmp_lg_u64 s[10:11], s[8:9]
	v_addc_co_u32_e32 v3, vcc, v3, v4, vcc
	v_add_u32_e32 v1, v1, v6
	s_cselect_b64 s[8:9], -1, 0
	s_and_b64 vcc, exec, s[8:9]
	s_cbranch_vccnz .LBB67_9
	s_branch .LBB67_10
.LBB67_7:
	s_mov_b32 s14, s7
	s_branch .LBB67_10
.LBB67_8:
	s_cbranch_execz .LBB67_10
.LBB67_9:                               ; =>This Inner Loop Header: Depth=1
	global_load_sshort v4, v[2:3], off
	global_load_sshort v5, v[2:3], off offset:512
	global_load_sshort v6, v[2:3], off offset:1024
	;; [unrolled: 1-line block ×3, first 2 shown]
	s_mov_b32 s8, s14
	v_add_co_u32_e32 v2, vcc, 0x800, v2
	s_add_i32 s14, s14, 4
	s_add_i32 s8, s8, 7
	v_addc_co_u32_e32 v3, vcc, 0, v3, vcc
	s_cmp_ge_u32 s8, s16
	s_waitcnt vmcnt(2)
	v_add3_u32 v1, v1, v4, v5
	s_waitcnt vmcnt(0)
	v_add3_u32 v1, v1, v6, v7
	s_cbranch_scc0 .LBB67_9
.LBB67_10:
	s_cmp_ge_u32 s14, s16
	s_cbranch_scc1 .LBB67_16
; %bb.11:
	s_not_b32 s8, s14
	s_add_i32 s8, s8, s16
	s_cmp_lg_u32 s8, 0
	s_cbranch_scc0 .LBB67_50
; %bb.12:
	s_add_u32 s8, s8, 1
	s_addc_u32 s9, 0, 0
	s_and_b32 s10, s8, -2
	s_mov_b32 s11, s9
	v_add_co_u32_e32 v4, vcc, 0x200, v2
	v_addc_co_u32_e32 v5, vcc, 0, v3, vcc
	v_mov_b32_e32 v6, 0
	s_mov_b64 s[12:13], s[10:11]
.LBB67_13:                              ; =>This Inner Loop Header: Depth=1
	global_load_sshort v7, v[4:5], off
	global_load_sshort v8, v[4:5], off offset:-512
	s_add_u32 s12, s12, -2
	v_add_co_u32_e32 v4, vcc, 0x400, v4
	s_addc_u32 s13, s13, -1
	v_addc_co_u32_e32 v5, vcc, 0, v5, vcc
	s_cmp_lg_u64 s[12:13], 0
	s_waitcnt vmcnt(1)
	v_add_u32_e32 v6, v6, v7
	s_waitcnt vmcnt(0)
	v_add_u32_e32 v1, v1, v8
	s_cbranch_scc1 .LBB67_13
; %bb.14:
	s_lshl_b64 s[12:13], s[10:11], 9
	s_add_i32 s14, s14, s10
	v_mov_b32_e32 v4, s13
	v_add_co_u32_e32 v2, vcc, s12, v2
	s_cmp_lg_u64 s[8:9], s[10:11]
	v_addc_co_u32_e32 v3, vcc, v3, v4, vcc
	v_add_u32_e32 v1, v1, v6
	s_cselect_b64 s[8:9], -1, 0
	s_and_b64 vcc, exec, s[8:9]
	s_cbranch_vccz .LBB67_16
.LBB67_15:                              ; =>This Inner Loop Header: Depth=1
	global_load_sshort v4, v[2:3], off
	v_add_co_u32_e32 v2, vcc, 0x200, v2
	s_add_i32 s14, s14, 1
	v_addc_co_u32_e32 v3, vcc, 0, v3, vcc
	s_cmp_lt_u32 s14, s16
	s_waitcnt vmcnt(0)
	v_add_u32_e32 v1, v1, v4
	s_cbranch_scc1 .LBB67_15
.LBB67_16:
	v_lshlrev_b32_e32 v2, 2, v0
	ds_write_b32 v2, v1 offset:1056
.LBB67_17:
	s_or_b64 exec, exec, s[2:3]
	v_mov_b32_e32 v2, 0
	s_waitcnt lgkmcnt(0)
	s_barrier
	s_and_saveexec_b64 s[2:3], s[0:1]
	s_cbranch_execz .LBB67_19
; %bb.18:
	v_lshlrev_b32_e32 v1, 2, v0
	ds_read_b32 v2, v1 offset:1056
.LBB67_19:
	s_or_b64 exec, exec, s[2:3]
	v_lshrrev_b32_e32 v1, 5, v0
	v_add_lshl_u32 v1, v1, v0, 2
	v_cmp_gt_u32_e64 s[2:3], 64, v0
	v_mbcnt_lo_u32_b32 v4, -1, 0
	s_waitcnt lgkmcnt(0)
	ds_write_b32 v1, v2
	s_waitcnt lgkmcnt(0)
	s_barrier
	s_and_saveexec_b64 s[8:9], s[2:3]
	s_cbranch_execz .LBB67_21
; %bb.20:
	v_lshlrev_b32_e32 v3, 2, v0
	v_lshrrev_b32_e32 v5, 3, v0
	v_add_lshl_u32 v5, v5, v3, 2
	ds_read2_b32 v[6:7], v5 offset1:1
	ds_read2_b32 v[8:9], v5 offset0:2 offset1:3
	v_mbcnt_hi_u32_b32 v3, -1, v4
	v_and_b32_e32 v10, 15, v3
	v_cmp_ne_u32_e32 vcc, 0, v10
	s_waitcnt lgkmcnt(1)
	v_add_u32_e32 v7, v7, v6
	s_waitcnt lgkmcnt(0)
	v_add3_u32 v7, v7, v8, v9
	v_bfe_i32 v9, v3, 4, 1
	s_nop 0
	v_mov_b32_dpp v8, v7 row_shr:1 row_mask:0xf bank_mask:0xf
	v_cndmask_b32_e32 v8, 0, v8, vcc
	v_add_u32_e32 v7, v8, v7
	v_cmp_lt_u32_e32 vcc, 1, v10
	; wave barrier
	s_nop 0
	v_mov_b32_dpp v8, v7 row_shr:2 row_mask:0xf bank_mask:0xf
	v_cndmask_b32_e32 v8, 0, v8, vcc
	v_add_u32_e32 v7, v7, v8
	v_cmp_lt_u32_e32 vcc, 3, v10
	s_nop 0
	v_mov_b32_dpp v8, v7 row_shr:4 row_mask:0xf bank_mask:0xf
	v_cndmask_b32_e32 v8, 0, v8, vcc
	v_add_u32_e32 v7, v7, v8
	v_cmp_lt_u32_e32 vcc, 7, v10
	;; [unrolled: 5-line block ×3, first 2 shown]
	s_nop 0
	v_mov_b32_dpp v8, v7 row_bcast:15 row_mask:0xf bank_mask:0xf
	v_and_b32_e32 v8, v9, v8
	v_add_u32_e32 v7, v7, v8
	v_and_b32_e32 v9, 64, v3
	s_nop 0
	v_mov_b32_dpp v8, v7 row_bcast:31 row_mask:0xf bank_mask:0xf
	v_cndmask_b32_e32 v8, 0, v8, vcc
	v_add_u32_e32 v7, v7, v8
	v_add_u32_e32 v8, -1, v3
	v_cmp_lt_i32_e32 vcc, v8, v9
	v_cndmask_b32_e32 v3, v8, v3, vcc
	v_lshlrev_b32_e32 v3, 2, v3
	ds_bpermute_b32 v3, v3, v7
	v_cmp_eq_u32_e32 vcc, 0, v0
	s_waitcnt lgkmcnt(0)
	v_add_u32_e32 v3, v3, v6
	v_cndmask_b32_e32 v6, v3, v2, vcc
	ds_write_b32 v5, v6
	; wave barrier
	ds_read2_b32 v[2:3], v5 offset0:1 offset1:2
	ds_read_b32 v7, v5 offset:12
	s_waitcnt lgkmcnt(1)
	v_add_u32_e32 v2, v2, v6
	v_add_u32_e32 v3, v3, v2
	ds_write2_b32 v5, v2, v3 offset0:1 offset1:2
	s_waitcnt lgkmcnt(1)
	v_add_u32_e32 v2, v7, v3
	ds_write_b32 v5, v2 offset:12
.LBB67_21:
	s_or_b64 exec, exec, s[8:9]
	s_waitcnt lgkmcnt(0)
	s_barrier
	ds_read_b32 v1, v1
	s_waitcnt lgkmcnt(0)
	s_barrier
	s_and_saveexec_b64 s[8:9], s[0:1]
	s_cbranch_execz .LBB67_23
; %bb.22:
	v_lshlrev_b32_e32 v2, 2, v0
	ds_write_b32 v2, v1 offset:1056
.LBB67_23:
	s_or_b64 exec, exec, s[8:9]
	s_load_dwordx8 s[8:15], s[4:5], 0x28
	s_load_dwordx2 s[28:29], s[4:5], 0x48
	s_waitcnt lgkmcnt(0)
	s_barrier
	s_and_saveexec_b64 s[4:5], s[0:1]
	s_cbranch_execz .LBB67_32
; %bb.24:
	v_cmp_ne_u32_e32 vcc, 0, v0
	v_mov_b32_e32 v5, 0
	s_and_saveexec_b64 s[0:1], vcc
	s_cbranch_execz .LBB67_26
; %bb.25:
	v_lshlrev_b32_e32 v2, 2, v0
	ds_read_b32 v5, v2 offset:1052
.LBB67_26:
	s_or_b64 exec, exec, s[0:1]
	s_waitcnt lgkmcnt(0)
	v_cmp_gt_u32_e32 vcc, s19, v5
	v_cmp_le_u32_e64 s[0:1], s19, v1
	s_and_b64 s[0:1], vcc, s[0:1]
	s_and_b64 exec, exec, s[0:1]
	s_cbranch_execz .LBB67_32
; %bb.27:
	s_lshl_b64 s[0:1], s[26:27], 3
	s_add_u32 s20, s20, s0
	s_addc_u32 s21, s21, s1
	v_mov_b32_e32 v1, 0
	global_load_dwordx2 v[2:3], v1, s[20:21]
	s_lshl_b64 s[20:21], 0xff, s17
	v_not_b32_e32 v8, s20
	v_not_b32_e32 v9, s21
	s_mul_i32 s16, s26, s16
	v_lshlrev_b64 v[6:7], s17, v[0:1]
	s_cmp_lg_u32 s6, s16
	s_waitcnt vmcnt(0)
	v_and_b32_e32 v2, v2, v8
	v_and_b32_e32 v3, v3, v9
	v_or_b32_e32 v3, v3, v7
	v_or_b32_e32 v2, v2, v6
	ds_write_b64 v1, v[2:3] offset:2096
	s_cbranch_scc1 .LBB67_32
; %bb.28:
	s_add_u32 s14, s14, s0
	s_addc_u32 s15, s15, s1
	global_store_dwordx2 v1, v[2:3], s[14:15]
	s_cmp_lt_i32 s17, 1
	s_mov_b64 s[14:15], -1
	s_cbranch_scc0 .LBB67_30
; %bb.29:
	v_lshrrev_b32_e32 v1, 31, v3
	v_add_co_u32_e32 v1, vcc, -1, v1
	v_addc_co_u32_e64 v7, s[14:15], 0, -1, vcc
	v_or_b32_e32 v7, 0x80000000, v7
	s_add_u32 s0, s10, s0
	v_mov_b32_e32 v6, 0
	v_xor_b32_e32 v3, v7, v3
	v_xor_b32_e32 v2, v1, v2
	s_addc_u32 s1, s11, s1
	global_store_dwordx2 v6, v[2:3], s[0:1]
	s_mov_b64 s[14:15], 0
.LBB67_30:
	s_andn2_b64 vcc, exec, s[14:15]
	s_cbranch_vccnz .LBB67_32
; %bb.31:
	s_add_u32 s0, s12, s24
	v_sub_u32_e32 v1, s19, v5
	s_addc_u32 s1, s13, s25
	v_mov_b32_e32 v2, 0
	global_store_dword v2, v1, s[0:1]
.LBB67_32:
	s_or_b64 exec, exec, s[4:5]
	v_mov_b32_e32 v1, 0
	s_waitcnt lgkmcnt(0)
	s_barrier
	ds_read_b64 v[2:3], v1 offset:2096
	s_bitcmp0_b32 s18, 0
	s_waitcnt lgkmcnt(0)
	v_lshrrev_b64 v[2:3], s17, v[2:3]
	v_and_b32_e32 v2, 0xff, v2
	v_mov_b32_e32 v3, 0
	s_cbranch_scc0 .LBB67_34
; %bb.33:
	v_and_b32_e32 v6, 0xc0, v0
	v_mov_b32_e32 v7, v1
	v_cmp_gt_u64_e32 vcc, v[2:3], v[6:7]
	v_cmp_gt_u64_e64 s[0:1], v[2:3], v[0:1]
	s_and_b64 s[10:11], vcc, exec
	s_and_b64 s[4:5], s[0:1], exec
	s_cbranch_execz .LBB67_35
	s_branch .LBB67_36
.LBB67_34:
                                        ; implicit-def: $sgpr4_sgpr5
                                        ; implicit-def: $sgpr10_sgpr11
.LBB67_35:
	v_or_b32_e32 v6, 63, v0
	v_mov_b32_e32 v7, 0
	v_cmp_lt_u64_e64 s[0:1], v[2:3], v[0:1]
	v_cmp_lt_u64_e32 vcc, v[2:3], v[6:7]
	s_andn2_b64 s[4:5], s[4:5], exec
	s_and_b64 s[0:1], s[0:1], exec
	s_or_b64 s[4:5], s[4:5], s[0:1]
	s_andn2_b64 s[0:1], s[10:11], exec
	s_and_b64 s[10:11], vcc, exec
	s_or_b64 s[10:11], s[0:1], s[10:11]
.LBB67_36:
	v_mov_b32_e32 v1, 0
	s_and_saveexec_b64 s[0:1], s[10:11]
	s_cbranch_execz .LBB67_40
; %bb.37:
	v_mov_b32_e32 v1, 0
	s_and_saveexec_b64 s[10:11], s[4:5]
	s_cbranch_execz .LBB67_39
; %bb.38:
	s_lshl_b32 s4, s6, 8
	s_mov_b32 s5, 0
	s_lshl_b64 s[4:5], s[4:5], 1
	s_add_u32 s4, s22, s4
	s_addc_u32 s5, s23, s5
	v_lshlrev_b32_e32 v1, 1, v0
	global_load_sshort v1, v1, s[4:5]
.LBB67_39:
	s_or_b64 exec, exec, s[10:11]
	v_mbcnt_hi_u32_b32 v2, -1, v4
	v_and_b32_e32 v3, 63, v2
	v_cmp_gt_u32_e32 vcc, 32, v3
	v_cndmask_b32_e64 v5, 0, 1, vcc
	v_lshlrev_b32_e32 v5, 5, v5
	v_add_lshl_u32 v5, v5, v2, 2
	s_waitcnt vmcnt(0)
	ds_bpermute_b32 v5, v5, v1
	v_cmp_gt_u32_e32 vcc, 48, v3
	v_cndmask_b32_e64 v6, 0, 1, vcc
	v_lshlrev_b32_e32 v6, 4, v6
	v_cmp_gt_u32_e32 vcc, 56, v3
	s_waitcnt lgkmcnt(0)
	v_add_u32_e32 v1, v5, v1
	v_add_lshl_u32 v5, v6, v2, 2
	ds_bpermute_b32 v5, v5, v1
	v_cndmask_b32_e64 v6, 0, 1, vcc
	v_lshlrev_b32_e32 v6, 3, v6
	v_cmp_gt_u32_e32 vcc, 60, v3
	s_waitcnt lgkmcnt(0)
	v_add_u32_e32 v1, v5, v1
	v_add_lshl_u32 v5, v6, v2, 2
	ds_bpermute_b32 v5, v5, v1
	;; [unrolled: 7-line block ×3, first 2 shown]
	v_cndmask_b32_e64 v6, 0, 1, vcc
	v_lshlrev_b32_e32 v6, 1, v6
	v_cmp_ne_u32_e32 vcc, 63, v3
	s_waitcnt lgkmcnt(0)
	v_add_u32_e32 v1, v5, v1
	v_add_lshl_u32 v5, v6, v2, 2
	ds_bpermute_b32 v5, v5, v1
	v_addc_co_u32_e32 v2, vcc, 0, v2, vcc
	v_lshlrev_b32_e32 v2, 2, v2
	s_waitcnt lgkmcnt(0)
	v_add_u32_e32 v1, v5, v1
	ds_bpermute_b32 v2, v2, v1
	s_waitcnt lgkmcnt(0)
	v_add_u32_e32 v1, v2, v1
.LBB67_40:
	s_or_b64 exec, exec, s[0:1]
	v_and_b32_e32 v2, 63, v0
	v_cmp_eq_u32_e32 vcc, 0, v2
	s_and_saveexec_b64 s[0:1], vcc
	s_cbranch_execz .LBB67_42
; %bb.41:
	v_lshrrev_b32_e32 v2, 4, v0
	v_and_b32_e32 v2, 12, v2
	ds_write_b32 v2, v1 offset:2080
.LBB67_42:
	s_or_b64 exec, exec, s[0:1]
	s_waitcnt lgkmcnt(0)
	s_barrier
	s_and_saveexec_b64 s[0:1], s[2:3]
	s_cbranch_execz .LBB67_49
; %bb.43:
	v_cmp_gt_u32_e32 vcc, 4, v0
	v_mov_b32_e32 v1, 0
	s_and_saveexec_b64 s[0:1], vcc
	s_cbranch_execz .LBB67_45
; %bb.44:
	v_lshlrev_b32_e32 v1, 2, v0
	ds_read_b32 v1, v1 offset:2080
.LBB67_45:
	s_or_b64 exec, exec, s[0:1]
	v_mbcnt_hi_u32_b32 v2, -1, v4
	v_and_b32_e32 v3, 63, v2
	v_cmp_gt_u32_e32 vcc, 62, v3
	v_cndmask_b32_e64 v4, 0, 1, vcc
	v_lshlrev_b32_e32 v4, 1, v4
	v_add_lshl_u32 v4, v4, v2, 2
	s_waitcnt lgkmcnt(0)
	ds_bpermute_b32 v4, v4, v1
	v_cmp_ne_u32_e32 vcc, 63, v3
	v_addc_co_u32_e32 v2, vcc, 0, v2, vcc
	v_lshlrev_b32_e32 v2, 2, v2
	s_waitcnt lgkmcnt(0)
	v_add_u32_e32 v1, v4, v1
	ds_bpermute_b32 v2, v2, v1
	v_cmp_eq_u32_e32 vcc, 0, v0
	s_and_saveexec_b64 s[0:1], vcc
	s_cbranch_execz .LBB67_47
; %bb.46:
	s_lshl_b64 s[2:3], s[6:7], 2
	s_add_u32 s2, s8, s2
	s_addc_u32 s3, s9, s3
	v_mov_b32_e32 v3, 0
	global_load_dword v4, v3, s[2:3]
	s_waitcnt vmcnt(0) lgkmcnt(0)
	v_add3_u32 v1, v2, v1, v4
	global_store_dword v3, v1, s[2:3]
.LBB67_47:
	s_or_b64 exec, exec, s[0:1]
	v_or_b32_e32 v0, s17, v0
	v_cmp_eq_u32_e32 vcc, 0, v0
	s_and_b64 exec, exec, vcc
	s_cbranch_execz .LBB67_49
; %bb.48:
	v_mov_b32_e32 v0, 0
	ds_read_b32 v1, v0 offset:2096
	s_lshl_b32 s0, s6, 8
	s_mov_b32 s1, 0
	s_lshl_b64 s[0:1], s[0:1], 1
	s_add_u32 s0, s22, s0
	s_waitcnt lgkmcnt(1)
	v_mov_b32_e32 v2, 1
	s_addc_u32 s1, s23, s1
	s_waitcnt lgkmcnt(0)
	v_lshlrev_b32_sdwa v1, v2, v1 dst_sel:DWORD dst_unused:UNUSED_PAD src0_sel:DWORD src1_sel:BYTE_0
	global_load_sshort v1, v1, s[0:1]
	s_lshl_b64 s[0:1], s[6:7], 2
	s_add_u32 s0, s28, s0
	s_addc_u32 s1, s29, s1
	s_waitcnt vmcnt(0)
	global_store_dword v0, v1, s[0:1]
.LBB67_49:
	s_endpgm
.LBB67_50:
	s_cbranch_execnz .LBB67_15
	s_branch .LBB67_16
	.section	.rodata,"a",@progbits
	.p2align	6, 0x0
	.amdhsa_kernel _ZN2at6native6mbtopk29computeBlockwiseWithinKCountsImdEEvPT_PsPjjibS6_PT0_S6_S4_S6_j
		.amdhsa_group_segment_fixed_size 2104
		.amdhsa_private_segment_fixed_size 0
		.amdhsa_kernarg_size 344
		.amdhsa_user_sgpr_count 6
		.amdhsa_user_sgpr_private_segment_buffer 1
		.amdhsa_user_sgpr_dispatch_ptr 0
		.amdhsa_user_sgpr_queue_ptr 0
		.amdhsa_user_sgpr_kernarg_segment_ptr 1
		.amdhsa_user_sgpr_dispatch_id 0
		.amdhsa_user_sgpr_flat_scratch_init 0
		.amdhsa_user_sgpr_kernarg_preload_length 0
		.amdhsa_user_sgpr_kernarg_preload_offset 0
		.amdhsa_user_sgpr_private_segment_size 0
		.amdhsa_uses_dynamic_stack 0
		.amdhsa_system_sgpr_private_segment_wavefront_offset 0
		.amdhsa_system_sgpr_workgroup_id_x 1
		.amdhsa_system_sgpr_workgroup_id_y 1
		.amdhsa_system_sgpr_workgroup_id_z 1
		.amdhsa_system_sgpr_workgroup_info 0
		.amdhsa_system_vgpr_workitem_id 0
		.amdhsa_next_free_vgpr 15
		.amdhsa_next_free_sgpr 30
		.amdhsa_accum_offset 16
		.amdhsa_reserve_vcc 1
		.amdhsa_reserve_flat_scratch 0
		.amdhsa_float_round_mode_32 0
		.amdhsa_float_round_mode_16_64 0
		.amdhsa_float_denorm_mode_32 3
		.amdhsa_float_denorm_mode_16_64 3
		.amdhsa_dx10_clamp 1
		.amdhsa_ieee_mode 1
		.amdhsa_fp16_overflow 0
		.amdhsa_tg_split 0
		.amdhsa_exception_fp_ieee_invalid_op 0
		.amdhsa_exception_fp_denorm_src 0
		.amdhsa_exception_fp_ieee_div_zero 0
		.amdhsa_exception_fp_ieee_overflow 0
		.amdhsa_exception_fp_ieee_underflow 0
		.amdhsa_exception_fp_ieee_inexact 0
		.amdhsa_exception_int_div_zero 0
	.end_amdhsa_kernel
	.section	.text._ZN2at6native6mbtopk29computeBlockwiseWithinKCountsImdEEvPT_PsPjjibS6_PT0_S6_S4_S6_j,"axG",@progbits,_ZN2at6native6mbtopk29computeBlockwiseWithinKCountsImdEEvPT_PsPjjibS6_PT0_S6_S4_S6_j,comdat
.Lfunc_end67:
	.size	_ZN2at6native6mbtopk29computeBlockwiseWithinKCountsImdEEvPT_PsPjjibS6_PT0_S6_S4_S6_j, .Lfunc_end67-_ZN2at6native6mbtopk29computeBlockwiseWithinKCountsImdEEvPT_PsPjjibS6_PT0_S6_S4_S6_j
                                        ; -- End function
	.section	.AMDGPU.csdata,"",@progbits
; Kernel info:
; codeLenInByte = 2380
; NumSgprs: 34
; NumVgprs: 15
; NumAgprs: 0
; TotalNumVgprs: 15
; ScratchSize: 0
; MemoryBound: 0
; FloatMode: 240
; IeeeMode: 1
; LDSByteSize: 2104 bytes/workgroup (compile time only)
; SGPRBlocks: 4
; VGPRBlocks: 1
; NumSGPRsForWavesPerEU: 34
; NumVGPRsForWavesPerEU: 15
; AccumOffset: 16
; Occupancy: 8
; WaveLimiterHint : 1
; COMPUTE_PGM_RSRC2:SCRATCH_EN: 0
; COMPUTE_PGM_RSRC2:USER_SGPR: 6
; COMPUTE_PGM_RSRC2:TRAP_HANDLER: 0
; COMPUTE_PGM_RSRC2:TGID_X_EN: 1
; COMPUTE_PGM_RSRC2:TGID_Y_EN: 1
; COMPUTE_PGM_RSRC2:TGID_Z_EN: 1
; COMPUTE_PGM_RSRC2:TIDIG_COMP_CNT: 0
; COMPUTE_PGM_RSRC3_GFX90A:ACCUM_OFFSET: 3
; COMPUTE_PGM_RSRC3_GFX90A:TG_SPLIT: 0
	.section	.text._ZN2at6native6mbtopk10gatherTopKIdjLi1EEEvNS_4cuda6detail10TensorInfoIKT_T0_EES8_S8_bjS8_NS5_IS6_S8_EES8_NS5_IlS8_EES8_jjPS6_PjSD_j,"axG",@progbits,_ZN2at6native6mbtopk10gatherTopKIdjLi1EEEvNS_4cuda6detail10TensorInfoIKT_T0_EES8_S8_bjS8_NS5_IS6_S8_EES8_NS5_IlS8_EES8_jjPS6_PjSD_j,comdat
	.protected	_ZN2at6native6mbtopk10gatherTopKIdjLi1EEEvNS_4cuda6detail10TensorInfoIKT_T0_EES8_S8_bjS8_NS5_IS6_S8_EES8_NS5_IlS8_EES8_jjPS6_PjSD_j ; -- Begin function _ZN2at6native6mbtopk10gatherTopKIdjLi1EEEvNS_4cuda6detail10TensorInfoIKT_T0_EES8_S8_bjS8_NS5_IS6_S8_EES8_NS5_IlS8_EES8_jjPS6_PjSD_j
	.globl	_ZN2at6native6mbtopk10gatherTopKIdjLi1EEEvNS_4cuda6detail10TensorInfoIKT_T0_EES8_S8_bjS8_NS5_IS6_S8_EES8_NS5_IlS8_EES8_jjPS6_PjSD_j
	.p2align	8
	.type	_ZN2at6native6mbtopk10gatherTopKIdjLi1EEEvNS_4cuda6detail10TensorInfoIKT_T0_EES8_S8_bjS8_NS5_IS6_S8_EES8_NS5_IlS8_EES8_jjPS6_PjSD_j,@function
_ZN2at6native6mbtopk10gatherTopKIdjLi1EEEvNS_4cuda6detail10TensorInfoIKT_T0_EES8_S8_bjS8_NS5_IS6_S8_EES8_NS5_IlS8_EES8_jjPS6_PjSD_j: ; @_ZN2at6native6mbtopk10gatherTopKIdjLi1EEEvNS_4cuda6detail10TensorInfoIKT_T0_EES8_S8_bjS8_NS5_IS6_S8_EES8_NS5_IlS8_EES8_jjPS6_PjSD_j
; %bb.0:
	s_load_dwordx2 s[0:1], s[4:5], 0x2d8
	s_load_dword s2, s[4:5], 0x2d0
	s_waitcnt lgkmcnt(0)
	s_mul_i32 s1, s1, s8
	s_add_i32 s1, s1, s7
	s_mul_i32 s0, s1, s0
	s_add_i32 s0, s0, s6
	s_cmp_ge_u32 s0, s2
	s_cbranch_scc1 .LBB68_40
; %bb.1:
	s_load_dwordx8 s[8:15], s[4:5], 0x2a8
	s_mov_b32 s25, 0
	s_load_dwordx2 s[6:7], s[4:5], 0x1d0
	s_load_dwordx2 s[20:21], s[4:5], 0xf0
	;; [unrolled: 1-line block ×3, first 2 shown]
	s_waitcnt lgkmcnt(0)
	v_cvt_f32_u32_e32 v1, s10
	s_sub_i32 s1, 0, s10
	v_rcp_iflag_f32_e32 v1, v1
	v_mul_f32_e32 v1, 0x4f7ffffe, v1
	v_cvt_u32_f32_e32 v1, v1
	v_readfirstlane_b32 s2, v1
	s_mul_i32 s1, s1, s2
	s_mul_hi_u32 s1, s2, s1
	s_add_i32 s2, s2, s1
	s_mul_hi_u32 s1, s0, s2
	s_mul_i32 s2, s1, s10
	s_sub_i32 s2, s0, s2
	s_add_i32 s3, s1, 1
	s_sub_i32 s11, s2, s10
	s_cmp_ge_u32 s2, s10
	s_cselect_b32 s1, s3, s1
	s_cselect_b32 s2, s11, s2
	s_add_i32 s3, s1, 1
	s_cmp_ge_u32 s2, s10
	s_cselect_b32 s24, s3, s1
	s_mul_i32 s16, s24, s10
	s_sub_i32 s11, s0, s16
	s_lshl_b64 s[0:1], s[24:25], 3
	s_add_u32 s0, s12, s0
	s_addc_u32 s1, s13, s1
	s_load_dwordx2 s[26:27], s[0:1], 0x0
	v_cmp_ne_u32_e64 s[0:1], 0, v0
	v_cmp_eq_u32_e64 s[2:3], 0, v0
	s_and_saveexec_b64 s[12:13], s[2:3]
	s_cbranch_execz .LBB68_17
; %bb.2:
	s_load_dwordx2 s[28:29], s[4:5], 0x2c8
	s_mov_b32 s17, s25
	s_lshl_b64 s[30:31], s[16:17], 2
	s_add_u32 s16, s14, s30
	s_addc_u32 s17, s15, s31
	s_waitcnt lgkmcnt(0)
	s_add_u32 s18, s28, s30
	s_addc_u32 s19, s29, s31
	s_cmp_lt_u32 s10, 4
	s_cbranch_scc1 .LBB68_14
; %bb.3:
	s_mov_b32 s33, s25
	s_mov_b32 s36, s25
	;; [unrolled: 1-line block ×3, first 2 shown]
.LBB68_4:                               ; =>This Inner Loop Header: Depth=1
	s_add_u32 s16, s14, s30
	s_addc_u32 s17, s15, s31
	s_load_dwordx4 s[16:19], s[16:17], 0x0
	s_add_u32 s34, s28, s30
	s_addc_u32 s35, s29, s31
	s_cmp_ge_u32 s37, s11
	s_cbranch_scc0 .LBB68_11
; %bb.5:                                ;   in Loop: Header=BB68_4 Depth=1
	s_add_i32 s38, s37, 1
	s_cmp_ge_u32 s38, s11
	s_cbranch_scc0 .LBB68_12
.LBB68_6:                               ;   in Loop: Header=BB68_4 Depth=1
	s_add_i32 s38, s38, 1
	s_cmp_ge_u32 s38, s11
	s_cbranch_scc0 .LBB68_13
.LBB68_7:                               ;   in Loop: Header=BB68_4 Depth=1
	s_add_i32 s38, s38, 1
	s_cmp_ge_u32 s38, s11
	s_cbranch_scc1 .LBB68_9
.LBB68_8:                               ;   in Loop: Header=BB68_4 Depth=1
	s_load_dword s34, s[34:35], 0xc
	s_waitcnt lgkmcnt(0)
	s_add_i32 s25, s25, s19
	s_add_i32 s33, s34, s33
.LBB68_9:                               ;   in Loop: Header=BB68_4 Depth=1
	s_waitcnt lgkmcnt(0)
	s_add_i32 s16, s16, s36
	s_add_i32 s16, s16, s17
	s_add_i32 s16, s16, s18
	s_add_i32 s36, s16, s19
	s_add_u32 s14, s14, 16
	s_addc_u32 s15, s15, 0
	s_add_u32 s28, s28, 16
	s_addc_u32 s29, s29, 0
	s_add_i32 s35, s38, 4
	s_add_u32 s18, s28, s30
	s_addc_u32 s19, s29, s31
	s_add_u32 s16, s14, s30
	s_addc_u32 s17, s15, s31
	s_add_i32 s34, s38, 1
	s_cmp_ge_u32 s35, s10
	s_cbranch_scc1 .LBB68_15
; %bb.10:                               ;   in Loop: Header=BB68_4 Depth=1
	s_mov_b32 s37, s34
	s_branch .LBB68_4
.LBB68_11:                              ;   in Loop: Header=BB68_4 Depth=1
	s_load_dword s38, s[34:35], 0x0
	s_waitcnt lgkmcnt(0)
	s_add_i32 s25, s16, s25
	s_add_i32 s33, s38, s33
	;; [unrolled: 1-line block ×3, first 2 shown]
	s_cmp_ge_u32 s38, s11
	s_cbranch_scc1 .LBB68_6
.LBB68_12:                              ;   in Loop: Header=BB68_4 Depth=1
	s_load_dword s39, s[34:35], 0x4
	s_waitcnt lgkmcnt(0)
	s_add_i32 s25, s25, s17
	s_add_i32 s33, s39, s33
	;; [unrolled: 1-line block ×3, first 2 shown]
	s_cmp_ge_u32 s38, s11
	s_cbranch_scc1 .LBB68_7
.LBB68_13:                              ;   in Loop: Header=BB68_4 Depth=1
	s_load_dword s39, s[34:35], 0x8
	s_waitcnt lgkmcnt(0)
	s_add_i32 s25, s25, s18
	s_add_i32 s33, s39, s33
	;; [unrolled: 1-line block ×3, first 2 shown]
	s_cmp_ge_u32 s38, s11
	s_cbranch_scc0 .LBB68_8
	s_branch .LBB68_9
.LBB68_14:
	s_mov_b32 s33, 0
	s_mov_b32 s36, 0
	;; [unrolled: 1-line block ×3, first 2 shown]
	s_cmp_ge_u32 s14, s10
	s_cbranch_scc0 .LBB68_38
	s_branch .LBB68_16
.LBB68_15:
	s_add_i32 s14, s37, 4
	s_cmp_ge_u32 s14, s10
	s_cbranch_scc0 .LBB68_38
.LBB68_16:
	v_mov_b32_e32 v2, s33
	v_mov_b32_e32 v3, s36
	;; [unrolled: 1-line block ×4, first 2 shown]
	ds_write_b96 v1, v[2:4] offset:1056
.LBB68_17:
	s_or_b64 exec, exec, s[12:13]
	s_load_dword s16, s[4:5], 0x23c
	s_load_dword s17, s[4:5], 0x15c
	;; [unrolled: 1-line block ×3, first 2 shown]
	s_load_dwordx4 s[12:15], s[4:5], 0xd8
	s_waitcnt lgkmcnt(0)
	s_mul_i32 s15, s9, s11
	s_lshl_b32 s15, s15, 8
	s_add_i32 s19, s11, 1
	s_mov_b32 s11, 0
	s_sub_i32 s25, s12, s15
	s_add_u32 s25, s25, 0xff
	s_addc_u32 s28, 0, 0
	v_mov_b32_e32 v1, s25
	v_alignbit_b32 v1, s28, v1, 8
	s_cmp_lt_u32 s19, s10
	v_readfirstlane_b32 s10, v1
	s_cselect_b32 s9, s9, s10
	s_cmp_eq_u32 s9, 0
	s_barrier
	s_cbranch_scc1 .LBB68_40
; %bb.18:
	s_mul_i32 s10, s24, s18
	s_mul_i32 s18, s24, s17
	;; [unrolled: 1-line block ×3, first 2 shown]
	s_lshl_b64 s[16:17], s[10:11], 3
	s_add_u32 s16, s22, s16
	s_mov_b32 s19, s11
	s_addc_u32 s17, s23, s17
	s_lshl_b64 s[18:19], s[18:19], 3
	v_mov_b32_e32 v1, 0
	s_add_u32 s18, s20, s18
	s_mov_b32 s25, s11
	ds_read_b96 v[2:4], v1 offset:1056
	s_addc_u32 s19, s21, s19
	s_lshl_b64 s[10:11], s[24:25], 3
	s_add_u32 s20, s6, s10
	s_addc_u32 s21, s7, s11
	s_ashr_i32 s6, s27, 31
	s_or_b32 s7, s6, 0x80000000
	v_cmp_o_f64_e64 s[10:11], s[26:27], s[26:27]
	s_xor_b64 s[6:7], s[6:7], s[26:27]
	s_waitcnt lgkmcnt(0)
	v_add_u32_e32 v5, v2, v3
	v_lshrrev_b32_e32 v2, 5, v0
	s_and_b64 s[10:11], s[10:11], exec
	v_add_lshl_u32 v8, v2, v0, 2
	v_lshlrev_b32_e32 v2, 2, v0
	v_lshrrev_b32_e32 v3, 3, v0
	s_cselect_b32 s11, s7, -1
	s_cselect_b32 s10, s6, -1
	s_bitcmp1_b32 s14, 0
	s_load_dword s14, s[4:5], 0xe8
	s_load_dword s22, s[4:5], 0x1c8
	v_add_lshl_u32 v9, v3, v2, 2
	v_add_u32_e32 v2, -1, v0
	v_lshrrev_b32_e32 v3, 5, v2
	v_add_lshl_u32 v10, v3, v2, 2
	v_mbcnt_lo_u32_b32 v3, -1, 0
	v_add_u32_e32 v2, s15, v0
	v_mbcnt_hi_u32_b32 v11, -1, v3
	s_cselect_b64 s[6:7], -1, 0
	v_cmp_gt_u32_e64 s[4:5], 64, v0
	s_waitcnt lgkmcnt(0)
	v_mul_lo_u32 v0, s14, v2
	s_lshl_b32 s23, s14, 8
	v_and_b32_e32 v12, 15, v11
	v_bfe_i32 v13, v11, 4, 1
	v_add_u32_e32 v14, -1, v11
	v_and_b32_e32 v15, 64, v11
                                        ; implicit-def: $vgpr6_vgpr7
	s_branch .LBB68_21
.LBB68_19:                              ;   in Loop: Header=BB68_21 Depth=1
	s_or_b64 exec, exec, s[14:15]
	v_add_u32_e32 v5, v18, v5
.LBB68_20:                              ;   in Loop: Header=BB68_21 Depth=1
	s_add_i32 s9, s9, -1
	v_add_u32_e32 v4, v17, v4
	v_add_u32_e32 v0, s23, v0
	s_cmp_lg_u32 s9, 0
	v_add_u32_e32 v2, 0x100, v2
	s_cbranch_scc0 .LBB68_40
.LBB68_21:                              ; =>This Inner Loop Header: Depth=1
	v_cmp_gt_u32_e32 vcc, s12, v2
	v_mov_b32_e32 v3, 0
	v_mov_b32_e32 v16, 0
	s_and_saveexec_b64 s[14:15], vcc
	s_cbranch_execz .LBB68_23
; %bb.22:                               ;   in Loop: Header=BB68_21 Depth=1
	v_lshlrev_b64 v[6:7], 3, v[0:1]
	v_mov_b32_e32 v3, s17
	v_add_co_u32_e32 v6, vcc, s16, v6
	v_addc_co_u32_e32 v7, vcc, v3, v7, vcc
	global_load_dwordx2 v[6:7], v[6:7], off
	s_waitcnt vmcnt(0)
	v_ashrrev_i32_e32 v3, 31, v7
	v_or_b32_e32 v16, 0x80000000, v3
	v_xor_b32_e32 v3, v3, v6
	v_xor_b32_e32 v16, v16, v7
	v_cmp_o_f64_e32 vcc, v[6:7], v[6:7]
	v_cndmask_b32_e32 v17, -1, v16, vcc
	v_cndmask_b32_e32 v16, -1, v3, vcc
	v_cmp_lt_u64_e32 vcc, s[10:11], v[16:17]
	v_cndmask_b32_e64 v3, 0, 1, vcc
	v_cmp_gt_u64_e32 vcc, s[10:11], v[16:17]
	v_cndmask_b32_e64 v18, 0, 1, vcc
	v_cndmask_b32_e64 v3, v18, v3, s[6:7]
	v_cmp_eq_u64_e32 vcc, s[10:11], v[16:17]
	v_and_b32_e32 v3, 1, v3
	v_cndmask_b32_e64 v16, 0, 1, vcc
.LBB68_23:                              ;   in Loop: Header=BB68_21 Depth=1
	s_or_b64 exec, exec, s[14:15]
	ds_write_b32 v8, v3
	s_waitcnt lgkmcnt(0)
	s_barrier
	s_and_saveexec_b64 s[14:15], s[4:5]
	s_cbranch_execz .LBB68_25
; %bb.24:                               ;   in Loop: Header=BB68_21 Depth=1
	ds_read2_b32 v[18:19], v9 offset1:1
	ds_read2_b32 v[20:21], v9 offset0:2 offset1:3
	v_cmp_ne_u32_e32 vcc, 0, v12
	; wave barrier
	s_waitcnt lgkmcnt(1)
	v_add_u32_e32 v17, v19, v18
	s_waitcnt lgkmcnt(0)
	v_add3_u32 v17, v17, v20, v21
	s_nop 1
	v_mov_b32_dpp v19, v17 row_shr:1 row_mask:0xf bank_mask:0xf
	v_cndmask_b32_e32 v19, 0, v19, vcc
	v_add_u32_e32 v17, v19, v17
	v_cmp_lt_u32_e32 vcc, 1, v12
	s_nop 0
	v_mov_b32_dpp v19, v17 row_shr:2 row_mask:0xf bank_mask:0xf
	v_cndmask_b32_e32 v19, 0, v19, vcc
	v_add_u32_e32 v17, v17, v19
	v_cmp_lt_u32_e32 vcc, 3, v12
	;; [unrolled: 5-line block ×4, first 2 shown]
	s_nop 0
	v_mov_b32_dpp v19, v17 row_bcast:15 row_mask:0xf bank_mask:0xf
	v_and_b32_e32 v19, v13, v19
	v_add_u32_e32 v17, v17, v19
	s_nop 1
	v_mov_b32_dpp v19, v17 row_bcast:31 row_mask:0xf bank_mask:0xf
	v_cndmask_b32_e32 v19, 0, v19, vcc
	v_cmp_lt_i32_e32 vcc, v14, v15
	v_add_u32_e32 v17, v17, v19
	v_cndmask_b32_e32 v19, v14, v11, vcc
	v_lshlrev_b32_e32 v19, 2, v19
	ds_bpermute_b32 v17, v19, v17
	s_waitcnt lgkmcnt(0)
	v_add_u32_e32 v17, v17, v18
	v_cndmask_b32_e64 v17, v17, v3, s[2:3]
	ds_write_b32 v9, v17
	; wave barrier
	ds_read2_b32 v[18:19], v9 offset0:1 offset1:2
	ds_read_b32 v20, v9 offset:12
	s_waitcnt lgkmcnt(1)
	v_add_u32_e32 v17, v18, v17
	v_add_u32_e32 v18, v19, v17
	ds_write2_b32 v9, v17, v18 offset0:1 offset1:2
	s_waitcnt lgkmcnt(1)
	v_add_u32_e32 v17, v20, v18
	ds_write_b32 v9, v17 offset:12
.LBB68_25:                              ;   in Loop: Header=BB68_21 Depth=1
	s_or_b64 exec, exec, s[14:15]
	v_mov_b32_e32 v18, 0
	s_waitcnt lgkmcnt(0)
	s_barrier
	s_and_saveexec_b64 s[14:15], s[0:1]
	s_cbranch_execz .LBB68_27
; %bb.26:                               ;   in Loop: Header=BB68_21 Depth=1
	ds_read_b32 v18, v10
.LBB68_27:                              ;   in Loop: Header=BB68_21 Depth=1
	s_or_b64 exec, exec, s[14:15]
	ds_read_b32 v17, v1 offset:1048
	v_cmp_ne_u32_e32 vcc, 0, v3
	s_waitcnt lgkmcnt(0)
	s_barrier
	s_and_saveexec_b64 s[14:15], vcc
	s_cbranch_execz .LBB68_29
; %bb.28:                               ;   in Loop: Header=BB68_21 Depth=1
	v_add_u32_e32 v20, v18, v4
	v_mul_lo_u32 v18, v20, s22
	v_mov_b32_e32 v19, v1
	v_lshlrev_b64 v[18:19], 3, v[18:19]
	v_mov_b32_e32 v3, s19
	v_add_co_u32_e32 v18, vcc, s18, v18
	v_addc_co_u32_e32 v19, vcc, v3, v19, vcc
	global_store_dwordx2 v[18:19], v[6:7], off
	v_mul_lo_u32 v18, v20, s8
	v_mov_b32_e32 v19, v1
	v_lshlrev_b64 v[18:19], 3, v[18:19]
	v_mov_b32_e32 v20, s21
	v_add_co_u32_e32 v18, vcc, s20, v18
	v_mov_b32_e32 v3, v1
	v_addc_co_u32_e32 v19, vcc, v20, v19, vcc
	global_store_dwordx2 v[18:19], v[2:3], off
.LBB68_29:                              ;   in Loop: Header=BB68_21 Depth=1
	s_or_b64 exec, exec, s[14:15]
	v_cmp_le_u32_e32 vcc, s13, v5
	s_cbranch_vccnz .LBB68_20
; %bb.30:                               ;   in Loop: Header=BB68_21 Depth=1
	ds_write_b32 v8, v16
	s_waitcnt lgkmcnt(0)
	s_barrier
	s_and_saveexec_b64 s[14:15], s[4:5]
	s_cbranch_execz .LBB68_32
; %bb.31:                               ;   in Loop: Header=BB68_21 Depth=1
	ds_read2_b32 v[18:19], v9 offset1:1
	ds_read2_b32 v[20:21], v9 offset0:2 offset1:3
	v_cmp_ne_u32_e32 vcc, 0, v12
	; wave barrier
	s_waitcnt lgkmcnt(1)
	v_add_u32_e32 v3, v19, v18
	s_waitcnt lgkmcnt(0)
	v_add3_u32 v3, v3, v20, v21
	s_nop 1
	v_mov_b32_dpp v19, v3 row_shr:1 row_mask:0xf bank_mask:0xf
	v_cndmask_b32_e32 v19, 0, v19, vcc
	v_add_u32_e32 v3, v19, v3
	v_cmp_lt_u32_e32 vcc, 1, v12
	s_nop 0
	v_mov_b32_dpp v19, v3 row_shr:2 row_mask:0xf bank_mask:0xf
	v_cndmask_b32_e32 v19, 0, v19, vcc
	v_add_u32_e32 v3, v3, v19
	v_cmp_lt_u32_e32 vcc, 3, v12
	;; [unrolled: 5-line block ×4, first 2 shown]
	s_nop 0
	v_mov_b32_dpp v19, v3 row_bcast:15 row_mask:0xf bank_mask:0xf
	v_and_b32_e32 v19, v13, v19
	v_add_u32_e32 v3, v3, v19
	s_nop 1
	v_mov_b32_dpp v19, v3 row_bcast:31 row_mask:0xf bank_mask:0xf
	v_cndmask_b32_e32 v19, 0, v19, vcc
	v_cmp_lt_i32_e32 vcc, v14, v15
	v_add_u32_e32 v3, v3, v19
	v_cndmask_b32_e32 v19, v14, v11, vcc
	v_lshlrev_b32_e32 v19, 2, v19
	ds_bpermute_b32 v3, v19, v3
	s_waitcnt lgkmcnt(0)
	v_add_u32_e32 v3, v3, v18
	v_cndmask_b32_e64 v3, v3, v16, s[2:3]
	ds_write_b32 v9, v3
	; wave barrier
	ds_read2_b32 v[18:19], v9 offset0:1 offset1:2
	ds_read_b32 v20, v9 offset:12
	s_waitcnt lgkmcnt(1)
	v_add_u32_e32 v3, v18, v3
	v_add_u32_e32 v18, v19, v3
	ds_write2_b32 v9, v3, v18 offset0:1 offset1:2
	s_waitcnt lgkmcnt(1)
	v_add_u32_e32 v3, v20, v18
	ds_write_b32 v9, v3 offset:12
.LBB68_32:                              ;   in Loop: Header=BB68_21 Depth=1
	s_or_b64 exec, exec, s[14:15]
	v_mov_b32_e32 v3, 0
	s_waitcnt lgkmcnt(0)
	s_barrier
	s_and_saveexec_b64 s[14:15], s[0:1]
	s_cbranch_execz .LBB68_34
; %bb.33:                               ;   in Loop: Header=BB68_21 Depth=1
	ds_read_b32 v3, v10
.LBB68_34:                              ;   in Loop: Header=BB68_21 Depth=1
	s_or_b64 exec, exec, s[14:15]
	ds_read_b32 v18, v1 offset:1048
	v_cmp_ne_u32_e32 vcc, 0, v16
	s_waitcnt lgkmcnt(0)
	s_barrier
	s_and_saveexec_b64 s[14:15], vcc
	s_cbranch_execz .LBB68_19
; %bb.35:                               ;   in Loop: Header=BB68_21 Depth=1
	v_add_u32_e32 v16, v3, v5
	v_cmp_gt_u32_e32 vcc, s13, v16
	s_and_b64 exec, exec, vcc
	s_cbranch_execz .LBB68_19
; %bb.36:                               ;   in Loop: Header=BB68_21 Depth=1
	v_mul_lo_u32 v20, v16, s22
	v_mov_b32_e32 v21, v1
	v_lshlrev_b64 v[20:21], 3, v[20:21]
	v_mov_b32_e32 v3, s19
	v_add_co_u32_e32 v20, vcc, s18, v20
	v_addc_co_u32_e32 v21, vcc, v3, v21, vcc
	global_store_dwordx2 v[20:21], v[6:7], off
	v_mul_lo_u32 v20, v16, s8
	v_mov_b32_e32 v21, v1
	v_lshlrev_b64 v[20:21], 3, v[20:21]
	v_mov_b32_e32 v16, s21
	v_add_co_u32_e32 v20, vcc, s20, v20
	v_mov_b32_e32 v3, v1
	v_addc_co_u32_e32 v21, vcc, v16, v21, vcc
	global_store_dwordx2 v[20:21], v[2:3], off
	s_branch .LBB68_19
.LBB68_37:                              ;   in Loop: Header=BB68_38 Depth=1
	s_add_u32 s16, s16, 4
	s_addc_u32 s17, s17, 0
	s_waitcnt lgkmcnt(0)
	s_add_i32 s36, s15, s36
	s_add_u32 s18, s18, 4
	s_addc_u32 s19, s19, 0
	s_add_i32 s14, s14, 1
	s_cmp_lt_u32 s14, s10
	s_cbranch_scc0 .LBB68_16
.LBB68_38:                              ; =>This Inner Loop Header: Depth=1
	s_load_dword s15, s[16:17], 0x0
	s_cmp_ge_u32 s14, s11
	s_cbranch_scc1 .LBB68_37
; %bb.39:                               ;   in Loop: Header=BB68_38 Depth=1
	s_load_dword s28, s[18:19], 0x0
	s_waitcnt lgkmcnt(0)
	s_add_i32 s25, s15, s25
	s_add_i32 s33, s28, s33
	s_branch .LBB68_37
.LBB68_40:
	s_endpgm
	.section	.rodata,"a",@progbits
	.p2align	6, 0x0
	.amdhsa_kernel _ZN2at6native6mbtopk10gatherTopKIdjLi1EEEvNS_4cuda6detail10TensorInfoIKT_T0_EES8_S8_bjS8_NS5_IS6_S8_EES8_NS5_IlS8_EES8_jjPS6_PjSD_j
		.amdhsa_group_segment_fixed_size 1068
		.amdhsa_private_segment_fixed_size 0
		.amdhsa_kernarg_size 984
		.amdhsa_user_sgpr_count 6
		.amdhsa_user_sgpr_private_segment_buffer 1
		.amdhsa_user_sgpr_dispatch_ptr 0
		.amdhsa_user_sgpr_queue_ptr 0
		.amdhsa_user_sgpr_kernarg_segment_ptr 1
		.amdhsa_user_sgpr_dispatch_id 0
		.amdhsa_user_sgpr_flat_scratch_init 0
		.amdhsa_user_sgpr_kernarg_preload_length 0
		.amdhsa_user_sgpr_kernarg_preload_offset 0
		.amdhsa_user_sgpr_private_segment_size 0
		.amdhsa_uses_dynamic_stack 0
		.amdhsa_system_sgpr_private_segment_wavefront_offset 0
		.amdhsa_system_sgpr_workgroup_id_x 1
		.amdhsa_system_sgpr_workgroup_id_y 1
		.amdhsa_system_sgpr_workgroup_id_z 1
		.amdhsa_system_sgpr_workgroup_info 0
		.amdhsa_system_vgpr_workitem_id 0
		.amdhsa_next_free_vgpr 22
		.amdhsa_next_free_sgpr 40
		.amdhsa_accum_offset 24
		.amdhsa_reserve_vcc 1
		.amdhsa_reserve_flat_scratch 0
		.amdhsa_float_round_mode_32 0
		.amdhsa_float_round_mode_16_64 0
		.amdhsa_float_denorm_mode_32 3
		.amdhsa_float_denorm_mode_16_64 3
		.amdhsa_dx10_clamp 1
		.amdhsa_ieee_mode 1
		.amdhsa_fp16_overflow 0
		.amdhsa_tg_split 0
		.amdhsa_exception_fp_ieee_invalid_op 0
		.amdhsa_exception_fp_denorm_src 0
		.amdhsa_exception_fp_ieee_div_zero 0
		.amdhsa_exception_fp_ieee_overflow 0
		.amdhsa_exception_fp_ieee_underflow 0
		.amdhsa_exception_fp_ieee_inexact 0
		.amdhsa_exception_int_div_zero 0
	.end_amdhsa_kernel
	.section	.text._ZN2at6native6mbtopk10gatherTopKIdjLi1EEEvNS_4cuda6detail10TensorInfoIKT_T0_EES8_S8_bjS8_NS5_IS6_S8_EES8_NS5_IlS8_EES8_jjPS6_PjSD_j,"axG",@progbits,_ZN2at6native6mbtopk10gatherTopKIdjLi1EEEvNS_4cuda6detail10TensorInfoIKT_T0_EES8_S8_bjS8_NS5_IS6_S8_EES8_NS5_IlS8_EES8_jjPS6_PjSD_j,comdat
.Lfunc_end68:
	.size	_ZN2at6native6mbtopk10gatherTopKIdjLi1EEEvNS_4cuda6detail10TensorInfoIKT_T0_EES8_S8_bjS8_NS5_IS6_S8_EES8_NS5_IlS8_EES8_jjPS6_PjSD_j, .Lfunc_end68-_ZN2at6native6mbtopk10gatherTopKIdjLi1EEEvNS_4cuda6detail10TensorInfoIKT_T0_EES8_S8_bjS8_NS5_IS6_S8_EES8_NS5_IlS8_EES8_jjPS6_PjSD_j
                                        ; -- End function
	.section	.AMDGPU.csdata,"",@progbits
; Kernel info:
; codeLenInByte = 2132
; NumSgprs: 44
; NumVgprs: 22
; NumAgprs: 0
; TotalNumVgprs: 22
; ScratchSize: 0
; MemoryBound: 0
; FloatMode: 240
; IeeeMode: 1
; LDSByteSize: 1068 bytes/workgroup (compile time only)
; SGPRBlocks: 5
; VGPRBlocks: 2
; NumSGPRsForWavesPerEU: 44
; NumVGPRsForWavesPerEU: 22
; AccumOffset: 24
; Occupancy: 8
; WaveLimiterHint : 1
; COMPUTE_PGM_RSRC2:SCRATCH_EN: 0
; COMPUTE_PGM_RSRC2:USER_SGPR: 6
; COMPUTE_PGM_RSRC2:TRAP_HANDLER: 0
; COMPUTE_PGM_RSRC2:TGID_X_EN: 1
; COMPUTE_PGM_RSRC2:TGID_Y_EN: 1
; COMPUTE_PGM_RSRC2:TGID_Z_EN: 1
; COMPUTE_PGM_RSRC2:TIDIG_COMP_CNT: 0
; COMPUTE_PGM_RSRC3_GFX90A:ACCUM_OFFSET: 5
; COMPUTE_PGM_RSRC3_GFX90A:TG_SPLIT: 0
	.section	.text._ZN2at6native6sbtopk10gatherTopKIdjLi1ELb0EEEvNS_4cuda6detail10TensorInfoIKT_T0_EES8_S8_bS8_S8_NS5_IS6_S8_EES8_NS5_IlS8_EES8_PS6_,"axG",@progbits,_ZN2at6native6sbtopk10gatherTopKIdjLi1ELb0EEEvNS_4cuda6detail10TensorInfoIKT_T0_EES8_S8_bS8_S8_NS5_IS6_S8_EES8_NS5_IlS8_EES8_PS6_,comdat
	.protected	_ZN2at6native6sbtopk10gatherTopKIdjLi1ELb0EEEvNS_4cuda6detail10TensorInfoIKT_T0_EES8_S8_bS8_S8_NS5_IS6_S8_EES8_NS5_IlS8_EES8_PS6_ ; -- Begin function _ZN2at6native6sbtopk10gatherTopKIdjLi1ELb0EEEvNS_4cuda6detail10TensorInfoIKT_T0_EES8_S8_bS8_S8_NS5_IS6_S8_EES8_NS5_IlS8_EES8_PS6_
	.globl	_ZN2at6native6sbtopk10gatherTopKIdjLi1ELb0EEEvNS_4cuda6detail10TensorInfoIKT_T0_EES8_S8_bS8_S8_NS5_IS6_S8_EES8_NS5_IlS8_EES8_PS6_
	.p2align	8
	.type	_ZN2at6native6sbtopk10gatherTopKIdjLi1ELb0EEEvNS_4cuda6detail10TensorInfoIKT_T0_EES8_S8_bS8_S8_NS5_IS6_S8_EES8_NS5_IlS8_EES8_PS6_,@function
_ZN2at6native6sbtopk10gatherTopKIdjLi1ELb0EEEvNS_4cuda6detail10TensorInfoIKT_T0_EES8_S8_bS8_S8_NS5_IS6_S8_EES8_NS5_IlS8_EES8_PS6_: ; @_ZN2at6native6sbtopk10gatherTopKIdjLi1ELb0EEEvNS_4cuda6detail10TensorInfoIKT_T0_EES8_S8_bS8_S8_NS5_IS6_S8_EES8_NS5_IlS8_EES8_PS6_
; %bb.0:
	s_load_dwordx2 s[10:11], s[4:5], 0x2b8
	s_load_dwordx4 s[60:63], s[4:5], 0xd8
	s_add_u32 s2, s4, 0x2b8
	s_addc_u32 s3, s5, 0
	s_waitcnt lgkmcnt(0)
	s_mul_i32 s0, s11, s8
	s_add_i32 s0, s0, s7
	s_mul_i32 s0, s0, s10
	s_add_i32 s14, s0, s6
	s_cmp_ge_u32 s14, s63
	s_cbranch_scc1 .LBB69_414
; %bb.1:
	s_load_dwordx2 s[0:1], s[4:5], 0x1d0
                                        ; implicit-def: $vgpr58 : SGPR spill to VGPR lane
	s_mov_b32 s16, 0
	v_cmp_eq_u32_e64 s[12:13], 0, v0
	s_waitcnt lgkmcnt(0)
	v_writelane_b32 v58, s0, 0
	v_writelane_b32 v58, s1, 1
	s_load_dwordx2 s[0:1], s[4:5], 0xf0
	s_waitcnt lgkmcnt(0)
	v_writelane_b32 v58, s0, 2
	v_writelane_b32 v58, s1, 3
	s_load_dword s11, s[4:5], 0xe8
	s_load_dword s7, s[4:5], 0x6c
	s_load_dwordx2 s[0:1], s[4:5], 0x0
	s_mov_b64 s[8:9], exec
	v_writelane_b32 v58, s12, 4
	v_writelane_b32 v58, s13, 5
	s_and_b64 s[12:13], s[8:9], s[12:13]
	s_mov_b64 exec, s[12:13]
	s_cbranch_execz .LBB69_3
; %bb.2:
	v_mov_b32_e32 v2, 0
	v_mov_b32_e32 v3, s60
	;; [unrolled: 1-line block ×3, first 2 shown]
	ds_write_b96 v2, v[2:4] offset:4096
.LBB69_3:
	s_or_b64 exec, exec, s[8:9]
	s_load_dword s8, s[4:5], 0x23c
	s_waitcnt lgkmcnt(0)
	s_barrier
	v_mbcnt_lo_u32_b32 v1, -1, 0
	v_writelane_b32 v58, s8, 6
	v_writelane_b32 v58, s4, 7
	;; [unrolled: 1-line block ×3, first 2 shown]
	s_load_dword s4, s[4:5], 0x15c
	s_mov_b32 s5, s16
	s_mov_b32 s8, 0
	v_mbcnt_hi_u32_b32 v1, -1, v1
	v_cmp_gt_u32_e32 vcc, 64, v0
	s_waitcnt lgkmcnt(0)
	v_writelane_b32 v58, s4, 9
	s_mul_i32 s4, s7, s14
	s_lshl_b64 s[4:5], s[4:5], 3
	s_add_u32 s33, s0, s4
	v_writelane_b32 v58, s14, 10
	s_addc_u32 s72, s1, s5
	v_writelane_b32 v58, s8, 11
	s_load_dword s0, s[2:3], 0xc
	s_bitcmp1_b32 s62, 0
	v_writelane_b32 v58, s9, 12
	s_cselect_b64 s[4:5], -1, 0
	v_writelane_b32 v58, s4, 13
	v_writelane_b32 v58, s5, 14
	s_xor_b64 s[4:5], s[4:5], -1
	v_writelane_b32 v58, s4, 15
	v_writelane_b32 v58, s5, 16
	s_waitcnt lgkmcnt(0)
	s_and_b32 s73, s0, 0xffff
	s_bfe_u32 s5, s0, 0xa0006
	v_cmp_gt_i32_e64 s[0:1], 4, v1
	s_lshl_b32 s75, s73, 2
	s_and_b64 s[70:71], vcc, s[0:1]
	s_cmpk_gt_u32 s60, 0x180
	s_cselect_b64 s[0:1], -1, 0
	v_writelane_b32 v58, s0, 17
	s_cmp_gt_u32 s73, 63
	v_writelane_b32 v58, s1, 18
	s_cselect_b64 s[0:1], -1, 0
	v_writelane_b32 v58, s0, 19
	v_writelane_b32 v58, s1, 20
	s_add_i32 s0, s73, -1
	s_add_i32 s4, s0, s60
	s_cmp_lt_u32 s6, s10
	v_writelane_b32 v58, s0, 21
	s_cselect_b32 s0, 12, 18
	s_add_u32 s0, s2, s0
	s_addc_u32 s1, s3, 0
	v_writelane_b32 v58, s0, 22
	s_add_i32 s2, s5, -2
	v_writelane_b32 v58, s1, 23
	s_lshr_b32 s0, s2, 1
	s_add_i32 s3, s0, 1
	s_cmpk_gt_u32 s73, 0x7f
	v_mov_b32_e32 v21, 0
	s_cselect_b64 s[0:1], -1, 0
	v_writelane_b32 v58, s0, 24
	v_mul_lo_u32 v22, v0, s11
	v_mov_b32_e32 v23, v21
	v_writelane_b32 v58, s1, 25
	v_cmp_gt_u32_e64 s[6:7], s60, v0
	v_lshlrev_b64 v[2:3], 3, v[22:23]
	v_writelane_b32 v58, s6, 26
	v_mov_b32_e32 v4, s72
	v_add_co_u32_e32 v18, vcc, s33, v2
	v_lshrrev_b32_e32 v2, 4, v0
	v_writelane_b32 v58, s7, 27
	v_addc_co_u32_e32 v19, vcc, v4, v3, vcc
	v_and_b32_e32 v35, 60, v2
	v_cmp_gt_u32_e64 s[6:7], 2, v0
	v_lshlrev_b64 v[2:3], v1, -1
	v_writelane_b32 v58, s6, 28
	v_not_b32_e32 v16, v2
	v_cvt_f32_u32_e32 v2, s75
	v_writelane_b32 v58, s7, 29
	s_and_b32 s6, s5, 0x3fe
	s_and_b32 s7, s3, 7
	s_cmp_gt_u32 s2, 13
	s_cselect_b64 s[8:9], -1, 0
	v_writelane_b32 v58, s8, 30
	v_rcp_iflag_f32_e32 v2, v2
	v_writelane_b32 v58, s9, 31
	s_and_b32 s2, s3, -8
	v_writelane_b32 v58, s2, 32
	s_cmp_lg_u32 s7, 0
	v_writelane_b32 v58, s7, 33
	s_cselect_b64 s[2:3], -1, 0
	v_writelane_b32 v58, s2, 34
	v_mul_f32_e32 v2, 0x4f7ffffe, v2
	v_writelane_b32 v58, s3, 35
	v_cvt_u32_f32_e32 v2, v2
	v_writelane_b32 v58, s5, 36
	s_cmp_lg_u32 s6, s5
	v_writelane_b32 v58, s6, 37
	s_cselect_b64 s[2:3], -1, 0
	v_writelane_b32 v58, s2, 38
	v_writelane_b32 v58, s3, 39
	s_sub_i32 s2, 0, s75
	v_readfirstlane_b32 s3, v2
	s_mul_i32 s2, s2, s3
	s_mul_hi_u32 s2, s3, s2
	s_add_i32 s2, s3, s2
	v_cvt_f32_u32_e32 v2, s73
	v_writelane_b32 v58, s2, 40
	s_mul_hi_u32 s2, s60, s2
	s_mul_i32 s2, s2, s75
	s_sub_i32 s2, s60, s2
	s_sub_i32 s3, s2, s75
	v_rcp_iflag_f32_e32 v5, v2
	s_cmp_ge_u32 s2, s75
	s_cselect_b32 s2, s3, s2
	s_sub_i32 s3, s2, s75
	s_cmp_ge_u32 s2, s75
	v_mul_f32_e32 v5, 0x4f7ffffe, v5
	s_cselect_b32 s2, s3, s2
	v_cvt_u32_f32_e32 v5, v5
	v_lshlrev_b32_e32 v34, 2, v0
	s_sub_i32 s5, s60, s2
	v_cmp_gt_u32_e64 s[6:7], s5, v34
	v_writelane_b32 v58, s6, 41
	v_writelane_b32 v58, s7, 42
	s_sub_i32 s3, 0, s73
	v_readfirstlane_b32 s6, v5
	s_mul_i32 s3, s3, s6
	s_mul_hi_u32 s3, s6, s3
	s_add_i32 s3, s6, s3
	v_writelane_b32 v58, s3, 43
	s_mul_hi_u32 s3, s4, s3
	s_mul_i32 s3, s3, s73
	s_sub_i32 s3, s4, s3
	s_sub_i32 s6, s3, s73
	v_add_u32_e32 v38, s5, v0
	s_cmp_ge_u32 s3, s73
	v_mul_lo_u32 v20, v38, s11
	s_cselect_b32 s3, s6, s3
	v_not_b32_e32 v17, v3
	v_lshlrev_b64 v[2:3], 3, v[20:21]
	s_sub_i32 s6, s3, s73
	v_add_co_u32_e32 v24, vcc, s33, v2
	s_cmp_ge_u32 s3, s73
	v_mul_lo_u32 v2, s11, v34
	s_cselect_b32 s3, s6, s3
	v_add_u32_e32 v39, s11, v2
	v_or_b32_e32 v2, 2, v34
	s_sub_i32 s12, s4, s3
	v_mul_lo_u32 v40, s11, v2
	v_or_b32_e32 v2, 3, v34
	s_add_i32 s3, s73, s60
	v_cmp_gt_u32_e64 s[6:7], s12, v0
	v_mul_lo_u32 v41, s11, v2
	v_add_u32_e32 v2, s3, v0
	v_lshlrev_b32_e32 v36, 3, v0
	v_lshlrev_b32_e32 v4, 2, v1
	v_mov_b32_e32 v6, s72
	v_writelane_b32 v58, s6, 44
	s_mul_i32 s74, s11, s73
	v_subrev_u32_e32 v2, s2, v2
	v_pk_mov_b32 v[26:27], 0, 0
	v_cmp_eq_u32_e64 s[0:1], 0, v1
	v_add_u32_e32 v37, 0xc00, v36
	v_and_b32_e32 v23, 0x100, v4
	v_cmp_gt_u32_e64 s[14:15], s60, v38
	v_addc_co_u32_e32 v25, vcc, v6, v3, vcc
	v_writelane_b32 v58, s7, 45
	s_lshl_b32 s13, s74, 2
	v_lshlrev_b32_e32 v42, 2, v22
	v_mul_lo_u32 v43, s11, v2
	v_lshlrev_b32_e32 v44, 5, v0
	s_lshl_b32 s4, s73, 5
	s_lshl_b32 s6, s73, 3
	v_or_b32_e32 v45, 0xc00, v4
	s_mov_b32 s7, 62
	s_mov_b64 s[86:87], 0
	v_pk_mov_b32 v[6:7], 0, 0
	v_mov_b32_e32 v47, s61
	v_mov_b32_e32 v3, 0x3ff00000
	;; [unrolled: 1-line block ×3, first 2 shown]
	v_pk_mov_b32 v[28:29], v[26:27], v[26:27] op_sel:[0,1]
	s_mov_b32 s68, 0
	v_writelane_b32 v58, s11, 46
                                        ; implicit-def: $sgpr88_sgpr89
                                        ; implicit-def: $sgpr90_sgpr91
                                        ; implicit-def: $sgpr94_sgpr95
                                        ; implicit-def: $sgpr64_sgpr65
                                        ; implicit-def: $sgpr92_sgpr93
                                        ; implicit-def: $sgpr66_sgpr67
                                        ; implicit-def: $sgpr2_sgpr3
                                        ; implicit-def: $sgpr80_sgpr81
                                        ; implicit-def: $sgpr82_sgpr83
                                        ; implicit-def: $sgpr84_sgpr85
	s_branch .LBB69_6
.LBB69_4:                               ;   in Loop: Header=BB69_6 Depth=1
	s_or_b64 exec, exec, s[20:21]
	s_andn2_b64 s[10:11], s[84:85], exec
	s_and_b64 s[18:19], s[18:19], exec
	s_or_b64 s[84:85], s[10:11], s[18:19]
	s_andn2_b64 s[82:83], s[82:83], exec
	s_andn2_b64 s[80:81], s[80:81], exec
	s_andn2_b64 s[2:3], s[2:3], exec
	s_andn2_b64 s[66:67], s[66:67], exec
	s_orn2_b64 s[16:17], s[16:17], exec
	v_pk_mov_b32 v[28:29], v[14:15], v[14:15] op_sel:[0,1]
	s_waitcnt vmcnt(0)
	v_pk_mov_b32 v[26:27], v[12:13], v[12:13] op_sel:[0,1]
	v_mov_b32_e32 v47, v30
	v_pk_mov_b32 v[6:7], v[10:11], v[10:11] op_sel:[0,1]
.LBB69_5:                               ;   in Loop: Header=BB69_6 Depth=1
	s_or_b64 exec, exec, s[8:9]
	s_and_b64 s[8:9], exec, s[16:17]
	s_or_b64 s[86:87], s[8:9], s[86:87]
	s_andn2_b64 s[8:9], s[92:93], exec
	s_and_b64 s[10:11], s[84:85], exec
	s_or_b64 s[92:93], s[8:9], s[10:11]
	s_andn2_b64 s[8:9], s[64:65], exec
	s_and_b64 s[10:11], s[82:83], exec
	;; [unrolled: 3-line block ×5, first 2 shown]
	s_or_b64 s[88:89], s[8:9], s[10:11]
	s_andn2_b64 exec, exec, s[86:87]
	s_cbranch_execz .LBB69_410
.LBB69_6:                               ; =>This Loop Header: Depth=1
                                        ;     Child Loop BB69_14 Depth 2
                                        ;     Child Loop BB69_32 Depth 2
	;; [unrolled: 1-line block ×25, first 2 shown]
	s_waitcnt vmcnt(0)
	ds_read_b64 v[4:5], v21 offset:4096
	s_waitcnt lgkmcnt(0)
	v_readfirstlane_b32 s10, v4
	s_cmp_lg_u32 s10, 0
	s_cbranch_scc1 .LBB69_39
; %bb.7:                                ;   in Loop: Header=BB69_6 Depth=1
	v_readlane_b32 s8, v58, 17
	v_readlane_b32 s9, v58, 18
	s_and_b64 vcc, exec, s[8:9]
	s_cbranch_vccz .LBB69_22
; %bb.8:                                ;   in Loop: Header=BB69_6 Depth=1
	s_movk_i32 s8, 0x181
	v_cmp_gt_u32_e32 vcc, s8, v5
	s_mov_b64 s[16:17], 0
	s_mov_b64 s[8:9], 0
	s_cbranch_vccz .LBB69_23
; %bb.9:                                ;   in Loop: Header=BB69_6 Depth=1
	v_pk_mov_b32 v[4:5], 0, 0
	s_mov_b64 s[8:9], exec
	v_readlane_b32 s10, v58, 26
	v_readlane_b32 s11, v58, 27
	s_and_b64 s[10:11], s[8:9], s[10:11]
	s_mov_b64 exec, s[10:11]
	s_cbranch_execz .LBB69_11
; %bb.10:                               ;   in Loop: Header=BB69_6 Depth=1
	global_load_dwordx2 v[4:5], v[18:19], off
.LBB69_11:                              ;   in Loop: Header=BB69_6 Depth=1
	s_or_b64 exec, exec, s[8:9]
	s_mov_b64 s[22:23], exec
	v_readlane_b32 s8, v58, 26
	v_readlane_b32 s9, v58, 27
	s_and_b64 s[8:9], s[22:23], s[8:9]
	s_mov_b64 exec, s[8:9]
	s_cbranch_execz .LBB69_24
; %bb.12:                               ;   in Loop: Header=BB69_6 Depth=1
	v_readlane_b32 s8, v58, 22
	v_readlane_b32 s9, v58, 23
	s_mov_b64 s[24:25], 0
	v_mov_b32_e32 v11, v0
	s_nop 2
	global_load_ushort v2, v21, s[8:9]
	v_readlane_b32 s8, v58, 46
	s_waitcnt vmcnt(0)
	v_add_u32_e32 v8, v0, v2
	v_mul_lo_u32 v10, s8, v2
	v_mul_lo_u32 v20, s8, v8
	s_branch .LBB69_14
.LBB69_13:                              ;   in Loop: Header=BB69_14 Depth=2
	s_or_b64 exec, exec, s[8:9]
	v_add_u32_e32 v20, v20, v10
	s_waitcnt vmcnt(0)
	v_pk_mov_b32 v[4:5], v[8:9], v[8:9] op_sel:[0,1]
	s_andn2_b64 exec, exec, s[24:25]
	s_cbranch_execz .LBB69_24
.LBB69_14:                              ;   Parent Loop BB69_6 Depth=1
                                        ; =>  This Inner Loop Header: Depth=2
	v_add_u32_e32 v11, v11, v2
	v_cmp_gt_u32_e64 s[18:19], s60, v11
	v_cmp_le_u32_e32 vcc, s60, v11
	v_pk_mov_b32 v[8:9], 0, 0
	s_and_saveexec_b64 s[8:9], s[18:19]
	s_cbranch_execz .LBB69_16
; %bb.15:                               ;   in Loop: Header=BB69_14 Depth=2
	v_lshlrev_b64 v[8:9], 3, v[20:21]
	s_waitcnt lgkmcnt(0)
	v_mov_b32_e32 v12, s72
	v_add_co_u32_e64 v8, s[18:19], s33, v8
	v_addc_co_u32_e64 v9, s[18:19], v12, v9, s[18:19]
	global_load_dwordx2 v[8:9], v[8:9], off
.LBB69_16:                              ;   in Loop: Header=BB69_14 Depth=2
	s_or_b64 exec, exec, s[8:9]
	s_waitcnt lgkmcnt(0)
	v_ashrrev_i32_e32 v12, 31, v5
	v_or_b32_e32 v13, 0x80000000, v12
	v_xor_b32_e32 v13, v13, v5
	v_xor_b32_e32 v12, v12, v4
	v_cmp_o_f64_e64 s[18:19], v[4:5], v[4:5]
	v_cndmask_b32_e64 v13, -1, v13, s[18:19]
	v_cndmask_b32_e64 v12, -1, v12, s[18:19]
	v_and_b32_e32 v13, v13, v29
	v_and_b32_e32 v12, v12, v28
	v_cmp_eq_u64_e64 s[18:19], v[12:13], v[26:27]
	s_cmp_lg_u64 s[18:19], 0
	s_cselect_b64 s[8:9], -1, 0
	s_and_b64 s[10:11], s[0:1], s[8:9]
	v_mov_b32_e32 v12, 0
	s_and_saveexec_b64 s[8:9], s[10:11]
	s_cbranch_execz .LBB69_20
; %bb.17:                               ;   in Loop: Header=BB69_14 Depth=2
	s_mov_b64 s[28:29], exec
	v_mbcnt_lo_u32_b32 v12, s28, 0
	v_mbcnt_hi_u32_b32 v12, s29, v12
	s_bcnt1_i32_b64 s10, s[18:19]
	v_cmp_eq_u32_e64 s[20:21], 0, v12
                                        ; implicit-def: $vgpr13
	s_and_saveexec_b64 s[26:27], s[20:21]
	s_cbranch_execz .LBB69_19
; %bb.18:                               ;   in Loop: Header=BB69_14 Depth=2
	s_bcnt1_i32_b64 s11, s[28:29]
	s_mul_i32 s11, s10, s11
	v_mov_b32_e32 v13, s11
	ds_add_rtn_u32 v13, v21, v13 offset:4104
.LBB69_19:                              ;   in Loop: Header=BB69_14 Depth=2
	s_or_b64 exec, exec, s[26:27]
	s_waitcnt lgkmcnt(0)
	v_readfirstlane_b32 s11, v13
	v_mov_b32_e32 v13, s11
	v_mad_u32_u24 v12, s10, v12, v13
.LBB69_20:                              ;   in Loop: Header=BB69_14 Depth=2
	s_or_b64 exec, exec, s[8:9]
	ds_bpermute_b32 v12, v23, v12
	s_and_b64 s[8:9], exec, vcc
	s_or_b64 s[24:25], s[8:9], s[24:25]
	s_and_saveexec_b64 s[8:9], s[18:19]
	s_cbranch_execz .LBB69_13
; %bb.21:                               ;   in Loop: Header=BB69_14 Depth=2
	v_and_b32_e32 v14, s18, v16
	v_and_b32_e32 v13, s19, v17
	v_bcnt_u32_b32 v14, v14, 0
	v_bcnt_u32_b32 v13, v13, v14
	v_lshlrev_b32_e32 v13, 3, v13
	s_waitcnt lgkmcnt(0)
	v_lshl_add_u32 v12, v12, 3, v13
	ds_write_b64 v12, v[4:5]
	s_branch .LBB69_13
.LBB69_22:                              ;   in Loop: Header=BB69_6 Depth=1
	s_mov_b64 s[8:9], 0
                                        ; implicit-def: $sgpr10
	s_cbranch_execnz .LBB69_27
	s_branch .LBB69_37
.LBB69_23:                              ;   in Loop: Header=BB69_6 Depth=1
	s_mov_b32 s10, 0
	s_and_b64 vcc, exec, s[16:17]
	s_cbranch_vccnz .LBB69_27
	s_branch .LBB69_37
.LBB69_24:                              ;   in Loop: Header=BB69_6 Depth=1
	s_or_b64 exec, exec, s[22:23]
	s_waitcnt lgkmcnt(0)
	s_barrier
	s_mov_b64 s[8:9], exec
	v_readlane_b32 s10, v58, 4
	v_readlane_b32 s11, v58, 5
	s_and_b64 s[10:11], s[8:9], s[10:11]
	s_mov_b64 exec, s[10:11]
	s_cbranch_execz .LBB69_26
; %bb.25:                               ;   in Loop: Header=BB69_6 Depth=1
	ds_read_b32 v2, v21 offset:4104
	s_waitcnt lgkmcnt(0)
	ds_write_b32 v21, v2 offset:4096
.LBB69_26:                              ;   in Loop: Header=BB69_6 Depth=1
	s_or_b64 exec, exec, s[8:9]
	s_waitcnt lgkmcnt(0)
	s_barrier
	s_mov_b64 s[8:9], -1
	s_mov_b32 s10, 0
	s_and_b64 vcc, exec, s[16:17]
	s_cbranch_vccz .LBB69_37
.LBB69_27:                              ;   in Loop: Header=BB69_6 Depth=1
	s_waitcnt vmcnt(0)
	v_pk_mov_b32 v[4:5], 0, 0
	s_mov_b64 s[8:9], exec
	v_readlane_b32 s10, v58, 26
	v_readlane_b32 s11, v58, 27
	s_and_b64 s[10:11], s[8:9], s[10:11]
	s_mov_b64 exec, s[10:11]
	s_cbranch_execz .LBB69_29
; %bb.28:                               ;   in Loop: Header=BB69_6 Depth=1
	global_load_dwordx2 v[4:5], v[18:19], off
.LBB69_29:                              ;   in Loop: Header=BB69_6 Depth=1
	s_or_b64 exec, exec, s[8:9]
	s_mov_b64 s[8:9], exec
	v_readlane_b32 s10, v58, 26
	v_readlane_b32 s11, v58, 27
	s_and_b64 s[10:11], s[8:9], s[10:11]
	s_mov_b64 exec, s[10:11]
	s_cbranch_execz .LBB69_34
; %bb.30:                               ;   in Loop: Header=BB69_6 Depth=1
	v_readlane_b32 s10, v58, 22
	v_readlane_b32 s11, v58, 23
	s_mov_b64 s[16:17], 0
	v_mov_b32_e32 v10, v36
	v_mov_b32_e32 v13, v0
	s_nop 1
	global_load_ushort v2, v21, s[10:11]
	v_readlane_b32 s10, v58, 46
	s_waitcnt vmcnt(0)
	v_add_u32_e32 v8, v0, v2
	v_lshlrev_b32_e32 v11, 3, v2
	v_mul_lo_u32 v12, s10, v2
	v_mul_lo_u32 v20, s10, v8
	s_branch .LBB69_32
.LBB69_31:                              ;   in Loop: Header=BB69_32 Depth=2
	s_or_b64 exec, exec, s[20:21]
	s_and_b64 s[10:11], exec, vcc
	s_or_b64 s[16:17], s[10:11], s[16:17]
	ds_write_b64 v10, v[4:5]
	v_add_u32_e32 v10, v10, v11
	v_add_u32_e32 v20, v20, v12
	s_waitcnt vmcnt(0)
	v_pk_mov_b32 v[4:5], v[8:9], v[8:9] op_sel:[0,1]
	s_andn2_b64 exec, exec, s[16:17]
	s_cbranch_execz .LBB69_34
.LBB69_32:                              ;   Parent Loop BB69_6 Depth=1
                                        ; =>  This Inner Loop Header: Depth=2
	v_add_u32_e32 v13, v13, v2
	v_cmp_gt_u32_e64 s[18:19], s60, v13
	v_cmp_le_u32_e32 vcc, s60, v13
	v_pk_mov_b32 v[8:9], 0, 0
	s_and_saveexec_b64 s[20:21], s[18:19]
	s_cbranch_execz .LBB69_31
; %bb.33:                               ;   in Loop: Header=BB69_32 Depth=2
	v_lshlrev_b64 v[8:9], 3, v[20:21]
	v_mov_b32_e32 v14, s72
	v_add_co_u32_e64 v8, s[18:19], s33, v8
	v_addc_co_u32_e64 v9, s[18:19], v14, v9, s[18:19]
	global_load_dwordx2 v[8:9], v[8:9], off
	s_branch .LBB69_31
.LBB69_34:                              ;   in Loop: Header=BB69_6 Depth=1
	s_or_b64 exec, exec, s[8:9]
	s_waitcnt lgkmcnt(0)
	s_barrier
	s_mov_b64 s[8:9], exec
	v_readlane_b32 s10, v58, 4
	v_readlane_b32 s11, v58, 5
	s_and_b64 s[10:11], s[8:9], s[10:11]
	s_mov_b64 exec, s[10:11]
	s_cbranch_execz .LBB69_36
; %bb.35:                               ;   in Loop: Header=BB69_6 Depth=1
	v_mov_b32_e32 v2, s60
	ds_write_b32 v21, v2 offset:4096
.LBB69_36:                              ;   in Loop: Header=BB69_6 Depth=1
	s_or_b64 exec, exec, s[8:9]
	s_mov_b64 s[8:9], -1
	s_waitcnt lgkmcnt(0)
	s_barrier
                                        ; implicit-def: $sgpr10
.LBB69_37:                              ;   in Loop: Header=BB69_6 Depth=1
	s_and_b64 vcc, exec, s[8:9]
	s_cbranch_vccz .LBB69_39
; %bb.38:                               ;   in Loop: Header=BB69_6 Depth=1
	ds_read_b32 v2, v21 offset:4096
	s_waitcnt lgkmcnt(0)
	v_readfirstlane_b32 s10, v2
.LBB69_39:                              ;   in Loop: Header=BB69_6 Depth=1
	s_cmp_lt_i32 s10, 1
	s_cbranch_scc0 .LBB69_51
; %bb.40:                               ;   in Loop: Header=BB69_6 Depth=1
	v_mov_b32_e32 v8, 0
	s_mov_b32 s8, 0
	v_mov_b32_e32 v9, 0
	v_mov_b32_e32 v10, v8
	;; [unrolled: 1-line block ×3, first 2 shown]
	s_mov_b64 s[48:49], exec
	v_readlane_b32 s16, v58, 41
	v_readlane_b32 s17, v58, 42
	s_and_b64 s[16:17], s[48:49], s[16:17]
	s_mov_b64 exec, s[16:17]
	s_cbranch_execz .LBB69_44
; %bb.41:                               ;   in Loop: Header=BB69_6 Depth=1
	s_and_b32 s9, s7, 0xfe
	s_mov_b64 s[50:51], 0
	s_mov_b32 s11, 0
	s_mov_b32 s16, 0
	;; [unrolled: 1-line block ×4, first 2 shown]
	v_mov_b32_e32 v2, v34
.LBB69_42:                              ;   Parent Loop BB69_6 Depth=1
                                        ; =>  This Inner Loop Header: Depth=2
	v_add_u32_e32 v20, s8, v42
	v_lshlrev_b64 v[12:13], 3, v[20:21]
	s_waitcnt vmcnt(0)
	v_mov_b32_e32 v4, s72
	v_add_u32_e32 v20, s8, v39
	v_add_co_u32_e64 v12, s[18:19], s33, v12
	v_lshlrev_b64 v[14:15], 3, v[20:21]
	v_addc_co_u32_e64 v13, s[18:19], v4, v13, s[18:19]
	v_add_u32_e32 v20, s8, v40
	v_add_co_u32_e64 v14, s[18:19], s33, v14
	v_lshlrev_b64 v[30:31], 3, v[20:21]
	v_addc_co_u32_e64 v15, s[18:19], v4, v15, s[18:19]
	v_add_u32_e32 v20, s8, v41
	v_add_co_u32_e64 v30, s[18:19], s33, v30
	global_load_dwordx2 v[12:13], v[12:13], off
	v_lshlrev_b64 v[32:33], 3, v[20:21]
	global_load_dwordx2 v[14:15], v[14:15], off
	v_addc_co_u32_e64 v31, s[18:19], v4, v31, s[18:19]
	global_load_dwordx2 v[30:31], v[30:31], off
	v_add_co_u32_e64 v32, s[18:19], s33, v32
	v_addc_co_u32_e64 v33, s[18:19], v4, v33, s[18:19]
	global_load_dwordx2 v[32:33], v[32:33], off
	v_mov_b32_e32 v11, v21
	v_mov_b32_e32 v9, v21
	;; [unrolled: 1-line block ×3, first 2 shown]
	v_add_u32_e32 v2, s75, v2
	v_cmp_le_u32_e32 vcc, s5, v2
	s_add_i32 s8, s8, s13
	s_waitcnt vmcnt(3)
	v_ashrrev_i32_e32 v4, 31, v13
	v_or_b32_e32 v8, 0x80000000, v4
	s_waitcnt vmcnt(2)
	v_ashrrev_i32_e32 v10, 31, v15
	v_xor_b32_e32 v4, v4, v12
	v_cmp_o_f64_e64 s[18:19], v[12:13], v[12:13]
	v_xor_b32_e32 v8, v8, v13
	v_or_b32_e32 v20, 0x80000000, v10
	s_waitcnt vmcnt(1)
	v_ashrrev_i32_e32 v48, 31, v31
	v_xor_b32_e32 v10, v10, v14
	v_cndmask_b32_e64 v12, -1, v4, s[18:19]
	v_cmp_o_f64_e64 s[20:21], v[14:15], v[14:15]
	v_cndmask_b32_e64 v13, -1, v8, s[18:19]
	v_xor_b32_e32 v4, v20, v15
	v_or_b32_e32 v8, 0x80000000, v48
	s_waitcnt vmcnt(0)
	v_ashrrev_i32_e32 v49, 31, v33
	v_xor_b32_e32 v20, v48, v30
	v_cndmask_b32_e64 v14, -1, v10, s[20:21]
	v_and_b32_e32 v48, v12, v28
	v_cmp_o_f64_e64 s[18:19], v[30:31], v[30:31]
	v_cndmask_b32_e64 v15, -1, v4, s[20:21]
	v_xor_b32_e32 v4, v8, v31
	v_or_b32_e32 v8, 0x80000000, v49
	v_xor_b32_e32 v10, v49, v32
	v_and_b32_e32 v49, v13, v29
	v_lshrrev_b64 v[12:13], s9, v[12:13]
	v_cndmask_b32_e64 v30, -1, v20, s[18:19]
	v_and_b32_e32 v20, 3, v12
	v_cmp_o_f64_e64 s[20:21], v[32:33], v[32:33]
	v_cndmask_b32_e64 v31, -1, v4, s[18:19]
	v_cmp_eq_u64_e64 s[18:19], v[48:49], v[26:27]
	v_lshrrev_b64 v[12:13], s9, v[14:15]
	v_cmp_eq_u64_e64 s[22:23], 0, v[20:21]
	v_and_b32_e32 v50, v14, v28
	v_xor_b32_e32 v4, v8, v33
	v_cndmask_b32_e64 v14, -1, v10, s[20:21]
	v_and_b32_e32 v10, 3, v12
	v_cmp_eq_u64_e64 s[24:25], 1, v[20:21]
	s_and_b64 s[22:23], s[18:19], s[22:23]
	v_and_b32_e32 v51, v15, v29
	v_cndmask_b32_e64 v15, -1, v4, s[20:21]
	v_lshrrev_b64 v[12:13], s9, v[30:31]
	v_cmp_eq_u64_e64 s[26:27], 2, v[20:21]
	v_cmp_eq_u64_e64 s[34:35], 0, v[10:11]
	;; [unrolled: 1-line block ×5, first 2 shown]
	v_cndmask_b32_e64 v10, 0, 1, s[22:23]
	s_and_b64 s[22:23], s[18:19], s[24:25]
	v_and_b32_e32 v32, v30, v28
	v_cmp_eq_u64_e64 s[20:21], v[50:51], v[26:27]
	v_and_b32_e32 v33, v31, v29
	v_cmp_eq_u64_e64 s[28:29], 3, v[20:21]
	v_and_b32_e32 v8, 3, v12
	v_lshrrev_b64 v[12:13], s9, v[14:15]
	v_cndmask_b32_e64 v11, 0, 1, s[22:23]
	s_and_b64 s[22:23], s[18:19], s[26:27]
	v_cmp_eq_u64_e64 s[30:31], v[32:33], v[26:27]
	v_cndmask_b32_e64 v13, 0, 1, s[22:23]
	s_and_b64 s[18:19], s[18:19], s[28:29]
	v_cmp_eq_u64_e64 s[22:23], 0, v[8:9]
	v_cmp_eq_u64_e64 s[24:25], 1, v[8:9]
	s_and_b64 s[34:35], s[20:21], s[34:35]
	s_and_b64 s[36:37], s[20:21], s[36:37]
	;; [unrolled: 1-line block ×3, first 2 shown]
	v_and_b32_e32 v30, v14, v28
	v_and_b32_e32 v31, v15, v29
	v_cndmask_b32_e64 v14, 0, 1, s[18:19]
	v_and_b32_e32 v4, 3, v12
	v_cmp_eq_u64_e64 s[26:27], 2, v[8:9]
	v_cmp_eq_u64_e64 s[28:29], 3, v[8:9]
	v_cmp_ne_u32_e64 s[42:43], 0, v10
	v_cndmask_b32_e64 v8, 0, 1, s[34:35]
	v_cmp_ne_u32_e64 s[34:35], 0, v11
	v_cndmask_b32_e64 v9, 0, 1, s[36:37]
	;; [unrolled: 2-line block ×3, first 2 shown]
	s_and_b64 s[20:21], s[20:21], s[40:41]
	s_and_b64 s[22:23], s[30:31], s[22:23]
	;; [unrolled: 1-line block ×3, first 2 shown]
	v_cmp_eq_u64_e64 s[18:19], v[30:31], v[26:27]
	v_cmp_ne_u32_e64 s[38:39], 0, v14
	v_cndmask_b32_e64 v11, 0, 1, s[20:21]
	v_cmp_eq_u64_e64 s[20:21], 0, v[4:5]
	v_cmp_eq_u64_e64 s[40:41], 1, v[4:5]
	;; [unrolled: 1-line block ×4, first 2 shown]
	v_cndmask_b32_e64 v4, 0, 1, s[22:23]
	s_bcnt1_i32_b64 s34, s[34:35]
	v_cmp_ne_u32_e64 s[22:23], 0, v9
	v_cndmask_b32_e64 v5, 0, 1, s[24:25]
	s_bcnt1_i32_b64 s35, s[36:37]
	v_cmp_ne_u32_e64 s[24:25], 0, v10
	s_and_b64 s[26:27], s[30:31], s[26:27]
	s_and_b64 s[28:29], s[30:31], s[28:29]
	s_bcnt1_i32_b64 s53, s[42:43]
	v_cmp_ne_u32_e64 s[42:43], 0, v8
	v_cndmask_b32_e64 v8, 0, 1, s[26:27]
	s_bcnt1_i32_b64 s36, s[38:39]
	v_cmp_ne_u32_e64 s[26:27], 0, v11
	v_cndmask_b32_e64 v9, 0, 1, s[28:29]
	s_and_b64 s[20:21], s[18:19], s[20:21]
	s_bcnt1_i32_b64 s37, s[22:23]
	s_and_b64 s[22:23], s[18:19], s[40:41]
	s_add_i32 s34, s17, s34
	s_bcnt1_i32_b64 s38, s[24:25]
	s_and_b64 s[24:25], s[18:19], s[44:45]
	s_add_i32 s35, s16, s35
	s_and_b64 s[16:17], s[18:19], s[46:47]
	s_bcnt1_i32_b64 s30, s[42:43]
	v_cmp_ne_u32_e64 s[28:29], 0, v4
	v_cndmask_b32_e64 v4, 0, 1, s[20:21]
	s_add_i32 s31, s52, s53
	v_cmp_ne_u32_e64 s[20:21], 0, v5
	v_cndmask_b32_e64 v5, 0, 1, s[22:23]
	v_cmp_ne_u32_e64 s[22:23], 0, v8
	v_cndmask_b32_e64 v8, 0, 1, s[24:25]
	s_bcnt1_i32_b64 s26, s[26:27]
	v_cmp_ne_u32_e64 s[24:25], 0, v9
	v_cndmask_b32_e64 v9, 0, 1, s[16:17]
	s_add_i32 s11, s11, s36
	s_bcnt1_i32_b64 s16, s[28:29]
	v_cmp_ne_u32_e64 s[18:19], 0, v4
	s_add_i32 s17, s31, s30
	s_bcnt1_i32_b64 s27, s[20:21]
	v_cmp_ne_u32_e64 s[20:21], 0, v5
	;; [unrolled: 3-line block ×4, first 2 shown]
	s_add_i32 s11, s11, s26
	s_bcnt1_i32_b64 s18, s[18:19]
	s_add_i32 s16, s17, s16
	s_bcnt1_i32_b64 s17, s[20:21]
	;; [unrolled: 2-line block ×4, first 2 shown]
	s_add_i32 s11, s11, s31
	s_add_i32 s52, s16, s18
	;; [unrolled: 1-line block ×5, first 2 shown]
	s_or_b64 s[50:51], vcc, s[50:51]
	v_mov_b32_e32 v8, s52
	v_mov_b32_e32 v9, s17
	;; [unrolled: 1-line block ×4, first 2 shown]
	s_andn2_b64 exec, exec, s[50:51]
	s_cbranch_execnz .LBB69_42
; %bb.43:                               ;   in Loop: Header=BB69_6 Depth=1
	s_or_b64 exec, exec, s[50:51]
.LBB69_44:                              ;   in Loop: Header=BB69_6 Depth=1
	s_or_b64 exec, exec, s[48:49]
	v_pk_mov_b32 v[12:13], 0, 0
	s_and_saveexec_b64 s[8:9], s[14:15]
	s_cbranch_execz .LBB69_46
; %bb.45:                               ;   in Loop: Header=BB69_6 Depth=1
	global_load_dwordx2 v[12:13], v[24:25], off
.LBB69_46:                              ;   in Loop: Header=BB69_6 Depth=1
	s_or_b64 exec, exec, s[8:9]
	s_mov_b64 s[16:17], 0
	s_mov_b64 s[76:77], 0
	s_and_saveexec_b64 s[20:21], s[14:15]
	s_cbranch_execz .LBB69_53
; %bb.47:                               ;   in Loop: Header=BB69_6 Depth=1
	s_and_b32 s11, s7, 0xfe
	s_mov_b64 s[8:9], 0
	s_waitcnt vmcnt(0)
	v_mov_b32_e32 v4, v43
	v_mov_b32_e32 v2, v38
	s_branch .LBB69_49
.LBB69_48:                              ;   in Loop: Header=BB69_49 Depth=2
	s_or_b64 exec, exec, s[22:23]
	v_ashrrev_i32_e32 v5, 31, v13
	v_or_b32_e32 v20, 0x80000000, v5
	s_and_b64 s[18:19], exec, vcc
	v_xor_b32_e32 v20, v20, v13
	v_xor_b32_e32 v5, v5, v12
	v_cmp_o_f64_e32 vcc, v[12:13], v[12:13]
	v_cndmask_b32_e32 v13, -1, v20, vcc
	v_cndmask_b32_e32 v12, -1, v5, vcc
	v_and_b32_e32 v31, v13, v29
	v_and_b32_e32 v30, v12, v28
	v_lshrrev_b64 v[12:13], s11, v[12:13]
	v_and_b32_e32 v20, 3, v12
	s_or_b64 s[8:9], s[18:19], s[8:9]
	v_cmp_eq_u64_e32 vcc, v[30:31], v[26:27]
	v_cmp_eq_u64_e64 s[18:19], 0, v[20:21]
	s_and_b64 s[18:19], vcc, s[18:19]
	v_cndmask_b32_e64 v5, 0, 1, s[18:19]
	v_cmp_ne_u32_e64 s[18:19], 0, v5
	s_bcnt1_i32_b64 s18, s[18:19]
	v_add_u32_e32 v8, s18, v8
	v_cmp_eq_u64_e64 s[18:19], 1, v[20:21]
	s_and_b64 s[18:19], vcc, s[18:19]
	v_cndmask_b32_e64 v5, 0, 1, s[18:19]
	v_cmp_ne_u32_e64 s[18:19], 0, v5
	s_bcnt1_i32_b64 s18, s[18:19]
	v_add_u32_e32 v9, s18, v9
	v_cmp_eq_u64_e64 s[18:19], 2, v[20:21]
	s_and_b64 s[18:19], vcc, s[18:19]
	v_cndmask_b32_e64 v5, 0, 1, s[18:19]
	v_cmp_ne_u32_e64 s[18:19], 0, v5
	s_bcnt1_i32_b64 s18, s[18:19]
	v_add_u32_e32 v10, s18, v10
	v_cmp_eq_u64_e64 s[18:19], 3, v[20:21]
	s_and_b64 s[18:19], vcc, s[18:19]
	v_cndmask_b32_e64 v5, 0, 1, s[18:19]
	v_cmp_ne_u32_e32 vcc, 0, v5
	s_bcnt1_i32_b64 s18, vcc
	v_add_u32_e32 v11, s18, v11
	v_add_u32_e32 v4, s74, v4
	s_waitcnt vmcnt(0)
	v_pk_mov_b32 v[12:13], v[14:15], v[14:15] op_sel:[0,1]
	s_andn2_b64 exec, exec, s[8:9]
	s_cbranch_execz .LBB69_52
.LBB69_49:                              ;   Parent Loop BB69_6 Depth=1
                                        ; =>  This Inner Loop Header: Depth=2
	v_add_u32_e32 v2, s73, v2
	v_cmp_gt_u32_e64 s[18:19], s60, v2
	v_cmp_le_u32_e32 vcc, s60, v2
	v_pk_mov_b32 v[14:15], 0, 0
	s_and_saveexec_b64 s[22:23], s[18:19]
	s_cbranch_execz .LBB69_48
; %bb.50:                               ;   in Loop: Header=BB69_49 Depth=2
	v_mov_b32_e32 v5, v21
	v_lshlrev_b64 v[14:15], 3, v[4:5]
	v_mov_b32_e32 v5, s72
	v_add_co_u32_e64 v14, s[18:19], s33, v14
	v_addc_co_u32_e64 v15, s[18:19], v5, v15, s[18:19]
	global_load_dwordx2 v[14:15], v[14:15], off
	s_branch .LBB69_48
.LBB69_51:                              ;   in Loop: Header=BB69_6 Depth=1
	s_mov_b64 s[76:77], 0
                                        ; implicit-def: $vgpr11
	s_cbranch_execnz .LBB69_54
	s_branch .LBB69_63
.LBB69_52:                              ;   in Loop: Header=BB69_6 Depth=1
	s_or_b64 exec, exec, s[8:9]
	s_mov_b64 s[76:77], exec
.LBB69_53:                              ;   in Loop: Header=BB69_6 Depth=1
	s_or_b64 exec, exec, s[20:21]
	s_and_b64 vcc, exec, s[16:17]
	s_cbranch_vccz .LBB69_63
.LBB69_54:                              ;   in Loop: Header=BB69_6 Depth=1
	v_readlane_b32 s8, v58, 40
	s_mul_hi_u32 s8, s10, s8
	s_mul_i32 s8, s8, s75
	s_sub_i32 s8, s10, s8
	s_sub_i32 s9, s8, s75
	s_cmp_ge_u32 s8, s75
	s_cselect_b32 s8, s9, s8
	s_sub_i32 s9, s8, s75
	s_cmp_ge_u32 s8, s75
	s_cselect_b32 s8, s9, s8
	s_sub_i32 s8, s10, s8
	v_cmp_gt_u32_e32 vcc, s8, v34
	s_mov_b32 s9, 0
	v_mov_b32_e32 v8, 0
	v_mov_b32_e32 v9, 0
	;; [unrolled: 1-line block ×4, first 2 shown]
	s_and_saveexec_b64 s[78:79], vcc
	s_cbranch_execz .LBB69_58
; %bb.55:                               ;   in Loop: Header=BB69_6 Depth=1
	s_and_b32 s11, s7, 0xfe
	s_mov_b64 s[16:17], 0
	v_mov_b32_e32 v2, v44
	s_mov_b32 s69, 0
	s_mov_b32 s62, 0
	;; [unrolled: 1-line block ×3, first 2 shown]
	v_mov_b32_e32 v48, v34
.LBB69_56:                              ;   Parent Loop BB69_6 Depth=1
                                        ; =>  This Inner Loop Header: Depth=2
	s_waitcnt vmcnt(0)
	ds_read_b128 v[12:15], v2
	ds_read_b128 v[8:11], v2 offset:16
	v_mov_b32_e32 v5, v21
	v_mov_b32_e32 v31, v21
	v_mov_b32_e32 v33, v21
	s_waitcnt lgkmcnt(1)
	v_ashrrev_i32_e32 v4, 31, v13
	v_ashrrev_i32_e32 v20, 31, v15
	s_waitcnt lgkmcnt(0)
	v_ashrrev_i32_e32 v30, 31, v9
	v_ashrrev_i32_e32 v32, 31, v11
	v_xor_b32_e32 v49, v20, v14
	v_cmp_o_f64_e64 s[18:19], v[14:15], v[14:15]
	v_xor_b32_e32 v14, v30, v8
	v_cmp_o_f64_e64 s[20:21], v[8:9], v[8:9]
	v_or_b32_e32 v8, 0x80000000, v4
	v_xor_b32_e32 v50, v32, v10
	v_cmp_o_f64_e64 s[22:23], v[10:11], v[10:11]
	v_xor_b32_e32 v4, v4, v12
	v_or_b32_e32 v10, 0x80000000, v20
	v_or_b32_e32 v20, 0x80000000, v30
	v_cmp_o_f64_e64 s[24:25], v[12:13], v[12:13]
	v_xor_b32_e32 v13, v8, v13
	v_or_b32_e32 v30, 0x80000000, v32
	v_xor_b32_e32 v15, v10, v15
	v_xor_b32_e32 v20, v20, v9
	v_cndmask_b32_e64 v8, -1, v4, s[24:25]
	v_cndmask_b32_e64 v9, -1, v13, s[24:25]
	v_xor_b32_e32 v30, v30, v11
	v_cndmask_b32_e64 v10, -1, v49, s[18:19]
	v_cndmask_b32_e64 v12, -1, v14, s[20:21]
	;; [unrolled: 1-line block ×4, first 2 shown]
	v_and_b32_e32 v50, v8, v28
	v_and_b32_e32 v51, v9, v29
	v_lshrrev_b64 v[8:9], s11, v[8:9]
	v_cndmask_b32_e64 v13, -1, v20, s[20:21]
	v_and_b32_e32 v52, v10, v28
	v_and_b32_e32 v53, v11, v29
	v_lshrrev_b64 v[10:11], s11, v[10:11]
	v_and_b32_e32 v20, 3, v8
	v_cndmask_b32_e64 v15, -1, v30, s[22:23]
	v_and_b32_e32 v54, v12, v28
	v_and_b32_e32 v55, v13, v29
	v_lshrrev_b64 v[12:13], s11, v[12:13]
	v_cmp_eq_u64_e64 s[18:19], v[50:51], v[26:27]
	v_and_b32_e32 v4, 3, v10
	v_cmp_eq_u64_e64 s[26:27], 0, v[20:21]
	v_and_b32_e32 v56, v14, v28
	v_and_b32_e32 v57, v15, v29
	v_lshrrev_b64 v[14:15], s11, v[14:15]
	v_cmp_eq_u64_e64 s[20:21], v[52:53], v[26:27]
	v_and_b32_e32 v30, 3, v12
	v_cmp_eq_u64_e64 s[28:29], 0, v[4:5]
	s_and_b64 s[26:27], s[18:19], s[26:27]
	v_cmp_eq_u64_e64 s[22:23], v[54:55], v[26:27]
	v_and_b32_e32 v32, 3, v14
	v_cmp_eq_u64_e64 s[30:31], 0, v[30:31]
	v_cmp_eq_u64_e64 s[38:39], 1, v[4:5]
	;; [unrolled: 1-line block ×4, first 2 shown]
	v_cndmask_b32_e64 v4, 0, 1, s[26:27]
	s_and_b64 s[26:27], s[20:21], s[28:29]
	v_cmp_eq_u64_e64 s[24:25], v[56:57], v[26:27]
	v_cmp_eq_u64_e64 s[34:35], 0, v[32:33]
	v_cndmask_b32_e64 v5, 0, 1, s[26:27]
	s_and_b64 s[26:27], s[22:23], s[30:31]
	v_cmp_eq_u64_e64 s[36:37], 1, v[20:21]
	v_cndmask_b32_e64 v8, 0, 1, s[26:27]
	s_and_b64 s[26:27], s[24:25], s[34:35]
	v_cndmask_b32_e64 v9, 0, 1, s[26:27]
	s_and_b64 s[26:27], s[18:19], s[36:37]
	v_cmp_eq_u64_e64 s[40:41], 1, v[30:31]
	v_cndmask_b32_e64 v10, 0, 1, s[26:27]
	s_and_b64 s[26:27], s[20:21], s[38:39]
	v_cmp_eq_u64_e64 s[42:43], 1, v[32:33]
	;; [unrolled: 3-line block ×3, first 2 shown]
	v_cmp_eq_u64_e64 s[52:53], 3, v[20:21]
	v_cndmask_b32_e64 v12, 0, 1, s[26:27]
	s_and_b64 s[26:27], s[24:25], s[42:43]
	v_cndmask_b32_e64 v13, 0, 1, s[26:27]
	s_and_b64 s[26:27], s[18:19], s[44:45]
	s_and_b64 s[18:19], s[18:19], s[52:53]
	v_cmp_eq_u64_e64 s[48:49], 2, v[30:31]
	v_cmp_eq_u64_e64 s[56:57], 3, v[30:31]
	v_cndmask_b32_e64 v14, 0, 1, s[26:27]
	s_and_b64 s[26:27], s[20:21], s[46:47]
	v_cndmask_b32_e64 v31, 0, 1, s[18:19]
	s_and_b64 s[18:19], s[20:21], s[54:55]
	v_cmp_eq_u64_e64 s[50:51], 2, v[32:33]
	v_cmp_eq_u64_e64 s[58:59], 3, v[32:33]
	v_cndmask_b32_e64 v15, 0, 1, s[26:27]
	s_and_b64 s[26:27], s[22:23], s[48:49]
	v_cndmask_b32_e64 v32, 0, 1, s[18:19]
	s_and_b64 s[18:19], s[22:23], s[56:57]
	;; [unrolled: 2-line block ×4, first 2 shown]
	v_cndmask_b32_e64 v30, 0, 1, s[26:27]
	v_cndmask_b32_e64 v49, 0, 1, s[18:19]
	v_cmp_ne_u32_e64 s[18:19], 0, v4
	v_cmp_ne_u32_e64 s[20:21], 0, v5
	;; [unrolled: 1-line block ×11, first 2 shown]
	s_bcnt1_i32_b64 s18, s[18:19]
	s_bcnt1_i32_b64 s19, s[20:21]
	;; [unrolled: 1-line block ×8, first 2 shown]
	v_cmp_ne_u32_e64 s[34:35], 0, v13
	v_cmp_ne_u32_e64 s[40:41], 0, v20
	;; [unrolled: 1-line block ×3, first 2 shown]
	s_bcnt1_i32_b64 s23, s[28:29]
	s_bcnt1_i32_b64 s27, s[38:39]
	;; [unrolled: 1-line block ×3, first 2 shown]
	s_add_i32 s18, s63, s18
	s_add_i32 s22, s62, s22
	;; [unrolled: 1-line block ×4, first 2 shown]
	v_cmp_ne_u32_e64 s[42:43], 0, v30
	v_cmp_ne_u32_e64 s[50:51], 0, v49
	s_bcnt1_i32_b64 s25, s[34:35]
	s_bcnt1_i32_b64 s28, s[40:41]
	;; [unrolled: 1-line block ×3, first 2 shown]
	s_add_i32 s18, s18, s19
	s_add_i32 s19, s22, s23
	;; [unrolled: 1-line block ×4, first 2 shown]
	v_add_u32_e32 v48, s75, v48
	s_bcnt1_i32_b64 s29, s[42:43]
	s_bcnt1_i32_b64 s35, s[50:51]
	s_add_i32 s18, s18, s20
	s_add_i32 s19, s19, s24
	;; [unrolled: 1-line block ×4, first 2 shown]
	v_cmp_le_u32_e32 vcc, s8, v48
	s_add_i32 s63, s18, s21
	s_add_i32 s62, s19, s25
	;; [unrolled: 1-line block ×4, first 2 shown]
	v_add_u32_e32 v2, s4, v2
	s_or_b64 s[16:17], vcc, s[16:17]
	v_mov_b32_e32 v8, s63
	v_mov_b32_e32 v9, s62
	;; [unrolled: 1-line block ×4, first 2 shown]
	s_andn2_b64 exec, exec, s[16:17]
	s_cbranch_execnz .LBB69_56
; %bb.57:                               ;   in Loop: Header=BB69_6 Depth=1
	s_or_b64 exec, exec, s[16:17]
.LBB69_58:                              ;   in Loop: Header=BB69_6 Depth=1
	s_or_b64 exec, exec, s[78:79]
	v_add_u32_e32 v2, s8, v0
	v_cmp_gt_u32_e32 vcc, s10, v2
	s_and_saveexec_b64 s[16:17], vcc
	s_cbranch_execz .LBB69_62
; %bb.59:                               ;   in Loop: Header=BB69_6 Depth=1
	s_and_b32 s8, s7, 0xfe
	s_waitcnt vmcnt(0)
	v_lshlrev_b32_e32 v4, 3, v2
	s_mov_b64 s[28:29], 0
.LBB69_60:                              ;   Parent Loop BB69_6 Depth=1
                                        ; =>  This Inner Loop Header: Depth=2
	ds_read_b64 v[12:13], v4
	v_add_u32_e32 v2, s73, v2
	v_cmp_le_u32_e32 vcc, s10, v2
	v_add_u32_e32 v4, s6, v4
	s_waitcnt lgkmcnt(0)
	v_ashrrev_i32_e32 v5, 31, v13
	v_or_b32_e32 v14, 0x80000000, v5
	v_xor_b32_e32 v5, v5, v12
	v_cmp_o_f64_e64 s[18:19], v[12:13], v[12:13]
	v_xor_b32_e32 v13, v14, v13
	v_cndmask_b32_e64 v12, -1, v5, s[18:19]
	v_cndmask_b32_e64 v13, -1, v13, s[18:19]
	v_and_b32_e32 v14, v12, v28
	v_and_b32_e32 v15, v13, v29
	v_lshrrev_b64 v[12:13], s8, v[12:13]
	v_and_b32_e32 v20, 3, v12
	v_cmp_eq_u64_e64 s[18:19], v[14:15], v[26:27]
	v_cmp_eq_u64_e64 s[20:21], 0, v[20:21]
	;; [unrolled: 1-line block ×3, first 2 shown]
	s_and_b64 s[20:21], s[18:19], s[20:21]
	v_cmp_eq_u64_e64 s[24:25], 2, v[20:21]
	v_cmp_eq_u64_e64 s[26:27], 3, v[20:21]
	v_cndmask_b32_e64 v5, 0, 1, s[20:21]
	s_and_b64 s[20:21], s[18:19], s[22:23]
	v_cndmask_b32_e64 v12, 0, 1, s[20:21]
	s_and_b64 s[20:21], s[18:19], s[24:25]
	s_and_b64 s[18:19], s[18:19], s[26:27]
	v_cndmask_b32_e64 v13, 0, 1, s[20:21]
	v_cndmask_b32_e64 v14, 0, 1, s[18:19]
	v_cmp_ne_u32_e64 s[18:19], 0, v5
	v_cmp_ne_u32_e64 s[20:21], 0, v12
	;; [unrolled: 1-line block ×4, first 2 shown]
	s_bcnt1_i32_b64 s9, s[18:19]
	s_bcnt1_i32_b64 s11, s[20:21]
	;; [unrolled: 1-line block ×4, first 2 shown]
	v_add_u32_e32 v8, s9, v8
	v_add_u32_e32 v9, s11, v9
	v_add_u32_e32 v10, s18, v10
	s_or_b64 s[28:29], vcc, s[28:29]
	v_add_u32_e32 v11, s19, v11
	s_andn2_b64 exec, exec, s[28:29]
	s_cbranch_execnz .LBB69_60
; %bb.61:                               ;   in Loop: Header=BB69_6 Depth=1
	s_or_b64 exec, exec, s[28:29]
	s_or_b64 s[76:77], s[76:77], exec
.LBB69_62:                              ;   in Loop: Header=BB69_6 Depth=1
	s_or_b64 exec, exec, s[16:17]
.LBB69_63:                              ;   in Loop: Header=BB69_6 Depth=1
	s_and_saveexec_b64 s[8:9], s[76:77]
	s_or_b64 exec, exec, s[8:9]
	s_lshl_b32 s10, s68, 6
	s_and_saveexec_b64 s[8:9], s[0:1]
	s_cbranch_execz .LBB69_65
; %bb.64:                               ;   in Loop: Header=BB69_6 Depth=1
	v_or_b32_e32 v2, s10, v35
	v_lshlrev_b32_e32 v2, 2, v2
	ds_write_b128 v2, v[8:11] offset:3072
.LBB69_65:                              ;   in Loop: Header=BB69_6 Depth=1
	s_or_b64 exec, exec, s[8:9]
	s_waitcnt lgkmcnt(0)
	s_barrier
	s_and_saveexec_b64 s[16:17], s[70:71]
	s_cbranch_execz .LBB69_79
; %bb.66:                               ;   in Loop: Header=BB69_6 Depth=1
	v_readlane_b32 s8, v58, 19
	v_readlane_b32 s9, v58, 20
	v_add_u32_e32 v2, s10, v1
	s_andn2_b64 vcc, exec, s[8:9]
	s_waitcnt vmcnt(0)
	v_mov_b32_e32 v4, 0
	s_cbranch_vccnz .LBB69_78
; %bb.67:                               ;   in Loop: Header=BB69_6 Depth=1
	v_readlane_b32 s8, v58, 24
	v_readlane_b32 s9, v58, 25
	s_mov_b32 s11, 0
	s_and_b64 vcc, exec, s[8:9]
	v_mov_b32_e32 v4, 0
	s_cbranch_vccz .LBB69_71
; %bb.68:                               ;   in Loop: Header=BB69_6 Depth=1
	v_readlane_b32 s8, v58, 30
	v_readlane_b32 s18, v58, 11
	;; [unrolled: 1-line block ×3, first 2 shown]
	v_lshl_add_u32 v8, v2, 2, v46
	v_readlane_b32 s19, v58, 12
	s_andn2_b64 vcc, exec, s[8:9]
	s_cbranch_vccnz .LBB69_72
; %bb.69:                               ;   in Loop: Header=BB69_6 Depth=1
	v_writelane_b32 v58, s18, 11
	v_writelane_b32 v58, s19, 12
	s_mov_b32 s19, 1
	s_mov_b32 s18, 0
	v_mov_b32_e32 v4, 0
	v_readlane_b32 s8, v58, 32
	v_mov_b32_e32 v5, 0
.LBB69_70:                              ;   Parent Loop BB69_6 Depth=1
                                        ; =>  This Inner Loop Header: Depth=2
	v_lshl_add_u32 v9, s18, 4, v8
	v_lshl_add_u32 v20, s19, 4, v8
	ds_read2_b32 v[10:11], v9 offset1:8
	ds_read2_b32 v[12:13], v20 offset1:8
	ds_read2_b32 v[14:15], v9 offset0:16 offset1:24
	ds_read2_b32 v[30:31], v20 offset0:16 offset1:24
	ds_read2_b32 v[32:33], v9 offset0:32 offset1:40
	ds_read2_b32 v[48:49], v20 offset0:32 offset1:40
	ds_read2_b32 v[50:51], v9 offset0:48 offset1:56
	ds_read2_b32 v[52:53], v20 offset0:48 offset1:56
	s_waitcnt lgkmcnt(7)
	v_add3_u32 v4, v10, v4, v11
	s_waitcnt lgkmcnt(6)
	v_add3_u32 v5, v12, v5, v13
	;; [unrolled: 2-line block ×3, first 2 shown]
	v_add3_u32 v4, v14, v4, v15
	s_add_i32 s19, s19, 16
	s_add_i32 s18, s18, 16
	s_add_i32 s8, s8, -8
	s_waitcnt lgkmcnt(3)
	v_add3_u32 v4, v32, v4, v33
	s_waitcnt lgkmcnt(2)
	v_add3_u32 v5, v48, v5, v49
	s_cmp_lg_u32 s8, 0
	s_waitcnt lgkmcnt(0)
	v_add3_u32 v5, v52, v5, v53
	v_add3_u32 v4, v50, v4, v51
	s_cbranch_scc1 .LBB69_70
	s_branch .LBB69_73
.LBB69_71:                              ;   in Loop: Header=BB69_6 Depth=1
	s_cbranch_execnz .LBB69_76
	s_branch .LBB69_78
.LBB69_72:                              ;   in Loop: Header=BB69_6 Depth=1
	s_mov_b32 s8, s18
	s_mov_b32 s19, s18
	v_writelane_b32 v58, s8, 11
	v_pk_mov_b32 v[4:5], s[18:19], s[18:19] op_sel:[0,1]
	s_mov_b32 s19, 1
	v_writelane_b32 v58, s9, 12
.LBB69_73:                              ;   in Loop: Header=BB69_6 Depth=1
	v_readlane_b32 s8, v58, 34
	v_readlane_b32 s9, v58, 35
	s_andn2_b64 vcc, exec, s[8:9]
	v_readlane_b32 s8, v58, 33
	s_cbranch_vccnz .LBB69_75
.LBB69_74:                              ;   Parent Loop BB69_6 Depth=1
                                        ; =>  This Inner Loop Header: Depth=2
	v_lshl_add_u32 v9, s18, 4, v8
	v_lshl_add_u32 v10, s19, 4, v8
	ds_read_b32 v10, v10
	ds_read_b32 v9, v9
	s_add_i32 s19, s19, 2
	s_add_i32 s18, s18, 2
	s_add_i32 s8, s8, -1
	s_cmp_lg_u32 s8, 0
	s_waitcnt lgkmcnt(1)
	v_add_u32_e32 v5, v10, v5
	s_waitcnt lgkmcnt(0)
	v_add_u32_e32 v4, v9, v4
	s_cbranch_scc1 .LBB69_74
.LBB69_75:                              ;   in Loop: Header=BB69_6 Depth=1
	v_readlane_b32 s8, v58, 38
	v_add_u32_e32 v4, v4, v5
	v_readlane_b32 s11, v58, 37
	v_readlane_b32 s9, v58, 39
	s_and_b64 vcc, exec, s[8:9]
	s_cbranch_vccz .LBB69_78
.LBB69_76:                              ;   in Loop: Header=BB69_6 Depth=1
	s_lshl_b32 s8, s68, 8
	s_lshl_b32 s9, s11, 4
	s_add_i32 s8, s8, s9
	v_add_u32_e32 v5, s8, v45
	v_readlane_b32 s8, v58, 36
	s_sub_i32 s8, s8, s11
.LBB69_77:                              ;   Parent Loop BB69_6 Depth=1
                                        ; =>  This Inner Loop Header: Depth=2
	ds_read_b32 v8, v5
	s_add_i32 s8, s8, -1
	v_add_u32_e32 v5, 16, v5
	s_cmp_eq_u32 s8, 0
	s_waitcnt lgkmcnt(0)
	v_add_u32_e32 v4, v8, v4
	s_cbranch_scc0 .LBB69_77
.LBB69_78:                              ;   in Loop: Header=BB69_6 Depth=1
	v_lshlrev_b32_e32 v2, 2, v2
	ds_write_b32 v2, v4 offset:3072
.LBB69_79:                              ;   in Loop: Header=BB69_6 Depth=1
	s_or_b64 exec, exec, s[16:17]
	s_lshl_b32 s8, s10, 2
	v_mov_b32_e32 v2, s8
	s_waitcnt lgkmcnt(0)
	s_barrier
	ds_read_b128 v[8:11], v2 offset:3072
	s_and_b32 s59, s7, 0xfe
	v_readlane_b32 s8, v58, 15
	s_lshl_b64 s[22:23], 3, s59
	v_readlane_b32 s9, v58, 16
	s_waitcnt lgkmcnt(0)
	v_readfirstlane_b32 s69, v8
	v_readfirstlane_b32 s58, v9
	;; [unrolled: 1-line block ×4, first 2 shown]
	s_not_b64 s[24:25], s[22:23]
	s_andn2_b64 vcc, exec, s[8:9]
	v_cmp_eq_u32_e64 s[18:19], 1, v47
	s_cbranch_vccnz .LBB69_92
; %bb.80:                               ;   in Loop: Header=BB69_6 Depth=1
	s_cmp_eq_u32 s69, 1
	s_cselect_b64 s[8:9], -1, 0
	s_and_b64 s[16:17], s[8:9], s[18:19]
	s_mov_b64 s[8:9], -1
	s_waitcnt vmcnt(0)
	v_pk_mov_b32 v[12:13], v[26:27], v[26:27] op_sel:[0,1]
	v_pk_mov_b32 v[14:15], v[28:29], v[28:29] op_sel:[0,1]
	;; [unrolled: 1-line block ×3, first 2 shown]
                                        ; implicit-def: $sgpr26_sgpr27
                                        ; implicit-def: $sgpr34_sgpr35
                                        ; implicit-def: $sgpr30_sgpr31
	s_and_saveexec_b64 s[28:29], s[16:17]
	s_cbranch_execz .LBB69_108
; %bb.81:                               ;   in Loop: Header=BB69_6 Depth=1
	ds_read_b32 v2, v21 offset:4096
	s_waitcnt lgkmcnt(0)
	s_barrier
	v_readfirstlane_b32 s34, v2
	s_mov_b64 s[8:9], exec
	v_readlane_b32 s20, v58, 28
	v_readlane_b32 s21, v58, 29
	s_and_b64 s[20:21], s[8:9], s[20:21]
	s_mov_b64 exec, s[20:21]
	s_cbranch_execz .LBB69_83
; %bb.82:                               ;   in Loop: Header=BB69_6 Depth=1
	v_mov_b32_e32 v20, v21
	ds_write_b64 v37, v[20:21]
.LBB69_83:                              ;   in Loop: Header=BB69_6 Depth=1
	s_or_b64 exec, exec, s[8:9]
	v_and_b32_e32 v13, s25, v27
	v_and_b32_e32 v12, s24, v26
	v_or_b32_e32 v15, s23, v29
	v_or_b32_e32 v14, s22, v28
	s_cmp_eq_u32 s34, 0
	s_waitcnt lgkmcnt(0)
	s_barrier
	s_cbranch_scc1 .LBB69_94
; %bb.84:                               ;   in Loop: Header=BB69_6 Depth=1
	v_readlane_b32 s8, v58, 21
	s_add_i32 s8, s34, s8
	v_readlane_b32 s9, v58, 43
	s_mul_hi_u32 s9, s8, s9
	s_mul_i32 s9, s9, s73
	s_sub_i32 s9, s8, s9
	s_sub_i32 s20, s9, s73
	s_cmp_ge_u32 s9, s73
	s_cselect_b32 s9, s20, s9
	s_sub_i32 s20, s9, s73
	s_cmp_ge_u32 s9, s73
	s_cselect_b32 s9, s20, s9
	s_sub_i32 s35, s8, s9
	v_cmp_gt_u32_e32 vcc, s35, v0
	s_mov_b64 s[8:9], 0
                                        ; implicit-def: $vgpr10_vgpr11
	s_and_saveexec_b64 s[26:27], vcc
	s_cbranch_execz .LBB69_96
; %bb.85:                               ;   in Loop: Header=BB69_6 Depth=1
	s_mov_b64 s[30:31], 0
	v_mov_b32_e32 v20, v36
	v_mov_b32_e32 v30, v0
                                        ; implicit-def: $sgpr8_sgpr9
	s_branch .LBB69_87
.LBB69_86:                              ;   in Loop: Header=BB69_87 Depth=2
	s_or_b64 exec, exec, s[20:21]
	s_waitcnt lgkmcnt(0)
	s_barrier
	ds_read_b128 v[8:11], v21 offset:3072
	v_add_u32_e32 v30, s73, v30
	v_cmp_le_u32_e64 s[20:21], s35, v30
	v_add_u32_e32 v20, s6, v20
	s_waitcnt lgkmcnt(0)
	v_cmp_neq_f64_e32 vcc, 0, v[8:9]
	s_or_b64 s[20:21], s[20:21], vcc
	s_and_b64 s[20:21], exec, s[20:21]
	s_or_b64 s[30:31], s[20:21], s[30:31]
	s_andn2_b64 s[8:9], s[8:9], exec
	s_and_b64 s[20:21], vcc, exec
	s_or_b64 s[8:9], s[8:9], s[20:21]
	s_barrier
	s_andn2_b64 exec, exec, s[30:31]
	s_cbranch_execz .LBB69_95
.LBB69_87:                              ;   Parent Loop BB69_6 Depth=1
                                        ; =>  This Inner Loop Header: Depth=2
	v_cmp_gt_u32_e32 vcc, s34, v30
	v_pk_mov_b32 v[4:5], 0, 0
	s_and_saveexec_b64 s[20:21], vcc
	s_cbranch_execz .LBB69_89
; %bb.88:                               ;   in Loop: Header=BB69_87 Depth=2
	ds_read_b64 v[4:5], v20
.LBB69_89:                              ;   in Loop: Header=BB69_87 Depth=2
	s_or_b64 exec, exec, s[20:21]
	s_and_saveexec_b64 s[20:21], vcc
	s_cbranch_execz .LBB69_86
; %bb.90:                               ;   in Loop: Header=BB69_87 Depth=2
	s_waitcnt lgkmcnt(0)
	v_ashrrev_i32_e32 v2, 31, v5
	v_or_b32_e32 v8, 0x80000000, v2
	v_xor_b32_e32 v8, v8, v5
	v_xor_b32_e32 v2, v2, v4
	v_cmp_o_f64_e32 vcc, v[4:5], v[4:5]
	v_cndmask_b32_e32 v8, -1, v8, vcc
	v_cndmask_b32_e32 v2, -1, v2, vcc
	v_and_b32_e32 v9, v8, v15
	v_and_b32_e32 v8, v2, v14
	v_cmp_eq_u64_e32 vcc, v[8:9], v[12:13]
	s_and_b64 exec, exec, vcc
	s_cbranch_execz .LBB69_86
; %bb.91:                               ;   in Loop: Header=BB69_87 Depth=2
	v_mov_b32_e32 v2, v21
	ds_write_b128 v21, v[2:5] offset:3072
	s_branch .LBB69_86
.LBB69_92:                              ;   in Loop: Header=BB69_6 Depth=1
	s_mov_b64 s[28:29], 0
	s_mov_b64 s[20:21], 0
                                        ; implicit-def: $sgpr30_sgpr31
                                        ; implicit-def: $sgpr34_sgpr35
                                        ; implicit-def: $sgpr26_sgpr27
                                        ; implicit-def: $vgpr2
                                        ; implicit-def: $vgpr30
                                        ; implicit-def: $vgpr12_vgpr13
                                        ; implicit-def: $vgpr14_vgpr15
                                        ; implicit-def: $vgpr10_vgpr11
	s_cbranch_execnz .LBB69_244
.LBB69_93:                              ;   in Loop: Header=BB69_6 Depth=1
	s_mov_b64 s[36:37], s[26:27]
	s_mov_b64 s[38:39], s[26:27]
	s_and_saveexec_b64 s[8:9], s[28:29]
	s_cbranch_execnz .LBB69_406
	s_branch .LBB69_407
.LBB69_94:                              ;   in Loop: Header=BB69_6 Depth=1
	s_mov_b64 s[26:27], -1
	s_mov_b64 s[8:9], 0
                                        ; implicit-def: $sgpr30_sgpr31
                                        ; implicit-def: $vgpr10_vgpr11
	s_mov_b64 s[34:35], s[26:27]
	s_cbranch_execnz .LBB69_97
	s_branch .LBB69_107
.LBB69_95:                              ;   in Loop: Header=BB69_6 Depth=1
	s_or_b64 exec, exec, s[30:31]
	s_and_b64 s[8:9], s[8:9], exec
.LBB69_96:                              ;   in Loop: Header=BB69_6 Depth=1
	s_or_b64 exec, exec, s[26:27]
	s_mov_b64 s[30:31], -1
	s_mov_b64 s[26:27], 0
	s_mov_b64 s[34:35], s[26:27]
	s_branch .LBB69_107
.LBB69_97:                              ;   in Loop: Header=BB69_6 Depth=1
	s_mov_b64 s[8:9], 0
                                        ; implicit-def: $vgpr10_vgpr11
	s_mov_b64 s[26:27], exec
	v_readlane_b32 s20, v58, 44
	v_readlane_b32 s21, v58, 45
	s_and_b64 s[20:21], s[26:27], s[20:21]
	s_mov_b64 exec, s[20:21]
	s_cbranch_execz .LBB69_106
; %bb.98:                               ;   in Loop: Header=BB69_6 Depth=1
	s_mov_b64 s[30:31], 0
	v_mov_b32_e32 v20, v22
	v_mov_b32_e32 v30, v0
                                        ; implicit-def: $sgpr8_sgpr9
	s_branch .LBB69_100
.LBB69_99:                              ;   in Loop: Header=BB69_100 Depth=2
	s_or_b64 exec, exec, s[20:21]
	s_waitcnt lgkmcnt(0)
	s_barrier
	ds_read_b128 v[8:11], v21 offset:3072
	v_add_u32_e32 v30, s73, v30
	v_cmp_le_u32_e64 s[20:21], s12, v30
	v_add_u32_e32 v20, s74, v20
	s_waitcnt lgkmcnt(0)
	v_cmp_neq_f64_e32 vcc, 0, v[8:9]
	s_or_b64 s[20:21], s[20:21], vcc
	s_and_b64 s[20:21], exec, s[20:21]
	s_or_b64 s[30:31], s[20:21], s[30:31]
	s_andn2_b64 s[8:9], s[8:9], exec
	s_and_b64 s[20:21], vcc, exec
	s_or_b64 s[8:9], s[8:9], s[20:21]
	s_barrier
	s_andn2_b64 exec, exec, s[30:31]
	s_cbranch_execz .LBB69_105
.LBB69_100:                             ;   Parent Loop BB69_6 Depth=1
                                        ; =>  This Inner Loop Header: Depth=2
	v_cmp_gt_u32_e32 vcc, s60, v30
	s_waitcnt vmcnt(0)
	v_pk_mov_b32 v[4:5], 0, 0
	s_and_saveexec_b64 s[34:35], vcc
	s_cbranch_execz .LBB69_102
; %bb.101:                              ;   in Loop: Header=BB69_100 Depth=2
	v_lshlrev_b64 v[4:5], 3, v[20:21]
	v_mov_b32_e32 v2, s72
	v_add_co_u32_e64 v4, s[20:21], s33, v4
	v_addc_co_u32_e64 v5, s[20:21], v2, v5, s[20:21]
	global_load_dwordx2 v[4:5], v[4:5], off
.LBB69_102:                             ;   in Loop: Header=BB69_100 Depth=2
	s_or_b64 exec, exec, s[34:35]
	s_and_saveexec_b64 s[20:21], vcc
	s_cbranch_execz .LBB69_99
; %bb.103:                              ;   in Loop: Header=BB69_100 Depth=2
	s_waitcnt vmcnt(0)
	v_ashrrev_i32_e32 v2, 31, v5
	v_or_b32_e32 v8, 0x80000000, v2
	v_xor_b32_e32 v8, v8, v5
	v_xor_b32_e32 v2, v2, v4
	v_cmp_o_f64_e32 vcc, v[4:5], v[4:5]
	v_cndmask_b32_e32 v8, -1, v8, vcc
	v_cndmask_b32_e32 v2, -1, v2, vcc
	v_and_b32_e32 v9, v8, v15
	v_and_b32_e32 v8, v2, v14
	v_cmp_eq_u64_e32 vcc, v[8:9], v[12:13]
	s_and_b64 exec, exec, vcc
	s_cbranch_execz .LBB69_99
; %bb.104:                              ;   in Loop: Header=BB69_100 Depth=2
	v_mov_b32_e32 v2, v21
	ds_write_b128 v21, v[2:5] offset:3072
	s_branch .LBB69_99
.LBB69_105:                             ;   in Loop: Header=BB69_6 Depth=1
	s_or_b64 exec, exec, s[30:31]
	s_and_b64 s[8:9], s[8:9], exec
.LBB69_106:                             ;   in Loop: Header=BB69_6 Depth=1
	s_or_b64 exec, exec, s[26:27]
	s_mov_b64 s[34:35], -1
	s_mov_b64 s[26:27], 0
	s_mov_b64 s[30:31], 0
.LBB69_107:                             ;   in Loop: Header=BB69_6 Depth=1
	s_orn2_b64 s[8:9], s[8:9], exec
.LBB69_108:                             ;   in Loop: Header=BB69_6 Depth=1
	s_or_b64 exec, exec, s[28:29]
	s_mov_b64 s[36:37], 0
	s_mov_b64 s[28:29], 0
	;; [unrolled: 1-line block ×3, first 2 shown]
                                        ; implicit-def: $vgpr2
                                        ; implicit-def: $vgpr30
	s_and_saveexec_b64 s[38:39], s[8:9]
	s_cbranch_execz .LBB69_243
; %bb.109:                              ;   in Loop: Header=BB69_6 Depth=1
	s_xor_b64 s[20:21], s[16:17], -1
	s_mov_b64 s[8:9], 0
	v_mov_b32_e32 v30, 1
	v_mov_b32_e32 v2, 1
	s_and_saveexec_b64 s[16:17], s[20:21]
	s_cbranch_execz .LBB69_119
; %bb.110:                              ;   in Loop: Header=BB69_6 Depth=1
	v_cmp_ge_u32_e32 vcc, s69, v47
                                        ; implicit-def: $sgpr28
                                        ; implicit-def: $sgpr8_sgpr9
	s_and_saveexec_b64 s[20:21], vcc
	s_xor_b64 s[20:21], exec, s[20:21]
	s_cbranch_execz .LBB69_116
; %bb.111:                              ;   in Loop: Header=BB69_6 Depth=1
	ds_read_b32 v2, v21 offset:4096
	s_waitcnt lgkmcnt(0)
	v_cmp_ne_u32_e32 vcc, 0, v2
	s_cbranch_vccnz .LBB69_115
; %bb.112:                              ;   in Loop: Header=BB69_6 Depth=1
	s_mov_b64 s[8:9], exec
	v_readlane_b32 s28, v58, 4
	v_readlane_b32 s29, v58, 5
	s_and_b64 s[28:29], s[8:9], s[28:29]
	s_mov_b64 exec, s[28:29]
	s_cbranch_execz .LBB69_114
; %bb.113:                              ;   in Loop: Header=BB69_6 Depth=1
	v_mov_b32_e32 v2, s69
	ds_write_b32 v21, v2 offset:4100
.LBB69_114:                             ;   in Loop: Header=BB69_6 Depth=1
	s_or_b64 exec, exec, s[8:9]
	s_waitcnt lgkmcnt(0)
	s_barrier
.LBB69_115:                             ;   in Loop: Header=BB69_6 Depth=1
	v_and_b32_e32 v13, s25, v13
	v_and_b32_e32 v12, s24, v12
	v_or_b32_e32 v15, s23, v15
	v_or_b32_e32 v14, s22, v14
	s_mov_b64 s[8:9], 0
	s_mov_b32 s28, 8
.LBB69_116:                             ;   in Loop: Header=BB69_6 Depth=1
	s_or_saveexec_b64 s[20:21], s[20:21]
	v_mov_b32_e32 v2, s28
	v_mov_b32_e32 v30, v47
	s_xor_b64 exec, exec, s[20:21]
; %bb.117:                              ;   in Loop: Header=BB69_6 Depth=1
	v_subrev_u32_e32 v30, s69, v47
	v_mov_b32_e32 v2, 0
	s_or_b64 s[8:9], s[8:9], exec
; %bb.118:                              ;   in Loop: Header=BB69_6 Depth=1
	s_or_b64 exec, exec, s[20:21]
	s_and_b64 s[8:9], s[8:9], exec
.LBB69_119:                             ;   in Loop: Header=BB69_6 Depth=1
	s_or_b64 exec, exec, s[16:17]
	s_mov_b64 s[42:43], -1
                                        ; implicit-def: $sgpr16_sgpr17
                                        ; implicit-def: $sgpr40_sgpr41
                                        ; implicit-def: $sgpr46_sgpr47
	s_and_saveexec_b64 s[20:21], s[8:9]
	s_xor_b64 s[28:29], exec, s[20:21]
	s_cbranch_execz .LBB69_240
; %bb.120:                              ;   in Loop: Header=BB69_6 Depth=1
	s_cmp_eq_u32 s58, 1
	s_cselect_b64 s[8:9], -1, 0
	v_cmp_eq_u32_e32 vcc, 1, v30
	s_and_b64 s[16:17], s[8:9], vcc
	s_mov_b64 s[20:21], -1
                                        ; implicit-def: $sgpr40_sgpr41
                                        ; implicit-def: $sgpr44_sgpr45
                                        ; implicit-def: $sgpr42_sgpr43
	s_and_saveexec_b64 s[46:47], s[16:17]
	s_cbranch_execz .LBB69_146
; %bb.121:                              ;   in Loop: Header=BB69_6 Depth=1
	ds_read_b32 v2, v21 offset:4096
	s_waitcnt lgkmcnt(0)
	s_barrier
	v_readfirstlane_b32 s44, v2
	s_mov_b64 s[8:9], exec
	v_readlane_b32 s20, v58, 28
	v_readlane_b32 s21, v58, 29
	s_and_b64 s[20:21], s[8:9], s[20:21]
	s_mov_b64 exec, s[20:21]
	s_cbranch_execz .LBB69_123
; %bb.122:                              ;   in Loop: Header=BB69_6 Depth=1
	v_mov_b32_e32 v20, v21
	ds_write_b64 v37, v[20:21]
.LBB69_123:                             ;   in Loop: Header=BB69_6 Depth=1
	s_or_b64 exec, exec, s[8:9]
	s_lshl_b64 s[8:9], 1, s59
	v_and_b32_e32 v2, s25, v13
	s_waitcnt vmcnt(0)
	v_and_b32_e32 v4, s24, v12
	v_or_b32_e32 v13, s9, v2
	v_or_b32_e32 v12, s8, v4
	;; [unrolled: 1-line block ×4, first 2 shown]
	s_cmp_eq_u32 s44, 0
	s_waitcnt lgkmcnt(0)
	s_barrier
	s_cbranch_scc1 .LBB69_132
; %bb.124:                              ;   in Loop: Header=BB69_6 Depth=1
	v_readlane_b32 s8, v58, 21
	s_add_i32 s8, s44, s8
	v_readlane_b32 s9, v58, 43
	s_mul_hi_u32 s9, s8, s9
	s_mul_i32 s9, s9, s73
	s_sub_i32 s9, s8, s9
	s_sub_i32 s20, s9, s73
	s_cmp_ge_u32 s9, s73
	s_cselect_b32 s9, s20, s9
	s_sub_i32 s20, s9, s73
	s_cmp_ge_u32 s9, s73
	s_cselect_b32 s9, s20, s9
	s_sub_i32 s45, s8, s9
	v_cmp_gt_u32_e32 vcc, s45, v0
	s_mov_b64 s[8:9], 0
                                        ; implicit-def: $vgpr10_vgpr11
	s_and_saveexec_b64 s[40:41], vcc
	s_cbranch_execz .LBB69_134
; %bb.125:                              ;   in Loop: Header=BB69_6 Depth=1
	s_mov_b64 s[42:43], 0
	v_mov_b32_e32 v20, v36
	v_mov_b32_e32 v31, v0
                                        ; implicit-def: $sgpr8_sgpr9
	s_branch .LBB69_127
.LBB69_126:                             ;   in Loop: Header=BB69_127 Depth=2
	s_or_b64 exec, exec, s[20:21]
	s_waitcnt lgkmcnt(0)
	s_barrier
	ds_read_b128 v[8:11], v21 offset:3072
	v_add_u32_e32 v31, s73, v31
	v_cmp_le_u32_e64 s[20:21], s45, v31
	v_add_u32_e32 v20, s6, v20
	s_waitcnt lgkmcnt(0)
	v_cmp_neq_f64_e32 vcc, 0, v[8:9]
	s_or_b64 s[20:21], s[20:21], vcc
	s_and_b64 s[20:21], exec, s[20:21]
	s_or_b64 s[42:43], s[20:21], s[42:43]
	s_andn2_b64 s[8:9], s[8:9], exec
	s_and_b64 s[20:21], vcc, exec
	s_or_b64 s[8:9], s[8:9], s[20:21]
	s_barrier
	s_andn2_b64 exec, exec, s[42:43]
	s_cbranch_execz .LBB69_133
.LBB69_127:                             ;   Parent Loop BB69_6 Depth=1
                                        ; =>  This Inner Loop Header: Depth=2
	v_cmp_gt_u32_e32 vcc, s44, v31
	v_pk_mov_b32 v[4:5], 0, 0
	s_and_saveexec_b64 s[20:21], vcc
	s_cbranch_execz .LBB69_129
; %bb.128:                              ;   in Loop: Header=BB69_127 Depth=2
	ds_read_b64 v[4:5], v20
.LBB69_129:                             ;   in Loop: Header=BB69_127 Depth=2
	s_or_b64 exec, exec, s[20:21]
	s_and_saveexec_b64 s[20:21], vcc
	s_cbranch_execz .LBB69_126
; %bb.130:                              ;   in Loop: Header=BB69_127 Depth=2
	s_waitcnt lgkmcnt(0)
	v_ashrrev_i32_e32 v2, 31, v5
	v_or_b32_e32 v8, 0x80000000, v2
	v_xor_b32_e32 v8, v8, v5
	v_xor_b32_e32 v2, v2, v4
	v_cmp_o_f64_e32 vcc, v[4:5], v[4:5]
	v_cndmask_b32_e32 v8, -1, v8, vcc
	v_cndmask_b32_e32 v2, -1, v2, vcc
	v_and_b32_e32 v9, v8, v15
	v_and_b32_e32 v8, v2, v14
	v_cmp_eq_u64_e32 vcc, v[8:9], v[12:13]
	s_and_b64 exec, exec, vcc
	s_cbranch_execz .LBB69_126
; %bb.131:                              ;   in Loop: Header=BB69_127 Depth=2
	v_mov_b32_e32 v2, v21
	ds_write_b128 v21, v[2:5] offset:3072
	s_branch .LBB69_126
.LBB69_132:                             ;   in Loop: Header=BB69_6 Depth=1
	s_mov_b64 s[40:41], -1
	s_mov_b64 s[8:9], 0
                                        ; implicit-def: $sgpr42_sgpr43
                                        ; implicit-def: $vgpr10_vgpr11
	s_mov_b64 s[44:45], s[40:41]
	s_cbranch_execnz .LBB69_135
	s_branch .LBB69_145
.LBB69_133:                             ;   in Loop: Header=BB69_6 Depth=1
	s_or_b64 exec, exec, s[42:43]
	s_and_b64 s[8:9], s[8:9], exec
.LBB69_134:                             ;   in Loop: Header=BB69_6 Depth=1
	s_or_b64 exec, exec, s[40:41]
	s_mov_b64 s[42:43], -1
	s_mov_b64 s[40:41], 0
	s_mov_b64 s[44:45], s[40:41]
	s_branch .LBB69_145
.LBB69_135:                             ;   in Loop: Header=BB69_6 Depth=1
	s_mov_b64 s[8:9], 0
                                        ; implicit-def: $vgpr10_vgpr11
	s_mov_b64 s[40:41], exec
	v_readlane_b32 s20, v58, 44
	v_readlane_b32 s21, v58, 45
	s_and_b64 s[20:21], s[40:41], s[20:21]
	s_mov_b64 exec, s[20:21]
	s_cbranch_execz .LBB69_144
; %bb.136:                              ;   in Loop: Header=BB69_6 Depth=1
	s_mov_b64 s[42:43], 0
	v_mov_b32_e32 v20, v22
	v_mov_b32_e32 v31, v0
                                        ; implicit-def: $sgpr8_sgpr9
	s_branch .LBB69_138
.LBB69_137:                             ;   in Loop: Header=BB69_138 Depth=2
	s_or_b64 exec, exec, s[20:21]
	s_waitcnt lgkmcnt(0)
	s_barrier
	ds_read_b128 v[8:11], v21 offset:3072
	v_add_u32_e32 v31, s73, v31
	v_cmp_le_u32_e64 s[20:21], s12, v31
	v_add_u32_e32 v20, s74, v20
	s_waitcnt lgkmcnt(0)
	v_cmp_neq_f64_e32 vcc, 0, v[8:9]
	s_or_b64 s[20:21], s[20:21], vcc
	s_and_b64 s[20:21], exec, s[20:21]
	s_or_b64 s[42:43], s[20:21], s[42:43]
	s_andn2_b64 s[8:9], s[8:9], exec
	s_and_b64 s[20:21], vcc, exec
	s_or_b64 s[8:9], s[8:9], s[20:21]
	s_barrier
	s_andn2_b64 exec, exec, s[42:43]
	s_cbranch_execz .LBB69_143
.LBB69_138:                             ;   Parent Loop BB69_6 Depth=1
                                        ; =>  This Inner Loop Header: Depth=2
	v_cmp_gt_u32_e32 vcc, s60, v31
	s_waitcnt vmcnt(0)
	v_pk_mov_b32 v[4:5], 0, 0
	s_and_saveexec_b64 s[44:45], vcc
	s_cbranch_execz .LBB69_140
; %bb.139:                              ;   in Loop: Header=BB69_138 Depth=2
	v_lshlrev_b64 v[4:5], 3, v[20:21]
	v_mov_b32_e32 v2, s72
	v_add_co_u32_e64 v4, s[20:21], s33, v4
	v_addc_co_u32_e64 v5, s[20:21], v2, v5, s[20:21]
	global_load_dwordx2 v[4:5], v[4:5], off
.LBB69_140:                             ;   in Loop: Header=BB69_138 Depth=2
	s_or_b64 exec, exec, s[44:45]
	s_and_saveexec_b64 s[20:21], vcc
	s_cbranch_execz .LBB69_137
; %bb.141:                              ;   in Loop: Header=BB69_138 Depth=2
	s_waitcnt vmcnt(0)
	v_ashrrev_i32_e32 v2, 31, v5
	v_or_b32_e32 v8, 0x80000000, v2
	v_xor_b32_e32 v8, v8, v5
	v_xor_b32_e32 v2, v2, v4
	v_cmp_o_f64_e32 vcc, v[4:5], v[4:5]
	v_cndmask_b32_e32 v8, -1, v8, vcc
	v_cndmask_b32_e32 v2, -1, v2, vcc
	v_and_b32_e32 v9, v8, v15
	v_and_b32_e32 v8, v2, v14
	v_cmp_eq_u64_e32 vcc, v[8:9], v[12:13]
	s_and_b64 exec, exec, vcc
	s_cbranch_execz .LBB69_137
; %bb.142:                              ;   in Loop: Header=BB69_138 Depth=2
	v_mov_b32_e32 v2, v21
	ds_write_b128 v21, v[2:5] offset:3072
	s_branch .LBB69_137
.LBB69_143:                             ;   in Loop: Header=BB69_6 Depth=1
	s_or_b64 exec, exec, s[42:43]
	s_and_b64 s[8:9], s[8:9], exec
.LBB69_144:                             ;   in Loop: Header=BB69_6 Depth=1
	s_or_b64 exec, exec, s[40:41]
	s_mov_b64 s[44:45], -1
	s_mov_b64 s[40:41], 0
	s_mov_b64 s[42:43], 0
.LBB69_145:                             ;   in Loop: Header=BB69_6 Depth=1
	s_orn2_b64 s[20:21], s[8:9], exec
.LBB69_146:                             ;   in Loop: Header=BB69_6 Depth=1
	s_or_b64 exec, exec, s[46:47]
	s_mov_b64 s[8:9], 0
                                        ; implicit-def: $vgpr2
	s_and_saveexec_b64 s[46:47], s[20:21]
	s_cbranch_execz .LBB69_239
; %bb.147:                              ;   in Loop: Header=BB69_6 Depth=1
	s_xor_b64 s[8:9], s[16:17], -1
	s_mov_b64 s[52:53], 0
	v_mov_b32_e32 v31, 1
	v_mov_b32_e32 v2, 1
	s_and_saveexec_b64 s[16:17], s[8:9]
	s_cbranch_execz .LBB69_157
; %bb.148:                              ;   in Loop: Header=BB69_6 Depth=1
	v_cmp_ge_u32_e32 vcc, s58, v30
                                        ; implicit-def: $sgpr48
                                        ; implicit-def: $sgpr8_sgpr9
	s_and_saveexec_b64 s[20:21], vcc
	s_xor_b64 s[20:21], exec, s[20:21]
	s_cbranch_execz .LBB69_154
; %bb.149:                              ;   in Loop: Header=BB69_6 Depth=1
	ds_read_b32 v2, v21 offset:4096
	s_waitcnt lgkmcnt(0)
	v_cmp_ne_u32_e32 vcc, 0, v2
	s_cbranch_vccnz .LBB69_153
; %bb.150:                              ;   in Loop: Header=BB69_6 Depth=1
	s_mov_b64 s[8:9], exec
	v_readlane_b32 s48, v58, 4
	v_readlane_b32 s49, v58, 5
	s_and_b64 s[48:49], s[8:9], s[48:49]
	s_mov_b64 exec, s[48:49]
	s_cbranch_execz .LBB69_152
; %bb.151:                              ;   in Loop: Header=BB69_6 Depth=1
	v_mov_b32_e32 v2, s58
	ds_write_b32 v21, v2 offset:4100
.LBB69_152:                             ;   in Loop: Header=BB69_6 Depth=1
	s_or_b64 exec, exec, s[8:9]
	s_waitcnt lgkmcnt(0)
	s_barrier
.LBB69_153:                             ;   in Loop: Header=BB69_6 Depth=1
	s_lshl_b64 s[8:9], 1, s59
	v_and_b32_e32 v2, s25, v13
	s_waitcnt vmcnt(0)
	v_and_b32_e32 v4, s24, v12
	v_or_b32_e32 v13, s9, v2
	v_or_b32_e32 v12, s8, v4
	;; [unrolled: 1-line block ×4, first 2 shown]
	s_mov_b64 s[8:9], 0
	s_mov_b32 s48, 8
.LBB69_154:                             ;   in Loop: Header=BB69_6 Depth=1
	s_or_saveexec_b64 s[20:21], s[20:21]
	v_mov_b32_e32 v2, s48
	s_xor_b64 exec, exec, s[20:21]
; %bb.155:                              ;   in Loop: Header=BB69_6 Depth=1
	v_subrev_u32_e32 v30, s58, v30
	v_mov_b32_e32 v2, 0
	s_or_b64 s[8:9], s[8:9], exec
; %bb.156:                              ;   in Loop: Header=BB69_6 Depth=1
	s_or_b64 exec, exec, s[20:21]
	s_and_b64 s[52:53], s[8:9], exec
	v_mov_b32_e32 v31, v30
.LBB69_157:                             ;   in Loop: Header=BB69_6 Depth=1
	s_or_b64 exec, exec, s[16:17]
	s_mov_b64 s[8:9], -1
                                        ; implicit-def: $sgpr16_sgpr17
                                        ; implicit-def: $sgpr20_sgpr21
                                        ; implicit-def: $sgpr50_sgpr51
	s_and_saveexec_b64 s[48:49], s[52:53]
	s_cbranch_execz .LBB69_238
; %bb.158:                              ;   in Loop: Header=BB69_6 Depth=1
	s_cmp_eq_u32 s10, 1
	s_cselect_b64 s[8:9], -1, 0
	v_cmp_eq_u32_e32 vcc, 1, v31
	s_and_b64 s[16:17], s[8:9], vcc
	s_mov_b64 s[20:21], -1
                                        ; implicit-def: $sgpr50_sgpr51
                                        ; implicit-def: $sgpr54_sgpr55
                                        ; implicit-def: $sgpr52_sgpr53
	s_and_saveexec_b64 s[56:57], s[16:17]
	s_cbranch_execz .LBB69_184
; %bb.159:                              ;   in Loop: Header=BB69_6 Depth=1
	ds_read_b32 v2, v21 offset:4096
	s_waitcnt lgkmcnt(0)
	s_barrier
	v_readfirstlane_b32 s54, v2
	s_mov_b64 s[8:9], exec
	v_readlane_b32 s20, v58, 28
	v_readlane_b32 s21, v58, 29
	s_and_b64 s[20:21], s[8:9], s[20:21]
	s_mov_b64 exec, s[20:21]
	s_cbranch_execz .LBB69_161
; %bb.160:                              ;   in Loop: Header=BB69_6 Depth=1
	v_mov_b32_e32 v20, v21
	ds_write_b64 v37, v[20:21]
.LBB69_161:                             ;   in Loop: Header=BB69_6 Depth=1
	s_or_b64 exec, exec, s[8:9]
	s_lshl_b64 s[8:9], 2, s59
	v_and_b32_e32 v2, s25, v13
	s_waitcnt vmcnt(0)
	v_and_b32_e32 v4, s24, v12
	v_or_b32_e32 v13, s9, v2
	v_or_b32_e32 v12, s8, v4
	;; [unrolled: 1-line block ×4, first 2 shown]
	s_cmp_eq_u32 s54, 0
	s_waitcnt lgkmcnt(0)
	s_barrier
	s_cbranch_scc1 .LBB69_170
; %bb.162:                              ;   in Loop: Header=BB69_6 Depth=1
	v_readlane_b32 s8, v58, 21
	s_add_i32 s8, s54, s8
	v_readlane_b32 s9, v58, 43
	s_mul_hi_u32 s9, s8, s9
	s_mul_i32 s9, s9, s73
	s_sub_i32 s9, s8, s9
	s_sub_i32 s20, s9, s73
	s_cmp_ge_u32 s9, s73
	s_cselect_b32 s9, s20, s9
	s_sub_i32 s20, s9, s73
	s_cmp_ge_u32 s9, s73
	s_cselect_b32 s9, s20, s9
	s_sub_i32 s55, s8, s9
	v_cmp_gt_u32_e32 vcc, s55, v0
	s_mov_b64 s[8:9], 0
                                        ; implicit-def: $vgpr10_vgpr11
	s_and_saveexec_b64 s[50:51], vcc
	s_cbranch_execz .LBB69_172
; %bb.163:                              ;   in Loop: Header=BB69_6 Depth=1
	s_mov_b64 s[52:53], 0
	v_mov_b32_e32 v20, v36
	v_mov_b32_e32 v30, v0
                                        ; implicit-def: $sgpr8_sgpr9
	s_branch .LBB69_165
.LBB69_164:                             ;   in Loop: Header=BB69_165 Depth=2
	s_or_b64 exec, exec, s[20:21]
	s_waitcnt lgkmcnt(0)
	s_barrier
	ds_read_b128 v[8:11], v21 offset:3072
	v_add_u32_e32 v30, s73, v30
	v_cmp_le_u32_e64 s[20:21], s55, v30
	v_add_u32_e32 v20, s6, v20
	s_waitcnt lgkmcnt(0)
	v_cmp_neq_f64_e32 vcc, 0, v[8:9]
	s_or_b64 s[20:21], s[20:21], vcc
	s_and_b64 s[20:21], exec, s[20:21]
	s_or_b64 s[52:53], s[20:21], s[52:53]
	s_andn2_b64 s[8:9], s[8:9], exec
	s_and_b64 s[20:21], vcc, exec
	s_or_b64 s[8:9], s[8:9], s[20:21]
	s_barrier
	s_andn2_b64 exec, exec, s[52:53]
	s_cbranch_execz .LBB69_171
.LBB69_165:                             ;   Parent Loop BB69_6 Depth=1
                                        ; =>  This Inner Loop Header: Depth=2
	v_cmp_gt_u32_e32 vcc, s54, v30
	v_pk_mov_b32 v[4:5], 0, 0
	s_and_saveexec_b64 s[20:21], vcc
	s_cbranch_execz .LBB69_167
; %bb.166:                              ;   in Loop: Header=BB69_165 Depth=2
	ds_read_b64 v[4:5], v20
.LBB69_167:                             ;   in Loop: Header=BB69_165 Depth=2
	s_or_b64 exec, exec, s[20:21]
	s_and_saveexec_b64 s[20:21], vcc
	s_cbranch_execz .LBB69_164
; %bb.168:                              ;   in Loop: Header=BB69_165 Depth=2
	s_waitcnt lgkmcnt(0)
	v_ashrrev_i32_e32 v2, 31, v5
	v_or_b32_e32 v8, 0x80000000, v2
	v_xor_b32_e32 v8, v8, v5
	v_xor_b32_e32 v2, v2, v4
	v_cmp_o_f64_e32 vcc, v[4:5], v[4:5]
	v_cndmask_b32_e32 v8, -1, v8, vcc
	v_cndmask_b32_e32 v2, -1, v2, vcc
	v_and_b32_e32 v9, v8, v15
	v_and_b32_e32 v8, v2, v14
	v_cmp_eq_u64_e32 vcc, v[8:9], v[12:13]
	s_and_b64 exec, exec, vcc
	s_cbranch_execz .LBB69_164
; %bb.169:                              ;   in Loop: Header=BB69_165 Depth=2
	v_mov_b32_e32 v2, v21
	ds_write_b128 v21, v[2:5] offset:3072
	s_branch .LBB69_164
.LBB69_170:                             ;   in Loop: Header=BB69_6 Depth=1
	s_mov_b64 s[50:51], -1
	s_mov_b64 s[8:9], 0
                                        ; implicit-def: $sgpr52_sgpr53
                                        ; implicit-def: $vgpr10_vgpr11
	s_mov_b64 s[54:55], s[50:51]
	s_cbranch_execnz .LBB69_173
	s_branch .LBB69_183
.LBB69_171:                             ;   in Loop: Header=BB69_6 Depth=1
	s_or_b64 exec, exec, s[52:53]
	s_and_b64 s[8:9], s[8:9], exec
.LBB69_172:                             ;   in Loop: Header=BB69_6 Depth=1
	s_or_b64 exec, exec, s[50:51]
	s_mov_b64 s[52:53], -1
	s_mov_b64 s[50:51], 0
	s_mov_b64 s[54:55], s[50:51]
	s_branch .LBB69_183
.LBB69_173:                             ;   in Loop: Header=BB69_6 Depth=1
	s_mov_b64 s[8:9], 0
                                        ; implicit-def: $vgpr10_vgpr11
	s_mov_b64 s[50:51], exec
	v_readlane_b32 s20, v58, 44
	v_readlane_b32 s21, v58, 45
	s_and_b64 s[20:21], s[50:51], s[20:21]
	s_mov_b64 exec, s[20:21]
	s_cbranch_execz .LBB69_182
; %bb.174:                              ;   in Loop: Header=BB69_6 Depth=1
	s_mov_b64 s[52:53], 0
	v_mov_b32_e32 v20, v22
	v_mov_b32_e32 v30, v0
                                        ; implicit-def: $sgpr8_sgpr9
	s_branch .LBB69_176
.LBB69_175:                             ;   in Loop: Header=BB69_176 Depth=2
	s_or_b64 exec, exec, s[20:21]
	s_waitcnt lgkmcnt(0)
	s_barrier
	ds_read_b128 v[8:11], v21 offset:3072
	v_add_u32_e32 v30, s73, v30
	v_cmp_le_u32_e64 s[20:21], s12, v30
	v_add_u32_e32 v20, s74, v20
	s_waitcnt lgkmcnt(0)
	v_cmp_neq_f64_e32 vcc, 0, v[8:9]
	s_or_b64 s[20:21], s[20:21], vcc
	s_and_b64 s[20:21], exec, s[20:21]
	s_or_b64 s[52:53], s[20:21], s[52:53]
	s_andn2_b64 s[8:9], s[8:9], exec
	s_and_b64 s[20:21], vcc, exec
	s_or_b64 s[8:9], s[8:9], s[20:21]
	s_barrier
	s_andn2_b64 exec, exec, s[52:53]
	s_cbranch_execz .LBB69_181
.LBB69_176:                             ;   Parent Loop BB69_6 Depth=1
                                        ; =>  This Inner Loop Header: Depth=2
	v_cmp_gt_u32_e32 vcc, s60, v30
	s_waitcnt vmcnt(0)
	v_pk_mov_b32 v[4:5], 0, 0
	s_and_saveexec_b64 s[54:55], vcc
	s_cbranch_execz .LBB69_178
; %bb.177:                              ;   in Loop: Header=BB69_176 Depth=2
	v_lshlrev_b64 v[4:5], 3, v[20:21]
	v_mov_b32_e32 v2, s72
	v_add_co_u32_e64 v4, s[20:21], s33, v4
	v_addc_co_u32_e64 v5, s[20:21], v2, v5, s[20:21]
	global_load_dwordx2 v[4:5], v[4:5], off
.LBB69_178:                             ;   in Loop: Header=BB69_176 Depth=2
	s_or_b64 exec, exec, s[54:55]
	s_and_saveexec_b64 s[20:21], vcc
	s_cbranch_execz .LBB69_175
; %bb.179:                              ;   in Loop: Header=BB69_176 Depth=2
	s_waitcnt vmcnt(0)
	v_ashrrev_i32_e32 v2, 31, v5
	v_or_b32_e32 v8, 0x80000000, v2
	v_xor_b32_e32 v8, v8, v5
	v_xor_b32_e32 v2, v2, v4
	v_cmp_o_f64_e32 vcc, v[4:5], v[4:5]
	v_cndmask_b32_e32 v8, -1, v8, vcc
	v_cndmask_b32_e32 v2, -1, v2, vcc
	v_and_b32_e32 v9, v8, v15
	v_and_b32_e32 v8, v2, v14
	v_cmp_eq_u64_e32 vcc, v[8:9], v[12:13]
	s_and_b64 exec, exec, vcc
	s_cbranch_execz .LBB69_175
; %bb.180:                              ;   in Loop: Header=BB69_176 Depth=2
	v_mov_b32_e32 v2, v21
	ds_write_b128 v21, v[2:5] offset:3072
	s_branch .LBB69_175
.LBB69_181:                             ;   in Loop: Header=BB69_6 Depth=1
	s_or_b64 exec, exec, s[52:53]
	s_and_b64 s[8:9], s[8:9], exec
.LBB69_182:                             ;   in Loop: Header=BB69_6 Depth=1
	s_or_b64 exec, exec, s[50:51]
	s_mov_b64 s[54:55], -1
	s_mov_b64 s[50:51], 0
	s_mov_b64 s[52:53], 0
.LBB69_183:                             ;   in Loop: Header=BB69_6 Depth=1
	s_orn2_b64 s[20:21], s[8:9], exec
.LBB69_184:                             ;   in Loop: Header=BB69_6 Depth=1
	s_or_b64 exec, exec, s[56:57]
	s_mov_b64 s[8:9], 0
                                        ; implicit-def: $vgpr2
	s_and_saveexec_b64 s[56:57], s[20:21]
	s_cbranch_execz .LBB69_237
; %bb.185:                              ;   in Loop: Header=BB69_6 Depth=1
	s_xor_b64 s[8:9], s[16:17], -1
	s_mov_b64 s[76:77], 0
	v_mov_b32_e32 v30, 1
	v_mov_b32_e32 v2, 1
	s_and_saveexec_b64 s[16:17], s[8:9]
	s_cbranch_execz .LBB69_195
; %bb.186:                              ;   in Loop: Header=BB69_6 Depth=1
	v_cmp_ge_u32_e32 vcc, s10, v31
                                        ; implicit-def: $sgpr62
                                        ; implicit-def: $sgpr8_sgpr9
	s_and_saveexec_b64 s[20:21], vcc
	s_xor_b64 s[20:21], exec, s[20:21]
	s_cbranch_execz .LBB69_192
; %bb.187:                              ;   in Loop: Header=BB69_6 Depth=1
	ds_read_b32 v2, v21 offset:4096
	s_waitcnt lgkmcnt(0)
	v_cmp_ne_u32_e32 vcc, 0, v2
	s_cbranch_vccnz .LBB69_191
; %bb.188:                              ;   in Loop: Header=BB69_6 Depth=1
	s_mov_b64 s[8:9], exec
	v_readlane_b32 s62, v58, 4
	v_readlane_b32 s63, v58, 5
	s_and_b64 s[62:63], s[8:9], s[62:63]
	s_mov_b64 exec, s[62:63]
	s_cbranch_execz .LBB69_190
; %bb.189:                              ;   in Loop: Header=BB69_6 Depth=1
	v_mov_b32_e32 v2, s10
	ds_write_b32 v21, v2 offset:4100
.LBB69_190:                             ;   in Loop: Header=BB69_6 Depth=1
	s_or_b64 exec, exec, s[8:9]
	s_waitcnt lgkmcnt(0)
	s_barrier
.LBB69_191:                             ;   in Loop: Header=BB69_6 Depth=1
	s_lshl_b64 s[8:9], 2, s59
	v_and_b32_e32 v2, s25, v13
	s_waitcnt vmcnt(0)
	v_and_b32_e32 v4, s24, v12
	v_or_b32_e32 v13, s9, v2
	v_or_b32_e32 v12, s8, v4
	v_or_b32_e32 v15, s23, v15
	v_or_b32_e32 v14, s22, v14
	s_mov_b64 s[8:9], 0
	s_mov_b32 s62, 8
.LBB69_192:                             ;   in Loop: Header=BB69_6 Depth=1
	s_or_saveexec_b64 s[20:21], s[20:21]
	v_mov_b32_e32 v2, s62
	s_xor_b64 exec, exec, s[20:21]
; %bb.193:                              ;   in Loop: Header=BB69_6 Depth=1
	v_subrev_u32_e32 v31, s10, v31
	v_mov_b32_e32 v2, 0
	s_or_b64 s[8:9], s[8:9], exec
; %bb.194:                              ;   in Loop: Header=BB69_6 Depth=1
	s_or_b64 exec, exec, s[20:21]
	s_and_b64 s[76:77], s[8:9], exec
	v_mov_b32_e32 v30, v31
.LBB69_195:                             ;   in Loop: Header=BB69_6 Depth=1
	s_or_b64 exec, exec, s[16:17]
	s_mov_b64 s[8:9], -1
                                        ; implicit-def: $sgpr20_sgpr21
                                        ; implicit-def: $sgpr16_sgpr17
                                        ; implicit-def: $sgpr78_sgpr79
	s_mov_b64 s[62:63], exec
	v_writelane_b32 v58, s62, 49
	v_writelane_b32 v58, s63, 50
	s_and_b64 s[62:63], s[62:63], s[76:77]
	s_mov_b64 exec, s[62:63]
	s_cbranch_execz .LBB69_236
; %bb.196:                              ;   in Loop: Header=BB69_6 Depth=1
	s_cmp_eq_u32 s11, 1
	s_cselect_b64 s[8:9], -1, 0
	v_cmp_eq_u32_e32 vcc, 1, v30
	s_and_b64 s[62:63], s[8:9], vcc
	s_mov_b64 s[8:9], -1
                                        ; implicit-def: $sgpr20_sgpr21
                                        ; implicit-def: $sgpr16_sgpr17
                                        ; implicit-def: $sgpr78_sgpr79
	s_mov_b64 s[76:77], exec
	v_writelane_b32 v58, s62, 51
	v_writelane_b32 v58, s63, 52
	s_and_b64 s[62:63], s[76:77], s[62:63]
	s_mov_b64 exec, s[62:63]
	s_cbranch_execz .LBB69_223
; %bb.197:                              ;   in Loop: Header=BB69_6 Depth=1
	ds_read_b32 v2, v21 offset:4096
	s_waitcnt lgkmcnt(0)
	s_barrier
	v_readfirstlane_b32 s62, v2
	s_mov_b64 s[8:9], exec
	v_readlane_b32 s16, v58, 28
	v_readlane_b32 s17, v58, 29
	s_and_b64 s[16:17], s[8:9], s[16:17]
	s_mov_b64 exec, s[16:17]
	s_cbranch_execz .LBB69_199
; %bb.198:                              ;   in Loop: Header=BB69_6 Depth=1
	v_mov_b32_e32 v20, v21
	ds_write_b64 v37, v[20:21]
.LBB69_199:                             ;   in Loop: Header=BB69_6 Depth=1
	s_or_b64 exec, exec, s[8:9]
	v_or_b32_e32 v13, s23, v13
	v_or_b32_e32 v12, s22, v12
	;; [unrolled: 1-line block ×4, first 2 shown]
	s_cmp_eq_u32 s62, 0
	s_waitcnt lgkmcnt(0)
	s_barrier
	s_cbranch_scc1 .LBB69_208
; %bb.200:                              ;   in Loop: Header=BB69_6 Depth=1
	v_readlane_b32 s8, v58, 21
	s_add_i32 s8, s62, s8
	v_readlane_b32 s9, v58, 43
	s_mul_hi_u32 s9, s8, s9
	s_mul_i32 s9, s9, s73
	s_sub_i32 s9, s8, s9
	s_sub_i32 s16, s9, s73
	s_cmp_ge_u32 s9, s73
	s_cselect_b32 s9, s16, s9
	s_sub_i32 s16, s9, s73
	s_cmp_ge_u32 s9, s73
	s_cselect_b32 s9, s16, s9
	s_sub_i32 s63, s8, s9
	s_mov_b64 s[8:9], 0
	v_cmp_gt_u32_e32 vcc, s63, v0
                                        ; implicit-def: $vgpr10_vgpr11
	s_mov_b64 s[16:17], exec
	v_writelane_b32 v58, s16, 53
	s_and_b64 s[20:21], s[16:17], vcc
	v_writelane_b32 v58, s17, 54
	s_mov_b64 exec, s[20:21]
	s_cbranch_execz .LBB69_210
; %bb.201:                              ;   in Loop: Header=BB69_6 Depth=1
	s_mov_b64 s[78:79], 0
	v_mov_b32_e32 v20, v36
	v_mov_b32_e32 v31, v0
                                        ; implicit-def: $sgpr8_sgpr9
	s_branch .LBB69_203
.LBB69_202:                             ;   in Loop: Header=BB69_203 Depth=2
	s_or_b64 exec, exec, s[20:21]
	s_waitcnt lgkmcnt(0)
	s_barrier
	ds_read_b128 v[8:11], v21 offset:3072
	v_add_u32_e32 v31, s73, v31
	v_cmp_le_u32_e64 s[20:21], s63, v31
	v_add_u32_e32 v20, s6, v20
	s_waitcnt lgkmcnt(0)
	v_cmp_neq_f64_e32 vcc, 0, v[8:9]
	s_or_b64 s[16:17], s[20:21], vcc
	s_and_b64 s[16:17], exec, s[16:17]
	s_or_b64 s[78:79], s[16:17], s[78:79]
	s_andn2_b64 s[8:9], s[8:9], exec
	s_and_b64 s[16:17], vcc, exec
	s_or_b64 s[8:9], s[8:9], s[16:17]
	s_barrier
	s_andn2_b64 exec, exec, s[78:79]
	s_cbranch_execz .LBB69_209
.LBB69_203:                             ;   Parent Loop BB69_6 Depth=1
                                        ; =>  This Inner Loop Header: Depth=2
	v_cmp_gt_u32_e32 vcc, s62, v31
	s_waitcnt vmcnt(0)
	v_pk_mov_b32 v[4:5], 0, 0
	s_and_saveexec_b64 s[20:21], vcc
	s_cbranch_execz .LBB69_205
; %bb.204:                              ;   in Loop: Header=BB69_203 Depth=2
	ds_read_b64 v[4:5], v20
.LBB69_205:                             ;   in Loop: Header=BB69_203 Depth=2
	s_or_b64 exec, exec, s[20:21]
	s_and_saveexec_b64 s[20:21], vcc
	s_cbranch_execz .LBB69_202
; %bb.206:                              ;   in Loop: Header=BB69_203 Depth=2
	s_waitcnt lgkmcnt(0)
	v_ashrrev_i32_e32 v2, 31, v5
	v_or_b32_e32 v8, 0x80000000, v2
	v_xor_b32_e32 v8, v8, v5
	v_xor_b32_e32 v2, v2, v4
	v_cmp_o_f64_e32 vcc, v[4:5], v[4:5]
	v_cndmask_b32_e32 v8, -1, v8, vcc
	v_cndmask_b32_e32 v2, -1, v2, vcc
	v_and_b32_e32 v9, v8, v15
	v_and_b32_e32 v8, v2, v14
	v_cmp_eq_u64_e32 vcc, v[8:9], v[12:13]
	s_and_b64 exec, exec, vcc
	s_cbranch_execz .LBB69_202
; %bb.207:                              ;   in Loop: Header=BB69_203 Depth=2
	v_mov_b32_e32 v2, v21
	ds_write_b128 v21, v[2:5] offset:3072
	s_branch .LBB69_202
.LBB69_208:                             ;   in Loop: Header=BB69_6 Depth=1
	s_mov_b64 s[20:21], -1
	s_mov_b64 s[8:9], 0
                                        ; implicit-def: $sgpr78_sgpr79
                                        ; implicit-def: $vgpr10_vgpr11
	s_branch .LBB69_211
.LBB69_209:                             ;   in Loop: Header=BB69_6 Depth=1
	s_or_b64 exec, exec, s[78:79]
	s_and_b64 s[8:9], s[8:9], exec
.LBB69_210:                             ;   in Loop: Header=BB69_6 Depth=1
	v_readlane_b32 s16, v58, 53
	v_readlane_b32 s17, v58, 54
	s_or_b64 exec, exec, s[16:17]
	s_mov_b64 s[78:79], -1
	s_mov_b64 s[20:21], 0
.LBB69_211:                             ;   in Loop: Header=BB69_6 Depth=1
	s_and_b64 vcc, exec, s[20:21]
	s_mov_b64 s[16:17], s[20:21]
	s_cbranch_vccz .LBB69_222
; %bb.212:                              ;   in Loop: Header=BB69_6 Depth=1
	s_mov_b64 s[8:9], 0
                                        ; implicit-def: $vgpr10_vgpr11
	s_mov_b64 s[62:63], exec
	v_readlane_b32 s16, v58, 44
	v_readlane_b32 s17, v58, 45
	s_and_b64 s[16:17], s[62:63], s[16:17]
	s_mov_b64 exec, s[16:17]
	s_cbranch_execz .LBB69_221
; %bb.213:                              ;   in Loop: Header=BB69_6 Depth=1
	s_mov_b64 s[78:79], 0
	v_mov_b32_e32 v20, v22
	v_mov_b32_e32 v31, v0
                                        ; implicit-def: $sgpr8_sgpr9
	s_branch .LBB69_215
.LBB69_214:                             ;   in Loop: Header=BB69_215 Depth=2
	s_or_b64 exec, exec, s[20:21]
	s_waitcnt lgkmcnt(0)
	s_barrier
	ds_read_b128 v[8:11], v21 offset:3072
	v_add_u32_e32 v31, s73, v31
	v_cmp_le_u32_e64 s[20:21], s12, v31
	v_add_u32_e32 v20, s74, v20
	s_waitcnt lgkmcnt(0)
	v_cmp_neq_f64_e32 vcc, 0, v[8:9]
	s_or_b64 s[16:17], s[20:21], vcc
	s_and_b64 s[16:17], exec, s[16:17]
	s_or_b64 s[78:79], s[16:17], s[78:79]
	s_andn2_b64 s[8:9], s[8:9], exec
	s_and_b64 s[16:17], vcc, exec
	s_or_b64 s[8:9], s[8:9], s[16:17]
	s_barrier
	s_andn2_b64 exec, exec, s[78:79]
	s_cbranch_execz .LBB69_220
.LBB69_215:                             ;   Parent Loop BB69_6 Depth=1
                                        ; =>  This Inner Loop Header: Depth=2
	v_cmp_gt_u32_e32 vcc, s60, v31
	s_waitcnt vmcnt(0)
	v_pk_mov_b32 v[4:5], 0, 0
	s_and_saveexec_b64 s[16:17], vcc
	s_cbranch_execz .LBB69_217
; %bb.216:                              ;   in Loop: Header=BB69_215 Depth=2
	v_lshlrev_b64 v[4:5], 3, v[20:21]
	v_mov_b32_e32 v2, s72
	v_add_co_u32_e64 v4, s[20:21], s33, v4
	v_addc_co_u32_e64 v5, s[20:21], v2, v5, s[20:21]
	global_load_dwordx2 v[4:5], v[4:5], off
.LBB69_217:                             ;   in Loop: Header=BB69_215 Depth=2
	s_or_b64 exec, exec, s[16:17]
	s_and_saveexec_b64 s[20:21], vcc
	s_cbranch_execz .LBB69_214
; %bb.218:                              ;   in Loop: Header=BB69_215 Depth=2
	s_waitcnt vmcnt(0)
	v_ashrrev_i32_e32 v2, 31, v5
	v_or_b32_e32 v8, 0x80000000, v2
	v_xor_b32_e32 v8, v8, v5
	v_xor_b32_e32 v2, v2, v4
	v_cmp_o_f64_e32 vcc, v[4:5], v[4:5]
	v_cndmask_b32_e32 v8, -1, v8, vcc
	v_cndmask_b32_e32 v2, -1, v2, vcc
	v_and_b32_e32 v9, v8, v15
	v_and_b32_e32 v8, v2, v14
	v_cmp_eq_u64_e32 vcc, v[8:9], v[12:13]
	s_and_b64 exec, exec, vcc
	s_cbranch_execz .LBB69_214
; %bb.219:                              ;   in Loop: Header=BB69_215 Depth=2
	v_mov_b32_e32 v2, v21
	ds_write_b128 v21, v[2:5] offset:3072
	s_branch .LBB69_214
.LBB69_220:                             ;   in Loop: Header=BB69_6 Depth=1
	s_or_b64 exec, exec, s[78:79]
	s_and_b64 s[8:9], s[8:9], exec
.LBB69_221:                             ;   in Loop: Header=BB69_6 Depth=1
	s_or_b64 exec, exec, s[62:63]
	s_mov_b64 s[16:17], -1
	s_mov_b64 s[20:21], 0
	s_mov_b64 s[78:79], 0
.LBB69_222:                             ;   in Loop: Header=BB69_6 Depth=1
	s_orn2_b64 s[8:9], s[8:9], exec
.LBB69_223:                             ;   in Loop: Header=BB69_6 Depth=1
	s_or_b64 exec, exec, s[76:77]
	s_mov_b64 vcc, 0
                                        ; implicit-def: $vgpr2
                                        ; implicit-def: $vgpr4
	s_and_saveexec_b64 s[76:77], s[8:9]
	s_cbranch_execz .LBB69_235
; %bb.224:                              ;   in Loop: Header=BB69_6 Depth=1
	v_readlane_b32 s8, v58, 51
	v_readlane_b32 s9, v58, 52
	s_xor_b64 s[62:63], s[8:9], -1
	v_mov_b32_e32 v2, 1
	s_waitcnt vmcnt(0)
	v_mov_b32_e32 v4, 1
	s_and_saveexec_b64 s[8:9], s[62:63]
	s_cbranch_execz .LBB69_234
; %bb.225:                              ;   in Loop: Header=BB69_6 Depth=1
	v_cmp_ge_u32_e32 vcc, s11, v30
                                        ; implicit-def: $sgpr62
                                        ; kill: killed $sgpr62
	s_and_saveexec_b64 s[62:63], vcc
	s_xor_b64 s[62:63], exec, s[62:63]
	s_cbranch_execz .LBB69_231
; %bb.226:                              ;   in Loop: Header=BB69_6 Depth=1
	ds_read_b32 v2, v21 offset:4096
	s_waitcnt lgkmcnt(0)
	v_cmp_ne_u32_e32 vcc, 0, v2
	s_cbranch_vccnz .LBB69_230
; %bb.227:                              ;   in Loop: Header=BB69_6 Depth=1
	v_writelane_b32 v58, s62, 55
	v_writelane_b32 v58, s63, 56
	s_mov_b64 vcc, exec
	v_readlane_b32 s62, v58, 4
	v_readlane_b32 s63, v58, 5
	s_and_b64 s[62:63], vcc, s[62:63]
	s_mov_b64 exec, s[62:63]
	s_cbranch_execz .LBB69_229
; %bb.228:                              ;   in Loop: Header=BB69_6 Depth=1
	v_mov_b32_e32 v2, s11
	ds_write_b32 v21, v2 offset:4100
.LBB69_229:                             ;   in Loop: Header=BB69_6 Depth=1
	s_or_b64 exec, exec, vcc
	v_readlane_b32 s62, v58, 55
	v_readlane_b32 s63, v58, 56
	s_waitcnt lgkmcnt(0)
	s_barrier
.LBB69_230:                             ;   in Loop: Header=BB69_6 Depth=1
	v_or_b32_e32 v13, s23, v13
	v_or_b32_e32 v12, s22, v12
	;; [unrolled: 1-line block ×4, first 2 shown]
	s_mov_b32 vcc_lo, 8
	v_writelane_b32 v58, vcc_lo, 57
.LBB69_231:                             ;   in Loop: Header=BB69_6 Depth=1
	s_or_saveexec_b64 vcc, s[62:63]
	v_readlane_b32 s62, v58, 57
	v_mov_b32_e32 v2, s62
	s_xor_b64 exec, exec, vcc
; %bb.232:                              ;   in Loop: Header=BB69_6 Depth=1
	v_subrev_u32_e32 v30, s11, v30
	v_mov_b32_e32 v2, 8
; %bb.233:                              ;   in Loop: Header=BB69_6 Depth=1
	s_or_b64 exec, exec, vcc
	v_mov_b32_e32 v4, v30
.LBB69_234:                             ;   in Loop: Header=BB69_6 Depth=1
	s_or_b64 exec, exec, s[8:9]
	s_mov_b64 vcc, exec
.LBB69_235:                             ;   in Loop: Header=BB69_6 Depth=1
	s_or_b64 exec, exec, s[76:77]
	s_orn2_b64 s[8:9], vcc, exec
	s_waitcnt vmcnt(0)
	v_mov_b32_e32 v30, v4
.LBB69_236:                             ;   in Loop: Header=BB69_6 Depth=1
	v_readlane_b32 s62, v58, 49
	v_readlane_b32 s63, v58, 50
	s_or_b64 exec, exec, s[62:63]
	s_andn2_b64 s[50:51], s[50:51], exec
	s_and_b64 s[20:21], s[20:21], exec
	s_or_b64 s[50:51], s[50:51], s[20:21]
	s_andn2_b64 s[20:21], s[54:55], exec
	s_and_b64 s[16:17], s[16:17], exec
	s_or_b64 s[54:55], s[20:21], s[16:17]
	;; [unrolled: 3-line block ×3, first 2 shown]
	s_and_b64 s[8:9], s[8:9], exec
	v_mov_b32_e32 v31, v30
.LBB69_237:                             ;   in Loop: Header=BB69_6 Depth=1
	s_or_b64 exec, exec, s[56:57]
	s_and_b64 s[50:51], s[50:51], exec
	s_and_b64 s[20:21], s[54:55], exec
	;; [unrolled: 1-line block ×3, first 2 shown]
	s_orn2_b64 s[8:9], s[8:9], exec
.LBB69_238:                             ;   in Loop: Header=BB69_6 Depth=1
	s_or_b64 exec, exec, s[48:49]
	s_andn2_b64 s[44:45], s[44:45], exec
	s_and_b64 s[20:21], s[20:21], exec
	s_andn2_b64 s[40:41], s[40:41], exec
	s_and_b64 s[48:49], s[50:51], exec
	s_or_b64 s[44:45], s[44:45], s[20:21]
	s_andn2_b64 s[20:21], s[42:43], exec
	s_and_b64 s[16:17], s[16:17], exec
	s_or_b64 s[40:41], s[40:41], s[48:49]
	s_or_b64 s[42:43], s[20:21], s[16:17]
	s_and_b64 s[8:9], s[8:9], exec
	v_mov_b32_e32 v30, v31
.LBB69_239:                             ;   in Loop: Header=BB69_6 Depth=1
	s_or_b64 exec, exec, s[46:47]
	s_and_b64 s[46:47], s[40:41], exec
	s_and_b64 s[40:41], s[44:45], exec
	;; [unrolled: 1-line block ×3, first 2 shown]
	s_orn2_b64 s[42:43], s[8:9], exec
.LBB69_240:                             ;   in Loop: Header=BB69_6 Depth=1
	s_or_b64 exec, exec, s[28:29]
	s_mov_b64 s[8:9], 0
	s_mov_b64 s[20:21], 0
	s_and_saveexec_b64 s[28:29], s[42:43]
	s_xor_b64 s[28:29], exec, s[28:29]
; %bb.241:                              ;   in Loop: Header=BB69_6 Depth=1
	v_cmp_eq_u32_e32 vcc, 8, v2
	v_cmp_ne_u32_e64 s[20:21], 8, v2
	s_andn2_b64 s[46:47], s[46:47], exec
	s_andn2_b64 s[40:41], s[40:41], exec
	;; [unrolled: 1-line block ×3, first 2 shown]
	s_and_b64 s[20:21], s[20:21], exec
	s_and_b64 s[8:9], vcc, exec
; %bb.242:                              ;   in Loop: Header=BB69_6 Depth=1
	s_or_b64 exec, exec, s[28:29]
	s_andn2_b64 s[26:27], s[26:27], exec
	s_and_b64 s[28:29], s[46:47], exec
	s_or_b64 s[26:27], s[26:27], s[28:29]
	s_andn2_b64 s[28:29], s[34:35], exec
	s_and_b64 s[34:35], s[40:41], exec
	s_or_b64 s[34:35], s[28:29], s[34:35]
	;; [unrolled: 3-line block ×3, first 2 shown]
	s_and_b64 s[20:21], s[20:21], exec
	s_and_b64 s[28:29], s[8:9], exec
.LBB69_243:                             ;   in Loop: Header=BB69_6 Depth=1
	s_or_b64 exec, exec, s[38:39]
	s_and_b64 vcc, exec, s[36:37]
	s_cbranch_vccz .LBB69_93
.LBB69_244:                             ;   in Loop: Header=BB69_6 Depth=1
	s_cmp_eq_u32 s11, 1
	s_cselect_b64 s[8:9], -1, 0
	s_and_b64 s[16:17], s[8:9], s[18:19]
	s_mov_b64 s[8:9], -1
                                        ; implicit-def: $sgpr36_sgpr37
                                        ; implicit-def: $sgpr38_sgpr39
                                        ; implicit-def: $sgpr26_sgpr27
	s_and_saveexec_b64 s[30:31], s[16:17]
	s_cbranch_execz .LBB69_270
; %bb.245:                              ;   in Loop: Header=BB69_6 Depth=1
	ds_read_b32 v2, v21 offset:4096
	s_waitcnt lgkmcnt(0)
	s_barrier
	v_readfirstlane_b32 s36, v2
	s_mov_b64 s[8:9], exec
	v_readlane_b32 s18, v58, 28
	v_readlane_b32 s19, v58, 29
	s_and_b64 s[18:19], s[8:9], s[18:19]
	s_mov_b64 exec, s[18:19]
	s_cbranch_execz .LBB69_247
; %bb.246:                              ;   in Loop: Header=BB69_6 Depth=1
	v_mov_b32_e32 v20, v21
	ds_write_b64 v37, v[20:21]
.LBB69_247:                             ;   in Loop: Header=BB69_6 Depth=1
	s_or_b64 exec, exec, s[8:9]
	v_or_b32_e32 v27, s23, v27
	v_or_b32_e32 v26, s22, v26
	;; [unrolled: 1-line block ×4, first 2 shown]
	s_cmp_eq_u32 s36, 0
	s_waitcnt lgkmcnt(0)
	s_barrier
	s_cbranch_scc1 .LBB69_256
; %bb.248:                              ;   in Loop: Header=BB69_6 Depth=1
	v_readlane_b32 s8, v58, 21
	s_add_i32 s8, s36, s8
	v_readlane_b32 s9, v58, 43
	s_mul_hi_u32 s9, s8, s9
	s_mul_i32 s9, s9, s73
	s_sub_i32 s9, s8, s9
	s_sub_i32 s18, s9, s73
	s_cmp_ge_u32 s9, s73
	s_cselect_b32 s9, s18, s9
	s_sub_i32 s18, s9, s73
	s_cmp_ge_u32 s9, s73
	s_cselect_b32 s9, s18, s9
	s_sub_i32 s37, s8, s9
	v_cmp_gt_u32_e32 vcc, s37, v0
	s_mov_b64 s[8:9], 0
                                        ; implicit-def: $vgpr6_vgpr7
	s_and_saveexec_b64 s[26:27], vcc
	s_cbranch_execz .LBB69_258
; %bb.249:                              ;   in Loop: Header=BB69_6 Depth=1
	s_mov_b64 s[34:35], 0
	v_mov_b32_e32 v8, v36
	v_mov_b32_e32 v9, v0
                                        ; implicit-def: $sgpr8_sgpr9
	s_branch .LBB69_251
.LBB69_250:                             ;   in Loop: Header=BB69_251 Depth=2
	s_or_b64 exec, exec, s[18:19]
	s_waitcnt lgkmcnt(0)
	s_barrier
	ds_read_b128 v[4:7], v21 offset:3072
	v_add_u32_e32 v9, s73, v9
	v_cmp_le_u32_e64 s[18:19], s37, v9
	v_add_u32_e32 v8, s6, v8
	s_waitcnt lgkmcnt(0)
	v_cmp_neq_f64_e32 vcc, 0, v[4:5]
	s_or_b64 s[18:19], s[18:19], vcc
	s_and_b64 s[18:19], exec, s[18:19]
	s_or_b64 s[34:35], s[18:19], s[34:35]
	s_andn2_b64 s[8:9], s[8:9], exec
	s_and_b64 s[18:19], vcc, exec
	s_or_b64 s[8:9], s[8:9], s[18:19]
	s_barrier
	s_andn2_b64 exec, exec, s[34:35]
	s_cbranch_execz .LBB69_257
.LBB69_251:                             ;   Parent Loop BB69_6 Depth=1
                                        ; =>  This Inner Loop Header: Depth=2
	v_cmp_gt_u32_e32 vcc, s36, v9
	s_waitcnt vmcnt(0)
	v_pk_mov_b32 v[4:5], 0, 0
	s_and_saveexec_b64 s[18:19], vcc
	s_cbranch_execz .LBB69_253
; %bb.252:                              ;   in Loop: Header=BB69_251 Depth=2
	ds_read_b64 v[4:5], v8
.LBB69_253:                             ;   in Loop: Header=BB69_251 Depth=2
	s_or_b64 exec, exec, s[18:19]
	s_and_saveexec_b64 s[18:19], vcc
	s_cbranch_execz .LBB69_250
; %bb.254:                              ;   in Loop: Header=BB69_251 Depth=2
	s_waitcnt lgkmcnt(0)
	v_ashrrev_i32_e32 v2, 31, v5
	v_or_b32_e32 v6, 0x80000000, v2
	v_xor_b32_e32 v6, v6, v5
	v_xor_b32_e32 v2, v2, v4
	v_cmp_o_f64_e32 vcc, v[4:5], v[4:5]
	v_cndmask_b32_e32 v6, -1, v6, vcc
	v_cndmask_b32_e32 v2, -1, v2, vcc
	v_and_b32_e32 v7, v6, v29
	v_and_b32_e32 v6, v2, v28
	v_cmp_eq_u64_e32 vcc, v[6:7], v[26:27]
	s_and_b64 exec, exec, vcc
	s_cbranch_execz .LBB69_250
; %bb.255:                              ;   in Loop: Header=BB69_251 Depth=2
	v_mov_b32_e32 v2, v21
	ds_write_b128 v21, v[2:5] offset:3072
	s_branch .LBB69_250
.LBB69_256:                             ;   in Loop: Header=BB69_6 Depth=1
	s_mov_b64 s[36:37], -1
	s_mov_b64 s[8:9], 0
                                        ; implicit-def: $sgpr38_sgpr39
                                        ; implicit-def: $vgpr6_vgpr7
	s_mov_b64 s[26:27], s[36:37]
	s_cbranch_execnz .LBB69_259
	s_branch .LBB69_269
.LBB69_257:                             ;   in Loop: Header=BB69_6 Depth=1
	s_or_b64 exec, exec, s[34:35]
	s_and_b64 s[8:9], s[8:9], exec
.LBB69_258:                             ;   in Loop: Header=BB69_6 Depth=1
	s_or_b64 exec, exec, s[26:27]
	s_mov_b64 s[36:37], 0
	s_mov_b64 s[38:39], -1
	s_mov_b64 s[26:27], s[36:37]
	s_branch .LBB69_269
.LBB69_259:                             ;   in Loop: Header=BB69_6 Depth=1
	s_mov_b64 s[8:9], 0
                                        ; implicit-def: $vgpr6_vgpr7
	s_mov_b64 s[26:27], exec
	v_readlane_b32 s18, v58, 44
	v_readlane_b32 s19, v58, 45
	s_and_b64 s[18:19], s[26:27], s[18:19]
	s_mov_b64 exec, s[18:19]
	s_cbranch_execz .LBB69_268
; %bb.260:                              ;   in Loop: Header=BB69_6 Depth=1
	s_mov_b64 s[34:35], 0
	v_mov_b32_e32 v20, v22
	v_mov_b32_e32 v8, v0
                                        ; implicit-def: $sgpr8_sgpr9
	s_branch .LBB69_262
.LBB69_261:                             ;   in Loop: Header=BB69_262 Depth=2
	s_or_b64 exec, exec, s[18:19]
	s_waitcnt lgkmcnt(0)
	s_barrier
	s_waitcnt vmcnt(0)
	ds_read_b128 v[4:7], v21 offset:3072
	v_add_u32_e32 v8, s73, v8
	v_cmp_le_u32_e64 s[18:19], s12, v8
	v_add_u32_e32 v20, s74, v20
	s_waitcnt lgkmcnt(0)
	v_cmp_neq_f64_e32 vcc, 0, v[4:5]
	s_or_b64 s[18:19], s[18:19], vcc
	s_and_b64 s[18:19], exec, s[18:19]
	s_or_b64 s[34:35], s[18:19], s[34:35]
	s_andn2_b64 s[8:9], s[8:9], exec
	s_and_b64 s[18:19], vcc, exec
	s_or_b64 s[8:9], s[8:9], s[18:19]
	s_barrier
	s_andn2_b64 exec, exec, s[34:35]
	s_cbranch_execz .LBB69_267
.LBB69_262:                             ;   Parent Loop BB69_6 Depth=1
                                        ; =>  This Inner Loop Header: Depth=2
	v_cmp_gt_u32_e32 vcc, s60, v8
	s_waitcnt vmcnt(0)
	v_pk_mov_b32 v[4:5], 0, 0
	s_and_saveexec_b64 s[36:37], vcc
	s_cbranch_execz .LBB69_264
; %bb.263:                              ;   in Loop: Header=BB69_262 Depth=2
	v_lshlrev_b64 v[4:5], 3, v[20:21]
	v_mov_b32_e32 v2, s72
	v_add_co_u32_e64 v4, s[18:19], s33, v4
	v_addc_co_u32_e64 v5, s[18:19], v2, v5, s[18:19]
	global_load_dwordx2 v[4:5], v[4:5], off
.LBB69_264:                             ;   in Loop: Header=BB69_262 Depth=2
	s_or_b64 exec, exec, s[36:37]
	s_and_saveexec_b64 s[18:19], vcc
	s_cbranch_execz .LBB69_261
; %bb.265:                              ;   in Loop: Header=BB69_262 Depth=2
	s_waitcnt vmcnt(0)
	v_ashrrev_i32_e32 v2, 31, v5
	v_or_b32_e32 v6, 0x80000000, v2
	v_xor_b32_e32 v6, v6, v5
	v_xor_b32_e32 v2, v2, v4
	v_cmp_o_f64_e32 vcc, v[4:5], v[4:5]
	v_cndmask_b32_e32 v6, -1, v6, vcc
	v_cndmask_b32_e32 v2, -1, v2, vcc
	v_and_b32_e32 v7, v6, v29
	v_and_b32_e32 v6, v2, v28
	v_cmp_eq_u64_e32 vcc, v[6:7], v[26:27]
	s_and_b64 exec, exec, vcc
	s_cbranch_execz .LBB69_261
; %bb.266:                              ;   in Loop: Header=BB69_262 Depth=2
	v_mov_b32_e32 v2, v21
	ds_write_b128 v21, v[2:5] offset:3072
	s_branch .LBB69_261
.LBB69_267:                             ;   in Loop: Header=BB69_6 Depth=1
	s_or_b64 exec, exec, s[34:35]
	s_and_b64 s[8:9], s[8:9], exec
.LBB69_268:                             ;   in Loop: Header=BB69_6 Depth=1
	s_or_b64 exec, exec, s[26:27]
	s_mov_b64 s[38:39], 0
	s_mov_b64 s[36:37], -1
	s_mov_b64 s[26:27], 0
.LBB69_269:                             ;   in Loop: Header=BB69_6 Depth=1
	s_orn2_b64 s[8:9], s[8:9], exec
.LBB69_270:                             ;   in Loop: Header=BB69_6 Depth=1
	s_or_b64 exec, exec, s[30:31]
                                        ; implicit-def: $vgpr2
                                        ; implicit-def: $vgpr30
                                        ; implicit-def: $vgpr12_vgpr13
                                        ; implicit-def: $vgpr14_vgpr15
                                        ; implicit-def: $vgpr10_vgpr11
	s_and_saveexec_b64 s[30:31], s[8:9]
	s_cbranch_execz .LBB69_405
; %bb.271:                              ;   in Loop: Header=BB69_6 Depth=1
	s_xor_b64 s[18:19], s[16:17], -1
	s_mov_b64 s[8:9], 0
	v_mov_b32_e32 v30, 1
	v_mov_b32_e32 v2, 1
	s_and_saveexec_b64 s[16:17], s[18:19]
	s_cbranch_execz .LBB69_281
; %bb.272:                              ;   in Loop: Header=BB69_6 Depth=1
	v_cmp_ge_u32_e32 vcc, s11, v47
                                        ; implicit-def: $sgpr34
                                        ; implicit-def: $sgpr8_sgpr9
	s_and_saveexec_b64 s[18:19], vcc
	s_xor_b64 s[18:19], exec, s[18:19]
	s_cbranch_execz .LBB69_278
; %bb.273:                              ;   in Loop: Header=BB69_6 Depth=1
	ds_read_b32 v2, v21 offset:4096
	s_waitcnt lgkmcnt(0)
	v_cmp_ne_u32_e32 vcc, 0, v2
	s_cbranch_vccnz .LBB69_277
; %bb.274:                              ;   in Loop: Header=BB69_6 Depth=1
	s_mov_b64 s[8:9], exec
	v_readlane_b32 s34, v58, 4
	v_readlane_b32 s35, v58, 5
	s_and_b64 s[34:35], s[8:9], s[34:35]
	s_mov_b64 exec, s[34:35]
	s_cbranch_execz .LBB69_276
; %bb.275:                              ;   in Loop: Header=BB69_6 Depth=1
	v_mov_b32_e32 v2, s11
	ds_write_b32 v21, v2 offset:4100
.LBB69_276:                             ;   in Loop: Header=BB69_6 Depth=1
	s_or_b64 exec, exec, s[8:9]
	s_waitcnt lgkmcnt(0)
	s_barrier
.LBB69_277:                             ;   in Loop: Header=BB69_6 Depth=1
	v_or_b32_e32 v27, s23, v27
	v_or_b32_e32 v26, s22, v26
	;; [unrolled: 1-line block ×4, first 2 shown]
	s_mov_b64 s[8:9], 0
	s_mov_b32 s34, 5
.LBB69_278:                             ;   in Loop: Header=BB69_6 Depth=1
	s_or_saveexec_b64 s[18:19], s[18:19]
	v_mov_b32_e32 v2, s34
	s_xor_b64 exec, exec, s[18:19]
; %bb.279:                              ;   in Loop: Header=BB69_6 Depth=1
	v_subrev_u32_e32 v47, s11, v47
	v_mov_b32_e32 v2, 0
	s_or_b64 s[8:9], s[8:9], exec
; %bb.280:                              ;   in Loop: Header=BB69_6 Depth=1
	s_or_b64 exec, exec, s[18:19]
	s_and_b64 s[8:9], s[8:9], exec
	v_mov_b32_e32 v30, v47
.LBB69_281:                             ;   in Loop: Header=BB69_6 Depth=1
	s_or_b64 exec, exec, s[16:17]
	s_mov_b64 s[42:43], -1
                                        ; implicit-def: $sgpr16_sgpr17
                                        ; implicit-def: $sgpr40_sgpr41
                                        ; implicit-def: $sgpr46_sgpr47
	s_and_saveexec_b64 s[18:19], s[8:9]
	s_xor_b64 s[34:35], exec, s[18:19]
	s_cbranch_execz .LBB69_402
; %bb.282:                              ;   in Loop: Header=BB69_6 Depth=1
	s_cmp_eq_u32 s10, 1
	s_cselect_b64 s[8:9], -1, 0
	v_cmp_eq_u32_e32 vcc, 1, v30
	s_and_b64 s[16:17], s[8:9], vcc
	s_mov_b64 s[18:19], -1
                                        ; implicit-def: $sgpr40_sgpr41
                                        ; implicit-def: $sgpr42_sgpr43
                                        ; implicit-def: $sgpr44_sgpr45
	s_and_saveexec_b64 s[46:47], s[16:17]
	s_cbranch_execz .LBB69_308
; %bb.283:                              ;   in Loop: Header=BB69_6 Depth=1
	ds_read_b32 v2, v21 offset:4096
	s_waitcnt lgkmcnt(0)
	s_barrier
	v_readfirstlane_b32 s11, v2
	s_mov_b64 s[8:9], exec
	v_readlane_b32 s18, v58, 28
	v_readlane_b32 s19, v58, 29
	s_and_b64 s[18:19], s[8:9], s[18:19]
	s_mov_b64 exec, s[18:19]
	s_cbranch_execz .LBB69_285
; %bb.284:                              ;   in Loop: Header=BB69_6 Depth=1
	v_mov_b32_e32 v20, v21
	ds_write_b64 v37, v[20:21]
.LBB69_285:                             ;   in Loop: Header=BB69_6 Depth=1
	s_or_b64 exec, exec, s[8:9]
	s_lshl_b64 s[8:9], 2, s59
	v_and_b32_e32 v2, s25, v27
	s_waitcnt vmcnt(0)
	v_and_b32_e32 v4, s24, v26
	v_or_b32_e32 v27, s9, v2
	v_or_b32_e32 v26, s8, v4
	;; [unrolled: 1-line block ×4, first 2 shown]
	s_cmp_eq_u32 s11, 0
	s_waitcnt lgkmcnt(0)
	s_barrier
	s_cbranch_scc1 .LBB69_294
; %bb.286:                              ;   in Loop: Header=BB69_6 Depth=1
	v_readlane_b32 s8, v58, 21
	s_add_i32 s8, s11, s8
	v_readlane_b32 s9, v58, 43
	s_mul_hi_u32 s9, s8, s9
	s_mul_i32 s9, s9, s73
	s_sub_i32 s9, s8, s9
	s_sub_i32 s18, s9, s73
	s_cmp_ge_u32 s9, s73
	s_cselect_b32 s9, s18, s9
	s_sub_i32 s18, s9, s73
	s_cmp_ge_u32 s9, s73
	s_cselect_b32 s9, s18, s9
	s_sub_i32 s44, s8, s9
	v_cmp_gt_u32_e32 vcc, s44, v0
	s_mov_b64 s[8:9], 0
                                        ; implicit-def: $vgpr6_vgpr7
	s_and_saveexec_b64 s[40:41], vcc
	s_cbranch_execz .LBB69_296
; %bb.287:                              ;   in Loop: Header=BB69_6 Depth=1
	s_mov_b64 s[42:43], 0
	v_mov_b32_e32 v8, v36
	v_mov_b32_e32 v9, v0
                                        ; implicit-def: $sgpr8_sgpr9
	s_branch .LBB69_289
.LBB69_288:                             ;   in Loop: Header=BB69_289 Depth=2
	s_or_b64 exec, exec, s[18:19]
	s_waitcnt lgkmcnt(0)
	s_barrier
	ds_read_b128 v[4:7], v21 offset:3072
	v_add_u32_e32 v9, s73, v9
	v_cmp_le_u32_e64 s[18:19], s44, v9
	v_add_u32_e32 v8, s6, v8
	s_waitcnt lgkmcnt(0)
	v_cmp_neq_f64_e32 vcc, 0, v[4:5]
	s_or_b64 s[18:19], s[18:19], vcc
	s_and_b64 s[18:19], exec, s[18:19]
	s_or_b64 s[42:43], s[18:19], s[42:43]
	s_andn2_b64 s[8:9], s[8:9], exec
	s_and_b64 s[18:19], vcc, exec
	s_or_b64 s[8:9], s[8:9], s[18:19]
	s_barrier
	s_andn2_b64 exec, exec, s[42:43]
	s_cbranch_execz .LBB69_295
.LBB69_289:                             ;   Parent Loop BB69_6 Depth=1
                                        ; =>  This Inner Loop Header: Depth=2
	v_cmp_gt_u32_e32 vcc, s11, v9
	v_pk_mov_b32 v[4:5], 0, 0
	s_and_saveexec_b64 s[18:19], vcc
	s_cbranch_execz .LBB69_291
; %bb.290:                              ;   in Loop: Header=BB69_289 Depth=2
	ds_read_b64 v[4:5], v8
.LBB69_291:                             ;   in Loop: Header=BB69_289 Depth=2
	s_or_b64 exec, exec, s[18:19]
	s_and_saveexec_b64 s[18:19], vcc
	s_cbranch_execz .LBB69_288
; %bb.292:                              ;   in Loop: Header=BB69_289 Depth=2
	s_waitcnt lgkmcnt(0)
	v_ashrrev_i32_e32 v2, 31, v5
	v_or_b32_e32 v6, 0x80000000, v2
	v_xor_b32_e32 v6, v6, v5
	v_xor_b32_e32 v2, v2, v4
	v_cmp_o_f64_e32 vcc, v[4:5], v[4:5]
	v_cndmask_b32_e32 v6, -1, v6, vcc
	v_cndmask_b32_e32 v2, -1, v2, vcc
	v_and_b32_e32 v7, v6, v29
	v_and_b32_e32 v6, v2, v28
	v_cmp_eq_u64_e32 vcc, v[6:7], v[26:27]
	s_and_b64 exec, exec, vcc
	s_cbranch_execz .LBB69_288
; %bb.293:                              ;   in Loop: Header=BB69_289 Depth=2
	v_mov_b32_e32 v2, v21
	ds_write_b128 v21, v[2:5] offset:3072
	s_branch .LBB69_288
.LBB69_294:                             ;   in Loop: Header=BB69_6 Depth=1
	s_mov_b64 s[40:41], -1
	s_mov_b64 s[8:9], 0
                                        ; implicit-def: $sgpr42_sgpr43
                                        ; implicit-def: $vgpr6_vgpr7
	s_mov_b64 s[44:45], s[40:41]
	s_cbranch_execnz .LBB69_297
	s_branch .LBB69_307
.LBB69_295:                             ;   in Loop: Header=BB69_6 Depth=1
	s_or_b64 exec, exec, s[42:43]
	s_and_b64 s[8:9], s[8:9], exec
.LBB69_296:                             ;   in Loop: Header=BB69_6 Depth=1
	s_or_b64 exec, exec, s[40:41]
	s_mov_b64 s[40:41], 0
	s_mov_b64 s[42:43], -1
	s_mov_b64 s[44:45], s[40:41]
	s_branch .LBB69_307
.LBB69_297:                             ;   in Loop: Header=BB69_6 Depth=1
	s_mov_b64 s[8:9], 0
                                        ; implicit-def: $vgpr6_vgpr7
	s_mov_b64 s[40:41], exec
	v_readlane_b32 s18, v58, 44
	v_readlane_b32 s19, v58, 45
	s_and_b64 s[18:19], s[40:41], s[18:19]
	s_mov_b64 exec, s[18:19]
	s_cbranch_execz .LBB69_306
; %bb.298:                              ;   in Loop: Header=BB69_6 Depth=1
	s_mov_b64 s[42:43], 0
	v_mov_b32_e32 v20, v22
	v_mov_b32_e32 v8, v0
                                        ; implicit-def: $sgpr8_sgpr9
	s_branch .LBB69_300
.LBB69_299:                             ;   in Loop: Header=BB69_300 Depth=2
	s_or_b64 exec, exec, s[18:19]
	s_waitcnt lgkmcnt(0)
	s_barrier
	s_waitcnt vmcnt(0)
	ds_read_b128 v[4:7], v21 offset:3072
	v_add_u32_e32 v8, s73, v8
	v_cmp_le_u32_e64 s[18:19], s12, v8
	v_add_u32_e32 v20, s74, v20
	s_waitcnt lgkmcnt(0)
	v_cmp_neq_f64_e32 vcc, 0, v[4:5]
	s_or_b64 s[18:19], s[18:19], vcc
	s_and_b64 s[18:19], exec, s[18:19]
	s_or_b64 s[42:43], s[18:19], s[42:43]
	s_andn2_b64 s[8:9], s[8:9], exec
	s_and_b64 s[18:19], vcc, exec
	s_or_b64 s[8:9], s[8:9], s[18:19]
	s_barrier
	s_andn2_b64 exec, exec, s[42:43]
	s_cbranch_execz .LBB69_305
.LBB69_300:                             ;   Parent Loop BB69_6 Depth=1
                                        ; =>  This Inner Loop Header: Depth=2
	v_cmp_gt_u32_e32 vcc, s60, v8
	v_pk_mov_b32 v[4:5], 0, 0
	s_and_saveexec_b64 s[44:45], vcc
	s_cbranch_execz .LBB69_302
; %bb.301:                              ;   in Loop: Header=BB69_300 Depth=2
	v_lshlrev_b64 v[4:5], 3, v[20:21]
	v_mov_b32_e32 v2, s72
	v_add_co_u32_e64 v4, s[18:19], s33, v4
	v_addc_co_u32_e64 v5, s[18:19], v2, v5, s[18:19]
	global_load_dwordx2 v[4:5], v[4:5], off
.LBB69_302:                             ;   in Loop: Header=BB69_300 Depth=2
	s_or_b64 exec, exec, s[44:45]
	s_and_saveexec_b64 s[18:19], vcc
	s_cbranch_execz .LBB69_299
; %bb.303:                              ;   in Loop: Header=BB69_300 Depth=2
	s_waitcnt vmcnt(0)
	v_ashrrev_i32_e32 v2, 31, v5
	v_or_b32_e32 v6, 0x80000000, v2
	v_xor_b32_e32 v6, v6, v5
	v_xor_b32_e32 v2, v2, v4
	v_cmp_o_f64_e32 vcc, v[4:5], v[4:5]
	v_cndmask_b32_e32 v6, -1, v6, vcc
	v_cndmask_b32_e32 v2, -1, v2, vcc
	v_and_b32_e32 v7, v6, v29
	v_and_b32_e32 v6, v2, v28
	v_cmp_eq_u64_e32 vcc, v[6:7], v[26:27]
	s_and_b64 exec, exec, vcc
	s_cbranch_execz .LBB69_299
; %bb.304:                              ;   in Loop: Header=BB69_300 Depth=2
	v_mov_b32_e32 v2, v21
	ds_write_b128 v21, v[2:5] offset:3072
	s_branch .LBB69_299
.LBB69_305:                             ;   in Loop: Header=BB69_6 Depth=1
	s_or_b64 exec, exec, s[42:43]
	s_and_b64 s[8:9], s[8:9], exec
.LBB69_306:                             ;   in Loop: Header=BB69_6 Depth=1
	s_or_b64 exec, exec, s[40:41]
	s_mov_b64 s[42:43], 0
	s_mov_b64 s[40:41], -1
	s_mov_b64 s[44:45], 0
.LBB69_307:                             ;   in Loop: Header=BB69_6 Depth=1
	s_orn2_b64 s[18:19], s[8:9], exec
.LBB69_308:                             ;   in Loop: Header=BB69_6 Depth=1
	s_or_b64 exec, exec, s[46:47]
	s_mov_b64 s[8:9], 0
                                        ; implicit-def: $vgpr2
	s_and_saveexec_b64 s[46:47], s[18:19]
	s_cbranch_execz .LBB69_401
; %bb.309:                              ;   in Loop: Header=BB69_6 Depth=1
	s_xor_b64 s[8:9], s[16:17], -1
	s_mov_b64 s[52:53], 0
	v_mov_b32_e32 v8, 1
	v_mov_b32_e32 v2, 1
	s_and_saveexec_b64 s[16:17], s[8:9]
	s_cbranch_execz .LBB69_319
; %bb.310:                              ;   in Loop: Header=BB69_6 Depth=1
	v_cmp_ge_u32_e32 vcc, s10, v30
                                        ; implicit-def: $sgpr11
                                        ; implicit-def: $sgpr8_sgpr9
	s_and_saveexec_b64 s[18:19], vcc
	s_xor_b64 s[18:19], exec, s[18:19]
	s_cbranch_execz .LBB69_316
; %bb.311:                              ;   in Loop: Header=BB69_6 Depth=1
	ds_read_b32 v2, v21 offset:4096
	s_waitcnt lgkmcnt(0)
	v_cmp_ne_u32_e32 vcc, 0, v2
	s_cbranch_vccnz .LBB69_315
; %bb.312:                              ;   in Loop: Header=BB69_6 Depth=1
	s_mov_b64 s[8:9], exec
	v_readlane_b32 s48, v58, 4
	v_readlane_b32 s49, v58, 5
	s_and_b64 s[48:49], s[8:9], s[48:49]
	s_mov_b64 exec, s[48:49]
	s_cbranch_execz .LBB69_314
; %bb.313:                              ;   in Loop: Header=BB69_6 Depth=1
	v_mov_b32_e32 v2, s10
	ds_write_b32 v21, v2 offset:4100
.LBB69_314:                             ;   in Loop: Header=BB69_6 Depth=1
	s_or_b64 exec, exec, s[8:9]
	s_waitcnt lgkmcnt(0)
	s_barrier
.LBB69_315:                             ;   in Loop: Header=BB69_6 Depth=1
	s_lshl_b64 s[8:9], 2, s59
	v_and_b32_e32 v2, s25, v27
	s_waitcnt vmcnt(0)
	v_and_b32_e32 v4, s24, v26
	v_or_b32_e32 v27, s9, v2
	v_or_b32_e32 v26, s8, v4
	;; [unrolled: 1-line block ×4, first 2 shown]
	s_mov_b64 s[8:9], 0
	s_mov_b32 s11, 5
.LBB69_316:                             ;   in Loop: Header=BB69_6 Depth=1
	s_or_saveexec_b64 s[18:19], s[18:19]
	v_mov_b32_e32 v2, s11
	s_xor_b64 exec, exec, s[18:19]
; %bb.317:                              ;   in Loop: Header=BB69_6 Depth=1
	v_subrev_u32_e32 v30, s10, v30
	v_mov_b32_e32 v2, 0
	s_or_b64 s[8:9], s[8:9], exec
; %bb.318:                              ;   in Loop: Header=BB69_6 Depth=1
	s_or_b64 exec, exec, s[18:19]
	s_and_b64 s[52:53], s[8:9], exec
	v_mov_b32_e32 v8, v30
.LBB69_319:                             ;   in Loop: Header=BB69_6 Depth=1
	s_or_b64 exec, exec, s[16:17]
	s_mov_b64 s[8:9], -1
                                        ; implicit-def: $sgpr16_sgpr17
                                        ; implicit-def: $sgpr18_sgpr19
                                        ; implicit-def: $sgpr50_sgpr51
	s_and_saveexec_b64 s[48:49], s[52:53]
	s_cbranch_execz .LBB69_400
; %bb.320:                              ;   in Loop: Header=BB69_6 Depth=1
	s_cmp_eq_u32 s58, 1
	s_cselect_b64 s[8:9], -1, 0
	v_cmp_eq_u32_e32 vcc, 1, v8
	s_and_b64 s[16:17], s[8:9], vcc
	s_mov_b64 s[18:19], -1
                                        ; implicit-def: $sgpr50_sgpr51
                                        ; implicit-def: $sgpr52_sgpr53
                                        ; implicit-def: $sgpr54_sgpr55
	s_and_saveexec_b64 s[56:57], s[16:17]
	s_cbranch_execz .LBB69_346
; %bb.321:                              ;   in Loop: Header=BB69_6 Depth=1
	ds_read_b32 v2, v21 offset:4096
	s_waitcnt lgkmcnt(0)
	s_barrier
	v_readfirstlane_b32 s10, v2
	s_mov_b64 s[8:9], exec
	v_readlane_b32 s18, v58, 28
	v_readlane_b32 s19, v58, 29
	s_and_b64 s[18:19], s[8:9], s[18:19]
	s_mov_b64 exec, s[18:19]
	s_cbranch_execz .LBB69_323
; %bb.322:                              ;   in Loop: Header=BB69_6 Depth=1
	v_mov_b32_e32 v20, v21
	ds_write_b64 v37, v[20:21]
.LBB69_323:                             ;   in Loop: Header=BB69_6 Depth=1
	s_or_b64 exec, exec, s[8:9]
	s_lshl_b64 s[8:9], 1, s59
	v_and_b32_e32 v2, s25, v27
	s_waitcnt vmcnt(0)
	v_and_b32_e32 v4, s24, v26
	v_or_b32_e32 v27, s9, v2
	v_or_b32_e32 v26, s8, v4
	v_or_b32_e32 v29, s23, v29
	v_or_b32_e32 v28, s22, v28
	s_cmp_eq_u32 s10, 0
	s_waitcnt lgkmcnt(0)
	s_barrier
	s_cbranch_scc1 .LBB69_332
; %bb.324:                              ;   in Loop: Header=BB69_6 Depth=1
	v_readlane_b32 s8, v58, 21
	s_add_i32 s8, s10, s8
	v_readlane_b32 s9, v58, 43
	s_mul_hi_u32 s9, s8, s9
	s_mul_i32 s9, s9, s73
	s_sub_i32 s9, s8, s9
	s_sub_i32 s11, s9, s73
	s_cmp_ge_u32 s9, s73
	s_cselect_b32 s9, s11, s9
	s_sub_i32 s11, s9, s73
	s_cmp_ge_u32 s9, s73
	s_cselect_b32 s9, s11, s9
	s_sub_i32 s11, s8, s9
	v_cmp_gt_u32_e32 vcc, s11, v0
	s_mov_b64 s[8:9], 0
                                        ; implicit-def: $vgpr6_vgpr7
	s_and_saveexec_b64 s[50:51], vcc
	s_cbranch_execz .LBB69_334
; %bb.325:                              ;   in Loop: Header=BB69_6 Depth=1
	s_mov_b64 s[52:53], 0
	v_mov_b32_e32 v9, v36
	v_mov_b32_e32 v10, v0
                                        ; implicit-def: $sgpr8_sgpr9
	s_branch .LBB69_327
.LBB69_326:                             ;   in Loop: Header=BB69_327 Depth=2
	s_or_b64 exec, exec, s[18:19]
	s_waitcnt lgkmcnt(0)
	s_barrier
	ds_read_b128 v[4:7], v21 offset:3072
	v_add_u32_e32 v10, s73, v10
	v_cmp_le_u32_e64 s[18:19], s11, v10
	v_add_u32_e32 v9, s6, v9
	s_waitcnt lgkmcnt(0)
	v_cmp_neq_f64_e32 vcc, 0, v[4:5]
	s_or_b64 s[18:19], s[18:19], vcc
	s_and_b64 s[18:19], exec, s[18:19]
	s_or_b64 s[52:53], s[18:19], s[52:53]
	s_andn2_b64 s[8:9], s[8:9], exec
	s_and_b64 s[18:19], vcc, exec
	s_or_b64 s[8:9], s[8:9], s[18:19]
	s_barrier
	s_andn2_b64 exec, exec, s[52:53]
	s_cbranch_execz .LBB69_333
.LBB69_327:                             ;   Parent Loop BB69_6 Depth=1
                                        ; =>  This Inner Loop Header: Depth=2
	v_cmp_gt_u32_e32 vcc, s10, v10
	v_pk_mov_b32 v[4:5], 0, 0
	s_and_saveexec_b64 s[18:19], vcc
	s_cbranch_execz .LBB69_329
; %bb.328:                              ;   in Loop: Header=BB69_327 Depth=2
	ds_read_b64 v[4:5], v9
.LBB69_329:                             ;   in Loop: Header=BB69_327 Depth=2
	s_or_b64 exec, exec, s[18:19]
	s_and_saveexec_b64 s[18:19], vcc
	s_cbranch_execz .LBB69_326
; %bb.330:                              ;   in Loop: Header=BB69_327 Depth=2
	s_waitcnt lgkmcnt(0)
	v_ashrrev_i32_e32 v2, 31, v5
	v_or_b32_e32 v6, 0x80000000, v2
	v_xor_b32_e32 v6, v6, v5
	v_xor_b32_e32 v2, v2, v4
	v_cmp_o_f64_e32 vcc, v[4:5], v[4:5]
	v_cndmask_b32_e32 v6, -1, v6, vcc
	v_cndmask_b32_e32 v2, -1, v2, vcc
	v_and_b32_e32 v7, v6, v29
	v_and_b32_e32 v6, v2, v28
	v_cmp_eq_u64_e32 vcc, v[6:7], v[26:27]
	s_and_b64 exec, exec, vcc
	s_cbranch_execz .LBB69_326
; %bb.331:                              ;   in Loop: Header=BB69_327 Depth=2
	v_mov_b32_e32 v2, v21
	ds_write_b128 v21, v[2:5] offset:3072
	s_branch .LBB69_326
.LBB69_332:                             ;   in Loop: Header=BB69_6 Depth=1
	s_mov_b64 s[50:51], -1
	s_mov_b64 s[8:9], 0
                                        ; implicit-def: $sgpr52_sgpr53
                                        ; implicit-def: $vgpr6_vgpr7
	s_mov_b64 s[54:55], s[50:51]
	s_cbranch_execnz .LBB69_335
	s_branch .LBB69_345
.LBB69_333:                             ;   in Loop: Header=BB69_6 Depth=1
	s_or_b64 exec, exec, s[52:53]
	s_and_b64 s[8:9], s[8:9], exec
.LBB69_334:                             ;   in Loop: Header=BB69_6 Depth=1
	s_or_b64 exec, exec, s[50:51]
	s_mov_b64 s[50:51], 0
	s_mov_b64 s[52:53], -1
	s_mov_b64 s[54:55], s[50:51]
	s_branch .LBB69_345
.LBB69_335:                             ;   in Loop: Header=BB69_6 Depth=1
	s_mov_b64 s[8:9], 0
                                        ; implicit-def: $vgpr6_vgpr7
	s_mov_b64 s[50:51], exec
	v_readlane_b32 s10, v58, 44
	v_readlane_b32 s11, v58, 45
	s_and_b64 s[10:11], s[50:51], s[10:11]
	s_mov_b64 exec, s[10:11]
	s_cbranch_execz .LBB69_344
; %bb.336:                              ;   in Loop: Header=BB69_6 Depth=1
	s_mov_b64 s[52:53], 0
	v_mov_b32_e32 v20, v22
	v_mov_b32_e32 v9, v0
                                        ; implicit-def: $sgpr8_sgpr9
	s_branch .LBB69_338
.LBB69_337:                             ;   in Loop: Header=BB69_338 Depth=2
	s_or_b64 exec, exec, s[18:19]
	s_waitcnt lgkmcnt(0)
	s_barrier
	s_waitcnt vmcnt(0)
	ds_read_b128 v[4:7], v21 offset:3072
	v_add_u32_e32 v9, s73, v9
	v_cmp_le_u32_e64 s[18:19], s12, v9
	v_add_u32_e32 v20, s74, v20
	s_waitcnt lgkmcnt(0)
	v_cmp_neq_f64_e32 vcc, 0, v[4:5]
	s_or_b64 s[10:11], s[18:19], vcc
	s_and_b64 s[10:11], exec, s[10:11]
	s_or_b64 s[52:53], s[10:11], s[52:53]
	s_andn2_b64 s[8:9], s[8:9], exec
	s_and_b64 s[10:11], vcc, exec
	s_or_b64 s[8:9], s[8:9], s[10:11]
	s_barrier
	s_andn2_b64 exec, exec, s[52:53]
	s_cbranch_execz .LBB69_343
.LBB69_338:                             ;   Parent Loop BB69_6 Depth=1
                                        ; =>  This Inner Loop Header: Depth=2
	v_cmp_gt_u32_e32 vcc, s60, v9
	v_pk_mov_b32 v[4:5], 0, 0
	s_and_saveexec_b64 s[54:55], vcc
	s_cbranch_execz .LBB69_340
; %bb.339:                              ;   in Loop: Header=BB69_338 Depth=2
	v_lshlrev_b64 v[4:5], 3, v[20:21]
	v_mov_b32_e32 v2, s72
	v_add_co_u32_e64 v4, s[18:19], s33, v4
	v_addc_co_u32_e64 v5, s[18:19], v2, v5, s[18:19]
	global_load_dwordx2 v[4:5], v[4:5], off
.LBB69_340:                             ;   in Loop: Header=BB69_338 Depth=2
	s_or_b64 exec, exec, s[54:55]
	s_and_saveexec_b64 s[18:19], vcc
	s_cbranch_execz .LBB69_337
; %bb.341:                              ;   in Loop: Header=BB69_338 Depth=2
	s_waitcnt vmcnt(0)
	v_ashrrev_i32_e32 v2, 31, v5
	v_or_b32_e32 v6, 0x80000000, v2
	v_xor_b32_e32 v6, v6, v5
	v_xor_b32_e32 v2, v2, v4
	v_cmp_o_f64_e32 vcc, v[4:5], v[4:5]
	v_cndmask_b32_e32 v6, -1, v6, vcc
	v_cndmask_b32_e32 v2, -1, v2, vcc
	v_and_b32_e32 v7, v6, v29
	v_and_b32_e32 v6, v2, v28
	v_cmp_eq_u64_e32 vcc, v[6:7], v[26:27]
	s_and_b64 exec, exec, vcc
	s_cbranch_execz .LBB69_337
; %bb.342:                              ;   in Loop: Header=BB69_338 Depth=2
	v_mov_b32_e32 v2, v21
	ds_write_b128 v21, v[2:5] offset:3072
	s_branch .LBB69_337
.LBB69_343:                             ;   in Loop: Header=BB69_6 Depth=1
	s_or_b64 exec, exec, s[52:53]
	s_and_b64 s[8:9], s[8:9], exec
.LBB69_344:                             ;   in Loop: Header=BB69_6 Depth=1
	s_or_b64 exec, exec, s[50:51]
	s_mov_b64 s[52:53], 0
	s_mov_b64 s[50:51], -1
	s_mov_b64 s[54:55], 0
.LBB69_345:                             ;   in Loop: Header=BB69_6 Depth=1
	s_orn2_b64 s[18:19], s[8:9], exec
.LBB69_346:                             ;   in Loop: Header=BB69_6 Depth=1
	s_or_b64 exec, exec, s[56:57]
	s_mov_b64 s[8:9], 0
                                        ; implicit-def: $vgpr2
	s_and_saveexec_b64 s[56:57], s[18:19]
	s_cbranch_execz .LBB69_399
; %bb.347:                              ;   in Loop: Header=BB69_6 Depth=1
	s_xor_b64 s[8:9], s[16:17], -1
	s_mov_b64 s[76:77], 0
	v_mov_b32_e32 v9, 1
	v_mov_b32_e32 v2, 1
	s_and_saveexec_b64 s[16:17], s[8:9]
	s_cbranch_execz .LBB69_357
; %bb.348:                              ;   in Loop: Header=BB69_6 Depth=1
	v_cmp_ge_u32_e32 vcc, s58, v8
                                        ; implicit-def: $sgpr10
                                        ; implicit-def: $sgpr8_sgpr9
	s_and_saveexec_b64 s[18:19], vcc
	s_xor_b64 s[18:19], exec, s[18:19]
	s_cbranch_execz .LBB69_354
; %bb.349:                              ;   in Loop: Header=BB69_6 Depth=1
	ds_read_b32 v2, v21 offset:4096
	s_waitcnt lgkmcnt(0)
	v_cmp_ne_u32_e32 vcc, 0, v2
	s_cbranch_vccnz .LBB69_353
; %bb.350:                              ;   in Loop: Header=BB69_6 Depth=1
	s_mov_b64 s[8:9], exec
	v_readlane_b32 s10, v58, 4
	v_readlane_b32 s11, v58, 5
	s_and_b64 s[10:11], s[8:9], s[10:11]
	s_mov_b64 exec, s[10:11]
	s_cbranch_execz .LBB69_352
; %bb.351:                              ;   in Loop: Header=BB69_6 Depth=1
	v_mov_b32_e32 v2, s58
	ds_write_b32 v21, v2 offset:4100
.LBB69_352:                             ;   in Loop: Header=BB69_6 Depth=1
	s_or_b64 exec, exec, s[8:9]
	s_waitcnt lgkmcnt(0)
	s_barrier
.LBB69_353:                             ;   in Loop: Header=BB69_6 Depth=1
	s_lshl_b64 s[8:9], 1, s59
	v_and_b32_e32 v2, s25, v27
	s_waitcnt vmcnt(0)
	v_and_b32_e32 v4, s24, v26
	v_or_b32_e32 v27, s9, v2
	v_or_b32_e32 v26, s8, v4
	;; [unrolled: 1-line block ×4, first 2 shown]
	s_mov_b64 s[8:9], 0
	s_mov_b32 s10, 5
.LBB69_354:                             ;   in Loop: Header=BB69_6 Depth=1
	s_or_saveexec_b64 s[18:19], s[18:19]
	v_mov_b32_e32 v2, s10
	s_xor_b64 exec, exec, s[18:19]
; %bb.355:                              ;   in Loop: Header=BB69_6 Depth=1
	v_subrev_u32_e32 v8, s58, v8
	v_mov_b32_e32 v2, 0
	s_or_b64 s[8:9], s[8:9], exec
; %bb.356:                              ;   in Loop: Header=BB69_6 Depth=1
	s_or_b64 exec, exec, s[18:19]
	s_and_b64 s[76:77], s[8:9], exec
	v_mov_b32_e32 v9, v8
.LBB69_357:                             ;   in Loop: Header=BB69_6 Depth=1
	s_or_b64 exec, exec, s[16:17]
	s_mov_b64 s[8:9], -1
                                        ; implicit-def: $sgpr18_sgpr19
                                        ; implicit-def: $sgpr78_sgpr79
                                        ; implicit-def: $sgpr16_sgpr17
	s_and_saveexec_b64 s[58:59], s[76:77]
	s_cbranch_execz .LBB69_398
; %bb.358:                              ;   in Loop: Header=BB69_6 Depth=1
	s_cmp_eq_u32 s69, 1
	s_cselect_b64 s[8:9], -1, 0
	v_cmp_eq_u32_e32 vcc, 1, v9
	s_and_b64 s[10:11], s[8:9], vcc
	s_mov_b64 s[8:9], -1
                                        ; implicit-def: $sgpr18_sgpr19
                                        ; implicit-def: $sgpr78_sgpr79
                                        ; implicit-def: $sgpr16_sgpr17
	s_mov_b64 s[76:77], exec
	v_writelane_b32 v58, s10, 47
	v_writelane_b32 v58, s11, 48
	s_and_b64 s[10:11], s[76:77], s[10:11]
	s_mov_b64 exec, s[10:11]
	s_cbranch_execz .LBB69_385
; %bb.359:                              ;   in Loop: Header=BB69_6 Depth=1
	ds_read_b32 v2, v21 offset:4096
	s_waitcnt lgkmcnt(0)
	s_barrier
	v_readfirstlane_b32 s10, v2
	s_mov_b64 s[8:9], exec
	v_readlane_b32 s16, v58, 28
	v_readlane_b32 s17, v58, 29
	s_and_b64 s[16:17], s[8:9], s[16:17]
	s_mov_b64 exec, s[16:17]
	s_cbranch_execz .LBB69_361
; %bb.360:                              ;   in Loop: Header=BB69_6 Depth=1
	v_mov_b32_e32 v20, v21
	ds_write_b64 v37, v[20:21]
.LBB69_361:                             ;   in Loop: Header=BB69_6 Depth=1
	s_or_b64 exec, exec, s[8:9]
	v_and_b32_e32 v27, s25, v27
	v_and_b32_e32 v26, s24, v26
	v_or_b32_e32 v29, s23, v29
	v_or_b32_e32 v28, s22, v28
	s_cmp_eq_u32 s10, 0
	s_waitcnt lgkmcnt(0)
	s_barrier
	s_cbranch_scc1 .LBB69_370
; %bb.362:                              ;   in Loop: Header=BB69_6 Depth=1
	v_readlane_b32 s8, v58, 21
	s_add_i32 s8, s10, s8
	v_readlane_b32 s9, v58, 43
	s_mul_hi_u32 s9, s8, s9
	s_mul_i32 s9, s9, s73
	s_sub_i32 s9, s8, s9
	s_sub_i32 s11, s9, s73
	s_cmp_ge_u32 s9, s73
	s_cselect_b32 s9, s11, s9
	s_sub_i32 s11, s9, s73
	s_cmp_ge_u32 s9, s73
	s_cselect_b32 s9, s11, s9
	s_sub_i32 s11, s8, s9
	v_cmp_gt_u32_e32 vcc, s11, v0
	s_mov_b64 s[8:9], 0
                                        ; implicit-def: $vgpr6_vgpr7
	s_and_saveexec_b64 s[16:17], vcc
	s_cbranch_execz .LBB69_372
; %bb.363:                              ;   in Loop: Header=BB69_6 Depth=1
	s_mov_b64 s[78:79], 0
	v_mov_b32_e32 v8, v36
	v_mov_b32_e32 v10, v0
                                        ; implicit-def: $sgpr8_sgpr9
	s_branch .LBB69_365
.LBB69_364:                             ;   in Loop: Header=BB69_365 Depth=2
	s_or_b64 exec, exec, s[18:19]
	s_waitcnt lgkmcnt(0)
	s_barrier
	ds_read_b128 v[4:7], v21 offset:3072
	v_add_u32_e32 v10, s73, v10
	v_cmp_le_u32_e64 s[18:19], s11, v10
	v_add_u32_e32 v8, s6, v8
	s_waitcnt lgkmcnt(0)
	v_cmp_neq_f64_e32 vcc, 0, v[4:5]
	s_or_b64 s[18:19], s[18:19], vcc
	s_and_b64 s[18:19], exec, s[18:19]
	s_or_b64 s[78:79], s[18:19], s[78:79]
	s_andn2_b64 s[8:9], s[8:9], exec
	s_and_b64 s[18:19], vcc, exec
	s_or_b64 s[8:9], s[8:9], s[18:19]
	s_barrier
	s_andn2_b64 exec, exec, s[78:79]
	s_cbranch_execz .LBB69_371
.LBB69_365:                             ;   Parent Loop BB69_6 Depth=1
                                        ; =>  This Inner Loop Header: Depth=2
	v_cmp_gt_u32_e32 vcc, s10, v10
	s_waitcnt vmcnt(0)
	v_pk_mov_b32 v[4:5], 0, 0
	s_and_saveexec_b64 s[18:19], vcc
	s_cbranch_execz .LBB69_367
; %bb.366:                              ;   in Loop: Header=BB69_365 Depth=2
	ds_read_b64 v[4:5], v8
.LBB69_367:                             ;   in Loop: Header=BB69_365 Depth=2
	s_or_b64 exec, exec, s[18:19]
	s_and_saveexec_b64 s[18:19], vcc
	s_cbranch_execz .LBB69_364
; %bb.368:                              ;   in Loop: Header=BB69_365 Depth=2
	s_waitcnt lgkmcnt(0)
	v_ashrrev_i32_e32 v2, 31, v5
	v_or_b32_e32 v6, 0x80000000, v2
	v_xor_b32_e32 v6, v6, v5
	v_xor_b32_e32 v2, v2, v4
	v_cmp_o_f64_e32 vcc, v[4:5], v[4:5]
	v_cndmask_b32_e32 v6, -1, v6, vcc
	v_cndmask_b32_e32 v2, -1, v2, vcc
	v_and_b32_e32 v7, v6, v29
	v_and_b32_e32 v6, v2, v28
	v_cmp_eq_u64_e32 vcc, v[6:7], v[26:27]
	s_and_b64 exec, exec, vcc
	s_cbranch_execz .LBB69_364
; %bb.369:                              ;   in Loop: Header=BB69_365 Depth=2
	v_mov_b32_e32 v2, v21
	ds_write_b128 v21, v[2:5] offset:3072
	s_branch .LBB69_364
.LBB69_370:                             ;   in Loop: Header=BB69_6 Depth=1
	s_mov_b64 s[18:19], -1
	s_mov_b64 s[8:9], 0
                                        ; implicit-def: $sgpr78_sgpr79
                                        ; implicit-def: $vgpr6_vgpr7
	s_branch .LBB69_373
.LBB69_371:                             ;   in Loop: Header=BB69_6 Depth=1
	s_or_b64 exec, exec, s[78:79]
	s_and_b64 s[8:9], s[8:9], exec
.LBB69_372:                             ;   in Loop: Header=BB69_6 Depth=1
	s_or_b64 exec, exec, s[16:17]
	s_mov_b64 s[18:19], 0
	s_mov_b64 s[78:79], -1
.LBB69_373:                             ;   in Loop: Header=BB69_6 Depth=1
	s_and_b64 vcc, exec, s[18:19]
	s_mov_b64 s[16:17], s[18:19]
	s_cbranch_vccz .LBB69_384
; %bb.374:                              ;   in Loop: Header=BB69_6 Depth=1
	s_mov_b64 s[8:9], 0
                                        ; implicit-def: $vgpr6_vgpr7
	s_mov_b64 s[62:63], exec
	v_readlane_b32 s10, v58, 44
	v_readlane_b32 s11, v58, 45
	s_and_b64 s[10:11], s[62:63], s[10:11]
	s_mov_b64 exec, s[10:11]
	s_cbranch_execz .LBB69_383
; %bb.375:                              ;   in Loop: Header=BB69_6 Depth=1
	s_mov_b64 s[78:79], 0
	v_mov_b32_e32 v20, v22
	v_mov_b32_e32 v8, v0
                                        ; implicit-def: $sgpr8_sgpr9
	s_branch .LBB69_377
.LBB69_376:                             ;   in Loop: Header=BB69_377 Depth=2
	s_or_b64 exec, exec, s[18:19]
	s_waitcnt lgkmcnt(0)
	s_barrier
	s_waitcnt vmcnt(0)
	ds_read_b128 v[4:7], v21 offset:3072
	v_add_u32_e32 v8, s73, v8
	v_cmp_le_u32_e64 s[18:19], s12, v8
	v_add_u32_e32 v20, s74, v20
	s_waitcnt lgkmcnt(0)
	v_cmp_neq_f64_e32 vcc, 0, v[4:5]
	s_or_b64 s[10:11], s[18:19], vcc
	s_and_b64 s[10:11], exec, s[10:11]
	s_or_b64 s[78:79], s[10:11], s[78:79]
	s_andn2_b64 s[8:9], s[8:9], exec
	s_and_b64 s[10:11], vcc, exec
	s_or_b64 s[8:9], s[8:9], s[10:11]
	s_barrier
	s_andn2_b64 exec, exec, s[78:79]
	s_cbranch_execz .LBB69_382
.LBB69_377:                             ;   Parent Loop BB69_6 Depth=1
                                        ; =>  This Inner Loop Header: Depth=2
	v_cmp_gt_u32_e32 vcc, s60, v8
	s_waitcnt vmcnt(0)
	v_pk_mov_b32 v[4:5], 0, 0
	s_and_saveexec_b64 s[16:17], vcc
	s_cbranch_execz .LBB69_379
; %bb.378:                              ;   in Loop: Header=BB69_377 Depth=2
	v_lshlrev_b64 v[4:5], 3, v[20:21]
	v_mov_b32_e32 v2, s72
	v_add_co_u32_e64 v4, s[18:19], s33, v4
	v_addc_co_u32_e64 v5, s[18:19], v2, v5, s[18:19]
	global_load_dwordx2 v[4:5], v[4:5], off
.LBB69_379:                             ;   in Loop: Header=BB69_377 Depth=2
	s_or_b64 exec, exec, s[16:17]
	s_and_saveexec_b64 s[18:19], vcc
	s_cbranch_execz .LBB69_376
; %bb.380:                              ;   in Loop: Header=BB69_377 Depth=2
	s_waitcnt vmcnt(0)
	v_ashrrev_i32_e32 v2, 31, v5
	v_or_b32_e32 v6, 0x80000000, v2
	v_xor_b32_e32 v6, v6, v5
	v_xor_b32_e32 v2, v2, v4
	v_cmp_o_f64_e32 vcc, v[4:5], v[4:5]
	v_cndmask_b32_e32 v6, -1, v6, vcc
	v_cndmask_b32_e32 v2, -1, v2, vcc
	v_and_b32_e32 v7, v6, v29
	v_and_b32_e32 v6, v2, v28
	v_cmp_eq_u64_e32 vcc, v[6:7], v[26:27]
	s_and_b64 exec, exec, vcc
	s_cbranch_execz .LBB69_376
; %bb.381:                              ;   in Loop: Header=BB69_377 Depth=2
	v_mov_b32_e32 v2, v21
	ds_write_b128 v21, v[2:5] offset:3072
	s_branch .LBB69_376
.LBB69_382:                             ;   in Loop: Header=BB69_6 Depth=1
	s_or_b64 exec, exec, s[78:79]
	s_and_b64 s[8:9], s[8:9], exec
.LBB69_383:                             ;   in Loop: Header=BB69_6 Depth=1
	s_or_b64 exec, exec, s[62:63]
	s_mov_b64 s[78:79], 0
	s_mov_b64 s[18:19], -1
	s_mov_b64 s[16:17], 0
.LBB69_384:                             ;   in Loop: Header=BB69_6 Depth=1
	s_orn2_b64 s[8:9], s[8:9], exec
.LBB69_385:                             ;   in Loop: Header=BB69_6 Depth=1
	s_or_b64 exec, exec, s[76:77]
	s_mov_b64 vcc, 0
                                        ; implicit-def: $vgpr2
                                        ; implicit-def: $vgpr4
	s_and_saveexec_b64 s[76:77], s[8:9]
	s_cbranch_execz .LBB69_397
; %bb.386:                              ;   in Loop: Header=BB69_6 Depth=1
	v_readlane_b32 s8, v58, 47
	v_readlane_b32 s9, v58, 48
	s_xor_b64 s[10:11], s[8:9], -1
	v_mov_b32_e32 v2, 1
	s_waitcnt vmcnt(0)
	v_mov_b32_e32 v4, 1
	s_and_saveexec_b64 s[8:9], s[10:11]
	s_cbranch_execz .LBB69_396
; %bb.387:                              ;   in Loop: Header=BB69_6 Depth=1
	v_cmp_ge_u32_e32 vcc, s69, v9
                                        ; implicit-def: $sgpr10
	s_and_saveexec_b64 s[62:63], vcc
	s_xor_b64 s[62:63], exec, s[62:63]
	s_cbranch_execz .LBB69_393
; %bb.388:                              ;   in Loop: Header=BB69_6 Depth=1
	ds_read_b32 v2, v21 offset:4096
	s_waitcnt lgkmcnt(0)
	v_cmp_ne_u32_e32 vcc, 0, v2
	s_cbranch_vccnz .LBB69_392
; %bb.389:                              ;   in Loop: Header=BB69_6 Depth=1
	s_mov_b64 vcc, exec
	v_readlane_b32 s10, v58, 4
	v_readlane_b32 s11, v58, 5
	s_and_b64 s[10:11], vcc, s[10:11]
	s_mov_b64 exec, s[10:11]
	s_cbranch_execz .LBB69_391
; %bb.390:                              ;   in Loop: Header=BB69_6 Depth=1
	v_mov_b32_e32 v2, s69
	ds_write_b32 v21, v2 offset:4100
.LBB69_391:                             ;   in Loop: Header=BB69_6 Depth=1
	s_or_b64 exec, exec, vcc
	s_waitcnt lgkmcnt(0)
	s_barrier
.LBB69_392:                             ;   in Loop: Header=BB69_6 Depth=1
	v_and_b32_e32 v27, s25, v27
	v_and_b32_e32 v26, s24, v26
	v_or_b32_e32 v29, s23, v29
	v_or_b32_e32 v28, s22, v28
	s_mov_b32 s10, 5
.LBB69_393:                             ;   in Loop: Header=BB69_6 Depth=1
	s_or_saveexec_b64 s[22:23], s[62:63]
	v_mov_b32_e32 v2, s10
	s_xor_b64 exec, exec, s[22:23]
; %bb.394:                              ;   in Loop: Header=BB69_6 Depth=1
	v_subrev_u32_e32 v9, s69, v9
	v_mov_b32_e32 v2, 5
; %bb.395:                              ;   in Loop: Header=BB69_6 Depth=1
	s_or_b64 exec, exec, s[22:23]
	v_mov_b32_e32 v4, v9
.LBB69_396:                             ;   in Loop: Header=BB69_6 Depth=1
	s_or_b64 exec, exec, s[8:9]
	s_mov_b64 vcc, exec
.LBB69_397:                             ;   in Loop: Header=BB69_6 Depth=1
	s_or_b64 exec, exec, s[76:77]
	s_orn2_b64 s[8:9], vcc, exec
	s_waitcnt vmcnt(0)
	v_mov_b32_e32 v9, v4
.LBB69_398:                             ;   in Loop: Header=BB69_6 Depth=1
	s_or_b64 exec, exec, s[58:59]
	s_andn2_b64 s[10:11], s[50:51], exec
	s_and_b64 s[18:19], s[18:19], exec
	s_or_b64 s[50:51], s[10:11], s[18:19]
	s_andn2_b64 s[10:11], s[52:53], exec
	s_and_b64 s[18:19], s[78:79], exec
	s_or_b64 s[52:53], s[10:11], s[18:19]
	;; [unrolled: 3-line block ×3, first 2 shown]
	s_and_b64 s[8:9], s[8:9], exec
	v_mov_b32_e32 v8, v9
.LBB69_399:                             ;   in Loop: Header=BB69_6 Depth=1
	s_or_b64 exec, exec, s[56:57]
	s_and_b64 s[50:51], s[50:51], exec
	s_and_b64 s[18:19], s[52:53], exec
	;; [unrolled: 1-line block ×3, first 2 shown]
	s_orn2_b64 s[8:9], s[8:9], exec
.LBB69_400:                             ;   in Loop: Header=BB69_6 Depth=1
	s_or_b64 exec, exec, s[48:49]
	s_andn2_b64 s[10:11], s[40:41], exec
	s_and_b64 s[22:23], s[50:51], exec
	s_or_b64 s[40:41], s[10:11], s[22:23]
	s_andn2_b64 s[10:11], s[42:43], exec
	s_and_b64 s[18:19], s[18:19], exec
	s_or_b64 s[42:43], s[10:11], s[18:19]
	s_andn2_b64 s[10:11], s[44:45], exec
	s_and_b64 s[16:17], s[16:17], exec
	s_or_b64 s[44:45], s[10:11], s[16:17]
	s_and_b64 s[8:9], s[8:9], exec
	v_mov_b32_e32 v30, v8
.LBB69_401:                             ;   in Loop: Header=BB69_6 Depth=1
	s_or_b64 exec, exec, s[46:47]
	s_and_b64 s[46:47], s[40:41], exec
	s_and_b64 s[40:41], s[42:43], exec
	;; [unrolled: 1-line block ×3, first 2 shown]
	s_orn2_b64 s[42:43], s[8:9], exec
.LBB69_402:                             ;   in Loop: Header=BB69_6 Depth=1
	s_or_b64 exec, exec, s[34:35]
	s_mov_b64 s[8:9], s[28:29]
	s_mov_b64 s[18:19], s[20:21]
	s_and_saveexec_b64 s[22:23], s[42:43]
; %bb.403:                              ;   in Loop: Header=BB69_6 Depth=1
	v_cmp_ne_u32_e64 s[18:19], 5, v2
	v_cmp_eq_u32_e32 vcc, 5, v2
	s_andn2_b64 s[8:9], s[20:21], exec
	s_and_b64 s[10:11], s[18:19], exec
	s_or_b64 s[18:19], s[8:9], s[10:11]
	s_andn2_b64 s[8:9], s[28:29], exec
	s_and_b64 s[10:11], vcc, exec
	s_andn2_b64 s[46:47], s[46:47], exec
	s_andn2_b64 s[40:41], s[40:41], exec
	;; [unrolled: 1-line block ×3, first 2 shown]
	s_or_b64 s[8:9], s[8:9], s[10:11]
; %bb.404:                              ;   in Loop: Header=BB69_6 Depth=1
	s_or_b64 exec, exec, s[22:23]
	s_andn2_b64 s[10:11], s[36:37], exec
	s_and_b64 s[22:23], s[46:47], exec
	s_or_b64 s[36:37], s[10:11], s[22:23]
	s_andn2_b64 s[10:11], s[38:39], exec
	s_and_b64 s[22:23], s[40:41], exec
	s_or_b64 s[38:39], s[10:11], s[22:23]
	;; [unrolled: 3-line block ×5, first 2 shown]
	s_waitcnt vmcnt(0)
	v_pk_mov_b32 v[12:13], v[26:27], v[26:27] op_sel:[0,1]
	v_pk_mov_b32 v[14:15], v[28:29], v[28:29] op_sel:[0,1]
	;; [unrolled: 1-line block ×3, first 2 shown]
.LBB69_405:                             ;   in Loop: Header=BB69_6 Depth=1
	s_or_b64 exec, exec, s[30:31]
	s_mov_b64 s[34:35], s[26:27]
	s_mov_b64 s[30:31], s[26:27]
	s_and_saveexec_b64 s[8:9], s[28:29]
.LBB69_406:                             ;   in Loop: Header=BB69_6 Depth=1
	v_mov_b32_e32 v2, 0
	s_andn2_b64 s[26:27], s[26:27], exec
	s_andn2_b64 s[36:37], s[36:37], exec
	;; [unrolled: 1-line block ×5, first 2 shown]
	s_or_b64 s[20:21], s[20:21], exec
.LBB69_407:                             ;   in Loop: Header=BB69_6 Depth=1
	s_or_b64 exec, exec, s[8:9]
	s_andn2_b64 s[8:9], s[84:85], exec
	s_and_b64 s[10:11], s[26:27], exec
	s_or_b64 s[84:85], s[8:9], s[10:11]
	s_andn2_b64 s[8:9], s[82:83], exec
	s_and_b64 s[10:11], s[36:37], exec
	s_or_b64 s[82:83], s[8:9], s[10:11]
	;; [unrolled: 3-line block ×4, first 2 shown]
	s_andn2_b64 s[8:9], s[66:67], exec
	s_and_b64 s[10:11], s[30:31], exec
	s_mov_b64 s[16:17], -1
	s_or_b64 s[66:67], s[8:9], s[10:11]
                                        ; implicit-def: $vgpr28_vgpr29
                                        ; implicit-def: $vgpr26_vgpr27
                                        ; implicit-def: $vgpr47
                                        ; implicit-def: $vgpr6_vgpr7
	s_and_saveexec_b64 s[8:9], s[20:21]
	s_xor_b64 s[8:9], exec, s[8:9]
	s_cbranch_execz .LBB69_5
; %bb.408:                              ;   in Loop: Header=BB69_6 Depth=1
	v_cmp_eq_u32_e32 vcc, 0, v2
	s_mov_b64 s[18:19], -1
	s_and_saveexec_b64 s[20:21], vcc
	s_cbranch_execz .LBB69_4
; %bb.409:                              ;   in Loop: Header=BB69_6 Depth=1
	s_xor_b32 s68, s68, 1
	s_add_i32 s22, s7, -2
	s_cmp_eq_u32 s7, 0
	s_cselect_b64 s[10:11], -1, 0
	s_xor_b64 s[18:19], exec, -1
	s_orn2_b64 s[16:17], s[10:11], exec
	s_mov_b32 s7, s22
	s_branch .LBB69_4
.LBB69_410:
	s_or_b64 exec, exec, s[86:87]
	s_xor_b64 s[8:9], s[64:65], -1
	s_xor_b64 s[18:19], s[94:95], -1
	;; [unrolled: 1-line block ×5, first 2 shown]
	s_mov_b64 s[12:13], 0
	s_and_saveexec_b64 s[6:7], s[4:5]
	s_xor_b64 s[10:11], exec, s[6:7]
	s_cbranch_execnz .LBB69_415
; %bb.411:
	s_andn2_saveexec_b64 s[0:1], s[10:11]
	s_cbranch_execnz .LBB69_434
.LBB69_412:
	s_or_b64 exec, exec, s[0:1]
	s_and_saveexec_b64 s[0:1], s[12:13]
.LBB69_413:
	; divergent unreachable
.LBB69_414:
	s_endpgm
.LBB69_415:
	s_mov_b64 s[14:15], 0
	s_and_saveexec_b64 s[4:5], s[16:17]
	s_xor_b64 s[12:13], exec, s[4:5]
	s_cbranch_execz .LBB69_432
; %bb.416:
	s_mov_b64 s[16:17], 0
	s_and_saveexec_b64 s[4:5], s[18:19]
	s_xor_b64 s[14:15], exec, s[4:5]
	s_cbranch_execz .LBB69_430
; %bb.417:
	;; [unrolled: 5-line block ×3, first 2 shown]
	s_and_saveexec_b64 s[4:5], s[2:3]
	s_xor_b64 s[2:3], exec, s[4:5]
	s_cbranch_execz .LBB69_420
; %bb.419:
	s_waitcnt vmcnt(0)
	v_lshrrev_b32_e32 v1, 31, v13
	v_add_co_u32_e32 v1, vcc, -1, v1
	v_addc_co_u32_e64 v2, s[4:5], 0, -1, vcc
	v_or_b32_e32 v2, 0x80000000, v2
	v_xor_b32_e32 v11, v2, v13
	v_xor_b32_e32 v10, v1, v12
.LBB69_420:
	s_or_b64 exec, exec, s[2:3]
	s_mov_b64 s[2:3], exec
	v_readlane_b32 s4, v58, 4
	v_readlane_b32 s5, v58, 5
	;; [unrolled: 1-line block ×3, first 2 shown]
	s_and_b64 s[4:5], s[2:3], s[4:5]
	v_readlane_b32 s31, v58, 14
	v_readlane_b32 s20, v58, 46
	s_mov_b64 exec, s[4:5]
	s_cbranch_execz .LBB69_422
; %bb.421:
	v_mov_b32_e32 v1, 0
	ds_write_b32 v1, v1 offset:4108
.LBB69_422:
	s_or_b64 exec, exec, s[2:3]
	v_pk_mov_b32 v[8:9], 0, 0
	s_waitcnt lgkmcnt(0)
	s_barrier
	s_mov_b64 s[2:3], exec
	v_readlane_b32 s4, v58, 26
	v_readlane_b32 s5, v58, 27
	s_and_b64 s[4:5], s[2:3], s[4:5]
	s_mov_b64 exec, s[4:5]
	s_cbranch_execz .LBB69_424
; %bb.423:
	global_load_dwordx2 v[8:9], v[18:19], off
.LBB69_424:
	s_or_b64 exec, exec, s[2:3]
	v_readlane_b32 s3, v58, 10
	v_readlane_b32 s2, v58, 9
	;; [unrolled: 1-line block ×3, first 2 shown]
	s_add_i32 s40, s60, 63
	s_mul_i32 s2, s2, s3
	s_mul_i32 s4, s4, s3
	s_mov_b32 s3, 0
	s_andn2_b32 s40, s40, 63
	s_lshl_b64 s[6:7], s[2:3], 3
	v_readlane_b32 s8, v58, 2
	v_readlane_b32 s9, v58, 3
	s_add_u32 s41, s8, s6
	s_mov_b32 s5, s3
	s_addc_u32 s42, s9, s7
	s_lshl_b64 s[2:3], s[4:5], 3
	v_readlane_b32 s4, v58, 0
	v_readlane_b32 s5, v58, 1
	s_add_u32 s43, s4, s2
	s_addc_u32 s44, s5, s3
	v_readlane_b32 s2, v58, 7
	v_readlane_b32 s3, v58, 8
	v_ashrrev_i32_e32 v1, 31, v11
	s_load_dword s45, s[2:3], 0x1c8
	s_load_dword s46, s[2:3], 0x2a8
	v_or_b32_e32 v2, 0x80000000, v1
	v_xor_b32_e32 v2, v2, v11
	v_xor_b32_e32 v1, v1, v10
	v_cmp_o_f64_e32 vcc, v[10:11], v[10:11]
	v_cndmask_b32_e32 v3, -1, v2, vcc
	v_cndmask_b32_e32 v2, -1, v1, vcc
	v_add_u32_e32 v1, s73, v0
	v_cmp_gt_u32_e32 vcc, s40, v0
	s_mov_b64 s[18:19], -1
	s_mov_b64 s[2:3], 0
	s_waitcnt vmcnt(0)
	v_mul_lo_u32 v4, s20, v1
	s_mov_b64 s[4:5], 0
	s_and_saveexec_b64 s[8:9], vcc
	s_cbranch_execnz .LBB69_435
; %bb.425:
	s_or_b64 exec, exec, s[8:9]
	s_and_saveexec_b64 s[8:9], s[18:19]
	s_cbranch_execnz .LBB69_452
.LBB69_426:
	s_or_b64 exec, exec, s[8:9]
	s_and_saveexec_b64 s[0:1], s[4:5]
	s_xor_b64 s[0:1], exec, s[0:1]
	s_cbranch_execnz .LBB69_476
.LBB69_427:
	s_or_b64 exec, exec, s[0:1]
	s_and_b64 s[18:19], s[2:3], exec
.LBB69_428:
	s_andn2_saveexec_b64 s[0:1], s[16:17]
	s_cbranch_execnz .LBB69_479
.LBB69_429:
	s_or_b64 exec, exec, s[0:1]
	s_and_b64 s[16:17], s[18:19], exec
.LBB69_430:
	s_andn2_saveexec_b64 s[0:1], s[14:15]
	s_cbranch_execnz .LBB69_478
.LBB69_431:
	s_or_b64 exec, exec, s[0:1]
	s_and_b64 s[14:15], s[16:17], exec
.LBB69_432:
	s_andn2_saveexec_b64 s[0:1], s[12:13]
	s_cbranch_execnz .LBB69_477
.LBB69_433:
	s_or_b64 exec, exec, s[0:1]
	s_and_b64 s[12:13], s[14:15], exec
	s_andn2_saveexec_b64 s[0:1], s[10:11]
	s_cbranch_execz .LBB69_412
.LBB69_434:
	s_or_b64 s[12:13], s[12:13], exec
	s_trap 2
	s_or_b64 exec, exec, s[0:1]
	s_and_saveexec_b64 s[0:1], s[12:13]
	s_cbranch_execnz .LBB69_413
	s_branch .LBB69_414
.LBB69_435:
	v_mul_lo_u32 v6, s20, v1
	s_mov_b64 s[18:19], 0
	v_mov_b32_e32 v7, 0
	v_mov_b32_e32 v12, v0
                                        ; implicit-def: $sgpr20_sgpr21
                                        ; implicit-def: $vgpr5
	s_branch .LBB69_437
.LBB69_436:                             ;   in Loop: Header=BB69_437 Depth=1
	s_or_b64 exec, exec, s[22:23]
	s_xor_b64 s[6:7], s[26:27], -1
	s_and_b64 s[4:5], exec, s[4:5]
	s_or_b64 s[18:19], s[4:5], s[18:19]
	s_andn2_b64 s[4:5], s[20:21], exec
	s_and_b64 s[6:7], s[6:7], exec
	s_or_b64 s[20:21], s[4:5], s[6:7]
	s_waitcnt vmcnt(0)
	v_pk_mov_b32 v[8:9], v[10:11], v[10:11] op_sel:[0,1]
	v_mov_b32_e32 v12, v1
	s_andn2_b64 exec, exec, s[18:19]
	s_cbranch_execz .LBB69_451
.LBB69_437:                             ; =>This Inner Loop Header: Depth=1
	v_add_u32_e32 v1, s73, v12
	v_cmp_gt_u32_e32 vcc, s60, v1
	v_pk_mov_b32 v[10:11], 0, 0
	s_and_saveexec_b64 s[4:5], vcc
	s_cbranch_execz .LBB69_439
; %bb.438:                              ;   in Loop: Header=BB69_437 Depth=1
	v_lshlrev_b64 v[10:11], 3, v[6:7]
	v_mov_b32_e32 v13, s72
	v_add_co_u32_e32 v10, vcc, s33, v10
	v_addc_co_u32_e32 v11, vcc, v13, v11, vcc
	global_load_dwordx2 v[10:11], v[10:11], off
.LBB69_439:                             ;   in Loop: Header=BB69_437 Depth=1
	s_or_b64 exec, exec, s[4:5]
	v_cmp_gt_u32_e32 vcc, s60, v12
	s_mov_b64 s[22:23], 0
	s_and_saveexec_b64 s[4:5], vcc
	s_cbranch_execz .LBB69_441
; %bb.440:                              ;   in Loop: Header=BB69_437 Depth=1
	v_ashrrev_i32_e32 v13, 31, v9
	v_or_b32_e32 v14, 0x80000000, v13
	v_xor_b32_e32 v14, v14, v9
	v_xor_b32_e32 v13, v13, v8
	v_cmp_o_f64_e32 vcc, v[8:9], v[8:9]
	v_cndmask_b32_e32 v15, -1, v14, vcc
	v_cndmask_b32_e32 v14, -1, v13, vcc
	v_cmp_gt_u64_e32 vcc, v[14:15], v[2:3]
	v_cndmask_b32_e64 v13, 0, 1, vcc
	v_cmp_lt_u64_e32 vcc, v[14:15], v[2:3]
	v_cndmask_b32_e64 v14, 0, 1, vcc
	v_cndmask_b32_e64 v13, v14, v13, s[30:31]
	v_and_b32_e32 v13, 1, v13
	v_cmp_eq_u32_e32 vcc, 1, v13
	s_and_b64 s[22:23], vcc, exec
.LBB69_441:                             ;   in Loop: Header=BB69_437 Depth=1
	s_or_b64 exec, exec, s[4:5]
	v_cndmask_b32_e64 v13, 0, 1, s[22:23]
	v_cmp_ne_u32_e32 vcc, 0, v13
	s_cmp_lg_u64 vcc, 0
	s_cselect_b64 s[4:5], -1, 0
	s_and_b64 s[4:5], s[0:1], s[4:5]
	s_and_saveexec_b64 s[24:25], s[4:5]
	s_cbranch_execz .LBB69_445
; %bb.442:                              ;   in Loop: Header=BB69_437 Depth=1
	s_mov_b64 s[28:29], exec
	s_waitcnt lgkmcnt(0)
	v_mbcnt_lo_u32_b32 v5, s28, 0
	v_mbcnt_hi_u32_b32 v5, s29, v5
	s_bcnt1_i32_b64 s6, vcc
	v_cmp_eq_u32_e64 s[4:5], 0, v5
                                        ; implicit-def: $vgpr13
	s_and_saveexec_b64 s[26:27], s[4:5]
	s_cbranch_execz .LBB69_444
; %bb.443:                              ;   in Loop: Header=BB69_437 Depth=1
	s_bcnt1_i32_b64 s4, s[28:29]
	s_mul_i32 s4, s6, s4
	v_mov_b32_e32 v13, s4
	ds_add_rtn_u32 v13, v7, v13 offset:4108
.LBB69_444:                             ;   in Loop: Header=BB69_437 Depth=1
	s_or_b64 exec, exec, s[26:27]
	s_waitcnt lgkmcnt(0)
	v_readfirstlane_b32 s4, v13
	v_mov_b32_e32 v13, s4
	v_mad_u32_u24 v5, s6, v5, v13
.LBB69_445:                             ;   in Loop: Header=BB69_437 Depth=1
	s_or_b64 exec, exec, s[24:25]
	s_waitcnt lgkmcnt(0)
	ds_bpermute_b32 v5, v23, v5
	s_mov_b64 s[4:5], -1
	s_mov_b64 s[28:29], -1
                                        ; implicit-def: $sgpr26_sgpr27
	s_and_saveexec_b64 s[24:25], s[22:23]
	s_cbranch_execz .LBB69_449
; %bb.446:                              ;   in Loop: Header=BB69_437 Depth=1
	v_and_b32_e32 v14, vcc_lo, v16
	v_and_b32_e32 v13, vcc_hi, v17
	v_bcnt_u32_b32 v14, v14, 0
	v_bcnt_u32_b32 v13, v13, v14
	s_waitcnt lgkmcnt(0)
	v_add_u32_e32 v13, v5, v13
	v_cmp_gt_u32_e32 vcc, s61, v13
	s_mov_b64 s[22:23], 0
	s_and_saveexec_b64 s[26:27], vcc
	s_cbranch_execz .LBB69_448
; %bb.447:                              ;   in Loop: Header=BB69_437 Depth=1
	v_mul_lo_u32 v14, v13, s45
	v_mov_b32_e32 v15, v7
	v_lshlrev_b64 v[14:15], 3, v[14:15]
	v_mul_lo_u32 v20, v13, s46
	v_mov_b32_e32 v13, s42
	v_add_co_u32_e32 v14, vcc, s41, v14
	v_addc_co_u32_e32 v15, vcc, v13, v15, vcc
	v_mov_b32_e32 v21, v7
	global_store_dwordx2 v[14:15], v[8:9], off
	v_lshlrev_b64 v[8:9], 3, v[20:21]
	v_mov_b32_e32 v14, s44
	v_add_co_u32_e32 v8, vcc, s43, v8
	s_mov_b64 s[22:23], exec
	v_mov_b32_e32 v13, v7
	v_addc_co_u32_e32 v9, vcc, v14, v9, vcc
	global_store_dwordx2 v[8:9], v[12:13], off
.LBB69_448:                             ;   in Loop: Header=BB69_437 Depth=1
	s_or_b64 exec, exec, s[26:27]
	s_mov_b64 s[26:27], -1
	s_orn2_b64 s[28:29], s[22:23], exec
.LBB69_449:                             ;   in Loop: Header=BB69_437 Depth=1
	s_or_b64 exec, exec, s[24:25]
	s_and_saveexec_b64 s[22:23], s[28:29]
	s_cbranch_execz .LBB69_436
; %bb.450:                              ;   in Loop: Header=BB69_437 Depth=1
	v_cmp_le_u32_e32 vcc, s40, v1
	v_add_u32_e32 v6, s74, v6
	s_andn2_b64 s[26:27], s[26:27], exec
	s_orn2_b64 s[4:5], vcc, exec
	s_branch .LBB69_436
.LBB69_451:
	s_or_b64 exec, exec, s[18:19]
	s_mov_b64 s[4:5], exec
	s_orn2_b64 s[18:19], s[20:21], exec
	s_or_b64 exec, exec, s[8:9]
	s_and_saveexec_b64 s[8:9], s[18:19]
	s_cbranch_execz .LBB69_426
.LBB69_452:
	v_pk_mov_b32 v[6:7], 0, 0
	s_waitcnt lgkmcnt(0)
	s_barrier
	s_mov_b64 s[2:3], exec
	v_readlane_b32 s6, v58, 26
	v_readlane_b32 s7, v58, 27
	s_and_b64 s[6:7], s[2:3], s[6:7]
	s_mov_b64 exec, s[6:7]
	s_cbranch_execz .LBB69_454
; %bb.453:
	global_load_dwordx2 v[6:7], v[18:19], off
.LBB69_454:
	s_or_b64 exec, exec, s[2:3]
	s_mov_b64 s[6:7], 0
	v_mov_b32_e32 v5, 0
                                        ; implicit-def: $sgpr18_sgpr19
                                        ; implicit-def: $sgpr20_sgpr21
                                        ; implicit-def: $sgpr22_sgpr23
                                        ; implicit-def: $vgpr12
	s_branch .LBB69_457
.LBB69_455:                             ;   in Loop: Header=BB69_457 Depth=1
	s_or_b64 exec, exec, s[28:29]
	s_andn2_b64 s[22:23], s[22:23], exec
	s_and_b64 s[26:27], s[34:35], exec
	s_andn2_b64 s[20:21], s[20:21], exec
	s_and_b64 s[2:3], s[2:3], exec
	s_or_b64 s[22:23], s[22:23], s[26:27]
	s_or_b64 s[20:21], s[20:21], s[2:3]
	v_mov_b32_e32 v0, v13
	v_pk_mov_b32 v[6:7], v[10:11], v[10:11] op_sel:[0,1]
.LBB69_456:                             ;   in Loop: Header=BB69_457 Depth=1
	s_or_b64 exec, exec, s[24:25]
	s_xor_b64 s[2:3], s[22:23], -1
	s_and_b64 s[24:25], exec, s[20:21]
	s_or_b64 s[6:7], s[24:25], s[6:7]
	s_andn2_b64 s[18:19], s[18:19], exec
	s_and_b64 s[2:3], s[2:3], exec
	s_or_b64 s[18:19], s[18:19], s[2:3]
	s_andn2_b64 exec, exec, s[6:7]
	s_cbranch_execz .LBB69_474
.LBB69_457:                             ; =>This Inner Loop Header: Depth=1
	v_cmp_gt_u32_e32 vcc, s40, v0
	s_or_b64 s[22:23], s[22:23], exec
	s_or_b64 s[20:21], s[20:21], exec
	s_and_saveexec_b64 s[24:25], vcc
	s_cbranch_execz .LBB69_456
; %bb.458:                              ;   in Loop: Header=BB69_457 Depth=1
	v_add_u32_e32 v13, s73, v0
	v_cmp_gt_u32_e32 vcc, s60, v13
	v_pk_mov_b32 v[8:9], 0, 0
	s_and_saveexec_b64 s[2:3], vcc
	s_cbranch_execz .LBB69_460
; %bb.459:                              ;   in Loop: Header=BB69_457 Depth=1
	v_lshlrev_b64 v[8:9], 3, v[4:5]
	v_mov_b32_e32 v1, s72
	v_add_co_u32_e32 v8, vcc, s33, v8
	v_addc_co_u32_e32 v9, vcc, v1, v9, vcc
	global_load_dwordx2 v[8:9], v[8:9], off
.LBB69_460:                             ;   in Loop: Header=BB69_457 Depth=1
	s_or_b64 exec, exec, s[2:3]
	v_cmp_gt_u32_e32 vcc, s60, v0
	s_mov_b64 s[28:29], 0
	s_and_saveexec_b64 s[2:3], vcc
	s_cbranch_execz .LBB69_462
; %bb.461:                              ;   in Loop: Header=BB69_457 Depth=1
	s_waitcnt vmcnt(0)
	v_ashrrev_i32_e32 v1, 31, v7
	v_or_b32_e32 v10, 0x80000000, v1
	v_xor_b32_e32 v10, v10, v7
	v_xor_b32_e32 v1, v1, v6
	v_cmp_o_f64_e32 vcc, v[6:7], v[6:7]
	v_cndmask_b32_e32 v11, -1, v10, vcc
	v_cndmask_b32_e32 v10, -1, v1, vcc
	v_cmp_eq_u64_e32 vcc, v[10:11], v[2:3]
	s_and_b64 s[28:29], vcc, exec
.LBB69_462:                             ;   in Loop: Header=BB69_457 Depth=1
	s_or_b64 exec, exec, s[2:3]
	v_cndmask_b32_e64 v1, 0, 1, s[28:29]
	v_cmp_ne_u32_e32 vcc, 0, v1
	s_cmp_lg_u64 vcc, 0
	s_cselect_b64 s[2:3], -1, 0
	s_and_b64 s[2:3], s[0:1], s[2:3]
	s_and_saveexec_b64 s[26:27], s[2:3]
	s_cbranch_execz .LBB69_466
; %bb.463:                              ;   in Loop: Header=BB69_457 Depth=1
	s_mov_b64 s[34:35], exec
	v_mbcnt_lo_u32_b32 v1, s34, 0
	v_mbcnt_hi_u32_b32 v1, s35, v1
	s_bcnt1_i32_b64 s36, vcc
	v_cmp_eq_u32_e64 s[2:3], 0, v1
                                        ; implicit-def: $vgpr10
	s_and_saveexec_b64 s[30:31], s[2:3]
	s_cbranch_execz .LBB69_465
; %bb.464:                              ;   in Loop: Header=BB69_457 Depth=1
	s_bcnt1_i32_b64 s2, s[34:35]
	s_mul_i32 s2, s36, s2
	v_mov_b32_e32 v10, s2
	ds_add_rtn_u32 v10, v5, v10 offset:4108
.LBB69_465:                             ;   in Loop: Header=BB69_457 Depth=1
	s_or_b64 exec, exec, s[30:31]
	s_waitcnt lgkmcnt(0)
	v_readfirstlane_b32 s2, v10
	v_mov_b32_e32 v10, s2
	v_mad_u32_u24 v12, s36, v1, v10
.LBB69_466:                             ;   in Loop: Header=BB69_457 Depth=1
	s_or_b64 exec, exec, s[26:27]
	ds_bpermute_b32 v12, v23, v12
	s_cmp_eq_u64 vcc, 0
	s_cselect_b64 s[26:27], -1, 0
	s_mov_b64 s[30:31], -1
	s_mov_b64 s[34:35], -1
	s_waitcnt lgkmcnt(0)
	v_cmp_gt_u32_e64 s[2:3], s61, v12
	s_or_b64 s[26:27], s[26:27], s[2:3]
	s_waitcnt vmcnt(0)
	v_cndmask_b32_e64 v11, v7, v9, s[26:27]
	s_and_b64 s[36:37], s[28:29], s[26:27]
	v_cndmask_b32_e64 v10, v6, v8, s[26:27]
	s_mov_b64 s[2:3], -1
	s_and_saveexec_b64 s[28:29], s[36:37]
	s_cbranch_execz .LBB69_472
; %bb.467:                              ;   in Loop: Header=BB69_457 Depth=1
	v_and_b32_e32 v10, vcc_lo, v16
	v_and_b32_e32 v1, vcc_hi, v17
	v_bcnt_u32_b32 v10, v10, 0
	v_bcnt_u32_b32 v1, v1, v10
	v_sub_u32_e32 v10, s61, v12
	v_cmp_le_u32_e64 s[30:31], v10, v1
	v_cmp_gt_u32_e32 vcc, v10, v1
	s_mov_b64 s[36:37], -1
	s_and_saveexec_b64 s[34:35], vcc
	s_cbranch_execz .LBB69_471
; %bb.468:                              ;   in Loop: Header=BB69_457 Depth=1
	v_add_u32_e32 v1, v12, v1
	v_cmp_gt_u32_e32 vcc, s61, v1
	s_mov_b64 s[38:39], s[30:31]
	s_and_saveexec_b64 s[36:37], vcc
	s_cbranch_execz .LBB69_470
; %bb.469:                              ;   in Loop: Header=BB69_457 Depth=1
	v_mul_lo_u32 v10, v1, s45
	v_mov_b32_e32 v11, v5
	v_lshlrev_b64 v[10:11], 3, v[10:11]
	v_mul_lo_u32 v14, v1, s46
	v_mov_b32_e32 v1, s42
	v_add_co_u32_e32 v10, vcc, s41, v10
	v_addc_co_u32_e32 v11, vcc, v1, v11, vcc
	v_mov_b32_e32 v15, v5
	global_store_dwordx2 v[10:11], v[6:7], off
	v_lshlrev_b64 v[6:7], 3, v[14:15]
	v_mov_b32_e32 v10, s44
	v_add_co_u32_e32 v6, vcc, s43, v6
	v_mov_b32_e32 v1, v5
	v_addc_co_u32_e32 v7, vcc, v10, v7, vcc
	s_or_b64 s[38:39], s[30:31], exec
	global_store_dwordx2 v[6:7], v[0:1], off
.LBB69_470:                             ;   in Loop: Header=BB69_457 Depth=1
	s_or_b64 exec, exec, s[36:37]
	s_andn2_b64 s[30:31], s[30:31], exec
	s_and_b64 s[38:39], s[38:39], exec
	s_xor_b64 s[36:37], exec, -1
	s_or_b64 s[30:31], s[30:31], s[38:39]
.LBB69_471:                             ;   in Loop: Header=BB69_457 Depth=1
	s_or_b64 exec, exec, s[34:35]
	s_orn2_b64 s[34:35], s[36:37], exec
	s_or_b64 s[26:27], s[26:27], exec
	s_orn2_b64 s[30:31], s[30:31], exec
	v_pk_mov_b32 v[10:11], v[8:9], v[8:9] op_sel:[0,1]
.LBB69_472:                             ;   in Loop: Header=BB69_457 Depth=1
	s_or_b64 exec, exec, s[28:29]
	s_and_saveexec_b64 s[28:29], s[30:31]
	s_cbranch_execz .LBB69_455
; %bb.473:                              ;   in Loop: Header=BB69_457 Depth=1
	s_xor_b64 s[2:3], s[26:27], -1
	v_add_u32_e32 v4, s74, v4
	s_or_b64 s[34:35], s[34:35], exec
	s_orn2_b64 s[2:3], s[2:3], exec
	s_branch .LBB69_455
.LBB69_474:
	s_or_b64 exec, exec, s[6:7]
	s_mov_b64 s[0:1], 0
	s_and_saveexec_b64 s[2:3], s[18:19]
	s_xor_b64 s[2:3], exec, s[2:3]
	s_cbranch_execnz .LBB69_480
.LBB69_475:
	s_or_b64 exec, exec, s[2:3]
	s_and_b64 s[2:3], s[0:1], exec
	s_andn2_b64 s[4:5], s[4:5], exec
	s_or_b64 exec, exec, s[8:9]
	s_and_saveexec_b64 s[0:1], s[4:5]
	s_xor_b64 s[0:1], exec, s[0:1]
	s_cbranch_execz .LBB69_427
.LBB69_476:
	s_or_b64 s[2:3], s[2:3], exec
	s_trap 2
	s_branch .LBB69_427
.LBB69_477:
	s_or_b64 s[14:15], s[14:15], exec
	s_trap 2
	s_branch .LBB69_433
.LBB69_478:
	s_or_b64 s[16:17], s[16:17], exec
	s_trap 2
	s_branch .LBB69_431
.LBB69_479:
	s_trap 2
	s_or_b64 s[18:19], s[18:19], exec
	s_branch .LBB69_429
.LBB69_480:
	s_mov_b64 s[0:1], exec
	s_trap 2
	s_branch .LBB69_475
	.section	.rodata,"a",@progbits
	.p2align	6, 0x0
	.amdhsa_kernel _ZN2at6native6sbtopk10gatherTopKIdjLi1ELb0EEEvNS_4cuda6detail10TensorInfoIKT_T0_EES8_S8_bS8_S8_NS5_IS6_S8_EES8_NS5_IlS8_EES8_PS6_
		.amdhsa_group_segment_fixed_size 4112
		.amdhsa_private_segment_fixed_size 0
		.amdhsa_kernarg_size 952
		.amdhsa_user_sgpr_count 6
		.amdhsa_user_sgpr_private_segment_buffer 1
		.amdhsa_user_sgpr_dispatch_ptr 0
		.amdhsa_user_sgpr_queue_ptr 0
		.amdhsa_user_sgpr_kernarg_segment_ptr 1
		.amdhsa_user_sgpr_dispatch_id 0
		.amdhsa_user_sgpr_flat_scratch_init 0
		.amdhsa_user_sgpr_kernarg_preload_length 0
		.amdhsa_user_sgpr_kernarg_preload_offset 0
		.amdhsa_user_sgpr_private_segment_size 0
		.amdhsa_uses_dynamic_stack 0
		.amdhsa_system_sgpr_private_segment_wavefront_offset 0
		.amdhsa_system_sgpr_workgroup_id_x 1
		.amdhsa_system_sgpr_workgroup_id_y 1
		.amdhsa_system_sgpr_workgroup_id_z 1
		.amdhsa_system_sgpr_workgroup_info 0
		.amdhsa_system_vgpr_workitem_id 0
		.amdhsa_next_free_vgpr 59
		.amdhsa_next_free_sgpr 96
		.amdhsa_accum_offset 60
		.amdhsa_reserve_vcc 1
		.amdhsa_reserve_flat_scratch 0
		.amdhsa_float_round_mode_32 0
		.amdhsa_float_round_mode_16_64 0
		.amdhsa_float_denorm_mode_32 3
		.amdhsa_float_denorm_mode_16_64 3
		.amdhsa_dx10_clamp 1
		.amdhsa_ieee_mode 1
		.amdhsa_fp16_overflow 0
		.amdhsa_tg_split 0
		.amdhsa_exception_fp_ieee_invalid_op 0
		.amdhsa_exception_fp_denorm_src 0
		.amdhsa_exception_fp_ieee_div_zero 0
		.amdhsa_exception_fp_ieee_overflow 0
		.amdhsa_exception_fp_ieee_underflow 0
		.amdhsa_exception_fp_ieee_inexact 0
		.amdhsa_exception_int_div_zero 0
	.end_amdhsa_kernel
	.section	.text._ZN2at6native6sbtopk10gatherTopKIdjLi1ELb0EEEvNS_4cuda6detail10TensorInfoIKT_T0_EES8_S8_bS8_S8_NS5_IS6_S8_EES8_NS5_IlS8_EES8_PS6_,"axG",@progbits,_ZN2at6native6sbtopk10gatherTopKIdjLi1ELb0EEEvNS_4cuda6detail10TensorInfoIKT_T0_EES8_S8_bS8_S8_NS5_IS6_S8_EES8_NS5_IlS8_EES8_PS6_,comdat
.Lfunc_end69:
	.size	_ZN2at6native6sbtopk10gatherTopKIdjLi1ELb0EEEvNS_4cuda6detail10TensorInfoIKT_T0_EES8_S8_bS8_S8_NS5_IS6_S8_EES8_NS5_IlS8_EES8_PS6_, .Lfunc_end69-_ZN2at6native6sbtopk10gatherTopKIdjLi1ELb0EEEvNS_4cuda6detail10TensorInfoIKT_T0_EES8_S8_bS8_S8_NS5_IS6_S8_EES8_NS5_IlS8_EES8_PS6_
                                        ; -- End function
	.section	.AMDGPU.csdata,"",@progbits
; Kernel info:
; codeLenInByte = 17104
; NumSgprs: 100
; NumVgprs: 59
; NumAgprs: 0
; TotalNumVgprs: 59
; ScratchSize: 0
; MemoryBound: 0
; FloatMode: 240
; IeeeMode: 1
; LDSByteSize: 4112 bytes/workgroup (compile time only)
; SGPRBlocks: 12
; VGPRBlocks: 7
; NumSGPRsForWavesPerEU: 100
; NumVGPRsForWavesPerEU: 59
; AccumOffset: 60
; Occupancy: 8
; WaveLimiterHint : 1
; COMPUTE_PGM_RSRC2:SCRATCH_EN: 0
; COMPUTE_PGM_RSRC2:USER_SGPR: 6
; COMPUTE_PGM_RSRC2:TRAP_HANDLER: 0
; COMPUTE_PGM_RSRC2:TGID_X_EN: 1
; COMPUTE_PGM_RSRC2:TGID_Y_EN: 1
; COMPUTE_PGM_RSRC2:TGID_Z_EN: 1
; COMPUTE_PGM_RSRC2:TIDIG_COMP_CNT: 0
; COMPUTE_PGM_RSRC3_GFX90A:ACCUM_OFFSET: 14
; COMPUTE_PGM_RSRC3_GFX90A:TG_SPLIT: 0
	.section	.text._ZN2at6native6mbtopk23computeBlockDigitCountsIdjmLi2EEEvNS_4cuda6detail10TensorInfoIKT_T0_EEjPjjS8_iijT1_PSB_Ps,"axG",@progbits,_ZN2at6native6mbtopk23computeBlockDigitCountsIdjmLi2EEEvNS_4cuda6detail10TensorInfoIKT_T0_EEjPjjS8_iijT1_PSB_Ps,comdat
	.protected	_ZN2at6native6mbtopk23computeBlockDigitCountsIdjmLi2EEEvNS_4cuda6detail10TensorInfoIKT_T0_EEjPjjS8_iijT1_PSB_Ps ; -- Begin function _ZN2at6native6mbtopk23computeBlockDigitCountsIdjmLi2EEEvNS_4cuda6detail10TensorInfoIKT_T0_EEjPjjS8_iijT1_PSB_Ps
	.globl	_ZN2at6native6mbtopk23computeBlockDigitCountsIdjmLi2EEEvNS_4cuda6detail10TensorInfoIKT_T0_EEjPjjS8_iijT1_PSB_Ps
	.p2align	8
	.type	_ZN2at6native6mbtopk23computeBlockDigitCountsIdjmLi2EEEvNS_4cuda6detail10TensorInfoIKT_T0_EEjPjjS8_iijT1_PSB_Ps,@function
_ZN2at6native6mbtopk23computeBlockDigitCountsIdjmLi2EEEvNS_4cuda6detail10TensorInfoIKT_T0_EEjPjjS8_iijT1_PSB_Ps: ; @_ZN2at6native6mbtopk23computeBlockDigitCountsIdjmLi2EEEvNS_4cuda6detail10TensorInfoIKT_T0_EEjPjjS8_iijT1_PSB_Ps
; %bb.0:
	s_load_dword s17, s[4:5], 0xf8
	s_load_dwordx4 s[12:15], s[4:5], 0xe8
	s_load_dwordx2 s[0:1], s[4:5], 0x118
	s_waitcnt lgkmcnt(0)
	v_cvt_f32_u32_e32 v1, s17
	s_sub_i32 s2, 0, s17
	s_mul_i32 s1, s1, s8
	s_add_i32 s1, s1, s7
	v_rcp_iflag_f32_e32 v1, v1
	s_mul_i32 s16, s1, s0
	s_add_i32 s16, s16, s6
	v_mul_f32_e32 v1, 0x4f7ffffe, v1
	v_cvt_u32_f32_e32 v1, v1
	v_readfirstlane_b32 s0, v1
	s_mul_i32 s2, s2, s0
	s_mul_hi_u32 s1, s0, s2
	s_add_i32 s0, s0, s1
	s_mul_hi_u32 s0, s16, s0
	s_mul_i32 s1, s0, s17
	s_sub_i32 s1, s16, s1
	s_add_i32 s2, s0, 1
	s_sub_i32 s3, s1, s17
	s_cmp_ge_u32 s1, s17
	s_cselect_b32 s0, s2, s0
	s_cselect_b32 s1, s3, s1
	s_add_i32 s2, s0, 1
	s_cmp_ge_u32 s1, s17
	s_cselect_b32 s0, s2, s0
	s_cmp_ge_u32 s0, s12
	s_mov_b32 s1, 0
	s_cbranch_scc1 .LBB70_23
; %bb.1:
	s_load_dword s18, s[4:5], 0xc
	s_load_dwordx4 s[8:11], s[4:5], 0x100
	s_load_dwordx2 s[2:3], s[4:5], 0x110
	s_lshl_b64 s[6:7], s[0:1], 3
	s_movk_i32 s1, 0x100
	s_waitcnt lgkmcnt(0)
	v_cvt_f32_u32_e32 v1, s18
	s_add_u32 s10, s10, s6
	v_cmp_gt_u32_e32 vcc, s1, v0
	s_addc_u32 s11, s11, s7
	v_rcp_iflag_f32_e32 v1, v1
	v_mul_f32_e32 v1, 0x4f7ffffe, v1
	v_cvt_u32_f32_e32 v1, v1
	v_readfirstlane_b32 s20, v1
	v_lshlrev_b32_e32 v1, 2, v0
	s_and_saveexec_b64 s[6:7], vcc
	s_cbranch_execz .LBB70_3
; %bb.2:
	v_mov_b32_e32 v2, 0
	ds_write_b32 v1, v2
.LBB70_3:
	s_or_b64 exec, exec, s[6:7]
	s_load_dword s12, s[4:5], 0xd8
	s_mul_i32 s1, s0, s17
	s_sub_i32 s1, s16, s1
	s_add_i32 s6, s1, 1
	s_mul_i32 s1, s15, s1
	s_lshl_b32 s19, s1, 8
	s_waitcnt lgkmcnt(0)
	s_sub_i32 s1, s12, s19
	s_add_u32 s1, s1, 0xff
	s_addc_u32 s7, 0, 0
	v_mov_b32_e32 v2, s1
	v_alignbit_b32 v2, s7, v2, 8
	s_cmp_lt_u32 s6, s17
	v_readfirstlane_b32 s1, v2
	s_cselect_b32 s15, s15, s1
	s_cmp_lt_i32 s15, 1
	s_mov_b32 s1, 0
	s_barrier
	s_cbranch_scc1 .LBB70_19
; %bb.4:
	s_sub_i32 s6, 0, s18
	s_mul_i32 s6, s6, s20
	s_mul_hi_u32 s6, s20, s6
	s_add_i32 s17, s20, s6
	s_load_dwordx2 s[20:21], s[4:5], 0x6c
	s_load_dwordx2 s[22:23], s[4:5], 0x0
	;; [unrolled: 1-line block ×3, first 2 shown]
	s_mul_hi_u32 s4, s0, s17
	s_mul_i32 s5, s4, s18
	s_sub_i32 s5, s0, s5
	s_add_i32 s10, s4, 1
	s_sub_i32 s11, s5, s18
	s_cmp_ge_u32 s5, s18
	s_cselect_b32 s4, s10, s4
	s_cselect_b32 s5, s11, s5
	s_add_i32 s10, s4, 1
	s_cmp_ge_u32 s5, s18
	s_cselect_b32 s4, s10, s4
	s_mul_i32 s5, s4, s18
	s_sub_i32 s0, s0, s5
	s_waitcnt lgkmcnt(0)
	s_mul_i32 s0, s0, s21
	s_mul_i32 s4, s4, s20
	s_add_i32 s0, s4, s0
	s_lshl_b64 s[4:5], s[0:1], 3
	s_add_u32 s11, s22, s4
	s_addc_u32 s17, s23, s5
	s_and_b32 s10, s14, 0xff
	s_cmp_eq_u32 s15, 1
	v_add_u32_e32 v6, s19, v0
	s_cbranch_scc1 .LBB70_14
; %bb.5:
	v_add_u32_e32 v2, 0x100, v6
	s_and_b32 s14, s15, 0x7ffffffe
	v_mul_lo_u32 v7, s13, v2
	s_lshl_b32 s18, s13, 9
	v_mul_lo_u32 v8, s13, v6
	s_mov_b32 s19, 0
	v_mov_b32_e32 v3, 0
	v_mov_b32_e32 v9, 1
	;; [unrolled: 1-line block ×4, first 2 shown]
	s_mov_b32 s20, 0
	s_branch .LBB70_7
.LBB70_6:                               ;   in Loop: Header=BB70_7 Depth=1
	s_or_b64 exec, exec, s[4:5]
	s_add_i32 s20, s20, 2
	s_add_i32 s19, s19, s18
	s_cmp_eq_u32 s14, s20
	v_add_u32_e32 v11, 0x200, v11
	s_cbranch_scc1 .LBB70_13
.LBB70_7:                               ; =>This Inner Loop Header: Depth=1
	v_cmp_gt_u32_e64 s[0:1], s12, v11
	s_and_saveexec_b64 s[4:5], s[0:1]
	s_cbranch_execz .LBB70_10
; %bb.8:                                ;   in Loop: Header=BB70_7 Depth=1
	v_add_u32_e32 v2, s19, v8
	v_lshlrev_b64 v[4:5], 3, v[2:3]
	v_mov_b32_e32 v2, s17
	v_add_co_u32_e64 v4, s[0:1], s11, v4
	v_addc_co_u32_e64 v5, s[0:1], v2, v5, s[0:1]
	global_load_dwordx2 v[4:5], v[4:5], off
	s_waitcnt vmcnt(0)
	v_ashrrev_i32_e32 v2, 31, v5
	v_or_b32_e32 v12, 0x80000000, v2
	v_xor_b32_e32 v2, v2, v4
	v_xor_b32_e32 v12, v12, v5
	v_cmp_o_f64_e64 s[0:1], v[4:5], v[4:5]
	v_cndmask_b32_e64 v5, -1, v12, s[0:1]
	v_cndmask_b32_e64 v4, -1, v2, s[0:1]
	v_xor_b32_e32 v2, s7, v5
	v_xor_b32_e32 v12, s6, v4
	v_and_b32_e32 v13, s9, v2
	v_and_b32_e32 v12, s8, v12
	v_cmp_eq_u64_e64 s[0:1], 0, v[12:13]
	s_and_b64 exec, exec, s[0:1]
	s_cbranch_execz .LBB70_10
; %bb.9:                                ;   in Loop: Header=BB70_7 Depth=1
	v_lshrrev_b64 v[4:5], s10, v[4:5]
	v_lshlrev_b32_sdwa v2, v10, v4 dst_sel:DWORD dst_unused:UNUSED_PAD src0_sel:DWORD src1_sel:BYTE_0
	ds_add_u32 v2, v9
.LBB70_10:                              ;   in Loop: Header=BB70_7 Depth=1
	s_or_b64 exec, exec, s[4:5]
	v_add_u32_e32 v2, 0x100, v11
	v_cmp_gt_u32_e64 s[0:1], s12, v2
	s_and_saveexec_b64 s[4:5], s[0:1]
	s_cbranch_execz .LBB70_6
; %bb.11:                               ;   in Loop: Header=BB70_7 Depth=1
	v_add_u32_e32 v2, s19, v7
	v_lshlrev_b64 v[4:5], 3, v[2:3]
	v_mov_b32_e32 v2, s17
	v_add_co_u32_e64 v4, s[0:1], s11, v4
	v_addc_co_u32_e64 v5, s[0:1], v2, v5, s[0:1]
	global_load_dwordx2 v[4:5], v[4:5], off
	s_waitcnt vmcnt(0)
	v_ashrrev_i32_e32 v2, 31, v5
	v_or_b32_e32 v12, 0x80000000, v2
	v_xor_b32_e32 v2, v2, v4
	v_xor_b32_e32 v12, v12, v5
	v_cmp_o_f64_e64 s[0:1], v[4:5], v[4:5]
	v_cndmask_b32_e64 v5, -1, v12, s[0:1]
	v_cndmask_b32_e64 v4, -1, v2, s[0:1]
	v_xor_b32_e32 v2, s7, v5
	v_xor_b32_e32 v12, s6, v4
	v_and_b32_e32 v13, s9, v2
	v_and_b32_e32 v12, s8, v12
	v_cmp_eq_u64_e64 s[0:1], 0, v[12:13]
	s_and_b64 exec, exec, s[0:1]
	s_cbranch_execz .LBB70_6
; %bb.12:                               ;   in Loop: Header=BB70_7 Depth=1
	v_lshrrev_b64 v[4:5], s10, v[4:5]
	v_lshlrev_b32_sdwa v2, v10, v4 dst_sel:DWORD dst_unused:UNUSED_PAD src0_sel:DWORD src1_sel:BYTE_0
	ds_add_u32 v2, v9
	s_branch .LBB70_6
.LBB70_13:
	s_lshl_b32 s1, s14, 8
.LBB70_14:
	s_bitcmp0_b32 s15, 0
	s_cbranch_scc1 .LBB70_19
; %bb.15:
	v_add_u32_e32 v2, s1, v6
	v_cmp_gt_u32_e64 s[0:1], s12, v2
	s_and_saveexec_b64 s[4:5], s[0:1]
	s_cbranch_execz .LBB70_18
; %bb.16:
	v_mul_lo_u32 v2, v2, s13
	v_mov_b32_e32 v3, 0
	v_lshlrev_b64 v[2:3], 3, v[2:3]
	v_mov_b32_e32 v4, s17
	v_add_co_u32_e64 v2, s[0:1], s11, v2
	v_addc_co_u32_e64 v3, s[0:1], v4, v3, s[0:1]
	global_load_dwordx2 v[2:3], v[2:3], off
	s_waitcnt vmcnt(0)
	v_ashrrev_i32_e32 v4, 31, v3
	v_or_b32_e32 v5, 0x80000000, v4
	v_xor_b32_e32 v4, v4, v2
	v_xor_b32_e32 v5, v5, v3
	v_cmp_o_f64_e64 s[0:1], v[2:3], v[2:3]
	v_cndmask_b32_e64 v3, -1, v5, s[0:1]
	v_cndmask_b32_e64 v2, -1, v4, s[0:1]
	v_xor_b32_e32 v4, s7, v3
	v_xor_b32_e32 v6, s6, v2
	v_and_b32_e32 v5, s9, v4
	v_and_b32_e32 v4, s8, v6
	v_cmp_eq_u64_e64 s[0:1], 0, v[4:5]
	s_and_b64 exec, exec, s[0:1]
	s_cbranch_execz .LBB70_18
; %bb.17:
	v_lshrrev_b64 v[2:3], s10, v[2:3]
	v_mov_b32_e32 v3, 2
	v_lshlrev_b32_sdwa v2, v3, v2 dst_sel:DWORD dst_unused:UNUSED_PAD src0_sel:DWORD src1_sel:BYTE_0
	v_mov_b32_e32 v3, 1
	ds_add_u32 v2, v3
.LBB70_18:
	s_or_b64 exec, exec, s[4:5]
.LBB70_19:
	v_mov_b32_e32 v2, 0
	s_waitcnt lgkmcnt(0)
	s_barrier
	s_and_saveexec_b64 s[0:1], vcc
	s_cbranch_execz .LBB70_21
; %bb.20:
	ds_read_b32 v2, v1
.LBB70_21:
	s_or_b64 exec, exec, s[0:1]
	s_and_saveexec_b64 s[0:1], vcc
	s_cbranch_execz .LBB70_23
; %bb.22:
	v_lshl_or_b32 v0, s16, 8, v0
	v_mov_b32_e32 v1, 0
	v_lshlrev_b64 v[0:1], 1, v[0:1]
	v_mov_b32_e32 v3, s3
	v_add_co_u32_e32 v0, vcc, s2, v0
	v_addc_co_u32_e32 v1, vcc, v3, v1, vcc
	s_waitcnt lgkmcnt(0)
	global_store_short v[0:1], v2, off
.LBB70_23:
	s_endpgm
	.section	.rodata,"a",@progbits
	.p2align	6, 0x0
	.amdhsa_kernel _ZN2at6native6mbtopk23computeBlockDigitCountsIdjmLi2EEEvNS_4cuda6detail10TensorInfoIKT_T0_EEjPjjS8_iijT1_PSB_Ps
		.amdhsa_group_segment_fixed_size 1024
		.amdhsa_private_segment_fixed_size 0
		.amdhsa_kernarg_size 536
		.amdhsa_user_sgpr_count 6
		.amdhsa_user_sgpr_private_segment_buffer 1
		.amdhsa_user_sgpr_dispatch_ptr 0
		.amdhsa_user_sgpr_queue_ptr 0
		.amdhsa_user_sgpr_kernarg_segment_ptr 1
		.amdhsa_user_sgpr_dispatch_id 0
		.amdhsa_user_sgpr_flat_scratch_init 0
		.amdhsa_user_sgpr_kernarg_preload_length 0
		.amdhsa_user_sgpr_kernarg_preload_offset 0
		.amdhsa_user_sgpr_private_segment_size 0
		.amdhsa_uses_dynamic_stack 0
		.amdhsa_system_sgpr_private_segment_wavefront_offset 0
		.amdhsa_system_sgpr_workgroup_id_x 1
		.amdhsa_system_sgpr_workgroup_id_y 1
		.amdhsa_system_sgpr_workgroup_id_z 1
		.amdhsa_system_sgpr_workgroup_info 0
		.amdhsa_system_vgpr_workitem_id 0
		.amdhsa_next_free_vgpr 14
		.amdhsa_next_free_sgpr 24
		.amdhsa_accum_offset 16
		.amdhsa_reserve_vcc 1
		.amdhsa_reserve_flat_scratch 0
		.amdhsa_float_round_mode_32 0
		.amdhsa_float_round_mode_16_64 0
		.amdhsa_float_denorm_mode_32 3
		.amdhsa_float_denorm_mode_16_64 3
		.amdhsa_dx10_clamp 1
		.amdhsa_ieee_mode 1
		.amdhsa_fp16_overflow 0
		.amdhsa_tg_split 0
		.amdhsa_exception_fp_ieee_invalid_op 0
		.amdhsa_exception_fp_denorm_src 0
		.amdhsa_exception_fp_ieee_div_zero 0
		.amdhsa_exception_fp_ieee_overflow 0
		.amdhsa_exception_fp_ieee_underflow 0
		.amdhsa_exception_fp_ieee_inexact 0
		.amdhsa_exception_int_div_zero 0
	.end_amdhsa_kernel
	.section	.text._ZN2at6native6mbtopk23computeBlockDigitCountsIdjmLi2EEEvNS_4cuda6detail10TensorInfoIKT_T0_EEjPjjS8_iijT1_PSB_Ps,"axG",@progbits,_ZN2at6native6mbtopk23computeBlockDigitCountsIdjmLi2EEEvNS_4cuda6detail10TensorInfoIKT_T0_EEjPjjS8_iijT1_PSB_Ps,comdat
.Lfunc_end70:
	.size	_ZN2at6native6mbtopk23computeBlockDigitCountsIdjmLi2EEEvNS_4cuda6detail10TensorInfoIKT_T0_EEjPjjS8_iijT1_PSB_Ps, .Lfunc_end70-_ZN2at6native6mbtopk23computeBlockDigitCountsIdjmLi2EEEvNS_4cuda6detail10TensorInfoIKT_T0_EEjPjjS8_iijT1_PSB_Ps
                                        ; -- End function
	.section	.AMDGPU.csdata,"",@progbits
; Kernel info:
; codeLenInByte = 1180
; NumSgprs: 28
; NumVgprs: 14
; NumAgprs: 0
; TotalNumVgprs: 14
; ScratchSize: 0
; MemoryBound: 0
; FloatMode: 240
; IeeeMode: 1
; LDSByteSize: 1024 bytes/workgroup (compile time only)
; SGPRBlocks: 3
; VGPRBlocks: 1
; NumSGPRsForWavesPerEU: 28
; NumVGPRsForWavesPerEU: 14
; AccumOffset: 16
; Occupancy: 8
; WaveLimiterHint : 1
; COMPUTE_PGM_RSRC2:SCRATCH_EN: 0
; COMPUTE_PGM_RSRC2:USER_SGPR: 6
; COMPUTE_PGM_RSRC2:TRAP_HANDLER: 0
; COMPUTE_PGM_RSRC2:TGID_X_EN: 1
; COMPUTE_PGM_RSRC2:TGID_Y_EN: 1
; COMPUTE_PGM_RSRC2:TGID_Z_EN: 1
; COMPUTE_PGM_RSRC2:TIDIG_COMP_CNT: 0
; COMPUTE_PGM_RSRC3_GFX90A:ACCUM_OFFSET: 3
; COMPUTE_PGM_RSRC3_GFX90A:TG_SPLIT: 0
	.section	.text._ZN2at6native6mbtopk10gatherTopKIdjLi2EEEvNS_4cuda6detail10TensorInfoIKT_T0_EES8_S8_bjS8_NS5_IS6_S8_EES8_NS5_IlS8_EES8_jjPS6_PjSD_j,"axG",@progbits,_ZN2at6native6mbtopk10gatherTopKIdjLi2EEEvNS_4cuda6detail10TensorInfoIKT_T0_EES8_S8_bjS8_NS5_IS6_S8_EES8_NS5_IlS8_EES8_jjPS6_PjSD_j,comdat
	.protected	_ZN2at6native6mbtopk10gatherTopKIdjLi2EEEvNS_4cuda6detail10TensorInfoIKT_T0_EES8_S8_bjS8_NS5_IS6_S8_EES8_NS5_IlS8_EES8_jjPS6_PjSD_j ; -- Begin function _ZN2at6native6mbtopk10gatherTopKIdjLi2EEEvNS_4cuda6detail10TensorInfoIKT_T0_EES8_S8_bjS8_NS5_IS6_S8_EES8_NS5_IlS8_EES8_jjPS6_PjSD_j
	.globl	_ZN2at6native6mbtopk10gatherTopKIdjLi2EEEvNS_4cuda6detail10TensorInfoIKT_T0_EES8_S8_bjS8_NS5_IS6_S8_EES8_NS5_IlS8_EES8_jjPS6_PjSD_j
	.p2align	8
	.type	_ZN2at6native6mbtopk10gatherTopKIdjLi2EEEvNS_4cuda6detail10TensorInfoIKT_T0_EES8_S8_bjS8_NS5_IS6_S8_EES8_NS5_IlS8_EES8_jjPS6_PjSD_j,@function
_ZN2at6native6mbtopk10gatherTopKIdjLi2EEEvNS_4cuda6detail10TensorInfoIKT_T0_EES8_S8_bjS8_NS5_IS6_S8_EES8_NS5_IlS8_EES8_jjPS6_PjSD_j: ; @_ZN2at6native6mbtopk10gatherTopKIdjLi2EEEvNS_4cuda6detail10TensorInfoIKT_T0_EES8_S8_bjS8_NS5_IS6_S8_EES8_NS5_IlS8_EES8_jjPS6_PjSD_j
; %bb.0:
	s_load_dwordx2 s[0:1], s[4:5], 0x2d8
	s_load_dword s2, s[4:5], 0x2d0
	s_waitcnt lgkmcnt(0)
	s_mul_i32 s1, s1, s8
	s_add_i32 s1, s1, s7
	s_mul_i32 s0, s1, s0
	s_add_i32 s0, s0, s6
	s_cmp_ge_u32 s0, s2
	s_cbranch_scc1 .LBB71_40
; %bb.1:
	s_load_dwordx8 s[8:15], s[4:5], 0x2a8
	s_load_dwordx2 s[20:21], s[4:5], 0x23c
	s_load_dword s33, s[4:5], 0x1dc
	s_load_dwordx2 s[6:7], s[4:5], 0x1d0
	s_load_dwordx2 s[28:29], s[4:5], 0x15c
	s_load_dword s42, s[4:5], 0xfc
	s_load_dwordx2 s[24:25], s[4:5], 0x0
	s_load_dwordx2 s[22:23], s[4:5], 0xf0
	;; [unrolled: 1-line block ×3, first 2 shown]
	s_load_dword s43, s[4:5], 0xc
	s_mov_b32 s27, 0
	s_waitcnt lgkmcnt(0)
	v_cvt_f32_u32_e32 v1, s10
	s_sub_i32 s1, 0, s10
	v_cvt_f32_u32_e32 v2, s43
	v_rcp_iflag_f32_e32 v1, v1
	v_mul_f32_e32 v1, 0x4f7ffffe, v1
	v_cvt_u32_f32_e32 v1, v1
	v_readfirstlane_b32 s2, v1
	s_mul_i32 s1, s1, s2
	s_mul_hi_u32 s1, s2, s1
	s_add_i32 s2, s2, s1
	v_rcp_iflag_f32_e32 v1, v2
	s_mul_hi_u32 s1, s0, s2
	s_mul_i32 s2, s1, s10
	s_sub_i32 s2, s0, s2
	s_add_i32 s3, s1, 1
	s_sub_i32 s11, s2, s10
	v_mul_f32_e32 v1, 0x4f7ffffe, v1
	s_cmp_ge_u32 s2, s10
	v_cvt_u32_f32_e32 v1, v1
	v_cvt_f32_u32_e32 v2, s42
	s_cselect_b32 s1, s3, s1
	s_cselect_b32 s2, s11, s2
	s_add_i32 s3, s1, 1
	s_cmp_ge_u32 s2, s10
	s_cselect_b32 s26, s3, s1
	v_readfirstlane_b32 s1, v1
	v_rcp_iflag_f32_e32 v1, v2
	v_cvt_f32_u32_e32 v2, s33
	s_mul_i32 s16, s26, s10
	s_sub_i32 s11, s0, s16
	v_mul_f32_e32 v1, 0x4f7ffffe, v1
	s_sub_i32 s0, 0, s43
	v_cvt_u32_f32_e32 v1, v1
	v_rcp_iflag_f32_e32 v2, v2
	s_mul_i32 s0, s0, s1
	s_mul_hi_u32 s0, s1, s0
	s_add_i32 s1, s1, s0
	s_mul_hi_u32 s45, s26, s1
	v_readfirstlane_b32 s1, v1
	v_mul_f32_e32 v1, 0x4f7ffffe, v2
	v_cvt_u32_f32_e32 v1, v1
	s_sub_i32 s0, 0, s42
	s_mul_i32 s0, s0, s1
	s_mul_hi_u32 s0, s1, s0
	s_add_i32 s2, s1, s0
	s_sub_i32 s0, 0, s33
	v_readfirstlane_b32 s1, v1
	s_mul_i32 s0, s0, s1
	s_mul_hi_u32 s0, s1, s0
	s_add_i32 s3, s1, s0
	s_lshl_b64 s[0:1], s[26:27], 3
	s_add_u32 s0, s12, s0
	s_addc_u32 s1, s13, s1
	s_load_dwordx2 s[34:35], s[0:1], 0x0
	s_mul_hi_u32 s46, s26, s2
	s_mul_hi_u32 s44, s26, s3
	v_cmp_ne_u32_e64 s[0:1], 0, v0
	v_cmp_eq_u32_e64 s[2:3], 0, v0
	s_and_saveexec_b64 s[12:13], s[2:3]
	s_cbranch_execz .LBB71_17
; %bb.2:
	s_load_dwordx2 s[36:37], s[4:5], 0x2c8
	s_mov_b32 s17, s27
	s_lshl_b64 s[38:39], s[16:17], 2
	s_add_u32 s16, s14, s38
	s_addc_u32 s17, s15, s39
	s_waitcnt lgkmcnt(0)
	s_add_u32 s18, s36, s38
	s_addc_u32 s19, s37, s39
	s_cmp_lt_u32 s10, 4
	s_cbranch_scc1 .LBB71_14
; %bb.3:
	s_mov_b32 s47, s27
	s_mov_b32 s48, s27
	;; [unrolled: 1-line block ×3, first 2 shown]
.LBB71_4:                               ; =>This Inner Loop Header: Depth=1
	s_add_u32 s16, s14, s38
	s_addc_u32 s17, s15, s39
	s_load_dwordx4 s[16:19], s[16:17], 0x0
	s_add_u32 s40, s36, s38
	s_addc_u32 s41, s37, s39
	s_cmp_ge_u32 s49, s11
	s_cbranch_scc0 .LBB71_11
; %bb.5:                                ;   in Loop: Header=BB71_4 Depth=1
	s_add_i32 s50, s49, 1
	s_cmp_ge_u32 s50, s11
	s_cbranch_scc0 .LBB71_12
.LBB71_6:                               ;   in Loop: Header=BB71_4 Depth=1
	s_add_i32 s50, s50, 1
	s_cmp_ge_u32 s50, s11
	s_cbranch_scc0 .LBB71_13
.LBB71_7:                               ;   in Loop: Header=BB71_4 Depth=1
	s_add_i32 s50, s50, 1
	s_cmp_ge_u32 s50, s11
	s_cbranch_scc1 .LBB71_9
.LBB71_8:                               ;   in Loop: Header=BB71_4 Depth=1
	s_load_dword s40, s[40:41], 0xc
	s_waitcnt lgkmcnt(0)
	s_add_i32 s27, s27, s19
	s_add_i32 s47, s40, s47
.LBB71_9:                               ;   in Loop: Header=BB71_4 Depth=1
	s_waitcnt lgkmcnt(0)
	s_add_i32 s16, s16, s48
	s_add_i32 s16, s16, s17
	;; [unrolled: 1-line block ×4, first 2 shown]
	s_add_u32 s14, s14, 16
	s_addc_u32 s15, s15, 0
	s_add_u32 s36, s36, 16
	s_addc_u32 s37, s37, 0
	s_add_i32 s41, s50, 4
	s_add_u32 s18, s36, s38
	s_addc_u32 s19, s37, s39
	s_add_u32 s16, s14, s38
	s_addc_u32 s17, s15, s39
	s_add_i32 s40, s50, 1
	s_cmp_ge_u32 s41, s10
	s_cbranch_scc1 .LBB71_15
; %bb.10:                               ;   in Loop: Header=BB71_4 Depth=1
	s_mov_b32 s49, s40
	s_branch .LBB71_4
.LBB71_11:                              ;   in Loop: Header=BB71_4 Depth=1
	s_load_dword s50, s[40:41], 0x0
	s_waitcnt lgkmcnt(0)
	s_add_i32 s27, s16, s27
	s_add_i32 s47, s50, s47
	;; [unrolled: 1-line block ×3, first 2 shown]
	s_cmp_ge_u32 s50, s11
	s_cbranch_scc1 .LBB71_6
.LBB71_12:                              ;   in Loop: Header=BB71_4 Depth=1
	s_load_dword s51, s[40:41], 0x4
	s_waitcnt lgkmcnt(0)
	s_add_i32 s27, s27, s17
	s_add_i32 s47, s51, s47
	;; [unrolled: 1-line block ×3, first 2 shown]
	s_cmp_ge_u32 s50, s11
	s_cbranch_scc1 .LBB71_7
.LBB71_13:                              ;   in Loop: Header=BB71_4 Depth=1
	s_load_dword s51, s[40:41], 0x8
	s_waitcnt lgkmcnt(0)
	s_add_i32 s27, s27, s18
	s_add_i32 s47, s51, s47
	s_add_i32 s50, s50, 1
	s_cmp_ge_u32 s50, s11
	s_cbranch_scc0 .LBB71_8
	s_branch .LBB71_9
.LBB71_14:
	s_mov_b32 s47, 0
	s_mov_b32 s48, 0
	;; [unrolled: 1-line block ×3, first 2 shown]
	s_cmp_ge_u32 s14, s10
	s_cbranch_scc0 .LBB71_38
	s_branch .LBB71_16
.LBB71_15:
	s_add_i32 s14, s49, 4
	s_cmp_ge_u32 s14, s10
	s_cbranch_scc0 .LBB71_38
.LBB71_16:
	v_mov_b32_e32 v2, s47
	v_mov_b32_e32 v3, s48
	;; [unrolled: 1-line block ×4, first 2 shown]
	ds_write_b96 v1, v[2:4] offset:1056
.LBB71_17:
	s_or_b64 exec, exec, s[12:13]
	s_load_dwordx4 s[12:15], s[4:5], 0xd8
	s_waitcnt lgkmcnt(0)
	s_mul_i32 s15, s9, s11
	s_lshl_b32 s15, s15, 8
	s_add_i32 s16, s11, 1
	s_mov_b32 s11, 0
	s_sub_i32 s17, s12, s15
	s_add_u32 s17, s17, 0xff
	s_addc_u32 s18, 0, 0
	v_mov_b32_e32 v1, s17
	v_alignbit_b32 v1, s18, v1, 8
	s_cmp_lt_u32 s16, s10
	v_readfirstlane_b32 s10, v1
	s_cselect_b32 s9, s9, s10
	s_cmp_eq_u32 s9, 0
	s_barrier
	s_cbranch_scc1 .LBB71_40
; %bb.18:
	s_mul_i32 s10, s45, s43
	s_sub_i32 s10, s26, s10
	s_add_i32 s16, s45, 1
	s_sub_i32 s17, s10, s43
	s_cmp_ge_u32 s10, s43
	s_cselect_b32 s16, s16, s45
	s_cselect_b32 s10, s17, s10
	s_add_i32 s17, s16, 1
	s_cmp_ge_u32 s10, s43
	s_cselect_b32 s10, s17, s16
	s_mul_i32 s16, s10, s43
	s_sub_i32 s16, s26, s16
	s_mul_i32 s16, s16, s31
	s_mul_i32 s10, s10, s30
	s_add_i32 s10, s10, s16
	s_mul_i32 s16, s46, s42
	s_sub_i32 s16, s26, s16
	s_add_i32 s17, s46, 1
	s_sub_i32 s18, s16, s42
	s_cmp_ge_u32 s16, s42
	s_cselect_b32 s17, s17, s46
	s_cselect_b32 s16, s18, s16
	s_add_i32 s18, s17, 1
	s_cmp_ge_u32 s16, s42
	s_cselect_b32 s16, s18, s17
	s_mul_i32 s17, s16, s42
	s_sub_i32 s17, s26, s17
	s_mul_i32 s17, s17, s29
	s_mul_i32 s16, s16, s28
	s_add_i32 s18, s16, s17
	;; [unrolled: 15-line block ×3, first 2 shown]
	s_lshl_b64 s[16:17], s[10:11], 3
	s_add_u32 s16, s24, s16
	s_mov_b32 s19, s11
	s_addc_u32 s17, s25, s17
	s_lshl_b64 s[18:19], s[18:19], 3
	v_mov_b32_e32 v1, 0
	s_add_u32 s18, s22, s18
	s_mov_b32 s21, s11
	ds_read_b96 v[2:4], v1 offset:1056
	s_addc_u32 s19, s23, s19
	s_lshl_b64 s[10:11], s[20:21], 3
	s_add_u32 s20, s6, s10
	s_addc_u32 s21, s7, s11
	s_ashr_i32 s6, s35, 31
	s_or_b32 s7, s6, 0x80000000
	v_cmp_o_f64_e64 s[10:11], s[34:35], s[34:35]
	s_xor_b64 s[6:7], s[6:7], s[34:35]
	s_waitcnt lgkmcnt(0)
	v_add_u32_e32 v5, v2, v3
	v_lshrrev_b32_e32 v2, 5, v0
	s_and_b64 s[10:11], s[10:11], exec
	v_add_lshl_u32 v8, v2, v0, 2
	v_lshlrev_b32_e32 v2, 2, v0
	v_lshrrev_b32_e32 v3, 3, v0
	s_cselect_b32 s11, s7, -1
	s_cselect_b32 s10, s6, -1
	s_bitcmp1_b32 s14, 0
	s_load_dword s14, s[4:5], 0xe8
	s_load_dword s22, s[4:5], 0x1c8
	v_add_lshl_u32 v9, v3, v2, 2
	v_add_u32_e32 v2, -1, v0
	v_lshrrev_b32_e32 v3, 5, v2
	v_add_lshl_u32 v10, v3, v2, 2
	v_mbcnt_lo_u32_b32 v3, -1, 0
	v_add_u32_e32 v2, s15, v0
	v_mbcnt_hi_u32_b32 v11, -1, v3
	s_cselect_b64 s[6:7], -1, 0
	v_cmp_gt_u32_e64 s[4:5], 64, v0
	s_waitcnt lgkmcnt(0)
	v_mul_lo_u32 v0, s14, v2
	s_lshl_b32 s23, s14, 8
	v_and_b32_e32 v12, 15, v11
	v_bfe_i32 v13, v11, 4, 1
	v_add_u32_e32 v14, -1, v11
	v_and_b32_e32 v15, 64, v11
                                        ; implicit-def: $vgpr6_vgpr7
	s_branch .LBB71_21
.LBB71_19:                              ;   in Loop: Header=BB71_21 Depth=1
	s_or_b64 exec, exec, s[14:15]
	v_add_u32_e32 v5, v18, v5
.LBB71_20:                              ;   in Loop: Header=BB71_21 Depth=1
	s_add_i32 s9, s9, -1
	v_add_u32_e32 v4, v17, v4
	v_add_u32_e32 v0, s23, v0
	s_cmp_lg_u32 s9, 0
	v_add_u32_e32 v2, 0x100, v2
	s_cbranch_scc0 .LBB71_40
.LBB71_21:                              ; =>This Inner Loop Header: Depth=1
	v_cmp_gt_u32_e32 vcc, s12, v2
	v_mov_b32_e32 v3, 0
	v_mov_b32_e32 v16, 0
	s_and_saveexec_b64 s[14:15], vcc
	s_cbranch_execz .LBB71_23
; %bb.22:                               ;   in Loop: Header=BB71_21 Depth=1
	v_lshlrev_b64 v[6:7], 3, v[0:1]
	v_mov_b32_e32 v3, s17
	v_add_co_u32_e32 v6, vcc, s16, v6
	v_addc_co_u32_e32 v7, vcc, v3, v7, vcc
	global_load_dwordx2 v[6:7], v[6:7], off
	s_waitcnt vmcnt(0)
	v_ashrrev_i32_e32 v3, 31, v7
	v_or_b32_e32 v16, 0x80000000, v3
	v_xor_b32_e32 v3, v3, v6
	v_xor_b32_e32 v16, v16, v7
	v_cmp_o_f64_e32 vcc, v[6:7], v[6:7]
	v_cndmask_b32_e32 v17, -1, v16, vcc
	v_cndmask_b32_e32 v16, -1, v3, vcc
	v_cmp_lt_u64_e32 vcc, s[10:11], v[16:17]
	v_cndmask_b32_e64 v3, 0, 1, vcc
	v_cmp_gt_u64_e32 vcc, s[10:11], v[16:17]
	v_cndmask_b32_e64 v18, 0, 1, vcc
	v_cndmask_b32_e64 v3, v18, v3, s[6:7]
	v_cmp_eq_u64_e32 vcc, s[10:11], v[16:17]
	v_and_b32_e32 v3, 1, v3
	v_cndmask_b32_e64 v16, 0, 1, vcc
.LBB71_23:                              ;   in Loop: Header=BB71_21 Depth=1
	s_or_b64 exec, exec, s[14:15]
	ds_write_b32 v8, v3
	s_waitcnt lgkmcnt(0)
	s_barrier
	s_and_saveexec_b64 s[14:15], s[4:5]
	s_cbranch_execz .LBB71_25
; %bb.24:                               ;   in Loop: Header=BB71_21 Depth=1
	ds_read2_b32 v[18:19], v9 offset1:1
	ds_read2_b32 v[20:21], v9 offset0:2 offset1:3
	v_cmp_ne_u32_e32 vcc, 0, v12
	; wave barrier
	s_waitcnt lgkmcnt(1)
	v_add_u32_e32 v17, v19, v18
	s_waitcnt lgkmcnt(0)
	v_add3_u32 v17, v17, v20, v21
	s_nop 1
	v_mov_b32_dpp v19, v17 row_shr:1 row_mask:0xf bank_mask:0xf
	v_cndmask_b32_e32 v19, 0, v19, vcc
	v_add_u32_e32 v17, v19, v17
	v_cmp_lt_u32_e32 vcc, 1, v12
	s_nop 0
	v_mov_b32_dpp v19, v17 row_shr:2 row_mask:0xf bank_mask:0xf
	v_cndmask_b32_e32 v19, 0, v19, vcc
	v_add_u32_e32 v17, v17, v19
	v_cmp_lt_u32_e32 vcc, 3, v12
	;; [unrolled: 5-line block ×4, first 2 shown]
	s_nop 0
	v_mov_b32_dpp v19, v17 row_bcast:15 row_mask:0xf bank_mask:0xf
	v_and_b32_e32 v19, v13, v19
	v_add_u32_e32 v17, v17, v19
	s_nop 1
	v_mov_b32_dpp v19, v17 row_bcast:31 row_mask:0xf bank_mask:0xf
	v_cndmask_b32_e32 v19, 0, v19, vcc
	v_cmp_lt_i32_e32 vcc, v14, v15
	v_add_u32_e32 v17, v17, v19
	v_cndmask_b32_e32 v19, v14, v11, vcc
	v_lshlrev_b32_e32 v19, 2, v19
	ds_bpermute_b32 v17, v19, v17
	s_waitcnt lgkmcnt(0)
	v_add_u32_e32 v17, v17, v18
	v_cndmask_b32_e64 v17, v17, v3, s[2:3]
	ds_write_b32 v9, v17
	; wave barrier
	ds_read2_b32 v[18:19], v9 offset0:1 offset1:2
	ds_read_b32 v20, v9 offset:12
	s_waitcnt lgkmcnt(1)
	v_add_u32_e32 v17, v18, v17
	v_add_u32_e32 v18, v19, v17
	ds_write2_b32 v9, v17, v18 offset0:1 offset1:2
	s_waitcnt lgkmcnt(1)
	v_add_u32_e32 v17, v20, v18
	ds_write_b32 v9, v17 offset:12
.LBB71_25:                              ;   in Loop: Header=BB71_21 Depth=1
	s_or_b64 exec, exec, s[14:15]
	v_mov_b32_e32 v18, 0
	s_waitcnt lgkmcnt(0)
	s_barrier
	s_and_saveexec_b64 s[14:15], s[0:1]
	s_cbranch_execz .LBB71_27
; %bb.26:                               ;   in Loop: Header=BB71_21 Depth=1
	ds_read_b32 v18, v10
.LBB71_27:                              ;   in Loop: Header=BB71_21 Depth=1
	s_or_b64 exec, exec, s[14:15]
	ds_read_b32 v17, v1 offset:1048
	v_cmp_ne_u32_e32 vcc, 0, v3
	s_waitcnt lgkmcnt(0)
	s_barrier
	s_and_saveexec_b64 s[14:15], vcc
	s_cbranch_execz .LBB71_29
; %bb.28:                               ;   in Loop: Header=BB71_21 Depth=1
	v_add_u32_e32 v20, v18, v4
	v_mul_lo_u32 v18, v20, s22
	v_mov_b32_e32 v19, v1
	v_lshlrev_b64 v[18:19], 3, v[18:19]
	v_mov_b32_e32 v3, s19
	v_add_co_u32_e32 v18, vcc, s18, v18
	v_addc_co_u32_e32 v19, vcc, v3, v19, vcc
	global_store_dwordx2 v[18:19], v[6:7], off
	v_mul_lo_u32 v18, v20, s8
	v_mov_b32_e32 v19, v1
	v_lshlrev_b64 v[18:19], 3, v[18:19]
	v_mov_b32_e32 v20, s21
	v_add_co_u32_e32 v18, vcc, s20, v18
	v_mov_b32_e32 v3, v1
	v_addc_co_u32_e32 v19, vcc, v20, v19, vcc
	global_store_dwordx2 v[18:19], v[2:3], off
.LBB71_29:                              ;   in Loop: Header=BB71_21 Depth=1
	s_or_b64 exec, exec, s[14:15]
	v_cmp_le_u32_e32 vcc, s13, v5
	s_cbranch_vccnz .LBB71_20
; %bb.30:                               ;   in Loop: Header=BB71_21 Depth=1
	ds_write_b32 v8, v16
	s_waitcnt lgkmcnt(0)
	s_barrier
	s_and_saveexec_b64 s[14:15], s[4:5]
	s_cbranch_execz .LBB71_32
; %bb.31:                               ;   in Loop: Header=BB71_21 Depth=1
	ds_read2_b32 v[18:19], v9 offset1:1
	ds_read2_b32 v[20:21], v9 offset0:2 offset1:3
	v_cmp_ne_u32_e32 vcc, 0, v12
	; wave barrier
	s_waitcnt lgkmcnt(1)
	v_add_u32_e32 v3, v19, v18
	s_waitcnt lgkmcnt(0)
	v_add3_u32 v3, v3, v20, v21
	s_nop 1
	v_mov_b32_dpp v19, v3 row_shr:1 row_mask:0xf bank_mask:0xf
	v_cndmask_b32_e32 v19, 0, v19, vcc
	v_add_u32_e32 v3, v19, v3
	v_cmp_lt_u32_e32 vcc, 1, v12
	s_nop 0
	v_mov_b32_dpp v19, v3 row_shr:2 row_mask:0xf bank_mask:0xf
	v_cndmask_b32_e32 v19, 0, v19, vcc
	v_add_u32_e32 v3, v3, v19
	v_cmp_lt_u32_e32 vcc, 3, v12
	;; [unrolled: 5-line block ×4, first 2 shown]
	s_nop 0
	v_mov_b32_dpp v19, v3 row_bcast:15 row_mask:0xf bank_mask:0xf
	v_and_b32_e32 v19, v13, v19
	v_add_u32_e32 v3, v3, v19
	s_nop 1
	v_mov_b32_dpp v19, v3 row_bcast:31 row_mask:0xf bank_mask:0xf
	v_cndmask_b32_e32 v19, 0, v19, vcc
	v_cmp_lt_i32_e32 vcc, v14, v15
	v_add_u32_e32 v3, v3, v19
	v_cndmask_b32_e32 v19, v14, v11, vcc
	v_lshlrev_b32_e32 v19, 2, v19
	ds_bpermute_b32 v3, v19, v3
	s_waitcnt lgkmcnt(0)
	v_add_u32_e32 v3, v3, v18
	v_cndmask_b32_e64 v3, v3, v16, s[2:3]
	ds_write_b32 v9, v3
	; wave barrier
	ds_read2_b32 v[18:19], v9 offset0:1 offset1:2
	ds_read_b32 v20, v9 offset:12
	s_waitcnt lgkmcnt(1)
	v_add_u32_e32 v3, v18, v3
	v_add_u32_e32 v18, v19, v3
	ds_write2_b32 v9, v3, v18 offset0:1 offset1:2
	s_waitcnt lgkmcnt(1)
	v_add_u32_e32 v3, v20, v18
	ds_write_b32 v9, v3 offset:12
.LBB71_32:                              ;   in Loop: Header=BB71_21 Depth=1
	s_or_b64 exec, exec, s[14:15]
	v_mov_b32_e32 v3, 0
	s_waitcnt lgkmcnt(0)
	s_barrier
	s_and_saveexec_b64 s[14:15], s[0:1]
	s_cbranch_execz .LBB71_34
; %bb.33:                               ;   in Loop: Header=BB71_21 Depth=1
	ds_read_b32 v3, v10
.LBB71_34:                              ;   in Loop: Header=BB71_21 Depth=1
	s_or_b64 exec, exec, s[14:15]
	ds_read_b32 v18, v1 offset:1048
	v_cmp_ne_u32_e32 vcc, 0, v16
	s_waitcnt lgkmcnt(0)
	s_barrier
	s_and_saveexec_b64 s[14:15], vcc
	s_cbranch_execz .LBB71_19
; %bb.35:                               ;   in Loop: Header=BB71_21 Depth=1
	v_add_u32_e32 v16, v3, v5
	v_cmp_gt_u32_e32 vcc, s13, v16
	s_and_b64 exec, exec, vcc
	s_cbranch_execz .LBB71_19
; %bb.36:                               ;   in Loop: Header=BB71_21 Depth=1
	v_mul_lo_u32 v20, v16, s22
	v_mov_b32_e32 v21, v1
	v_lshlrev_b64 v[20:21], 3, v[20:21]
	v_mov_b32_e32 v3, s19
	v_add_co_u32_e32 v20, vcc, s18, v20
	v_addc_co_u32_e32 v21, vcc, v3, v21, vcc
	global_store_dwordx2 v[20:21], v[6:7], off
	v_mul_lo_u32 v20, v16, s8
	v_mov_b32_e32 v21, v1
	v_lshlrev_b64 v[20:21], 3, v[20:21]
	v_mov_b32_e32 v16, s21
	v_add_co_u32_e32 v20, vcc, s20, v20
	v_mov_b32_e32 v3, v1
	v_addc_co_u32_e32 v21, vcc, v16, v21, vcc
	global_store_dwordx2 v[20:21], v[2:3], off
	s_branch .LBB71_19
.LBB71_37:                              ;   in Loop: Header=BB71_38 Depth=1
	s_add_u32 s16, s16, 4
	s_addc_u32 s17, s17, 0
	s_waitcnt lgkmcnt(0)
	s_add_i32 s48, s15, s48
	s_add_u32 s18, s18, 4
	s_addc_u32 s19, s19, 0
	s_add_i32 s14, s14, 1
	s_cmp_lt_u32 s14, s10
	s_cbranch_scc0 .LBB71_16
.LBB71_38:                              ; =>This Inner Loop Header: Depth=1
	s_load_dword s15, s[16:17], 0x0
	s_cmp_ge_u32 s14, s11
	s_cbranch_scc1 .LBB71_37
; %bb.39:                               ;   in Loop: Header=BB71_38 Depth=1
	s_load_dword s36, s[18:19], 0x0
	s_waitcnt lgkmcnt(0)
	s_add_i32 s27, s15, s27
	s_add_i32 s47, s36, s47
	s_branch .LBB71_37
.LBB71_40:
	s_endpgm
	.section	.rodata,"a",@progbits
	.p2align	6, 0x0
	.amdhsa_kernel _ZN2at6native6mbtopk10gatherTopKIdjLi2EEEvNS_4cuda6detail10TensorInfoIKT_T0_EES8_S8_bjS8_NS5_IS6_S8_EES8_NS5_IlS8_EES8_jjPS6_PjSD_j
		.amdhsa_group_segment_fixed_size 1068
		.amdhsa_private_segment_fixed_size 0
		.amdhsa_kernarg_size 984
		.amdhsa_user_sgpr_count 6
		.amdhsa_user_sgpr_private_segment_buffer 1
		.amdhsa_user_sgpr_dispatch_ptr 0
		.amdhsa_user_sgpr_queue_ptr 0
		.amdhsa_user_sgpr_kernarg_segment_ptr 1
		.amdhsa_user_sgpr_dispatch_id 0
		.amdhsa_user_sgpr_flat_scratch_init 0
		.amdhsa_user_sgpr_kernarg_preload_length 0
		.amdhsa_user_sgpr_kernarg_preload_offset 0
		.amdhsa_user_sgpr_private_segment_size 0
		.amdhsa_uses_dynamic_stack 0
		.amdhsa_system_sgpr_private_segment_wavefront_offset 0
		.amdhsa_system_sgpr_workgroup_id_x 1
		.amdhsa_system_sgpr_workgroup_id_y 1
		.amdhsa_system_sgpr_workgroup_id_z 1
		.amdhsa_system_sgpr_workgroup_info 0
		.amdhsa_system_vgpr_workitem_id 0
		.amdhsa_next_free_vgpr 22
		.amdhsa_next_free_sgpr 52
		.amdhsa_accum_offset 24
		.amdhsa_reserve_vcc 1
		.amdhsa_reserve_flat_scratch 0
		.amdhsa_float_round_mode_32 0
		.amdhsa_float_round_mode_16_64 0
		.amdhsa_float_denorm_mode_32 3
		.amdhsa_float_denorm_mode_16_64 3
		.amdhsa_dx10_clamp 1
		.amdhsa_ieee_mode 1
		.amdhsa_fp16_overflow 0
		.amdhsa_tg_split 0
		.amdhsa_exception_fp_ieee_invalid_op 0
		.amdhsa_exception_fp_denorm_src 0
		.amdhsa_exception_fp_ieee_div_zero 0
		.amdhsa_exception_fp_ieee_overflow 0
		.amdhsa_exception_fp_ieee_underflow 0
		.amdhsa_exception_fp_ieee_inexact 0
		.amdhsa_exception_int_div_zero 0
	.end_amdhsa_kernel
	.section	.text._ZN2at6native6mbtopk10gatherTopKIdjLi2EEEvNS_4cuda6detail10TensorInfoIKT_T0_EES8_S8_bjS8_NS5_IS6_S8_EES8_NS5_IlS8_EES8_jjPS6_PjSD_j,"axG",@progbits,_ZN2at6native6mbtopk10gatherTopKIdjLi2EEEvNS_4cuda6detail10TensorInfoIKT_T0_EES8_S8_bjS8_NS5_IS6_S8_EES8_NS5_IlS8_EES8_jjPS6_PjSD_j,comdat
.Lfunc_end71:
	.size	_ZN2at6native6mbtopk10gatherTopKIdjLi2EEEvNS_4cuda6detail10TensorInfoIKT_T0_EES8_S8_bjS8_NS5_IS6_S8_EES8_NS5_IlS8_EES8_jjPS6_PjSD_j, .Lfunc_end71-_ZN2at6native6mbtopk10gatherTopKIdjLi2EEEvNS_4cuda6detail10TensorInfoIKT_T0_EES8_S8_bjS8_NS5_IS6_S8_EES8_NS5_IlS8_EES8_jjPS6_PjSD_j
                                        ; -- End function
	.section	.AMDGPU.csdata,"",@progbits
; Kernel info:
; codeLenInByte = 2456
; NumSgprs: 56
; NumVgprs: 22
; NumAgprs: 0
; TotalNumVgprs: 22
; ScratchSize: 0
; MemoryBound: 0
; FloatMode: 240
; IeeeMode: 1
; LDSByteSize: 1068 bytes/workgroup (compile time only)
; SGPRBlocks: 6
; VGPRBlocks: 2
; NumSGPRsForWavesPerEU: 56
; NumVGPRsForWavesPerEU: 22
; AccumOffset: 24
; Occupancy: 8
; WaveLimiterHint : 1
; COMPUTE_PGM_RSRC2:SCRATCH_EN: 0
; COMPUTE_PGM_RSRC2:USER_SGPR: 6
; COMPUTE_PGM_RSRC2:TRAP_HANDLER: 0
; COMPUTE_PGM_RSRC2:TGID_X_EN: 1
; COMPUTE_PGM_RSRC2:TGID_Y_EN: 1
; COMPUTE_PGM_RSRC2:TGID_Z_EN: 1
; COMPUTE_PGM_RSRC2:TIDIG_COMP_CNT: 0
; COMPUTE_PGM_RSRC3_GFX90A:ACCUM_OFFSET: 5
; COMPUTE_PGM_RSRC3_GFX90A:TG_SPLIT: 0
	.section	.text._ZN2at6native6sbtopk10gatherTopKIdjLi2ELb0EEEvNS_4cuda6detail10TensorInfoIKT_T0_EES8_S8_bS8_S8_NS5_IS6_S8_EES8_NS5_IlS8_EES8_PS6_,"axG",@progbits,_ZN2at6native6sbtopk10gatherTopKIdjLi2ELb0EEEvNS_4cuda6detail10TensorInfoIKT_T0_EES8_S8_bS8_S8_NS5_IS6_S8_EES8_NS5_IlS8_EES8_PS6_,comdat
	.protected	_ZN2at6native6sbtopk10gatherTopKIdjLi2ELb0EEEvNS_4cuda6detail10TensorInfoIKT_T0_EES8_S8_bS8_S8_NS5_IS6_S8_EES8_NS5_IlS8_EES8_PS6_ ; -- Begin function _ZN2at6native6sbtopk10gatherTopKIdjLi2ELb0EEEvNS_4cuda6detail10TensorInfoIKT_T0_EES8_S8_bS8_S8_NS5_IS6_S8_EES8_NS5_IlS8_EES8_PS6_
	.globl	_ZN2at6native6sbtopk10gatherTopKIdjLi2ELb0EEEvNS_4cuda6detail10TensorInfoIKT_T0_EES8_S8_bS8_S8_NS5_IS6_S8_EES8_NS5_IlS8_EES8_PS6_
	.p2align	8
	.type	_ZN2at6native6sbtopk10gatherTopKIdjLi2ELb0EEEvNS_4cuda6detail10TensorInfoIKT_T0_EES8_S8_bS8_S8_NS5_IS6_S8_EES8_NS5_IlS8_EES8_PS6_,@function
_ZN2at6native6sbtopk10gatherTopKIdjLi2ELb0EEEvNS_4cuda6detail10TensorInfoIKT_T0_EES8_S8_bS8_S8_NS5_IS6_S8_EES8_NS5_IlS8_EES8_PS6_: ; @_ZN2at6native6sbtopk10gatherTopKIdjLi2ELb0EEEvNS_4cuda6detail10TensorInfoIKT_T0_EES8_S8_bS8_S8_NS5_IS6_S8_EES8_NS5_IlS8_EES8_PS6_
; %bb.0:
	s_load_dwordx2 s[10:11], s[4:5], 0x2b8
	s_load_dwordx4 s[60:63], s[4:5], 0xd8
	s_add_u32 s2, s4, 0x2b8
	s_addc_u32 s3, s5, 0
	s_waitcnt lgkmcnt(0)
	s_mul_i32 s0, s11, s8
	s_add_i32 s0, s0, s7
	s_mul_i32 s0, s0, s10
	s_add_i32 s18, s0, s6
	s_cmp_ge_u32 s18, s63
	s_cbranch_scc1 .LBB72_414
; %bb.1:
	s_load_dwordx2 s[12:13], s[4:5], 0x1d0
                                        ; implicit-def: $vgpr58 : SGPR spill to VGPR lane
	s_load_dword s16, s[4:5], 0xc
	s_load_dword s17, s[4:5], 0xe8
	s_load_dwordx2 s[8:9], s[4:5], 0x6c
	s_load_dwordx2 s[0:1], s[4:5], 0x0
	v_cmp_eq_u32_e64 s[14:15], 0, v0
	s_waitcnt lgkmcnt(0)
	v_cvt_f32_u32_e32 v1, s16
	s_load_dword s11, s[4:5], 0xfc
	v_writelane_b32 v58, s12, 0
	v_writelane_b32 v58, s13, 1
	s_load_dwordx2 s[12:13], s[4:5], 0x15c
	v_rcp_iflag_f32_e32 v1, v1
	s_waitcnt lgkmcnt(0)
	v_cvt_f32_u32_e32 v2, s11
	v_writelane_b32 v58, s12, 2
	v_writelane_b32 v58, s13, 3
	s_load_dwordx2 s[12:13], s[4:5], 0x23c
	v_mul_f32_e32 v1, 0x4f7ffffe, v1
	v_cvt_u32_f32_e32 v1, v1
	v_rcp_iflag_f32_e32 v2, v2
	s_waitcnt lgkmcnt(0)
	v_writelane_b32 v58, s12, 4
	v_writelane_b32 v58, s13, 5
	s_load_dword s12, s[4:5], 0x1dc
	v_writelane_b32 v58, s4, 6
	v_writelane_b32 v58, s5, 7
	s_load_dwordx2 s[4:5], s[4:5], 0xf0
	v_readfirstlane_b32 s7, v1
	v_mul_f32_e32 v1, 0x4f7ffffe, v2
	s_waitcnt lgkmcnt(0)
	v_cvt_f32_u32_e32 v2, s12
	v_cvt_u32_f32_e32 v1, v1
	v_writelane_b32 v58, s4, 8
	v_writelane_b32 v58, s5, 9
	s_mov_b32 s4, 0
	v_writelane_b32 v58, s4, 10
	v_writelane_b32 v58, s5, 11
	s_sub_i32 s5, 0, s16
	v_rcp_iflag_f32_e32 v2, v2
	s_mul_i32 s5, s5, s7
	s_mul_hi_u32 s5, s7, s5
	s_add_i32 s7, s7, s5
	s_mul_hi_u32 s5, s18, s7
	v_writelane_b32 v58, s11, 12
	s_sub_i32 s7, 0, s11
	v_readfirstlane_b32 s11, v1
	v_mul_f32_e32 v1, 0x4f7ffffe, v2
	v_cvt_u32_f32_e32 v1, v1
	s_mul_i32 s7, s7, s11
	s_mul_hi_u32 s7, s11, s7
	s_add_i32 s11, s11, s7
	s_mul_hi_u32 s4, s18, s11
	s_sub_i32 s7, 0, s12
	v_readfirstlane_b32 s11, v1
	s_mul_i32 s7, s7, s11
	s_mul_hi_u32 s7, s11, s7
	v_writelane_b32 v58, s4, 13
	s_add_i32 s11, s11, s7
	v_writelane_b32 v58, s12, 14
	s_mul_hi_u32 s4, s18, s11
	v_writelane_b32 v58, s4, 15
	s_mov_b64 s[12:13], exec
	v_writelane_b32 v58, s14, 16
	v_writelane_b32 v58, s15, 17
	s_and_b64 s[14:15], s[12:13], s[14:15]
	s_mov_b64 exec, s[14:15]
	s_cbranch_execz .LBB72_3
; %bb.2:
	v_mov_b32_e32 v2, 0
	v_mov_b32_e32 v3, s60
	;; [unrolled: 1-line block ×3, first 2 shown]
	ds_write_b96 v2, v[2:4] offset:4096
.LBB72_3:
	s_or_b64 exec, exec, s[12:13]
	s_mul_i32 s7, s5, s16
	s_sub_i32 s7, s18, s7
	s_add_i32 s11, s5, 1
	s_sub_i32 s12, s7, s16
	s_cmp_ge_u32 s7, s16
	s_cselect_b32 s5, s11, s5
	s_cselect_b32 s7, s12, s7
	s_add_i32 s11, s5, 1
	s_cmp_ge_u32 s7, s16
	s_cselect_b32 s5, s11, s5
	s_mul_i32 s4, s5, s16
	s_sub_i32 s4, s18, s4
	s_mul_i32 s4, s4, s9
	s_mul_i32 s5, s5, s8
	s_add_i32 s4, s5, s4
	s_mov_b32 s5, 0
	s_lshl_b64 s[4:5], s[4:5], 3
	s_add_u32 s33, s0, s4
	s_addc_u32 s76, s1, s5
	s_waitcnt lgkmcnt(0)
	s_barrier
	s_load_dword s0, s[2:3], 0xc
	s_bitcmp1_b32 s62, 0
	v_writelane_b32 v58, s18, 18
	s_cselect_b64 s[4:5], -1, 0
	v_writelane_b32 v58, s4, 19
	v_writelane_b32 v58, s5, 20
	s_xor_b64 s[4:5], s[4:5], -1
	v_mbcnt_lo_u32_b32 v1, -1, 0
	v_writelane_b32 v58, s4, 21
	v_mbcnt_hi_u32_b32 v1, -1, v1
	v_writelane_b32 v58, s5, 22
	s_waitcnt lgkmcnt(0)
	s_and_b32 s77, s0, 0xffff
	s_bfe_u32 s5, s0, 0xa0006
	v_cmp_gt_u32_e32 vcc, 64, v0
	v_cmp_gt_i32_e64 s[0:1], 4, v1
	s_lshl_b32 s79, s77, 2
	s_and_b64 s[74:75], vcc, s[0:1]
	s_cmpk_gt_u32 s60, 0x180
	s_cselect_b64 s[0:1], -1, 0
	v_writelane_b32 v58, s0, 23
	s_cmp_gt_u32 s77, 63
	v_writelane_b32 v58, s1, 24
	s_cselect_b64 s[0:1], -1, 0
	v_writelane_b32 v58, s0, 25
	v_writelane_b32 v58, s1, 26
	s_add_i32 s0, s77, -1
	s_add_i32 s4, s0, s60
	s_cmp_lt_u32 s6, s10
	v_writelane_b32 v58, s0, 27
	s_cselect_b32 s0, 12, 18
	s_add_u32 s0, s2, s0
	s_addc_u32 s1, s3, 0
	v_writelane_b32 v58, s0, 28
	s_add_i32 s2, s5, -2
	v_writelane_b32 v58, s1, 29
	s_lshr_b32 s0, s2, 1
	s_add_i32 s3, s0, 1
	s_cmpk_gt_u32 s77, 0x7f
	v_mov_b32_e32 v21, 0
	s_cselect_b64 s[0:1], -1, 0
	v_writelane_b32 v58, s0, 30
	v_mul_lo_u32 v22, v0, s17
	v_mov_b32_e32 v23, v21
	v_writelane_b32 v58, s1, 31
	v_cmp_gt_u32_e64 s[6:7], s60, v0
	v_lshlrev_b64 v[2:3], 3, v[22:23]
	v_writelane_b32 v58, s6, 32
	v_mov_b32_e32 v4, s76
	v_add_co_u32_e32 v18, vcc, s33, v2
	v_lshrrev_b32_e32 v2, 4, v0
	v_writelane_b32 v58, s7, 33
	v_addc_co_u32_e32 v19, vcc, v4, v3, vcc
	v_and_b32_e32 v35, 60, v2
	v_cmp_gt_u32_e64 s[6:7], 2, v0
	v_lshlrev_b64 v[2:3], v1, -1
	v_writelane_b32 v58, s6, 34
	v_not_b32_e32 v16, v2
	v_cvt_f32_u32_e32 v2, s79
	v_writelane_b32 v58, s7, 35
	s_and_b32 s6, s5, 0x3fe
	s_and_b32 s7, s3, 7
	s_cmp_gt_u32 s2, 13
	s_cselect_b64 s[8:9], -1, 0
	v_writelane_b32 v58, s8, 36
	v_rcp_iflag_f32_e32 v2, v2
	v_writelane_b32 v58, s9, 37
	s_and_b32 s2, s3, -8
	v_writelane_b32 v58, s2, 38
	s_cmp_lg_u32 s7, 0
	v_writelane_b32 v58, s7, 39
	s_cselect_b64 s[2:3], -1, 0
	v_writelane_b32 v58, s2, 40
	v_mul_f32_e32 v2, 0x4f7ffffe, v2
	v_writelane_b32 v58, s3, 41
	v_cvt_u32_f32_e32 v2, v2
	v_writelane_b32 v58, s5, 42
	s_cmp_lg_u32 s6, s5
	v_writelane_b32 v58, s6, 43
	s_cselect_b64 s[2:3], -1, 0
	v_writelane_b32 v58, s2, 44
	v_writelane_b32 v58, s3, 45
	s_sub_i32 s2, 0, s79
	v_readfirstlane_b32 s3, v2
	v_cvt_f32_u32_e32 v2, s77
	s_mul_i32 s2, s2, s3
	s_mul_hi_u32 s2, s3, s2
	s_add_i32 s2, s3, s2
	v_writelane_b32 v58, s2, 46
	s_mul_hi_u32 s2, s60, s2
	v_rcp_iflag_f32_e32 v5, v2
	s_mul_i32 s2, s2, s79
	s_sub_i32 s2, s60, s2
	s_sub_i32 s3, s2, s79
	s_cmp_ge_u32 s2, s79
	v_mul_f32_e32 v5, 0x4f7ffffe, v5
	s_cselect_b32 s2, s3, s2
	v_cvt_u32_f32_e32 v5, v5
	s_sub_i32 s3, s2, s79
	s_cmp_ge_u32 s2, s79
	s_cselect_b32 s2, s3, s2
	v_lshlrev_b32_e32 v34, 2, v0
	s_sub_i32 s13, s60, s2
	s_sub_i32 s3, 0, s77
	v_readfirstlane_b32 s5, v5
	v_cmp_gt_u32_e64 s[6:7], s13, v34
	s_mul_i32 s3, s3, s5
	v_writelane_b32 v58, s6, 47
	s_mul_hi_u32 s3, s5, s3
	v_writelane_b32 v58, s7, 48
	s_add_i32 s3, s5, s3
	v_writelane_b32 v58, s3, 49
	s_mul_hi_u32 s3, s4, s3
	s_mul_i32 s3, s3, s77
	s_sub_i32 s3, s4, s3
	s_sub_i32 s5, s3, s77
	v_add_u32_e32 v38, s13, v0
	s_cmp_ge_u32 s3, s77
	v_mul_lo_u32 v20, v38, s17
	s_cselect_b32 s3, s5, s3
	v_not_b32_e32 v17, v3
	v_lshlrev_b64 v[2:3], 3, v[20:21]
	s_sub_i32 s5, s3, s77
	v_add_co_u32_e32 v24, vcc, s33, v2
	s_cmp_ge_u32 s3, s77
	v_mul_lo_u32 v2, s17, v34
	s_cselect_b32 s3, s5, s3
	v_add_u32_e32 v39, s17, v2
	v_or_b32_e32 v2, 2, v34
	s_sub_i32 s6, s4, s3
	v_mul_lo_u32 v40, s17, v2
	v_or_b32_e32 v2, 3, v34
	s_add_i32 s3, s77, s60
	v_cmp_gt_u32_e64 s[4:5], s6, v0
	v_mul_lo_u32 v41, s17, v2
	v_add_u32_e32 v2, s3, v0
	v_lshlrev_b32_e32 v36, 3, v0
	v_lshlrev_b32_e32 v4, 2, v1
	v_mov_b32_e32 v6, s76
	v_writelane_b32 v58, s4, 50
	s_mul_i32 s78, s17, s77
	v_subrev_u32_e32 v2, s2, v2
	v_pk_mov_b32 v[26:27], 0, 0
	v_cmp_eq_u32_e64 s[0:1], 0, v1
	v_add_u32_e32 v37, 0xc00, v36
	v_and_b32_e32 v23, 0x100, v4
	v_cmp_gt_u32_e64 s[14:15], s60, v38
	v_addc_co_u32_e32 v25, vcc, v6, v3, vcc
	v_writelane_b32 v58, s5, 51
	s_lshl_b32 s7, s78, 2
	v_lshlrev_b32_e32 v42, 2, v22
	v_mul_lo_u32 v43, s17, v2
	v_lshlrev_b32_e32 v44, 5, v0
	s_lshl_b32 s12, s77, 5
	s_lshl_b32 s72, s77, 3
	v_or_b32_e32 v45, 0xc00, v4
	s_mov_b32 s73, 62
	s_mov_b64 s[90:91], 0
	v_pk_mov_b32 v[6:7], 0, 0
	v_mov_b32_e32 v47, s61
	v_mov_b32_e32 v3, 0x3ff00000
	;; [unrolled: 1-line block ×3, first 2 shown]
	v_pk_mov_b32 v[28:29], v[26:27], v[26:27] op_sel:[0,1]
	s_mov_b32 s4, 0
	v_writelane_b32 v58, s17, 52
                                        ; implicit-def: $sgpr92_sgpr93
                                        ; implicit-def: $sgpr94_sgpr95
                                        ; implicit-def: $sgpr66_sgpr67
                                        ; implicit-def: $sgpr68_sgpr69
                                        ; implicit-def: $sgpr64_sgpr65
                                        ; implicit-def: $sgpr70_sgpr71
                                        ; implicit-def: $sgpr2_sgpr3
                                        ; implicit-def: $sgpr84_sgpr85
                                        ; implicit-def: $sgpr86_sgpr87
                                        ; implicit-def: $sgpr88_sgpr89
	s_branch .LBB72_6
.LBB72_4:                               ;   in Loop: Header=BB72_6 Depth=1
	s_or_b64 exec, exec, s[20:21]
	s_andn2_b64 s[10:11], s[88:89], exec
	s_and_b64 s[18:19], s[18:19], exec
	s_or_b64 s[88:89], s[10:11], s[18:19]
	s_andn2_b64 s[86:87], s[86:87], exec
	s_andn2_b64 s[84:85], s[84:85], exec
	;; [unrolled: 1-line block ×4, first 2 shown]
	s_orn2_b64 s[16:17], s[16:17], exec
	v_pk_mov_b32 v[28:29], v[14:15], v[14:15] op_sel:[0,1]
	s_waitcnt vmcnt(0)
	v_pk_mov_b32 v[26:27], v[12:13], v[12:13] op_sel:[0,1]
	v_mov_b32_e32 v47, v30
	v_pk_mov_b32 v[6:7], v[10:11], v[10:11] op_sel:[0,1]
.LBB72_5:                               ;   in Loop: Header=BB72_6 Depth=1
	s_or_b64 exec, exec, s[8:9]
	s_and_b64 s[8:9], exec, s[16:17]
	s_or_b64 s[90:91], s[8:9], s[90:91]
	s_andn2_b64 s[8:9], s[64:65], exec
	s_and_b64 s[10:11], s[88:89], exec
	s_or_b64 s[64:65], s[8:9], s[10:11]
	s_andn2_b64 s[8:9], s[68:69], exec
	s_and_b64 s[10:11], s[86:87], exec
	;; [unrolled: 3-line block ×5, first 2 shown]
	s_or_b64 s[92:93], s[8:9], s[10:11]
	s_andn2_b64 exec, exec, s[90:91]
	s_cbranch_execz .LBB72_410
.LBB72_6:                               ; =>This Loop Header: Depth=1
                                        ;     Child Loop BB72_14 Depth 2
                                        ;     Child Loop BB72_32 Depth 2
	;; [unrolled: 1-line block ×25, first 2 shown]
	s_waitcnt vmcnt(0)
	ds_read_b64 v[4:5], v21 offset:4096
	s_waitcnt lgkmcnt(0)
	v_readfirstlane_b32 s5, v4
	s_cmp_lg_u32 s5, 0
	s_cbranch_scc1 .LBB72_39
; %bb.7:                                ;   in Loop: Header=BB72_6 Depth=1
	v_readlane_b32 s8, v58, 23
	v_readlane_b32 s9, v58, 24
	s_and_b64 vcc, exec, s[8:9]
	s_cbranch_vccz .LBB72_22
; %bb.8:                                ;   in Loop: Header=BB72_6 Depth=1
	s_movk_i32 s5, 0x181
	v_cmp_gt_u32_e32 vcc, s5, v5
	s_mov_b64 s[16:17], 0
	s_mov_b64 s[8:9], 0
	s_cbranch_vccz .LBB72_23
; %bb.9:                                ;   in Loop: Header=BB72_6 Depth=1
	v_pk_mov_b32 v[4:5], 0, 0
	s_mov_b64 s[8:9], exec
	v_readlane_b32 s10, v58, 32
	v_readlane_b32 s11, v58, 33
	s_and_b64 s[10:11], s[8:9], s[10:11]
	s_mov_b64 exec, s[10:11]
	s_cbranch_execz .LBB72_11
; %bb.10:                               ;   in Loop: Header=BB72_6 Depth=1
	global_load_dwordx2 v[4:5], v[18:19], off
.LBB72_11:                              ;   in Loop: Header=BB72_6 Depth=1
	s_or_b64 exec, exec, s[8:9]
	s_mov_b64 s[22:23], exec
	v_readlane_b32 s8, v58, 32
	v_readlane_b32 s9, v58, 33
	s_and_b64 s[8:9], s[22:23], s[8:9]
	s_mov_b64 exec, s[8:9]
	s_cbranch_execz .LBB72_24
; %bb.12:                               ;   in Loop: Header=BB72_6 Depth=1
	v_readlane_b32 s8, v58, 28
	v_readlane_b32 s9, v58, 29
	;; [unrolled: 1-line block ×3, first 2 shown]
	s_mov_b64 s[24:25], 0
	v_mov_b32_e32 v11, v0
	s_nop 1
	global_load_ushort v2, v21, s[8:9]
	s_waitcnt vmcnt(0)
	v_add_u32_e32 v8, v0, v2
	v_mul_lo_u32 v10, s5, v2
	v_mul_lo_u32 v20, s5, v8
	s_branch .LBB72_14
.LBB72_13:                              ;   in Loop: Header=BB72_14 Depth=2
	s_or_b64 exec, exec, s[8:9]
	v_add_u32_e32 v20, v20, v10
	s_waitcnt vmcnt(0)
	v_pk_mov_b32 v[4:5], v[8:9], v[8:9] op_sel:[0,1]
	s_andn2_b64 exec, exec, s[24:25]
	s_cbranch_execz .LBB72_24
.LBB72_14:                              ;   Parent Loop BB72_6 Depth=1
                                        ; =>  This Inner Loop Header: Depth=2
	v_add_u32_e32 v11, v11, v2
	v_cmp_gt_u32_e64 s[18:19], s60, v11
	v_cmp_le_u32_e32 vcc, s60, v11
	v_pk_mov_b32 v[8:9], 0, 0
	s_and_saveexec_b64 s[8:9], s[18:19]
	s_cbranch_execz .LBB72_16
; %bb.15:                               ;   in Loop: Header=BB72_14 Depth=2
	v_lshlrev_b64 v[8:9], 3, v[20:21]
	s_waitcnt lgkmcnt(0)
	v_mov_b32_e32 v12, s76
	v_add_co_u32_e64 v8, s[18:19], s33, v8
	v_addc_co_u32_e64 v9, s[18:19], v12, v9, s[18:19]
	global_load_dwordx2 v[8:9], v[8:9], off
.LBB72_16:                              ;   in Loop: Header=BB72_14 Depth=2
	s_or_b64 exec, exec, s[8:9]
	s_waitcnt lgkmcnt(0)
	v_ashrrev_i32_e32 v12, 31, v5
	v_or_b32_e32 v13, 0x80000000, v12
	v_xor_b32_e32 v13, v13, v5
	v_xor_b32_e32 v12, v12, v4
	v_cmp_o_f64_e64 s[18:19], v[4:5], v[4:5]
	v_cndmask_b32_e64 v13, -1, v13, s[18:19]
	v_cndmask_b32_e64 v12, -1, v12, s[18:19]
	v_and_b32_e32 v13, v13, v29
	v_and_b32_e32 v12, v12, v28
	v_cmp_eq_u64_e64 s[18:19], v[12:13], v[26:27]
	s_cmp_lg_u64 s[18:19], 0
	s_cselect_b64 s[8:9], -1, 0
	s_and_b64 s[10:11], s[0:1], s[8:9]
	v_mov_b32_e32 v12, 0
	s_and_saveexec_b64 s[8:9], s[10:11]
	s_cbranch_execz .LBB72_20
; %bb.17:                               ;   in Loop: Header=BB72_14 Depth=2
	s_mov_b64 s[28:29], exec
	v_mbcnt_lo_u32_b32 v12, s28, 0
	v_mbcnt_hi_u32_b32 v12, s29, v12
	s_bcnt1_i32_b64 s5, s[18:19]
	v_cmp_eq_u32_e64 s[20:21], 0, v12
                                        ; implicit-def: $vgpr13
	s_and_saveexec_b64 s[26:27], s[20:21]
	s_cbranch_execz .LBB72_19
; %bb.18:                               ;   in Loop: Header=BB72_14 Depth=2
	s_bcnt1_i32_b64 s10, s[28:29]
	s_mul_i32 s10, s5, s10
	v_mov_b32_e32 v13, s10
	ds_add_rtn_u32 v13, v21, v13 offset:4104
.LBB72_19:                              ;   in Loop: Header=BB72_14 Depth=2
	s_or_b64 exec, exec, s[26:27]
	s_waitcnt lgkmcnt(0)
	v_readfirstlane_b32 s10, v13
	v_mov_b32_e32 v13, s10
	v_mad_u32_u24 v12, s5, v12, v13
.LBB72_20:                              ;   in Loop: Header=BB72_14 Depth=2
	s_or_b64 exec, exec, s[8:9]
	ds_bpermute_b32 v12, v23, v12
	s_and_b64 s[8:9], exec, vcc
	s_or_b64 s[24:25], s[8:9], s[24:25]
	s_and_saveexec_b64 s[8:9], s[18:19]
	s_cbranch_execz .LBB72_13
; %bb.21:                               ;   in Loop: Header=BB72_14 Depth=2
	v_and_b32_e32 v14, s18, v16
	v_and_b32_e32 v13, s19, v17
	v_bcnt_u32_b32 v14, v14, 0
	v_bcnt_u32_b32 v13, v13, v14
	v_lshlrev_b32_e32 v13, 3, v13
	s_waitcnt lgkmcnt(0)
	v_lshl_add_u32 v12, v12, 3, v13
	ds_write_b64 v12, v[4:5]
	s_branch .LBB72_13
.LBB72_22:                              ;   in Loop: Header=BB72_6 Depth=1
	s_mov_b64 s[8:9], 0
                                        ; implicit-def: $sgpr5
	s_cbranch_execnz .LBB72_27
	s_branch .LBB72_37
.LBB72_23:                              ;   in Loop: Header=BB72_6 Depth=1
	s_mov_b32 s5, 0
	s_and_b64 vcc, exec, s[16:17]
	s_cbranch_vccnz .LBB72_27
	s_branch .LBB72_37
.LBB72_24:                              ;   in Loop: Header=BB72_6 Depth=1
	s_or_b64 exec, exec, s[22:23]
	s_waitcnt lgkmcnt(0)
	s_barrier
	s_mov_b64 s[8:9], exec
	v_readlane_b32 s10, v58, 16
	v_readlane_b32 s11, v58, 17
	s_and_b64 s[10:11], s[8:9], s[10:11]
	s_mov_b64 exec, s[10:11]
	s_cbranch_execz .LBB72_26
; %bb.25:                               ;   in Loop: Header=BB72_6 Depth=1
	ds_read_b32 v2, v21 offset:4104
	s_waitcnt lgkmcnt(0)
	ds_write_b32 v21, v2 offset:4096
.LBB72_26:                              ;   in Loop: Header=BB72_6 Depth=1
	s_or_b64 exec, exec, s[8:9]
	s_waitcnt lgkmcnt(0)
	s_barrier
	s_mov_b64 s[8:9], -1
	s_mov_b32 s5, 0
	s_and_b64 vcc, exec, s[16:17]
	s_cbranch_vccz .LBB72_37
.LBB72_27:                              ;   in Loop: Header=BB72_6 Depth=1
	s_waitcnt vmcnt(0)
	v_pk_mov_b32 v[4:5], 0, 0
	s_mov_b64 s[8:9], exec
	v_readlane_b32 s10, v58, 32
	v_readlane_b32 s11, v58, 33
	s_and_b64 s[10:11], s[8:9], s[10:11]
	s_mov_b64 exec, s[10:11]
	s_cbranch_execz .LBB72_29
; %bb.28:                               ;   in Loop: Header=BB72_6 Depth=1
	global_load_dwordx2 v[4:5], v[18:19], off
.LBB72_29:                              ;   in Loop: Header=BB72_6 Depth=1
	s_or_b64 exec, exec, s[8:9]
	s_mov_b64 s[8:9], exec
	v_readlane_b32 s10, v58, 32
	v_readlane_b32 s11, v58, 33
	s_and_b64 s[10:11], s[8:9], s[10:11]
	s_mov_b64 exec, s[10:11]
	s_cbranch_execz .LBB72_34
; %bb.30:                               ;   in Loop: Header=BB72_6 Depth=1
	v_readlane_b32 s10, v58, 28
	v_readlane_b32 s11, v58, 29
	;; [unrolled: 1-line block ×3, first 2 shown]
	s_mov_b64 s[16:17], 0
	v_mov_b32_e32 v10, v36
	v_mov_b32_e32 v13, v0
	s_nop 0
	global_load_ushort v2, v21, s[10:11]
	s_waitcnt vmcnt(0)
	v_add_u32_e32 v8, v0, v2
	v_lshlrev_b32_e32 v11, 3, v2
	v_mul_lo_u32 v12, s5, v2
	v_mul_lo_u32 v20, s5, v8
	s_branch .LBB72_32
.LBB72_31:                              ;   in Loop: Header=BB72_32 Depth=2
	s_or_b64 exec, exec, s[20:21]
	s_and_b64 s[10:11], exec, vcc
	s_or_b64 s[16:17], s[10:11], s[16:17]
	ds_write_b64 v10, v[4:5]
	v_add_u32_e32 v10, v10, v11
	v_add_u32_e32 v20, v20, v12
	s_waitcnt vmcnt(0)
	v_pk_mov_b32 v[4:5], v[8:9], v[8:9] op_sel:[0,1]
	s_andn2_b64 exec, exec, s[16:17]
	s_cbranch_execz .LBB72_34
.LBB72_32:                              ;   Parent Loop BB72_6 Depth=1
                                        ; =>  This Inner Loop Header: Depth=2
	v_add_u32_e32 v13, v13, v2
	v_cmp_gt_u32_e64 s[18:19], s60, v13
	v_cmp_le_u32_e32 vcc, s60, v13
	v_pk_mov_b32 v[8:9], 0, 0
	s_and_saveexec_b64 s[20:21], s[18:19]
	s_cbranch_execz .LBB72_31
; %bb.33:                               ;   in Loop: Header=BB72_32 Depth=2
	v_lshlrev_b64 v[8:9], 3, v[20:21]
	v_mov_b32_e32 v14, s76
	v_add_co_u32_e64 v8, s[18:19], s33, v8
	v_addc_co_u32_e64 v9, s[18:19], v14, v9, s[18:19]
	global_load_dwordx2 v[8:9], v[8:9], off
	s_branch .LBB72_31
.LBB72_34:                              ;   in Loop: Header=BB72_6 Depth=1
	s_or_b64 exec, exec, s[8:9]
	s_waitcnt lgkmcnt(0)
	s_barrier
	s_mov_b64 s[8:9], exec
	v_readlane_b32 s10, v58, 16
	v_readlane_b32 s11, v58, 17
	s_and_b64 s[10:11], s[8:9], s[10:11]
	s_mov_b64 exec, s[10:11]
	s_cbranch_execz .LBB72_36
; %bb.35:                               ;   in Loop: Header=BB72_6 Depth=1
	v_mov_b32_e32 v2, s60
	ds_write_b32 v21, v2 offset:4096
.LBB72_36:                              ;   in Loop: Header=BB72_6 Depth=1
	s_or_b64 exec, exec, s[8:9]
	s_mov_b64 s[8:9], -1
	s_waitcnt lgkmcnt(0)
	s_barrier
                                        ; implicit-def: $sgpr5
.LBB72_37:                              ;   in Loop: Header=BB72_6 Depth=1
	s_and_b64 vcc, exec, s[8:9]
	s_cbranch_vccz .LBB72_39
; %bb.38:                               ;   in Loop: Header=BB72_6 Depth=1
	ds_read_b32 v2, v21 offset:4096
	s_waitcnt lgkmcnt(0)
	v_readfirstlane_b32 s5, v2
.LBB72_39:                              ;   in Loop: Header=BB72_6 Depth=1
	s_cmp_lt_i32 s5, 1
	s_cbranch_scc0 .LBB72_51
; %bb.40:                               ;   in Loop: Header=BB72_6 Depth=1
	v_mov_b32_e32 v8, 0
	s_mov_b32 s8, 0
	v_mov_b32_e32 v9, 0
	v_mov_b32_e32 v10, v8
	;; [unrolled: 1-line block ×3, first 2 shown]
	s_mov_b64 s[48:49], exec
	v_readlane_b32 s10, v58, 47
	v_readlane_b32 s11, v58, 48
	s_and_b64 s[10:11], s[48:49], s[10:11]
	s_mov_b64 exec, s[10:11]
	s_cbranch_execz .LBB72_44
; %bb.41:                               ;   in Loop: Header=BB72_6 Depth=1
	s_and_b32 s9, s73, 0xfe
	s_mov_b64 s[50:51], 0
	s_mov_b32 s10, 0
	s_mov_b32 s11, 0
	;; [unrolled: 1-line block ×4, first 2 shown]
	v_mov_b32_e32 v2, v34
.LBB72_42:                              ;   Parent Loop BB72_6 Depth=1
                                        ; =>  This Inner Loop Header: Depth=2
	v_add_u32_e32 v20, s8, v42
	v_lshlrev_b64 v[12:13], 3, v[20:21]
	s_waitcnt vmcnt(0)
	v_mov_b32_e32 v4, s76
	v_add_u32_e32 v20, s8, v39
	v_add_co_u32_e64 v12, s[18:19], s33, v12
	v_lshlrev_b64 v[14:15], 3, v[20:21]
	v_addc_co_u32_e64 v13, s[18:19], v4, v13, s[18:19]
	v_add_u32_e32 v20, s8, v40
	v_add_co_u32_e64 v14, s[18:19], s33, v14
	v_lshlrev_b64 v[30:31], 3, v[20:21]
	v_addc_co_u32_e64 v15, s[18:19], v4, v15, s[18:19]
	v_add_u32_e32 v20, s8, v41
	v_add_co_u32_e64 v30, s[18:19], s33, v30
	global_load_dwordx2 v[12:13], v[12:13], off
	v_lshlrev_b64 v[32:33], 3, v[20:21]
	global_load_dwordx2 v[14:15], v[14:15], off
	v_addc_co_u32_e64 v31, s[18:19], v4, v31, s[18:19]
	global_load_dwordx2 v[30:31], v[30:31], off
	v_add_co_u32_e64 v32, s[18:19], s33, v32
	v_addc_co_u32_e64 v33, s[18:19], v4, v33, s[18:19]
	global_load_dwordx2 v[32:33], v[32:33], off
	v_mov_b32_e32 v11, v21
	v_mov_b32_e32 v9, v21
	;; [unrolled: 1-line block ×3, first 2 shown]
	v_add_u32_e32 v2, s79, v2
	v_cmp_le_u32_e32 vcc, s13, v2
	s_add_i32 s8, s8, s7
	s_waitcnt vmcnt(3)
	v_ashrrev_i32_e32 v4, 31, v13
	v_or_b32_e32 v8, 0x80000000, v4
	s_waitcnt vmcnt(2)
	v_ashrrev_i32_e32 v10, 31, v15
	v_xor_b32_e32 v4, v4, v12
	v_cmp_o_f64_e64 s[18:19], v[12:13], v[12:13]
	v_xor_b32_e32 v8, v8, v13
	v_or_b32_e32 v20, 0x80000000, v10
	s_waitcnt vmcnt(1)
	v_ashrrev_i32_e32 v48, 31, v31
	v_xor_b32_e32 v10, v10, v14
	v_cndmask_b32_e64 v12, -1, v4, s[18:19]
	v_cmp_o_f64_e64 s[20:21], v[14:15], v[14:15]
	v_cndmask_b32_e64 v13, -1, v8, s[18:19]
	v_xor_b32_e32 v4, v20, v15
	v_or_b32_e32 v8, 0x80000000, v48
	s_waitcnt vmcnt(0)
	v_ashrrev_i32_e32 v49, 31, v33
	v_xor_b32_e32 v20, v48, v30
	v_cndmask_b32_e64 v14, -1, v10, s[20:21]
	v_and_b32_e32 v48, v12, v28
	v_cmp_o_f64_e64 s[18:19], v[30:31], v[30:31]
	v_cndmask_b32_e64 v15, -1, v4, s[20:21]
	v_xor_b32_e32 v4, v8, v31
	v_or_b32_e32 v8, 0x80000000, v49
	v_xor_b32_e32 v10, v49, v32
	v_and_b32_e32 v49, v13, v29
	v_lshrrev_b64 v[12:13], s9, v[12:13]
	v_cndmask_b32_e64 v30, -1, v20, s[18:19]
	v_and_b32_e32 v20, 3, v12
	v_cmp_o_f64_e64 s[20:21], v[32:33], v[32:33]
	v_cndmask_b32_e64 v31, -1, v4, s[18:19]
	v_cmp_eq_u64_e64 s[18:19], v[48:49], v[26:27]
	v_lshrrev_b64 v[12:13], s9, v[14:15]
	v_cmp_eq_u64_e64 s[22:23], 0, v[20:21]
	v_and_b32_e32 v50, v14, v28
	v_xor_b32_e32 v4, v8, v33
	v_cndmask_b32_e64 v14, -1, v10, s[20:21]
	v_and_b32_e32 v10, 3, v12
	v_cmp_eq_u64_e64 s[24:25], 1, v[20:21]
	s_and_b64 s[22:23], s[18:19], s[22:23]
	v_and_b32_e32 v51, v15, v29
	v_cndmask_b32_e64 v15, -1, v4, s[20:21]
	v_lshrrev_b64 v[12:13], s9, v[30:31]
	v_cmp_eq_u64_e64 s[26:27], 2, v[20:21]
	v_cmp_eq_u64_e64 s[34:35], 0, v[10:11]
	;; [unrolled: 1-line block ×5, first 2 shown]
	v_cndmask_b32_e64 v10, 0, 1, s[22:23]
	s_and_b64 s[22:23], s[18:19], s[24:25]
	v_and_b32_e32 v32, v30, v28
	v_cmp_eq_u64_e64 s[20:21], v[50:51], v[26:27]
	v_and_b32_e32 v33, v31, v29
	v_and_b32_e32 v8, 3, v12
	v_lshrrev_b64 v[12:13], s9, v[14:15]
	v_cndmask_b32_e64 v11, 0, 1, s[22:23]
	s_and_b64 s[22:23], s[18:19], s[26:27]
	v_cmp_eq_u64_e64 s[28:29], 3, v[20:21]
	v_cmp_eq_u64_e64 s[30:31], v[32:33], v[26:27]
	v_cndmask_b32_e64 v13, 0, 1, s[22:23]
	v_cmp_eq_u64_e64 s[22:23], 0, v[8:9]
	s_and_b64 s[34:35], s[20:21], s[34:35]
	s_and_b64 s[36:37], s[20:21], s[36:37]
	v_and_b32_e32 v30, v14, v28
	v_and_b32_e32 v31, v15, v29
	s_and_b64 s[18:19], s[18:19], s[28:29]
	v_and_b32_e32 v4, 3, v12
	v_cmp_eq_u64_e64 s[24:25], 1, v[8:9]
	v_cmp_eq_u64_e64 s[26:27], 2, v[8:9]
	;; [unrolled: 1-line block ×3, first 2 shown]
	v_cmp_ne_u32_e64 s[42:43], 0, v10
	v_cndmask_b32_e64 v8, 0, 1, s[34:35]
	v_cmp_ne_u32_e64 s[34:35], 0, v11
	v_cndmask_b32_e64 v9, 0, 1, s[36:37]
	s_and_b64 s[38:39], s[20:21], s[38:39]
	s_and_b64 s[20:21], s[20:21], s[40:41]
	;; [unrolled: 1-line block ×3, first 2 shown]
	v_cndmask_b32_e64 v14, 0, 1, s[18:19]
	v_cmp_eq_u64_e64 s[18:19], v[30:31], v[26:27]
	v_cmp_ne_u32_e64 s[36:37], 0, v13
	v_cndmask_b32_e64 v11, 0, 1, s[20:21]
	v_cmp_eq_u64_e64 s[20:21], 0, v[4:5]
	v_cmp_eq_u64_e64 s[40:41], 1, v[4:5]
	;; [unrolled: 1-line block ×4, first 2 shown]
	s_bcnt1_i32_b64 s52, s[42:43]
	v_cndmask_b32_e64 v4, 0, 1, s[22:23]
	s_bcnt1_i32_b64 s34, s[34:35]
	v_cmp_ne_u32_e64 s[22:23], 0, v9
	s_and_b64 s[24:25], s[30:31], s[24:25]
	s_and_b64 s[26:27], s[30:31], s[26:27]
	v_cndmask_b32_e64 v10, 0, 1, s[38:39]
	v_cmp_ne_u32_e64 s[38:39], 0, v14
	v_cmp_ne_u32_e64 s[42:43], 0, v8
	v_cndmask_b32_e64 v5, 0, 1, s[24:25]
	s_bcnt1_i32_b64 s35, s[36:37]
	v_cndmask_b32_e64 v8, 0, 1, s[26:27]
	s_and_b64 s[28:29], s[30:31], s[28:29]
	s_and_b64 s[20:21], s[18:19], s[20:21]
	s_add_i32 s31, s17, s52
	s_bcnt1_i32_b64 s37, s[22:23]
	s_and_b64 s[22:23], s[18:19], s[40:41]
	s_add_i32 s34, s16, s34
	s_and_b64 s[16:17], s[18:19], s[44:45]
	v_cmp_ne_u32_e64 s[24:25], 0, v10
	s_bcnt1_i32_b64 s36, s[38:39]
	v_cmp_ne_u32_e64 s[26:27], 0, v11
	v_cndmask_b32_e64 v9, 0, 1, s[28:29]
	v_cmp_ne_u32_e64 s[28:29], 0, v4
	v_cndmask_b32_e64 v4, 0, 1, s[20:21]
	;; [unrolled: 2-line block ×4, first 2 shown]
	s_and_b64 s[16:17], s[18:19], s[46:47]
	s_bcnt1_i32_b64 s30, s[42:43]
	s_bcnt1_i32_b64 s38, s[24:25]
	s_add_i32 s11, s11, s35
	s_bcnt1_i32_b64 s26, s[26:27]
	v_cmp_ne_u32_e64 s[24:25], 0, v9
	v_cndmask_b32_e64 v9, 0, 1, s[16:17]
	s_add_i32 s10, s10, s36
	s_bcnt1_i32_b64 s16, s[28:29]
	v_cmp_ne_u32_e64 s[18:19], 0, v4
	s_add_i32 s17, s31, s30
	s_bcnt1_i32_b64 s27, s[20:21]
	v_cmp_ne_u32_e64 s[20:21], 0, v5
	;; [unrolled: 3-line block ×4, first 2 shown]
	s_add_i32 s10, s10, s26
	s_bcnt1_i32_b64 s18, s[18:19]
	s_add_i32 s16, s17, s16
	s_bcnt1_i32_b64 s19, s[20:21]
	;; [unrolled: 2-line block ×4, first 2 shown]
	s_add_i32 s10, s10, s30
	s_add_i32 s17, s16, s18
	s_add_i32 s16, s20, s19
	s_add_i32 s11, s11, s21
	s_add_i32 s10, s10, s22
	s_or_b64 s[50:51], vcc, s[50:51]
	v_mov_b32_e32 v8, s17
	v_mov_b32_e32 v9, s16
	;; [unrolled: 1-line block ×4, first 2 shown]
	s_andn2_b64 exec, exec, s[50:51]
	s_cbranch_execnz .LBB72_42
; %bb.43:                               ;   in Loop: Header=BB72_6 Depth=1
	s_or_b64 exec, exec, s[50:51]
.LBB72_44:                              ;   in Loop: Header=BB72_6 Depth=1
	s_or_b64 exec, exec, s[48:49]
	v_pk_mov_b32 v[12:13], 0, 0
	s_and_saveexec_b64 s[8:9], s[14:15]
	s_cbranch_execz .LBB72_46
; %bb.45:                               ;   in Loop: Header=BB72_6 Depth=1
	global_load_dwordx2 v[12:13], v[24:25], off
.LBB72_46:                              ;   in Loop: Header=BB72_6 Depth=1
	s_or_b64 exec, exec, s[8:9]
	s_mov_b64 s[16:17], 0
	s_mov_b64 s[80:81], 0
	s_and_saveexec_b64 s[20:21], s[14:15]
	s_cbranch_execz .LBB72_53
; %bb.47:                               ;   in Loop: Header=BB72_6 Depth=1
	s_and_b32 s10, s73, 0xfe
	s_mov_b64 s[8:9], 0
	s_waitcnt vmcnt(0)
	v_mov_b32_e32 v4, v43
	v_mov_b32_e32 v2, v38
	s_branch .LBB72_49
.LBB72_48:                              ;   in Loop: Header=BB72_49 Depth=2
	s_or_b64 exec, exec, s[22:23]
	v_ashrrev_i32_e32 v5, 31, v13
	v_or_b32_e32 v20, 0x80000000, v5
	s_and_b64 s[18:19], exec, vcc
	v_xor_b32_e32 v20, v20, v13
	v_xor_b32_e32 v5, v5, v12
	v_cmp_o_f64_e32 vcc, v[12:13], v[12:13]
	v_cndmask_b32_e32 v13, -1, v20, vcc
	v_cndmask_b32_e32 v12, -1, v5, vcc
	v_and_b32_e32 v31, v13, v29
	v_and_b32_e32 v30, v12, v28
	v_lshrrev_b64 v[12:13], s10, v[12:13]
	v_and_b32_e32 v20, 3, v12
	s_or_b64 s[8:9], s[18:19], s[8:9]
	v_cmp_eq_u64_e32 vcc, v[30:31], v[26:27]
	v_cmp_eq_u64_e64 s[18:19], 0, v[20:21]
	s_and_b64 s[18:19], vcc, s[18:19]
	v_cndmask_b32_e64 v5, 0, 1, s[18:19]
	v_cmp_ne_u32_e64 s[18:19], 0, v5
	s_bcnt1_i32_b64 s11, s[18:19]
	v_cmp_eq_u64_e64 s[18:19], 1, v[20:21]
	s_and_b64 s[18:19], vcc, s[18:19]
	v_cndmask_b32_e64 v5, 0, 1, s[18:19]
	v_cmp_ne_u32_e64 s[18:19], 0, v5
	v_add_u32_e32 v8, s11, v8
	s_bcnt1_i32_b64 s11, s[18:19]
	v_cmp_eq_u64_e64 s[18:19], 2, v[20:21]
	s_and_b64 s[18:19], vcc, s[18:19]
	v_cndmask_b32_e64 v5, 0, 1, s[18:19]
	v_cmp_ne_u32_e64 s[18:19], 0, v5
	v_add_u32_e32 v9, s11, v9
	s_bcnt1_i32_b64 s11, s[18:19]
	v_cmp_eq_u64_e64 s[18:19], 3, v[20:21]
	s_and_b64 s[18:19], vcc, s[18:19]
	v_cndmask_b32_e64 v5, 0, 1, s[18:19]
	v_cmp_ne_u32_e32 vcc, 0, v5
	v_add_u32_e32 v10, s11, v10
	s_bcnt1_i32_b64 s11, vcc
	v_add_u32_e32 v11, s11, v11
	v_add_u32_e32 v4, s78, v4
	s_waitcnt vmcnt(0)
	v_pk_mov_b32 v[12:13], v[14:15], v[14:15] op_sel:[0,1]
	s_andn2_b64 exec, exec, s[8:9]
	s_cbranch_execz .LBB72_52
.LBB72_49:                              ;   Parent Loop BB72_6 Depth=1
                                        ; =>  This Inner Loop Header: Depth=2
	v_add_u32_e32 v2, s77, v2
	v_cmp_gt_u32_e64 s[18:19], s60, v2
	v_cmp_le_u32_e32 vcc, s60, v2
	v_pk_mov_b32 v[14:15], 0, 0
	s_and_saveexec_b64 s[22:23], s[18:19]
	s_cbranch_execz .LBB72_48
; %bb.50:                               ;   in Loop: Header=BB72_49 Depth=2
	v_mov_b32_e32 v5, v21
	v_lshlrev_b64 v[14:15], 3, v[4:5]
	v_mov_b32_e32 v5, s76
	v_add_co_u32_e64 v14, s[18:19], s33, v14
	v_addc_co_u32_e64 v15, s[18:19], v5, v15, s[18:19]
	global_load_dwordx2 v[14:15], v[14:15], off
	s_branch .LBB72_48
.LBB72_51:                              ;   in Loop: Header=BB72_6 Depth=1
	s_mov_b64 s[80:81], 0
                                        ; implicit-def: $vgpr11
	s_cbranch_execnz .LBB72_54
	s_branch .LBB72_63
.LBB72_52:                              ;   in Loop: Header=BB72_6 Depth=1
	s_or_b64 exec, exec, s[8:9]
	s_mov_b64 s[80:81], exec
.LBB72_53:                              ;   in Loop: Header=BB72_6 Depth=1
	s_or_b64 exec, exec, s[20:21]
	s_and_b64 vcc, exec, s[16:17]
	s_cbranch_vccz .LBB72_63
.LBB72_54:                              ;   in Loop: Header=BB72_6 Depth=1
	v_readlane_b32 s8, v58, 46
	s_mul_hi_u32 s8, s5, s8
	s_mul_i32 s8, s8, s79
	s_sub_i32 s8, s5, s8
	s_sub_i32 s9, s8, s79
	s_cmp_ge_u32 s8, s79
	s_cselect_b32 s8, s9, s8
	s_sub_i32 s9, s8, s79
	s_cmp_ge_u32 s8, s79
	s_cselect_b32 s8, s9, s8
	s_sub_i32 s8, s5, s8
	v_cmp_gt_u32_e32 vcc, s8, v34
	s_mov_b32 s9, 0
	v_mov_b32_e32 v8, 0
	v_mov_b32_e32 v9, 0
	;; [unrolled: 1-line block ×4, first 2 shown]
	s_and_saveexec_b64 s[82:83], vcc
	s_cbranch_execz .LBB72_58
; %bb.55:                               ;   in Loop: Header=BB72_6 Depth=1
	s_and_b32 s10, s73, 0xfe
	s_mov_b64 s[16:17], 0
	v_mov_b32_e32 v2, v44
	s_mov_b32 s11, 0
	s_mov_b32 s62, 0
	;; [unrolled: 1-line block ×3, first 2 shown]
	v_mov_b32_e32 v48, v34
.LBB72_56:                              ;   Parent Loop BB72_6 Depth=1
                                        ; =>  This Inner Loop Header: Depth=2
	s_waitcnt vmcnt(0)
	ds_read_b128 v[12:15], v2
	ds_read_b128 v[8:11], v2 offset:16
	v_mov_b32_e32 v5, v21
	v_mov_b32_e32 v31, v21
	;; [unrolled: 1-line block ×3, first 2 shown]
	s_waitcnt lgkmcnt(1)
	v_ashrrev_i32_e32 v4, 31, v13
	v_ashrrev_i32_e32 v20, 31, v15
	s_waitcnt lgkmcnt(0)
	v_ashrrev_i32_e32 v30, 31, v9
	v_ashrrev_i32_e32 v32, 31, v11
	v_xor_b32_e32 v49, v20, v14
	v_cmp_o_f64_e64 s[18:19], v[14:15], v[14:15]
	v_xor_b32_e32 v14, v30, v8
	v_cmp_o_f64_e64 s[20:21], v[8:9], v[8:9]
	v_or_b32_e32 v8, 0x80000000, v4
	v_xor_b32_e32 v50, v32, v10
	v_cmp_o_f64_e64 s[22:23], v[10:11], v[10:11]
	v_xor_b32_e32 v4, v4, v12
	v_or_b32_e32 v10, 0x80000000, v20
	v_or_b32_e32 v20, 0x80000000, v30
	v_cmp_o_f64_e64 s[24:25], v[12:13], v[12:13]
	v_xor_b32_e32 v13, v8, v13
	v_or_b32_e32 v30, 0x80000000, v32
	v_xor_b32_e32 v15, v10, v15
	v_xor_b32_e32 v20, v20, v9
	v_cndmask_b32_e64 v8, -1, v4, s[24:25]
	v_cndmask_b32_e64 v9, -1, v13, s[24:25]
	v_xor_b32_e32 v30, v30, v11
	v_cndmask_b32_e64 v10, -1, v49, s[18:19]
	v_cndmask_b32_e64 v12, -1, v14, s[20:21]
	;; [unrolled: 1-line block ×4, first 2 shown]
	v_and_b32_e32 v50, v8, v28
	v_and_b32_e32 v51, v9, v29
	v_lshrrev_b64 v[8:9], s10, v[8:9]
	v_cndmask_b32_e64 v13, -1, v20, s[20:21]
	v_and_b32_e32 v52, v10, v28
	v_and_b32_e32 v53, v11, v29
	v_lshrrev_b64 v[10:11], s10, v[10:11]
	v_and_b32_e32 v20, 3, v8
	v_cndmask_b32_e64 v15, -1, v30, s[22:23]
	v_and_b32_e32 v54, v12, v28
	v_and_b32_e32 v55, v13, v29
	v_lshrrev_b64 v[12:13], s10, v[12:13]
	v_cmp_eq_u64_e64 s[18:19], v[50:51], v[26:27]
	v_and_b32_e32 v4, 3, v10
	v_cmp_eq_u64_e64 s[26:27], 0, v[20:21]
	v_and_b32_e32 v56, v14, v28
	v_and_b32_e32 v57, v15, v29
	v_lshrrev_b64 v[14:15], s10, v[14:15]
	v_cmp_eq_u64_e64 s[20:21], v[52:53], v[26:27]
	v_and_b32_e32 v30, 3, v12
	v_cmp_eq_u64_e64 s[28:29], 0, v[4:5]
	s_and_b64 s[26:27], s[18:19], s[26:27]
	v_cmp_eq_u64_e64 s[22:23], v[54:55], v[26:27]
	v_and_b32_e32 v32, 3, v14
	v_cmp_eq_u64_e64 s[30:31], 0, v[30:31]
	v_cmp_eq_u64_e64 s[38:39], 1, v[4:5]
	;; [unrolled: 1-line block ×4, first 2 shown]
	v_cndmask_b32_e64 v4, 0, 1, s[26:27]
	s_and_b64 s[26:27], s[20:21], s[28:29]
	v_cmp_eq_u64_e64 s[24:25], v[56:57], v[26:27]
	v_cmp_eq_u64_e64 s[34:35], 0, v[32:33]
	v_cndmask_b32_e64 v5, 0, 1, s[26:27]
	s_and_b64 s[26:27], s[22:23], s[30:31]
	v_cmp_eq_u64_e64 s[36:37], 1, v[20:21]
	v_cndmask_b32_e64 v8, 0, 1, s[26:27]
	s_and_b64 s[26:27], s[24:25], s[34:35]
	v_cndmask_b32_e64 v9, 0, 1, s[26:27]
	s_and_b64 s[26:27], s[18:19], s[36:37]
	v_cmp_eq_u64_e64 s[40:41], 1, v[30:31]
	v_cndmask_b32_e64 v10, 0, 1, s[26:27]
	s_and_b64 s[26:27], s[20:21], s[38:39]
	v_cmp_eq_u64_e64 s[42:43], 1, v[32:33]
	;; [unrolled: 3-line block ×3, first 2 shown]
	v_cmp_eq_u64_e64 s[52:53], 3, v[20:21]
	v_cndmask_b32_e64 v12, 0, 1, s[26:27]
	s_and_b64 s[26:27], s[24:25], s[42:43]
	v_cndmask_b32_e64 v13, 0, 1, s[26:27]
	s_and_b64 s[26:27], s[18:19], s[44:45]
	s_and_b64 s[18:19], s[18:19], s[52:53]
	v_cmp_eq_u64_e64 s[48:49], 2, v[30:31]
	v_cmp_eq_u64_e64 s[56:57], 3, v[30:31]
	v_cndmask_b32_e64 v14, 0, 1, s[26:27]
	s_and_b64 s[26:27], s[20:21], s[46:47]
	v_cndmask_b32_e64 v31, 0, 1, s[18:19]
	s_and_b64 s[18:19], s[20:21], s[54:55]
	v_cmp_eq_u64_e64 s[50:51], 2, v[32:33]
	v_cmp_eq_u64_e64 s[58:59], 3, v[32:33]
	v_cndmask_b32_e64 v15, 0, 1, s[26:27]
	s_and_b64 s[26:27], s[22:23], s[48:49]
	v_cndmask_b32_e64 v32, 0, 1, s[18:19]
	s_and_b64 s[18:19], s[22:23], s[56:57]
	;; [unrolled: 2-line block ×4, first 2 shown]
	v_cndmask_b32_e64 v30, 0, 1, s[26:27]
	v_cndmask_b32_e64 v49, 0, 1, s[18:19]
	v_cmp_ne_u32_e64 s[18:19], 0, v4
	v_cmp_ne_u32_e64 s[20:21], 0, v5
	;; [unrolled: 1-line block ×11, first 2 shown]
	s_bcnt1_i32_b64 s18, s[18:19]
	s_bcnt1_i32_b64 s19, s[20:21]
	;; [unrolled: 1-line block ×8, first 2 shown]
	v_cmp_ne_u32_e64 s[34:35], 0, v13
	v_cmp_ne_u32_e64 s[40:41], 0, v20
	;; [unrolled: 1-line block ×3, first 2 shown]
	s_bcnt1_i32_b64 s23, s[28:29]
	s_bcnt1_i32_b64 s27, s[38:39]
	;; [unrolled: 1-line block ×3, first 2 shown]
	s_add_i32 s18, s63, s18
	s_add_i32 s22, s62, s22
	;; [unrolled: 1-line block ×4, first 2 shown]
	v_cmp_ne_u32_e64 s[42:43], 0, v30
	v_cmp_ne_u32_e64 s[50:51], 0, v49
	s_bcnt1_i32_b64 s25, s[34:35]
	s_bcnt1_i32_b64 s28, s[40:41]
	;; [unrolled: 1-line block ×3, first 2 shown]
	s_add_i32 s18, s18, s19
	s_add_i32 s19, s22, s23
	;; [unrolled: 1-line block ×4, first 2 shown]
	v_add_u32_e32 v48, s79, v48
	s_bcnt1_i32_b64 s29, s[42:43]
	s_bcnt1_i32_b64 s35, s[50:51]
	s_add_i32 s18, s18, s20
	s_add_i32 s19, s19, s24
	;; [unrolled: 1-line block ×4, first 2 shown]
	v_cmp_le_u32_e32 vcc, s8, v48
	s_add_i32 s63, s18, s21
	s_add_i32 s62, s19, s25
	;; [unrolled: 1-line block ×4, first 2 shown]
	v_add_u32_e32 v2, s12, v2
	s_or_b64 s[16:17], vcc, s[16:17]
	v_mov_b32_e32 v8, s63
	v_mov_b32_e32 v9, s62
	;; [unrolled: 1-line block ×4, first 2 shown]
	s_andn2_b64 exec, exec, s[16:17]
	s_cbranch_execnz .LBB72_56
; %bb.57:                               ;   in Loop: Header=BB72_6 Depth=1
	s_or_b64 exec, exec, s[16:17]
.LBB72_58:                              ;   in Loop: Header=BB72_6 Depth=1
	s_or_b64 exec, exec, s[82:83]
	v_add_u32_e32 v2, s8, v0
	v_cmp_gt_u32_e32 vcc, s5, v2
	s_and_saveexec_b64 s[16:17], vcc
	s_cbranch_execz .LBB72_62
; %bb.59:                               ;   in Loop: Header=BB72_6 Depth=1
	s_and_b32 s8, s73, 0xfe
	s_waitcnt vmcnt(0)
	v_lshlrev_b32_e32 v4, 3, v2
	s_mov_b64 s[28:29], 0
.LBB72_60:                              ;   Parent Loop BB72_6 Depth=1
                                        ; =>  This Inner Loop Header: Depth=2
	ds_read_b64 v[12:13], v4
	v_add_u32_e32 v2, s77, v2
	v_cmp_le_u32_e32 vcc, s5, v2
	v_add_u32_e32 v4, s72, v4
	s_waitcnt lgkmcnt(0)
	v_ashrrev_i32_e32 v5, 31, v13
	v_or_b32_e32 v14, 0x80000000, v5
	v_xor_b32_e32 v5, v5, v12
	v_cmp_o_f64_e64 s[18:19], v[12:13], v[12:13]
	v_xor_b32_e32 v13, v14, v13
	v_cndmask_b32_e64 v12, -1, v5, s[18:19]
	v_cndmask_b32_e64 v13, -1, v13, s[18:19]
	v_and_b32_e32 v14, v12, v28
	v_and_b32_e32 v15, v13, v29
	v_lshrrev_b64 v[12:13], s8, v[12:13]
	v_and_b32_e32 v20, 3, v12
	v_cmp_eq_u64_e64 s[18:19], v[14:15], v[26:27]
	v_cmp_eq_u64_e64 s[20:21], 0, v[20:21]
	;; [unrolled: 1-line block ×3, first 2 shown]
	s_and_b64 s[10:11], s[18:19], s[20:21]
	v_cmp_eq_u64_e64 s[24:25], 2, v[20:21]
	v_cndmask_b32_e64 v5, 0, 1, s[10:11]
	s_and_b64 s[10:11], s[18:19], s[22:23]
	v_cmp_eq_u64_e64 s[26:27], 3, v[20:21]
	v_cndmask_b32_e64 v12, 0, 1, s[10:11]
	s_and_b64 s[10:11], s[18:19], s[24:25]
	v_cndmask_b32_e64 v13, 0, 1, s[10:11]
	s_and_b64 s[10:11], s[18:19], s[26:27]
	v_cndmask_b32_e64 v14, 0, 1, s[10:11]
	v_cmp_ne_u32_e64 s[18:19], 0, v5
	v_cmp_ne_u32_e64 s[20:21], 0, v12
	;; [unrolled: 1-line block ×4, first 2 shown]
	s_bcnt1_i32_b64 s9, s[18:19]
	s_bcnt1_i32_b64 s10, s[20:21]
	;; [unrolled: 1-line block ×4, first 2 shown]
	v_add_u32_e32 v8, s9, v8
	v_add_u32_e32 v9, s10, v9
	;; [unrolled: 1-line block ×3, first 2 shown]
	s_or_b64 s[28:29], vcc, s[28:29]
	v_add_u32_e32 v11, s18, v11
	s_andn2_b64 exec, exec, s[28:29]
	s_cbranch_execnz .LBB72_60
; %bb.61:                               ;   in Loop: Header=BB72_6 Depth=1
	s_or_b64 exec, exec, s[28:29]
	s_or_b64 s[80:81], s[80:81], exec
.LBB72_62:                              ;   in Loop: Header=BB72_6 Depth=1
	s_or_b64 exec, exec, s[16:17]
.LBB72_63:                              ;   in Loop: Header=BB72_6 Depth=1
	s_and_saveexec_b64 s[8:9], s[80:81]
	s_or_b64 exec, exec, s[8:9]
	s_lshl_b32 s5, s4, 6
	s_and_saveexec_b64 s[8:9], s[0:1]
	s_cbranch_execz .LBB72_65
; %bb.64:                               ;   in Loop: Header=BB72_6 Depth=1
	v_or_b32_e32 v2, s5, v35
	v_lshlrev_b32_e32 v2, 2, v2
	ds_write_b128 v2, v[8:11] offset:3072
.LBB72_65:                              ;   in Loop: Header=BB72_6 Depth=1
	s_or_b64 exec, exec, s[8:9]
	s_waitcnt lgkmcnt(0)
	s_barrier
	s_and_saveexec_b64 s[16:17], s[74:75]
	s_cbranch_execz .LBB72_79
; %bb.66:                               ;   in Loop: Header=BB72_6 Depth=1
	v_readlane_b32 s8, v58, 25
	v_readlane_b32 s9, v58, 26
	v_add_u32_e32 v2, s5, v1
	s_andn2_b64 vcc, exec, s[8:9]
	s_waitcnt vmcnt(0)
	v_mov_b32_e32 v4, 0
	s_cbranch_vccnz .LBB72_78
; %bb.67:                               ;   in Loop: Header=BB72_6 Depth=1
	v_readlane_b32 s8, v58, 30
	v_readlane_b32 s9, v58, 31
	s_mov_b32 s10, 0
	s_and_b64 vcc, exec, s[8:9]
	v_mov_b32_e32 v4, 0
	s_cbranch_vccz .LBB72_71
; %bb.68:                               ;   in Loop: Header=BB72_6 Depth=1
	v_readlane_b32 s8, v58, 36
	v_readlane_b32 s10, v58, 10
	;; [unrolled: 1-line block ×3, first 2 shown]
	v_lshl_add_u32 v8, v2, 2, v46
	v_readlane_b32 s11, v58, 11
	s_andn2_b64 vcc, exec, s[8:9]
	s_cbranch_vccnz .LBB72_72
; %bb.69:                               ;   in Loop: Header=BB72_6 Depth=1
	s_mov_b32 s19, 1
	s_mov_b32 s18, 0
	v_mov_b32_e32 v4, 0
	v_readlane_b32 s8, v58, 38
	v_mov_b32_e32 v5, 0
.LBB72_70:                              ;   Parent Loop BB72_6 Depth=1
                                        ; =>  This Inner Loop Header: Depth=2
	v_lshl_add_u32 v9, s18, 4, v8
	v_lshl_add_u32 v20, s19, 4, v8
	ds_read2_b32 v[10:11], v9 offset1:8
	ds_read2_b32 v[12:13], v20 offset1:8
	ds_read2_b32 v[14:15], v9 offset0:16 offset1:24
	ds_read2_b32 v[30:31], v20 offset0:16 offset1:24
	;; [unrolled: 1-line block ×6, first 2 shown]
	s_waitcnt lgkmcnt(7)
	v_add3_u32 v4, v10, v4, v11
	s_waitcnt lgkmcnt(6)
	v_add3_u32 v5, v12, v5, v13
	;; [unrolled: 2-line block ×3, first 2 shown]
	v_add3_u32 v4, v14, v4, v15
	s_add_i32 s19, s19, 16
	s_add_i32 s18, s18, 16
	s_add_i32 s8, s8, -8
	s_waitcnt lgkmcnt(3)
	v_add3_u32 v4, v32, v4, v33
	s_waitcnt lgkmcnt(2)
	v_add3_u32 v5, v48, v5, v49
	s_cmp_lg_u32 s8, 0
	s_waitcnt lgkmcnt(0)
	v_add3_u32 v5, v52, v5, v53
	v_add3_u32 v4, v50, v4, v51
	s_cbranch_scc1 .LBB72_70
	s_branch .LBB72_73
.LBB72_71:                              ;   in Loop: Header=BB72_6 Depth=1
	s_cbranch_execnz .LBB72_76
	s_branch .LBB72_78
.LBB72_72:                              ;   in Loop: Header=BB72_6 Depth=1
	s_mov_b32 s11, s10
	v_pk_mov_b32 v[4:5], s[10:11], s[10:11] op_sel:[0,1]
	s_mov_b32 s11, 1
	s_mov_b64 s[18:19], s[10:11]
.LBB72_73:                              ;   in Loop: Header=BB72_6 Depth=1
	v_readlane_b32 s8, v58, 40
	v_readlane_b32 s9, v58, 41
	s_andn2_b64 vcc, exec, s[8:9]
	v_readlane_b32 s8, v58, 39
	s_cbranch_vccnz .LBB72_75
.LBB72_74:                              ;   Parent Loop BB72_6 Depth=1
                                        ; =>  This Inner Loop Header: Depth=2
	v_lshl_add_u32 v9, s18, 4, v8
	v_lshl_add_u32 v10, s19, 4, v8
	ds_read_b32 v10, v10
	ds_read_b32 v9, v9
	s_add_i32 s19, s19, 2
	s_add_i32 s18, s18, 2
	s_add_i32 s8, s8, -1
	s_cmp_lg_u32 s8, 0
	s_waitcnt lgkmcnt(1)
	v_add_u32_e32 v5, v10, v5
	s_waitcnt lgkmcnt(0)
	v_add_u32_e32 v4, v9, v4
	s_cbranch_scc1 .LBB72_74
.LBB72_75:                              ;   in Loop: Header=BB72_6 Depth=1
	v_writelane_b32 v58, s10, 10
	v_writelane_b32 v58, s11, 11
	v_readlane_b32 s8, v58, 44
	v_add_u32_e32 v4, v4, v5
	v_readlane_b32 s10, v58, 43
	v_readlane_b32 s9, v58, 45
	s_and_b64 vcc, exec, s[8:9]
	s_cbranch_vccz .LBB72_78
.LBB72_76:                              ;   in Loop: Header=BB72_6 Depth=1
	s_lshl_b32 s8, s4, 8
	s_lshl_b32 s9, s10, 4
	s_add_i32 s8, s8, s9
	v_add_u32_e32 v5, s8, v45
	v_readlane_b32 s8, v58, 42
	s_sub_i32 s8, s8, s10
.LBB72_77:                              ;   Parent Loop BB72_6 Depth=1
                                        ; =>  This Inner Loop Header: Depth=2
	ds_read_b32 v8, v5
	s_add_i32 s8, s8, -1
	v_add_u32_e32 v5, 16, v5
	s_cmp_eq_u32 s8, 0
	s_waitcnt lgkmcnt(0)
	v_add_u32_e32 v4, v8, v4
	s_cbranch_scc0 .LBB72_77
.LBB72_78:                              ;   in Loop: Header=BB72_6 Depth=1
	v_lshlrev_b32_e32 v2, 2, v2
	ds_write_b32 v2, v4 offset:3072
.LBB72_79:                              ;   in Loop: Header=BB72_6 Depth=1
	s_or_b64 exec, exec, s[16:17]
	s_lshl_b32 s5, s5, 2
	v_mov_b32_e32 v2, s5
	s_waitcnt lgkmcnt(0)
	s_barrier
	ds_read_b128 v[8:11], v2 offset:3072
	s_and_b32 s59, s73, 0xfe
	v_readlane_b32 s8, v58, 21
	s_lshl_b64 s[22:23], 3, s59
	v_readlane_b32 s9, v58, 22
	s_waitcnt lgkmcnt(0)
	v_readfirstlane_b32 s5, v8
	v_readfirstlane_b32 s58, v9
	;; [unrolled: 1-line block ×4, first 2 shown]
	s_not_b64 s[24:25], s[22:23]
	s_andn2_b64 vcc, exec, s[8:9]
	v_cmp_eq_u32_e64 s[18:19], 1, v47
	s_cbranch_vccnz .LBB72_92
; %bb.80:                               ;   in Loop: Header=BB72_6 Depth=1
	s_cmp_eq_u32 s5, 1
	s_cselect_b64 s[8:9], -1, 0
	s_and_b64 s[16:17], s[8:9], s[18:19]
	s_mov_b64 s[8:9], -1
	s_waitcnt vmcnt(0)
	v_pk_mov_b32 v[12:13], v[26:27], v[26:27] op_sel:[0,1]
	v_pk_mov_b32 v[14:15], v[28:29], v[28:29] op_sel:[0,1]
	;; [unrolled: 1-line block ×3, first 2 shown]
                                        ; implicit-def: $sgpr26_sgpr27
                                        ; implicit-def: $sgpr34_sgpr35
                                        ; implicit-def: $sgpr30_sgpr31
	s_and_saveexec_b64 s[28:29], s[16:17]
	s_cbranch_execz .LBB72_108
; %bb.81:                               ;   in Loop: Header=BB72_6 Depth=1
	ds_read_b32 v2, v21 offset:4096
	s_waitcnt lgkmcnt(0)
	s_barrier
	v_readfirstlane_b32 s34, v2
	s_mov_b64 s[8:9], exec
	v_readlane_b32 s20, v58, 34
	v_readlane_b32 s21, v58, 35
	s_and_b64 s[20:21], s[8:9], s[20:21]
	s_mov_b64 exec, s[20:21]
	s_cbranch_execz .LBB72_83
; %bb.82:                               ;   in Loop: Header=BB72_6 Depth=1
	v_mov_b32_e32 v20, v21
	ds_write_b64 v37, v[20:21]
.LBB72_83:                              ;   in Loop: Header=BB72_6 Depth=1
	s_or_b64 exec, exec, s[8:9]
	v_and_b32_e32 v13, s25, v27
	v_and_b32_e32 v12, s24, v26
	v_or_b32_e32 v15, s23, v29
	v_or_b32_e32 v14, s22, v28
	s_cmp_eq_u32 s34, 0
	s_waitcnt lgkmcnt(0)
	s_barrier
	s_cbranch_scc1 .LBB72_94
; %bb.84:                               ;   in Loop: Header=BB72_6 Depth=1
	v_readlane_b32 s8, v58, 27
	s_add_i32 s8, s34, s8
	v_readlane_b32 s9, v58, 49
	s_mul_hi_u32 s9, s8, s9
	s_mul_i32 s9, s9, s77
	s_sub_i32 s9, s8, s9
	s_sub_i32 s20, s9, s77
	s_cmp_ge_u32 s9, s77
	s_cselect_b32 s9, s20, s9
	s_sub_i32 s20, s9, s77
	s_cmp_ge_u32 s9, s77
	s_cselect_b32 s9, s20, s9
	s_sub_i32 s35, s8, s9
	v_cmp_gt_u32_e32 vcc, s35, v0
	s_mov_b64 s[8:9], 0
                                        ; implicit-def: $vgpr10_vgpr11
	s_and_saveexec_b64 s[26:27], vcc
	s_cbranch_execz .LBB72_96
; %bb.85:                               ;   in Loop: Header=BB72_6 Depth=1
	s_mov_b64 s[30:31], 0
	v_mov_b32_e32 v20, v36
	v_mov_b32_e32 v30, v0
                                        ; implicit-def: $sgpr8_sgpr9
	s_branch .LBB72_87
.LBB72_86:                              ;   in Loop: Header=BB72_87 Depth=2
	s_or_b64 exec, exec, s[20:21]
	s_waitcnt lgkmcnt(0)
	s_barrier
	ds_read_b128 v[8:11], v21 offset:3072
	v_add_u32_e32 v30, s77, v30
	v_cmp_le_u32_e64 s[20:21], s35, v30
	v_add_u32_e32 v20, s72, v20
	s_waitcnt lgkmcnt(0)
	v_cmp_neq_f64_e32 vcc, 0, v[8:9]
	s_or_b64 s[20:21], s[20:21], vcc
	s_and_b64 s[20:21], exec, s[20:21]
	s_or_b64 s[30:31], s[20:21], s[30:31]
	s_andn2_b64 s[8:9], s[8:9], exec
	s_and_b64 s[20:21], vcc, exec
	s_or_b64 s[8:9], s[8:9], s[20:21]
	s_barrier
	s_andn2_b64 exec, exec, s[30:31]
	s_cbranch_execz .LBB72_95
.LBB72_87:                              ;   Parent Loop BB72_6 Depth=1
                                        ; =>  This Inner Loop Header: Depth=2
	v_cmp_gt_u32_e32 vcc, s34, v30
	v_pk_mov_b32 v[4:5], 0, 0
	s_and_saveexec_b64 s[20:21], vcc
	s_cbranch_execz .LBB72_89
; %bb.88:                               ;   in Loop: Header=BB72_87 Depth=2
	ds_read_b64 v[4:5], v20
.LBB72_89:                              ;   in Loop: Header=BB72_87 Depth=2
	s_or_b64 exec, exec, s[20:21]
	s_and_saveexec_b64 s[20:21], vcc
	s_cbranch_execz .LBB72_86
; %bb.90:                               ;   in Loop: Header=BB72_87 Depth=2
	s_waitcnt lgkmcnt(0)
	v_ashrrev_i32_e32 v2, 31, v5
	v_or_b32_e32 v8, 0x80000000, v2
	v_xor_b32_e32 v8, v8, v5
	v_xor_b32_e32 v2, v2, v4
	v_cmp_o_f64_e32 vcc, v[4:5], v[4:5]
	v_cndmask_b32_e32 v8, -1, v8, vcc
	v_cndmask_b32_e32 v2, -1, v2, vcc
	v_and_b32_e32 v9, v8, v15
	v_and_b32_e32 v8, v2, v14
	v_cmp_eq_u64_e32 vcc, v[8:9], v[12:13]
	s_and_b64 exec, exec, vcc
	s_cbranch_execz .LBB72_86
; %bb.91:                               ;   in Loop: Header=BB72_87 Depth=2
	v_mov_b32_e32 v2, v21
	ds_write_b128 v21, v[2:5] offset:3072
	s_branch .LBB72_86
.LBB72_92:                              ;   in Loop: Header=BB72_6 Depth=1
	s_mov_b64 s[28:29], 0
	s_mov_b64 s[20:21], 0
                                        ; implicit-def: $sgpr30_sgpr31
                                        ; implicit-def: $sgpr34_sgpr35
                                        ; implicit-def: $sgpr26_sgpr27
                                        ; implicit-def: $vgpr2
                                        ; implicit-def: $vgpr30
                                        ; implicit-def: $vgpr12_vgpr13
                                        ; implicit-def: $vgpr14_vgpr15
                                        ; implicit-def: $vgpr10_vgpr11
	s_cbranch_execnz .LBB72_244
.LBB72_93:                              ;   in Loop: Header=BB72_6 Depth=1
	s_mov_b64 s[36:37], s[26:27]
	s_mov_b64 s[38:39], s[26:27]
	s_and_saveexec_b64 s[8:9], s[28:29]
	s_cbranch_execnz .LBB72_406
	s_branch .LBB72_407
.LBB72_94:                              ;   in Loop: Header=BB72_6 Depth=1
	s_mov_b64 s[26:27], -1
	s_mov_b64 s[8:9], 0
                                        ; implicit-def: $sgpr30_sgpr31
                                        ; implicit-def: $vgpr10_vgpr11
	s_mov_b64 s[34:35], s[26:27]
	s_cbranch_execnz .LBB72_97
	s_branch .LBB72_107
.LBB72_95:                              ;   in Loop: Header=BB72_6 Depth=1
	s_or_b64 exec, exec, s[30:31]
	s_and_b64 s[8:9], s[8:9], exec
.LBB72_96:                              ;   in Loop: Header=BB72_6 Depth=1
	s_or_b64 exec, exec, s[26:27]
	s_mov_b64 s[30:31], -1
	s_mov_b64 s[26:27], 0
	s_mov_b64 s[34:35], s[26:27]
	s_branch .LBB72_107
.LBB72_97:                              ;   in Loop: Header=BB72_6 Depth=1
	s_mov_b64 s[8:9], 0
                                        ; implicit-def: $vgpr10_vgpr11
	s_mov_b64 s[26:27], exec
	v_readlane_b32 s20, v58, 50
	v_readlane_b32 s21, v58, 51
	s_and_b64 s[20:21], s[26:27], s[20:21]
	s_mov_b64 exec, s[20:21]
	s_cbranch_execz .LBB72_106
; %bb.98:                               ;   in Loop: Header=BB72_6 Depth=1
	s_mov_b64 s[30:31], 0
	v_mov_b32_e32 v20, v22
	v_mov_b32_e32 v30, v0
                                        ; implicit-def: $sgpr8_sgpr9
	s_branch .LBB72_100
.LBB72_99:                              ;   in Loop: Header=BB72_100 Depth=2
	s_or_b64 exec, exec, s[20:21]
	s_waitcnt lgkmcnt(0)
	s_barrier
	ds_read_b128 v[8:11], v21 offset:3072
	v_add_u32_e32 v30, s77, v30
	v_cmp_le_u32_e64 s[20:21], s6, v30
	v_add_u32_e32 v20, s78, v20
	s_waitcnt lgkmcnt(0)
	v_cmp_neq_f64_e32 vcc, 0, v[8:9]
	s_or_b64 s[20:21], s[20:21], vcc
	s_and_b64 s[20:21], exec, s[20:21]
	s_or_b64 s[30:31], s[20:21], s[30:31]
	s_andn2_b64 s[8:9], s[8:9], exec
	s_and_b64 s[20:21], vcc, exec
	s_or_b64 s[8:9], s[8:9], s[20:21]
	s_barrier
	s_andn2_b64 exec, exec, s[30:31]
	s_cbranch_execz .LBB72_105
.LBB72_100:                             ;   Parent Loop BB72_6 Depth=1
                                        ; =>  This Inner Loop Header: Depth=2
	v_cmp_gt_u32_e32 vcc, s60, v30
	s_waitcnt vmcnt(0)
	v_pk_mov_b32 v[4:5], 0, 0
	s_and_saveexec_b64 s[34:35], vcc
	s_cbranch_execz .LBB72_102
; %bb.101:                              ;   in Loop: Header=BB72_100 Depth=2
	v_lshlrev_b64 v[4:5], 3, v[20:21]
	v_mov_b32_e32 v2, s76
	v_add_co_u32_e64 v4, s[20:21], s33, v4
	v_addc_co_u32_e64 v5, s[20:21], v2, v5, s[20:21]
	global_load_dwordx2 v[4:5], v[4:5], off
.LBB72_102:                             ;   in Loop: Header=BB72_100 Depth=2
	s_or_b64 exec, exec, s[34:35]
	s_and_saveexec_b64 s[20:21], vcc
	s_cbranch_execz .LBB72_99
; %bb.103:                              ;   in Loop: Header=BB72_100 Depth=2
	s_waitcnt vmcnt(0)
	v_ashrrev_i32_e32 v2, 31, v5
	v_or_b32_e32 v8, 0x80000000, v2
	v_xor_b32_e32 v8, v8, v5
	v_xor_b32_e32 v2, v2, v4
	v_cmp_o_f64_e32 vcc, v[4:5], v[4:5]
	v_cndmask_b32_e32 v8, -1, v8, vcc
	v_cndmask_b32_e32 v2, -1, v2, vcc
	v_and_b32_e32 v9, v8, v15
	v_and_b32_e32 v8, v2, v14
	v_cmp_eq_u64_e32 vcc, v[8:9], v[12:13]
	s_and_b64 exec, exec, vcc
	s_cbranch_execz .LBB72_99
; %bb.104:                              ;   in Loop: Header=BB72_100 Depth=2
	v_mov_b32_e32 v2, v21
	ds_write_b128 v21, v[2:5] offset:3072
	s_branch .LBB72_99
.LBB72_105:                             ;   in Loop: Header=BB72_6 Depth=1
	s_or_b64 exec, exec, s[30:31]
	s_and_b64 s[8:9], s[8:9], exec
.LBB72_106:                             ;   in Loop: Header=BB72_6 Depth=1
	s_or_b64 exec, exec, s[26:27]
	s_mov_b64 s[34:35], -1
	s_mov_b64 s[26:27], 0
	s_mov_b64 s[30:31], 0
.LBB72_107:                             ;   in Loop: Header=BB72_6 Depth=1
	s_orn2_b64 s[8:9], s[8:9], exec
.LBB72_108:                             ;   in Loop: Header=BB72_6 Depth=1
	s_or_b64 exec, exec, s[28:29]
	s_mov_b64 s[36:37], 0
	s_mov_b64 s[28:29], 0
	;; [unrolled: 1-line block ×3, first 2 shown]
                                        ; implicit-def: $vgpr2
                                        ; implicit-def: $vgpr30
	s_and_saveexec_b64 s[38:39], s[8:9]
	s_cbranch_execz .LBB72_243
; %bb.109:                              ;   in Loop: Header=BB72_6 Depth=1
	s_xor_b64 s[20:21], s[16:17], -1
	s_mov_b64 s[8:9], 0
	v_mov_b32_e32 v30, 1
	v_mov_b32_e32 v2, 1
	s_and_saveexec_b64 s[16:17], s[20:21]
	s_cbranch_execz .LBB72_119
; %bb.110:                              ;   in Loop: Header=BB72_6 Depth=1
	v_cmp_ge_u32_e32 vcc, s5, v47
                                        ; implicit-def: $sgpr28
                                        ; implicit-def: $sgpr8_sgpr9
	s_and_saveexec_b64 s[20:21], vcc
	s_xor_b64 s[20:21], exec, s[20:21]
	s_cbranch_execz .LBB72_116
; %bb.111:                              ;   in Loop: Header=BB72_6 Depth=1
	ds_read_b32 v2, v21 offset:4096
	s_waitcnt lgkmcnt(0)
	v_cmp_ne_u32_e32 vcc, 0, v2
	s_cbranch_vccnz .LBB72_115
; %bb.112:                              ;   in Loop: Header=BB72_6 Depth=1
	s_mov_b64 s[8:9], exec
	v_readlane_b32 s28, v58, 16
	v_readlane_b32 s29, v58, 17
	s_and_b64 s[28:29], s[8:9], s[28:29]
	s_mov_b64 exec, s[28:29]
	s_cbranch_execz .LBB72_114
; %bb.113:                              ;   in Loop: Header=BB72_6 Depth=1
	v_mov_b32_e32 v2, s5
	ds_write_b32 v21, v2 offset:4100
.LBB72_114:                             ;   in Loop: Header=BB72_6 Depth=1
	s_or_b64 exec, exec, s[8:9]
	s_waitcnt lgkmcnt(0)
	s_barrier
.LBB72_115:                             ;   in Loop: Header=BB72_6 Depth=1
	v_and_b32_e32 v13, s25, v13
	v_and_b32_e32 v12, s24, v12
	v_or_b32_e32 v15, s23, v15
	v_or_b32_e32 v14, s22, v14
	s_mov_b64 s[8:9], 0
	s_mov_b32 s28, 8
.LBB72_116:                             ;   in Loop: Header=BB72_6 Depth=1
	s_or_saveexec_b64 s[20:21], s[20:21]
	v_mov_b32_e32 v2, s28
	v_mov_b32_e32 v30, v47
	s_xor_b64 exec, exec, s[20:21]
; %bb.117:                              ;   in Loop: Header=BB72_6 Depth=1
	v_subrev_u32_e32 v30, s5, v47
	v_mov_b32_e32 v2, 0
	s_or_b64 s[8:9], s[8:9], exec
; %bb.118:                              ;   in Loop: Header=BB72_6 Depth=1
	s_or_b64 exec, exec, s[20:21]
	s_and_b64 s[8:9], s[8:9], exec
.LBB72_119:                             ;   in Loop: Header=BB72_6 Depth=1
	s_or_b64 exec, exec, s[16:17]
	s_mov_b64 s[42:43], -1
                                        ; implicit-def: $sgpr16_sgpr17
                                        ; implicit-def: $sgpr40_sgpr41
                                        ; implicit-def: $sgpr46_sgpr47
	s_and_saveexec_b64 s[20:21], s[8:9]
	s_xor_b64 s[28:29], exec, s[20:21]
	s_cbranch_execz .LBB72_240
; %bb.120:                              ;   in Loop: Header=BB72_6 Depth=1
	s_cmp_eq_u32 s58, 1
	s_cselect_b64 s[8:9], -1, 0
	v_cmp_eq_u32_e32 vcc, 1, v30
	s_and_b64 s[16:17], s[8:9], vcc
	s_mov_b64 s[20:21], -1
                                        ; implicit-def: $sgpr40_sgpr41
                                        ; implicit-def: $sgpr44_sgpr45
                                        ; implicit-def: $sgpr42_sgpr43
	s_and_saveexec_b64 s[46:47], s[16:17]
	s_cbranch_execz .LBB72_146
; %bb.121:                              ;   in Loop: Header=BB72_6 Depth=1
	ds_read_b32 v2, v21 offset:4096
	s_waitcnt lgkmcnt(0)
	s_barrier
	v_readfirstlane_b32 s44, v2
	s_mov_b64 s[8:9], exec
	v_readlane_b32 s20, v58, 34
	v_readlane_b32 s21, v58, 35
	s_and_b64 s[20:21], s[8:9], s[20:21]
	s_mov_b64 exec, s[20:21]
	s_cbranch_execz .LBB72_123
; %bb.122:                              ;   in Loop: Header=BB72_6 Depth=1
	v_mov_b32_e32 v20, v21
	ds_write_b64 v37, v[20:21]
.LBB72_123:                             ;   in Loop: Header=BB72_6 Depth=1
	s_or_b64 exec, exec, s[8:9]
	s_lshl_b64 s[8:9], 1, s59
	v_and_b32_e32 v2, s25, v13
	s_waitcnt vmcnt(0)
	v_and_b32_e32 v4, s24, v12
	v_or_b32_e32 v13, s9, v2
	v_or_b32_e32 v12, s8, v4
	;; [unrolled: 1-line block ×4, first 2 shown]
	s_cmp_eq_u32 s44, 0
	s_waitcnt lgkmcnt(0)
	s_barrier
	s_cbranch_scc1 .LBB72_132
; %bb.124:                              ;   in Loop: Header=BB72_6 Depth=1
	v_readlane_b32 s8, v58, 27
	s_add_i32 s8, s44, s8
	v_readlane_b32 s9, v58, 49
	s_mul_hi_u32 s9, s8, s9
	s_mul_i32 s9, s9, s77
	s_sub_i32 s9, s8, s9
	s_sub_i32 s20, s9, s77
	s_cmp_ge_u32 s9, s77
	s_cselect_b32 s9, s20, s9
	s_sub_i32 s20, s9, s77
	s_cmp_ge_u32 s9, s77
	s_cselect_b32 s9, s20, s9
	s_sub_i32 s45, s8, s9
	v_cmp_gt_u32_e32 vcc, s45, v0
	s_mov_b64 s[8:9], 0
                                        ; implicit-def: $vgpr10_vgpr11
	s_and_saveexec_b64 s[40:41], vcc
	s_cbranch_execz .LBB72_134
; %bb.125:                              ;   in Loop: Header=BB72_6 Depth=1
	s_mov_b64 s[42:43], 0
	v_mov_b32_e32 v20, v36
	v_mov_b32_e32 v31, v0
                                        ; implicit-def: $sgpr8_sgpr9
	s_branch .LBB72_127
.LBB72_126:                             ;   in Loop: Header=BB72_127 Depth=2
	s_or_b64 exec, exec, s[20:21]
	s_waitcnt lgkmcnt(0)
	s_barrier
	ds_read_b128 v[8:11], v21 offset:3072
	v_add_u32_e32 v31, s77, v31
	v_cmp_le_u32_e64 s[20:21], s45, v31
	v_add_u32_e32 v20, s72, v20
	s_waitcnt lgkmcnt(0)
	v_cmp_neq_f64_e32 vcc, 0, v[8:9]
	s_or_b64 s[20:21], s[20:21], vcc
	s_and_b64 s[20:21], exec, s[20:21]
	s_or_b64 s[42:43], s[20:21], s[42:43]
	s_andn2_b64 s[8:9], s[8:9], exec
	s_and_b64 s[20:21], vcc, exec
	s_or_b64 s[8:9], s[8:9], s[20:21]
	s_barrier
	s_andn2_b64 exec, exec, s[42:43]
	s_cbranch_execz .LBB72_133
.LBB72_127:                             ;   Parent Loop BB72_6 Depth=1
                                        ; =>  This Inner Loop Header: Depth=2
	v_cmp_gt_u32_e32 vcc, s44, v31
	v_pk_mov_b32 v[4:5], 0, 0
	s_and_saveexec_b64 s[20:21], vcc
	s_cbranch_execz .LBB72_129
; %bb.128:                              ;   in Loop: Header=BB72_127 Depth=2
	ds_read_b64 v[4:5], v20
.LBB72_129:                             ;   in Loop: Header=BB72_127 Depth=2
	s_or_b64 exec, exec, s[20:21]
	s_and_saveexec_b64 s[20:21], vcc
	s_cbranch_execz .LBB72_126
; %bb.130:                              ;   in Loop: Header=BB72_127 Depth=2
	s_waitcnt lgkmcnt(0)
	v_ashrrev_i32_e32 v2, 31, v5
	v_or_b32_e32 v8, 0x80000000, v2
	v_xor_b32_e32 v8, v8, v5
	v_xor_b32_e32 v2, v2, v4
	v_cmp_o_f64_e32 vcc, v[4:5], v[4:5]
	v_cndmask_b32_e32 v8, -1, v8, vcc
	v_cndmask_b32_e32 v2, -1, v2, vcc
	v_and_b32_e32 v9, v8, v15
	v_and_b32_e32 v8, v2, v14
	v_cmp_eq_u64_e32 vcc, v[8:9], v[12:13]
	s_and_b64 exec, exec, vcc
	s_cbranch_execz .LBB72_126
; %bb.131:                              ;   in Loop: Header=BB72_127 Depth=2
	v_mov_b32_e32 v2, v21
	ds_write_b128 v21, v[2:5] offset:3072
	s_branch .LBB72_126
.LBB72_132:                             ;   in Loop: Header=BB72_6 Depth=1
	s_mov_b64 s[40:41], -1
	s_mov_b64 s[8:9], 0
                                        ; implicit-def: $sgpr42_sgpr43
                                        ; implicit-def: $vgpr10_vgpr11
	s_mov_b64 s[44:45], s[40:41]
	s_cbranch_execnz .LBB72_135
	s_branch .LBB72_145
.LBB72_133:                             ;   in Loop: Header=BB72_6 Depth=1
	s_or_b64 exec, exec, s[42:43]
	s_and_b64 s[8:9], s[8:9], exec
.LBB72_134:                             ;   in Loop: Header=BB72_6 Depth=1
	s_or_b64 exec, exec, s[40:41]
	s_mov_b64 s[42:43], -1
	s_mov_b64 s[40:41], 0
	s_mov_b64 s[44:45], s[40:41]
	s_branch .LBB72_145
.LBB72_135:                             ;   in Loop: Header=BB72_6 Depth=1
	s_mov_b64 s[8:9], 0
                                        ; implicit-def: $vgpr10_vgpr11
	s_mov_b64 s[40:41], exec
	v_readlane_b32 s20, v58, 50
	v_readlane_b32 s21, v58, 51
	s_and_b64 s[20:21], s[40:41], s[20:21]
	s_mov_b64 exec, s[20:21]
	s_cbranch_execz .LBB72_144
; %bb.136:                              ;   in Loop: Header=BB72_6 Depth=1
	s_mov_b64 s[42:43], 0
	v_mov_b32_e32 v20, v22
	v_mov_b32_e32 v31, v0
                                        ; implicit-def: $sgpr8_sgpr9
	s_branch .LBB72_138
.LBB72_137:                             ;   in Loop: Header=BB72_138 Depth=2
	s_or_b64 exec, exec, s[20:21]
	s_waitcnt lgkmcnt(0)
	s_barrier
	ds_read_b128 v[8:11], v21 offset:3072
	v_add_u32_e32 v31, s77, v31
	v_cmp_le_u32_e64 s[20:21], s6, v31
	v_add_u32_e32 v20, s78, v20
	s_waitcnt lgkmcnt(0)
	v_cmp_neq_f64_e32 vcc, 0, v[8:9]
	s_or_b64 s[20:21], s[20:21], vcc
	s_and_b64 s[20:21], exec, s[20:21]
	s_or_b64 s[42:43], s[20:21], s[42:43]
	s_andn2_b64 s[8:9], s[8:9], exec
	s_and_b64 s[20:21], vcc, exec
	s_or_b64 s[8:9], s[8:9], s[20:21]
	s_barrier
	s_andn2_b64 exec, exec, s[42:43]
	s_cbranch_execz .LBB72_143
.LBB72_138:                             ;   Parent Loop BB72_6 Depth=1
                                        ; =>  This Inner Loop Header: Depth=2
	v_cmp_gt_u32_e32 vcc, s60, v31
	s_waitcnt vmcnt(0)
	v_pk_mov_b32 v[4:5], 0, 0
	s_and_saveexec_b64 s[44:45], vcc
	s_cbranch_execz .LBB72_140
; %bb.139:                              ;   in Loop: Header=BB72_138 Depth=2
	v_lshlrev_b64 v[4:5], 3, v[20:21]
	v_mov_b32_e32 v2, s76
	v_add_co_u32_e64 v4, s[20:21], s33, v4
	v_addc_co_u32_e64 v5, s[20:21], v2, v5, s[20:21]
	global_load_dwordx2 v[4:5], v[4:5], off
.LBB72_140:                             ;   in Loop: Header=BB72_138 Depth=2
	s_or_b64 exec, exec, s[44:45]
	s_and_saveexec_b64 s[20:21], vcc
	s_cbranch_execz .LBB72_137
; %bb.141:                              ;   in Loop: Header=BB72_138 Depth=2
	s_waitcnt vmcnt(0)
	v_ashrrev_i32_e32 v2, 31, v5
	v_or_b32_e32 v8, 0x80000000, v2
	v_xor_b32_e32 v8, v8, v5
	v_xor_b32_e32 v2, v2, v4
	v_cmp_o_f64_e32 vcc, v[4:5], v[4:5]
	v_cndmask_b32_e32 v8, -1, v8, vcc
	v_cndmask_b32_e32 v2, -1, v2, vcc
	v_and_b32_e32 v9, v8, v15
	v_and_b32_e32 v8, v2, v14
	v_cmp_eq_u64_e32 vcc, v[8:9], v[12:13]
	s_and_b64 exec, exec, vcc
	s_cbranch_execz .LBB72_137
; %bb.142:                              ;   in Loop: Header=BB72_138 Depth=2
	v_mov_b32_e32 v2, v21
	ds_write_b128 v21, v[2:5] offset:3072
	s_branch .LBB72_137
.LBB72_143:                             ;   in Loop: Header=BB72_6 Depth=1
	s_or_b64 exec, exec, s[42:43]
	s_and_b64 s[8:9], s[8:9], exec
.LBB72_144:                             ;   in Loop: Header=BB72_6 Depth=1
	s_or_b64 exec, exec, s[40:41]
	s_mov_b64 s[44:45], -1
	s_mov_b64 s[40:41], 0
	s_mov_b64 s[42:43], 0
.LBB72_145:                             ;   in Loop: Header=BB72_6 Depth=1
	s_orn2_b64 s[20:21], s[8:9], exec
.LBB72_146:                             ;   in Loop: Header=BB72_6 Depth=1
	s_or_b64 exec, exec, s[46:47]
	s_mov_b64 s[8:9], 0
                                        ; implicit-def: $vgpr2
	s_and_saveexec_b64 s[46:47], s[20:21]
	s_cbranch_execz .LBB72_239
; %bb.147:                              ;   in Loop: Header=BB72_6 Depth=1
	s_xor_b64 s[8:9], s[16:17], -1
	s_mov_b64 s[52:53], 0
	v_mov_b32_e32 v31, 1
	v_mov_b32_e32 v2, 1
	s_and_saveexec_b64 s[16:17], s[8:9]
	s_cbranch_execz .LBB72_157
; %bb.148:                              ;   in Loop: Header=BB72_6 Depth=1
	v_cmp_ge_u32_e32 vcc, s58, v30
                                        ; implicit-def: $sgpr48
                                        ; implicit-def: $sgpr8_sgpr9
	s_and_saveexec_b64 s[20:21], vcc
	s_xor_b64 s[20:21], exec, s[20:21]
	s_cbranch_execz .LBB72_154
; %bb.149:                              ;   in Loop: Header=BB72_6 Depth=1
	ds_read_b32 v2, v21 offset:4096
	s_waitcnt lgkmcnt(0)
	v_cmp_ne_u32_e32 vcc, 0, v2
	s_cbranch_vccnz .LBB72_153
; %bb.150:                              ;   in Loop: Header=BB72_6 Depth=1
	s_mov_b64 s[8:9], exec
	v_readlane_b32 s48, v58, 16
	v_readlane_b32 s49, v58, 17
	s_and_b64 s[48:49], s[8:9], s[48:49]
	s_mov_b64 exec, s[48:49]
	s_cbranch_execz .LBB72_152
; %bb.151:                              ;   in Loop: Header=BB72_6 Depth=1
	v_mov_b32_e32 v2, s58
	ds_write_b32 v21, v2 offset:4100
.LBB72_152:                             ;   in Loop: Header=BB72_6 Depth=1
	s_or_b64 exec, exec, s[8:9]
	s_waitcnt lgkmcnt(0)
	s_barrier
.LBB72_153:                             ;   in Loop: Header=BB72_6 Depth=1
	s_lshl_b64 s[8:9], 1, s59
	v_and_b32_e32 v2, s25, v13
	s_waitcnt vmcnt(0)
	v_and_b32_e32 v4, s24, v12
	v_or_b32_e32 v13, s9, v2
	v_or_b32_e32 v12, s8, v4
	;; [unrolled: 1-line block ×4, first 2 shown]
	s_mov_b64 s[8:9], 0
	s_mov_b32 s48, 8
.LBB72_154:                             ;   in Loop: Header=BB72_6 Depth=1
	s_or_saveexec_b64 s[20:21], s[20:21]
	v_mov_b32_e32 v2, s48
	s_xor_b64 exec, exec, s[20:21]
; %bb.155:                              ;   in Loop: Header=BB72_6 Depth=1
	v_subrev_u32_e32 v30, s58, v30
	v_mov_b32_e32 v2, 0
	s_or_b64 s[8:9], s[8:9], exec
; %bb.156:                              ;   in Loop: Header=BB72_6 Depth=1
	s_or_b64 exec, exec, s[20:21]
	s_and_b64 s[52:53], s[8:9], exec
	v_mov_b32_e32 v31, v30
.LBB72_157:                             ;   in Loop: Header=BB72_6 Depth=1
	s_or_b64 exec, exec, s[16:17]
	s_mov_b64 s[8:9], -1
                                        ; implicit-def: $sgpr16_sgpr17
                                        ; implicit-def: $sgpr20_sgpr21
                                        ; implicit-def: $sgpr50_sgpr51
	s_and_saveexec_b64 s[48:49], s[52:53]
	s_cbranch_execz .LBB72_238
; %bb.158:                              ;   in Loop: Header=BB72_6 Depth=1
	s_cmp_eq_u32 s10, 1
	s_cselect_b64 s[8:9], -1, 0
	v_cmp_eq_u32_e32 vcc, 1, v31
	s_and_b64 s[16:17], s[8:9], vcc
	s_mov_b64 s[20:21], -1
                                        ; implicit-def: $sgpr50_sgpr51
                                        ; implicit-def: $sgpr54_sgpr55
                                        ; implicit-def: $sgpr52_sgpr53
	s_and_saveexec_b64 s[56:57], s[16:17]
	s_cbranch_execz .LBB72_184
; %bb.159:                              ;   in Loop: Header=BB72_6 Depth=1
	ds_read_b32 v2, v21 offset:4096
	s_waitcnt lgkmcnt(0)
	s_barrier
	v_readfirstlane_b32 s54, v2
	s_mov_b64 s[8:9], exec
	v_readlane_b32 s20, v58, 34
	v_readlane_b32 s21, v58, 35
	s_and_b64 s[20:21], s[8:9], s[20:21]
	s_mov_b64 exec, s[20:21]
	s_cbranch_execz .LBB72_161
; %bb.160:                              ;   in Loop: Header=BB72_6 Depth=1
	v_mov_b32_e32 v20, v21
	ds_write_b64 v37, v[20:21]
.LBB72_161:                             ;   in Loop: Header=BB72_6 Depth=1
	s_or_b64 exec, exec, s[8:9]
	s_lshl_b64 s[8:9], 2, s59
	v_and_b32_e32 v2, s25, v13
	s_waitcnt vmcnt(0)
	v_and_b32_e32 v4, s24, v12
	v_or_b32_e32 v13, s9, v2
	v_or_b32_e32 v12, s8, v4
	;; [unrolled: 1-line block ×4, first 2 shown]
	s_cmp_eq_u32 s54, 0
	s_waitcnt lgkmcnt(0)
	s_barrier
	s_cbranch_scc1 .LBB72_170
; %bb.162:                              ;   in Loop: Header=BB72_6 Depth=1
	v_readlane_b32 s8, v58, 27
	s_add_i32 s8, s54, s8
	v_readlane_b32 s9, v58, 49
	s_mul_hi_u32 s9, s8, s9
	s_mul_i32 s9, s9, s77
	s_sub_i32 s9, s8, s9
	s_sub_i32 s20, s9, s77
	s_cmp_ge_u32 s9, s77
	s_cselect_b32 s9, s20, s9
	s_sub_i32 s20, s9, s77
	s_cmp_ge_u32 s9, s77
	s_cselect_b32 s9, s20, s9
	s_sub_i32 s55, s8, s9
	v_cmp_gt_u32_e32 vcc, s55, v0
	s_mov_b64 s[8:9], 0
                                        ; implicit-def: $vgpr10_vgpr11
	s_and_saveexec_b64 s[50:51], vcc
	s_cbranch_execz .LBB72_172
; %bb.163:                              ;   in Loop: Header=BB72_6 Depth=1
	s_mov_b64 s[52:53], 0
	v_mov_b32_e32 v20, v36
	v_mov_b32_e32 v30, v0
                                        ; implicit-def: $sgpr8_sgpr9
	s_branch .LBB72_165
.LBB72_164:                             ;   in Loop: Header=BB72_165 Depth=2
	s_or_b64 exec, exec, s[20:21]
	s_waitcnt lgkmcnt(0)
	s_barrier
	ds_read_b128 v[8:11], v21 offset:3072
	v_add_u32_e32 v30, s77, v30
	v_cmp_le_u32_e64 s[20:21], s55, v30
	v_add_u32_e32 v20, s72, v20
	s_waitcnt lgkmcnt(0)
	v_cmp_neq_f64_e32 vcc, 0, v[8:9]
	s_or_b64 s[20:21], s[20:21], vcc
	s_and_b64 s[20:21], exec, s[20:21]
	s_or_b64 s[52:53], s[20:21], s[52:53]
	s_andn2_b64 s[8:9], s[8:9], exec
	s_and_b64 s[20:21], vcc, exec
	s_or_b64 s[8:9], s[8:9], s[20:21]
	s_barrier
	s_andn2_b64 exec, exec, s[52:53]
	s_cbranch_execz .LBB72_171
.LBB72_165:                             ;   Parent Loop BB72_6 Depth=1
                                        ; =>  This Inner Loop Header: Depth=2
	v_cmp_gt_u32_e32 vcc, s54, v30
	v_pk_mov_b32 v[4:5], 0, 0
	s_and_saveexec_b64 s[20:21], vcc
	s_cbranch_execz .LBB72_167
; %bb.166:                              ;   in Loop: Header=BB72_165 Depth=2
	ds_read_b64 v[4:5], v20
.LBB72_167:                             ;   in Loop: Header=BB72_165 Depth=2
	s_or_b64 exec, exec, s[20:21]
	s_and_saveexec_b64 s[20:21], vcc
	s_cbranch_execz .LBB72_164
; %bb.168:                              ;   in Loop: Header=BB72_165 Depth=2
	s_waitcnt lgkmcnt(0)
	v_ashrrev_i32_e32 v2, 31, v5
	v_or_b32_e32 v8, 0x80000000, v2
	v_xor_b32_e32 v8, v8, v5
	v_xor_b32_e32 v2, v2, v4
	v_cmp_o_f64_e32 vcc, v[4:5], v[4:5]
	v_cndmask_b32_e32 v8, -1, v8, vcc
	v_cndmask_b32_e32 v2, -1, v2, vcc
	v_and_b32_e32 v9, v8, v15
	v_and_b32_e32 v8, v2, v14
	v_cmp_eq_u64_e32 vcc, v[8:9], v[12:13]
	s_and_b64 exec, exec, vcc
	s_cbranch_execz .LBB72_164
; %bb.169:                              ;   in Loop: Header=BB72_165 Depth=2
	v_mov_b32_e32 v2, v21
	ds_write_b128 v21, v[2:5] offset:3072
	s_branch .LBB72_164
.LBB72_170:                             ;   in Loop: Header=BB72_6 Depth=1
	s_mov_b64 s[50:51], -1
	s_mov_b64 s[8:9], 0
                                        ; implicit-def: $sgpr52_sgpr53
                                        ; implicit-def: $vgpr10_vgpr11
	s_mov_b64 s[54:55], s[50:51]
	s_cbranch_execnz .LBB72_173
	s_branch .LBB72_183
.LBB72_171:                             ;   in Loop: Header=BB72_6 Depth=1
	s_or_b64 exec, exec, s[52:53]
	s_and_b64 s[8:9], s[8:9], exec
.LBB72_172:                             ;   in Loop: Header=BB72_6 Depth=1
	s_or_b64 exec, exec, s[50:51]
	s_mov_b64 s[52:53], -1
	s_mov_b64 s[50:51], 0
	s_mov_b64 s[54:55], s[50:51]
	s_branch .LBB72_183
.LBB72_173:                             ;   in Loop: Header=BB72_6 Depth=1
	s_mov_b64 s[8:9], 0
                                        ; implicit-def: $vgpr10_vgpr11
	s_mov_b64 s[50:51], exec
	v_readlane_b32 s20, v58, 50
	v_readlane_b32 s21, v58, 51
	s_and_b64 s[20:21], s[50:51], s[20:21]
	s_mov_b64 exec, s[20:21]
	s_cbranch_execz .LBB72_182
; %bb.174:                              ;   in Loop: Header=BB72_6 Depth=1
	s_mov_b64 s[52:53], 0
	v_mov_b32_e32 v20, v22
	v_mov_b32_e32 v30, v0
                                        ; implicit-def: $sgpr8_sgpr9
	s_branch .LBB72_176
.LBB72_175:                             ;   in Loop: Header=BB72_176 Depth=2
	s_or_b64 exec, exec, s[20:21]
	s_waitcnt lgkmcnt(0)
	s_barrier
	ds_read_b128 v[8:11], v21 offset:3072
	v_add_u32_e32 v30, s77, v30
	v_cmp_le_u32_e64 s[20:21], s6, v30
	v_add_u32_e32 v20, s78, v20
	s_waitcnt lgkmcnt(0)
	v_cmp_neq_f64_e32 vcc, 0, v[8:9]
	s_or_b64 s[20:21], s[20:21], vcc
	s_and_b64 s[20:21], exec, s[20:21]
	s_or_b64 s[52:53], s[20:21], s[52:53]
	s_andn2_b64 s[8:9], s[8:9], exec
	s_and_b64 s[20:21], vcc, exec
	s_or_b64 s[8:9], s[8:9], s[20:21]
	s_barrier
	s_andn2_b64 exec, exec, s[52:53]
	s_cbranch_execz .LBB72_181
.LBB72_176:                             ;   Parent Loop BB72_6 Depth=1
                                        ; =>  This Inner Loop Header: Depth=2
	v_cmp_gt_u32_e32 vcc, s60, v30
	s_waitcnt vmcnt(0)
	v_pk_mov_b32 v[4:5], 0, 0
	s_and_saveexec_b64 s[54:55], vcc
	s_cbranch_execz .LBB72_178
; %bb.177:                              ;   in Loop: Header=BB72_176 Depth=2
	v_lshlrev_b64 v[4:5], 3, v[20:21]
	v_mov_b32_e32 v2, s76
	v_add_co_u32_e64 v4, s[20:21], s33, v4
	v_addc_co_u32_e64 v5, s[20:21], v2, v5, s[20:21]
	global_load_dwordx2 v[4:5], v[4:5], off
.LBB72_178:                             ;   in Loop: Header=BB72_176 Depth=2
	s_or_b64 exec, exec, s[54:55]
	s_and_saveexec_b64 s[20:21], vcc
	s_cbranch_execz .LBB72_175
; %bb.179:                              ;   in Loop: Header=BB72_176 Depth=2
	s_waitcnt vmcnt(0)
	v_ashrrev_i32_e32 v2, 31, v5
	v_or_b32_e32 v8, 0x80000000, v2
	v_xor_b32_e32 v8, v8, v5
	v_xor_b32_e32 v2, v2, v4
	v_cmp_o_f64_e32 vcc, v[4:5], v[4:5]
	v_cndmask_b32_e32 v8, -1, v8, vcc
	v_cndmask_b32_e32 v2, -1, v2, vcc
	v_and_b32_e32 v9, v8, v15
	v_and_b32_e32 v8, v2, v14
	v_cmp_eq_u64_e32 vcc, v[8:9], v[12:13]
	s_and_b64 exec, exec, vcc
	s_cbranch_execz .LBB72_175
; %bb.180:                              ;   in Loop: Header=BB72_176 Depth=2
	v_mov_b32_e32 v2, v21
	ds_write_b128 v21, v[2:5] offset:3072
	s_branch .LBB72_175
.LBB72_181:                             ;   in Loop: Header=BB72_6 Depth=1
	s_or_b64 exec, exec, s[52:53]
	s_and_b64 s[8:9], s[8:9], exec
.LBB72_182:                             ;   in Loop: Header=BB72_6 Depth=1
	s_or_b64 exec, exec, s[50:51]
	s_mov_b64 s[54:55], -1
	s_mov_b64 s[50:51], 0
	s_mov_b64 s[52:53], 0
.LBB72_183:                             ;   in Loop: Header=BB72_6 Depth=1
	s_orn2_b64 s[20:21], s[8:9], exec
.LBB72_184:                             ;   in Loop: Header=BB72_6 Depth=1
	s_or_b64 exec, exec, s[56:57]
	s_mov_b64 s[8:9], 0
                                        ; implicit-def: $vgpr2
	s_and_saveexec_b64 s[56:57], s[20:21]
	s_cbranch_execz .LBB72_237
; %bb.185:                              ;   in Loop: Header=BB72_6 Depth=1
	s_xor_b64 s[8:9], s[16:17], -1
	s_mov_b64 s[80:81], 0
	v_mov_b32_e32 v30, 1
	v_mov_b32_e32 v2, 1
	s_and_saveexec_b64 s[16:17], s[8:9]
	s_cbranch_execz .LBB72_195
; %bb.186:                              ;   in Loop: Header=BB72_6 Depth=1
	v_cmp_ge_u32_e32 vcc, s10, v31
                                        ; implicit-def: $sgpr62
                                        ; implicit-def: $sgpr8_sgpr9
	s_and_saveexec_b64 s[20:21], vcc
	s_xor_b64 s[20:21], exec, s[20:21]
	s_cbranch_execz .LBB72_192
; %bb.187:                              ;   in Loop: Header=BB72_6 Depth=1
	ds_read_b32 v2, v21 offset:4096
	s_waitcnt lgkmcnt(0)
	v_cmp_ne_u32_e32 vcc, 0, v2
	s_cbranch_vccnz .LBB72_191
; %bb.188:                              ;   in Loop: Header=BB72_6 Depth=1
	s_mov_b64 s[8:9], exec
	v_readlane_b32 s62, v58, 16
	v_readlane_b32 s63, v58, 17
	s_and_b64 s[62:63], s[8:9], s[62:63]
	s_mov_b64 exec, s[62:63]
	s_cbranch_execz .LBB72_190
; %bb.189:                              ;   in Loop: Header=BB72_6 Depth=1
	v_mov_b32_e32 v2, s10
	ds_write_b32 v21, v2 offset:4100
.LBB72_190:                             ;   in Loop: Header=BB72_6 Depth=1
	s_or_b64 exec, exec, s[8:9]
	s_waitcnt lgkmcnt(0)
	s_barrier
.LBB72_191:                             ;   in Loop: Header=BB72_6 Depth=1
	s_lshl_b64 s[8:9], 2, s59
	v_and_b32_e32 v2, s25, v13
	s_waitcnt vmcnt(0)
	v_and_b32_e32 v4, s24, v12
	v_or_b32_e32 v13, s9, v2
	v_or_b32_e32 v12, s8, v4
	;; [unrolled: 1-line block ×4, first 2 shown]
	s_mov_b64 s[8:9], 0
	s_mov_b32 s62, 8
.LBB72_192:                             ;   in Loop: Header=BB72_6 Depth=1
	s_or_saveexec_b64 s[20:21], s[20:21]
	v_mov_b32_e32 v2, s62
	s_xor_b64 exec, exec, s[20:21]
; %bb.193:                              ;   in Loop: Header=BB72_6 Depth=1
	v_subrev_u32_e32 v31, s10, v31
	v_mov_b32_e32 v2, 0
	s_or_b64 s[8:9], s[8:9], exec
; %bb.194:                              ;   in Loop: Header=BB72_6 Depth=1
	s_or_b64 exec, exec, s[20:21]
	s_and_b64 s[80:81], s[8:9], exec
	v_mov_b32_e32 v30, v31
.LBB72_195:                             ;   in Loop: Header=BB72_6 Depth=1
	s_or_b64 exec, exec, s[16:17]
	s_mov_b64 s[8:9], -1
                                        ; implicit-def: $sgpr20_sgpr21
                                        ; implicit-def: $sgpr16_sgpr17
                                        ; implicit-def: $sgpr82_sgpr83
	s_mov_b64 s[62:63], exec
	v_writelane_b32 v58, s62, 55
	v_writelane_b32 v58, s63, 56
	s_and_b64 s[62:63], s[62:63], s[80:81]
	s_mov_b64 exec, s[62:63]
	s_cbranch_execz .LBB72_236
; %bb.196:                              ;   in Loop: Header=BB72_6 Depth=1
	s_cmp_eq_u32 s11, 1
	s_cselect_b64 s[8:9], -1, 0
	v_cmp_eq_u32_e32 vcc, 1, v30
	s_and_b64 s[62:63], s[8:9], vcc
	s_mov_b64 s[8:9], -1
                                        ; implicit-def: $sgpr20_sgpr21
                                        ; implicit-def: $sgpr16_sgpr17
                                        ; implicit-def: $sgpr82_sgpr83
	s_mov_b64 s[80:81], exec
	v_writelane_b32 v58, s62, 57
	v_writelane_b32 v58, s63, 58
	s_and_b64 s[62:63], s[80:81], s[62:63]
	s_mov_b64 exec, s[62:63]
	s_cbranch_execz .LBB72_223
; %bb.197:                              ;   in Loop: Header=BB72_6 Depth=1
	ds_read_b32 v2, v21 offset:4096
	s_waitcnt lgkmcnt(0)
	s_barrier
	v_readfirstlane_b32 s62, v2
	s_mov_b64 s[8:9], exec
	v_readlane_b32 s16, v58, 34
	v_readlane_b32 s17, v58, 35
	s_and_b64 s[16:17], s[8:9], s[16:17]
	s_mov_b64 exec, s[16:17]
	s_cbranch_execz .LBB72_199
; %bb.198:                              ;   in Loop: Header=BB72_6 Depth=1
	v_mov_b32_e32 v20, v21
	ds_write_b64 v37, v[20:21]
.LBB72_199:                             ;   in Loop: Header=BB72_6 Depth=1
	s_or_b64 exec, exec, s[8:9]
	v_or_b32_e32 v13, s23, v13
	v_or_b32_e32 v12, s22, v12
	;; [unrolled: 1-line block ×4, first 2 shown]
	s_cmp_eq_u32 s62, 0
	s_waitcnt lgkmcnt(0)
	s_barrier
	s_cbranch_scc1 .LBB72_208
; %bb.200:                              ;   in Loop: Header=BB72_6 Depth=1
	v_readlane_b32 s8, v58, 27
	s_add_i32 s8, s62, s8
	v_readlane_b32 s9, v58, 49
	s_mul_hi_u32 s9, s8, s9
	s_mul_i32 s9, s9, s77
	s_sub_i32 s9, s8, s9
	s_sub_i32 s16, s9, s77
	s_cmp_ge_u32 s9, s77
	s_cselect_b32 s9, s16, s9
	s_sub_i32 s16, s9, s77
	s_cmp_ge_u32 s9, s77
	s_cselect_b32 s9, s16, s9
	s_sub_i32 s63, s8, s9
	s_mov_b64 s[8:9], 0
	v_cmp_gt_u32_e32 vcc, s63, v0
                                        ; implicit-def: $vgpr10_vgpr11
	s_mov_b64 s[16:17], exec
	v_writelane_b32 v58, s16, 59
	s_and_b64 s[20:21], s[16:17], vcc
	v_writelane_b32 v58, s17, 60
	s_mov_b64 exec, s[20:21]
	s_cbranch_execz .LBB72_210
; %bb.201:                              ;   in Loop: Header=BB72_6 Depth=1
	s_mov_b64 s[82:83], 0
	v_mov_b32_e32 v20, v36
	v_mov_b32_e32 v31, v0
                                        ; implicit-def: $sgpr8_sgpr9
	s_branch .LBB72_203
.LBB72_202:                             ;   in Loop: Header=BB72_203 Depth=2
	s_or_b64 exec, exec, s[20:21]
	s_waitcnt lgkmcnt(0)
	s_barrier
	ds_read_b128 v[8:11], v21 offset:3072
	v_add_u32_e32 v31, s77, v31
	v_cmp_le_u32_e64 s[20:21], s63, v31
	v_add_u32_e32 v20, s72, v20
	s_waitcnt lgkmcnt(0)
	v_cmp_neq_f64_e32 vcc, 0, v[8:9]
	s_or_b64 s[16:17], s[20:21], vcc
	s_and_b64 s[16:17], exec, s[16:17]
	s_or_b64 s[82:83], s[16:17], s[82:83]
	s_andn2_b64 s[8:9], s[8:9], exec
	s_and_b64 s[16:17], vcc, exec
	s_or_b64 s[8:9], s[8:9], s[16:17]
	s_barrier
	s_andn2_b64 exec, exec, s[82:83]
	s_cbranch_execz .LBB72_209
.LBB72_203:                             ;   Parent Loop BB72_6 Depth=1
                                        ; =>  This Inner Loop Header: Depth=2
	v_cmp_gt_u32_e32 vcc, s62, v31
	s_waitcnt vmcnt(0)
	v_pk_mov_b32 v[4:5], 0, 0
	s_and_saveexec_b64 s[20:21], vcc
	s_cbranch_execz .LBB72_205
; %bb.204:                              ;   in Loop: Header=BB72_203 Depth=2
	ds_read_b64 v[4:5], v20
.LBB72_205:                             ;   in Loop: Header=BB72_203 Depth=2
	s_or_b64 exec, exec, s[20:21]
	s_and_saveexec_b64 s[20:21], vcc
	s_cbranch_execz .LBB72_202
; %bb.206:                              ;   in Loop: Header=BB72_203 Depth=2
	s_waitcnt lgkmcnt(0)
	v_ashrrev_i32_e32 v2, 31, v5
	v_or_b32_e32 v8, 0x80000000, v2
	v_xor_b32_e32 v8, v8, v5
	v_xor_b32_e32 v2, v2, v4
	v_cmp_o_f64_e32 vcc, v[4:5], v[4:5]
	v_cndmask_b32_e32 v8, -1, v8, vcc
	v_cndmask_b32_e32 v2, -1, v2, vcc
	v_and_b32_e32 v9, v8, v15
	v_and_b32_e32 v8, v2, v14
	v_cmp_eq_u64_e32 vcc, v[8:9], v[12:13]
	s_and_b64 exec, exec, vcc
	s_cbranch_execz .LBB72_202
; %bb.207:                              ;   in Loop: Header=BB72_203 Depth=2
	v_mov_b32_e32 v2, v21
	ds_write_b128 v21, v[2:5] offset:3072
	s_branch .LBB72_202
.LBB72_208:                             ;   in Loop: Header=BB72_6 Depth=1
	s_mov_b64 s[20:21], -1
	s_mov_b64 s[8:9], 0
                                        ; implicit-def: $sgpr82_sgpr83
                                        ; implicit-def: $vgpr10_vgpr11
	s_branch .LBB72_211
.LBB72_209:                             ;   in Loop: Header=BB72_6 Depth=1
	s_or_b64 exec, exec, s[82:83]
	s_and_b64 s[8:9], s[8:9], exec
.LBB72_210:                             ;   in Loop: Header=BB72_6 Depth=1
	v_readlane_b32 s16, v58, 59
	v_readlane_b32 s17, v58, 60
	s_or_b64 exec, exec, s[16:17]
	s_mov_b64 s[82:83], -1
	s_mov_b64 s[20:21], 0
.LBB72_211:                             ;   in Loop: Header=BB72_6 Depth=1
	s_and_b64 vcc, exec, s[20:21]
	s_mov_b64 s[16:17], s[20:21]
	s_cbranch_vccz .LBB72_222
; %bb.212:                              ;   in Loop: Header=BB72_6 Depth=1
	s_mov_b64 s[8:9], 0
                                        ; implicit-def: $vgpr10_vgpr11
	s_mov_b64 s[62:63], exec
	v_readlane_b32 s16, v58, 50
	v_readlane_b32 s17, v58, 51
	s_and_b64 s[16:17], s[62:63], s[16:17]
	s_mov_b64 exec, s[16:17]
	s_cbranch_execz .LBB72_221
; %bb.213:                              ;   in Loop: Header=BB72_6 Depth=1
	s_mov_b64 s[82:83], 0
	v_mov_b32_e32 v20, v22
	v_mov_b32_e32 v31, v0
                                        ; implicit-def: $sgpr8_sgpr9
	s_branch .LBB72_215
.LBB72_214:                             ;   in Loop: Header=BB72_215 Depth=2
	s_or_b64 exec, exec, s[20:21]
	s_waitcnt lgkmcnt(0)
	s_barrier
	ds_read_b128 v[8:11], v21 offset:3072
	v_add_u32_e32 v31, s77, v31
	v_cmp_le_u32_e64 s[20:21], s6, v31
	v_add_u32_e32 v20, s78, v20
	s_waitcnt lgkmcnt(0)
	v_cmp_neq_f64_e32 vcc, 0, v[8:9]
	s_or_b64 s[16:17], s[20:21], vcc
	s_and_b64 s[16:17], exec, s[16:17]
	s_or_b64 s[82:83], s[16:17], s[82:83]
	s_andn2_b64 s[8:9], s[8:9], exec
	s_and_b64 s[16:17], vcc, exec
	s_or_b64 s[8:9], s[8:9], s[16:17]
	s_barrier
	s_andn2_b64 exec, exec, s[82:83]
	s_cbranch_execz .LBB72_220
.LBB72_215:                             ;   Parent Loop BB72_6 Depth=1
                                        ; =>  This Inner Loop Header: Depth=2
	v_cmp_gt_u32_e32 vcc, s60, v31
	s_waitcnt vmcnt(0)
	v_pk_mov_b32 v[4:5], 0, 0
	s_and_saveexec_b64 s[16:17], vcc
	s_cbranch_execz .LBB72_217
; %bb.216:                              ;   in Loop: Header=BB72_215 Depth=2
	v_lshlrev_b64 v[4:5], 3, v[20:21]
	v_mov_b32_e32 v2, s76
	v_add_co_u32_e64 v4, s[20:21], s33, v4
	v_addc_co_u32_e64 v5, s[20:21], v2, v5, s[20:21]
	global_load_dwordx2 v[4:5], v[4:5], off
.LBB72_217:                             ;   in Loop: Header=BB72_215 Depth=2
	s_or_b64 exec, exec, s[16:17]
	s_and_saveexec_b64 s[20:21], vcc
	s_cbranch_execz .LBB72_214
; %bb.218:                              ;   in Loop: Header=BB72_215 Depth=2
	s_waitcnt vmcnt(0)
	v_ashrrev_i32_e32 v2, 31, v5
	v_or_b32_e32 v8, 0x80000000, v2
	v_xor_b32_e32 v8, v8, v5
	v_xor_b32_e32 v2, v2, v4
	v_cmp_o_f64_e32 vcc, v[4:5], v[4:5]
	v_cndmask_b32_e32 v8, -1, v8, vcc
	v_cndmask_b32_e32 v2, -1, v2, vcc
	v_and_b32_e32 v9, v8, v15
	v_and_b32_e32 v8, v2, v14
	v_cmp_eq_u64_e32 vcc, v[8:9], v[12:13]
	s_and_b64 exec, exec, vcc
	s_cbranch_execz .LBB72_214
; %bb.219:                              ;   in Loop: Header=BB72_215 Depth=2
	v_mov_b32_e32 v2, v21
	ds_write_b128 v21, v[2:5] offset:3072
	s_branch .LBB72_214
.LBB72_220:                             ;   in Loop: Header=BB72_6 Depth=1
	s_or_b64 exec, exec, s[82:83]
	s_and_b64 s[8:9], s[8:9], exec
.LBB72_221:                             ;   in Loop: Header=BB72_6 Depth=1
	s_or_b64 exec, exec, s[62:63]
	s_mov_b64 s[16:17], -1
	s_mov_b64 s[20:21], 0
	s_mov_b64 s[82:83], 0
.LBB72_222:                             ;   in Loop: Header=BB72_6 Depth=1
	s_orn2_b64 s[8:9], s[8:9], exec
.LBB72_223:                             ;   in Loop: Header=BB72_6 Depth=1
	s_or_b64 exec, exec, s[80:81]
	s_mov_b64 vcc, 0
                                        ; implicit-def: $vgpr2
                                        ; implicit-def: $vgpr4
	s_and_saveexec_b64 s[80:81], s[8:9]
	s_cbranch_execz .LBB72_235
; %bb.224:                              ;   in Loop: Header=BB72_6 Depth=1
	v_readlane_b32 s8, v58, 57
	v_readlane_b32 s9, v58, 58
	s_xor_b64 s[62:63], s[8:9], -1
	v_mov_b32_e32 v2, 1
	s_waitcnt vmcnt(0)
	v_mov_b32_e32 v4, 1
	s_and_saveexec_b64 s[8:9], s[62:63]
	s_cbranch_execz .LBB72_234
; %bb.225:                              ;   in Loop: Header=BB72_6 Depth=1
	v_cmp_ge_u32_e32 vcc, s11, v30
                                        ; implicit-def: $sgpr62
                                        ; kill: killed $sgpr62
	s_and_saveexec_b64 s[62:63], vcc
	s_xor_b64 s[62:63], exec, s[62:63]
	s_cbranch_execz .LBB72_231
; %bb.226:                              ;   in Loop: Header=BB72_6 Depth=1
	ds_read_b32 v2, v21 offset:4096
	s_waitcnt lgkmcnt(0)
	v_cmp_ne_u32_e32 vcc, 0, v2
	s_cbranch_vccnz .LBB72_230
; %bb.227:                              ;   in Loop: Header=BB72_6 Depth=1
	v_writelane_b32 v58, s62, 61
	v_writelane_b32 v58, s63, 62
	s_mov_b64 vcc, exec
	v_readlane_b32 s62, v58, 16
	v_readlane_b32 s63, v58, 17
	s_and_b64 s[62:63], vcc, s[62:63]
	s_mov_b64 exec, s[62:63]
	s_cbranch_execz .LBB72_229
; %bb.228:                              ;   in Loop: Header=BB72_6 Depth=1
	v_mov_b32_e32 v2, s11
	ds_write_b32 v21, v2 offset:4100
.LBB72_229:                             ;   in Loop: Header=BB72_6 Depth=1
	s_or_b64 exec, exec, vcc
	v_readlane_b32 s62, v58, 61
	v_readlane_b32 s63, v58, 62
	s_waitcnt lgkmcnt(0)
	s_barrier
.LBB72_230:                             ;   in Loop: Header=BB72_6 Depth=1
	v_or_b32_e32 v13, s23, v13
	v_or_b32_e32 v12, s22, v12
	;; [unrolled: 1-line block ×4, first 2 shown]
	s_mov_b32 vcc_lo, 8
	v_writelane_b32 v58, vcc_lo, 63
.LBB72_231:                             ;   in Loop: Header=BB72_6 Depth=1
	s_or_saveexec_b64 vcc, s[62:63]
	v_readlane_b32 s62, v58, 63
	v_mov_b32_e32 v2, s62
	s_xor_b64 exec, exec, vcc
; %bb.232:                              ;   in Loop: Header=BB72_6 Depth=1
	v_subrev_u32_e32 v30, s11, v30
	v_mov_b32_e32 v2, 8
; %bb.233:                              ;   in Loop: Header=BB72_6 Depth=1
	s_or_b64 exec, exec, vcc
	v_mov_b32_e32 v4, v30
.LBB72_234:                             ;   in Loop: Header=BB72_6 Depth=1
	s_or_b64 exec, exec, s[8:9]
	s_mov_b64 vcc, exec
.LBB72_235:                             ;   in Loop: Header=BB72_6 Depth=1
	s_or_b64 exec, exec, s[80:81]
	s_orn2_b64 s[8:9], vcc, exec
	s_waitcnt vmcnt(0)
	v_mov_b32_e32 v30, v4
.LBB72_236:                             ;   in Loop: Header=BB72_6 Depth=1
	v_readlane_b32 s62, v58, 55
	v_readlane_b32 s63, v58, 56
	s_or_b64 exec, exec, s[62:63]
	s_andn2_b64 s[50:51], s[50:51], exec
	s_and_b64 s[20:21], s[20:21], exec
	s_or_b64 s[50:51], s[50:51], s[20:21]
	s_andn2_b64 s[20:21], s[54:55], exec
	s_and_b64 s[16:17], s[16:17], exec
	s_or_b64 s[54:55], s[20:21], s[16:17]
	;; [unrolled: 3-line block ×3, first 2 shown]
	s_and_b64 s[8:9], s[8:9], exec
	v_mov_b32_e32 v31, v30
.LBB72_237:                             ;   in Loop: Header=BB72_6 Depth=1
	s_or_b64 exec, exec, s[56:57]
	s_and_b64 s[50:51], s[50:51], exec
	s_and_b64 s[20:21], s[54:55], exec
	;; [unrolled: 1-line block ×3, first 2 shown]
	s_orn2_b64 s[8:9], s[8:9], exec
.LBB72_238:                             ;   in Loop: Header=BB72_6 Depth=1
	s_or_b64 exec, exec, s[48:49]
	s_andn2_b64 s[44:45], s[44:45], exec
	s_and_b64 s[20:21], s[20:21], exec
	s_andn2_b64 s[40:41], s[40:41], exec
	s_and_b64 s[48:49], s[50:51], exec
	s_or_b64 s[44:45], s[44:45], s[20:21]
	s_andn2_b64 s[20:21], s[42:43], exec
	s_and_b64 s[16:17], s[16:17], exec
	s_or_b64 s[40:41], s[40:41], s[48:49]
	s_or_b64 s[42:43], s[20:21], s[16:17]
	s_and_b64 s[8:9], s[8:9], exec
	v_mov_b32_e32 v30, v31
.LBB72_239:                             ;   in Loop: Header=BB72_6 Depth=1
	s_or_b64 exec, exec, s[46:47]
	s_and_b64 s[46:47], s[40:41], exec
	s_and_b64 s[40:41], s[44:45], exec
	;; [unrolled: 1-line block ×3, first 2 shown]
	s_orn2_b64 s[42:43], s[8:9], exec
.LBB72_240:                             ;   in Loop: Header=BB72_6 Depth=1
	s_or_b64 exec, exec, s[28:29]
	s_mov_b64 s[8:9], 0
	s_mov_b64 s[20:21], 0
	s_and_saveexec_b64 s[28:29], s[42:43]
	s_xor_b64 s[28:29], exec, s[28:29]
; %bb.241:                              ;   in Loop: Header=BB72_6 Depth=1
	v_cmp_eq_u32_e32 vcc, 8, v2
	v_cmp_ne_u32_e64 s[20:21], 8, v2
	s_andn2_b64 s[46:47], s[46:47], exec
	s_andn2_b64 s[40:41], s[40:41], exec
	;; [unrolled: 1-line block ×3, first 2 shown]
	s_and_b64 s[20:21], s[20:21], exec
	s_and_b64 s[8:9], vcc, exec
; %bb.242:                              ;   in Loop: Header=BB72_6 Depth=1
	s_or_b64 exec, exec, s[28:29]
	s_andn2_b64 s[26:27], s[26:27], exec
	s_and_b64 s[28:29], s[46:47], exec
	s_or_b64 s[26:27], s[26:27], s[28:29]
	s_andn2_b64 s[28:29], s[34:35], exec
	s_and_b64 s[34:35], s[40:41], exec
	s_or_b64 s[34:35], s[28:29], s[34:35]
	;; [unrolled: 3-line block ×3, first 2 shown]
	s_and_b64 s[20:21], s[20:21], exec
	s_and_b64 s[28:29], s[8:9], exec
.LBB72_243:                             ;   in Loop: Header=BB72_6 Depth=1
	s_or_b64 exec, exec, s[38:39]
	s_and_b64 vcc, exec, s[36:37]
	s_cbranch_vccz .LBB72_93
.LBB72_244:                             ;   in Loop: Header=BB72_6 Depth=1
	s_cmp_eq_u32 s11, 1
	s_cselect_b64 s[8:9], -1, 0
	s_and_b64 s[16:17], s[8:9], s[18:19]
	s_mov_b64 s[8:9], -1
                                        ; implicit-def: $sgpr36_sgpr37
                                        ; implicit-def: $sgpr38_sgpr39
                                        ; implicit-def: $sgpr26_sgpr27
	s_and_saveexec_b64 s[30:31], s[16:17]
	s_cbranch_execz .LBB72_270
; %bb.245:                              ;   in Loop: Header=BB72_6 Depth=1
	ds_read_b32 v2, v21 offset:4096
	s_waitcnt lgkmcnt(0)
	s_barrier
	v_readfirstlane_b32 s36, v2
	s_mov_b64 s[8:9], exec
	v_readlane_b32 s18, v58, 34
	v_readlane_b32 s19, v58, 35
	s_and_b64 s[18:19], s[8:9], s[18:19]
	s_mov_b64 exec, s[18:19]
	s_cbranch_execz .LBB72_247
; %bb.246:                              ;   in Loop: Header=BB72_6 Depth=1
	v_mov_b32_e32 v20, v21
	ds_write_b64 v37, v[20:21]
.LBB72_247:                             ;   in Loop: Header=BB72_6 Depth=1
	s_or_b64 exec, exec, s[8:9]
	v_or_b32_e32 v27, s23, v27
	v_or_b32_e32 v26, s22, v26
	;; [unrolled: 1-line block ×4, first 2 shown]
	s_cmp_eq_u32 s36, 0
	s_waitcnt lgkmcnt(0)
	s_barrier
	s_cbranch_scc1 .LBB72_256
; %bb.248:                              ;   in Loop: Header=BB72_6 Depth=1
	v_readlane_b32 s8, v58, 27
	s_add_i32 s8, s36, s8
	v_readlane_b32 s9, v58, 49
	s_mul_hi_u32 s9, s8, s9
	s_mul_i32 s9, s9, s77
	s_sub_i32 s9, s8, s9
	s_sub_i32 s18, s9, s77
	s_cmp_ge_u32 s9, s77
	s_cselect_b32 s9, s18, s9
	s_sub_i32 s18, s9, s77
	s_cmp_ge_u32 s9, s77
	s_cselect_b32 s9, s18, s9
	s_sub_i32 s37, s8, s9
	v_cmp_gt_u32_e32 vcc, s37, v0
	s_mov_b64 s[8:9], 0
                                        ; implicit-def: $vgpr6_vgpr7
	s_and_saveexec_b64 s[26:27], vcc
	s_cbranch_execz .LBB72_258
; %bb.249:                              ;   in Loop: Header=BB72_6 Depth=1
	s_mov_b64 s[34:35], 0
	v_mov_b32_e32 v8, v36
	v_mov_b32_e32 v9, v0
                                        ; implicit-def: $sgpr8_sgpr9
	s_branch .LBB72_251
.LBB72_250:                             ;   in Loop: Header=BB72_251 Depth=2
	s_or_b64 exec, exec, s[18:19]
	s_waitcnt lgkmcnt(0)
	s_barrier
	ds_read_b128 v[4:7], v21 offset:3072
	v_add_u32_e32 v9, s77, v9
	v_cmp_le_u32_e64 s[18:19], s37, v9
	v_add_u32_e32 v8, s72, v8
	s_waitcnt lgkmcnt(0)
	v_cmp_neq_f64_e32 vcc, 0, v[4:5]
	s_or_b64 s[18:19], s[18:19], vcc
	s_and_b64 s[18:19], exec, s[18:19]
	s_or_b64 s[34:35], s[18:19], s[34:35]
	s_andn2_b64 s[8:9], s[8:9], exec
	s_and_b64 s[18:19], vcc, exec
	s_or_b64 s[8:9], s[8:9], s[18:19]
	s_barrier
	s_andn2_b64 exec, exec, s[34:35]
	s_cbranch_execz .LBB72_257
.LBB72_251:                             ;   Parent Loop BB72_6 Depth=1
                                        ; =>  This Inner Loop Header: Depth=2
	v_cmp_gt_u32_e32 vcc, s36, v9
	s_waitcnt vmcnt(0)
	v_pk_mov_b32 v[4:5], 0, 0
	s_and_saveexec_b64 s[18:19], vcc
	s_cbranch_execz .LBB72_253
; %bb.252:                              ;   in Loop: Header=BB72_251 Depth=2
	ds_read_b64 v[4:5], v8
.LBB72_253:                             ;   in Loop: Header=BB72_251 Depth=2
	s_or_b64 exec, exec, s[18:19]
	s_and_saveexec_b64 s[18:19], vcc
	s_cbranch_execz .LBB72_250
; %bb.254:                              ;   in Loop: Header=BB72_251 Depth=2
	s_waitcnt lgkmcnt(0)
	v_ashrrev_i32_e32 v2, 31, v5
	v_or_b32_e32 v6, 0x80000000, v2
	v_xor_b32_e32 v6, v6, v5
	v_xor_b32_e32 v2, v2, v4
	v_cmp_o_f64_e32 vcc, v[4:5], v[4:5]
	v_cndmask_b32_e32 v6, -1, v6, vcc
	v_cndmask_b32_e32 v2, -1, v2, vcc
	v_and_b32_e32 v7, v6, v29
	v_and_b32_e32 v6, v2, v28
	v_cmp_eq_u64_e32 vcc, v[6:7], v[26:27]
	s_and_b64 exec, exec, vcc
	s_cbranch_execz .LBB72_250
; %bb.255:                              ;   in Loop: Header=BB72_251 Depth=2
	v_mov_b32_e32 v2, v21
	ds_write_b128 v21, v[2:5] offset:3072
	s_branch .LBB72_250
.LBB72_256:                             ;   in Loop: Header=BB72_6 Depth=1
	s_mov_b64 s[36:37], -1
	s_mov_b64 s[8:9], 0
                                        ; implicit-def: $sgpr38_sgpr39
                                        ; implicit-def: $vgpr6_vgpr7
	s_mov_b64 s[26:27], s[36:37]
	s_cbranch_execnz .LBB72_259
	s_branch .LBB72_269
.LBB72_257:                             ;   in Loop: Header=BB72_6 Depth=1
	s_or_b64 exec, exec, s[34:35]
	s_and_b64 s[8:9], s[8:9], exec
.LBB72_258:                             ;   in Loop: Header=BB72_6 Depth=1
	s_or_b64 exec, exec, s[26:27]
	s_mov_b64 s[36:37], 0
	s_mov_b64 s[38:39], -1
	s_mov_b64 s[26:27], s[36:37]
	s_branch .LBB72_269
.LBB72_259:                             ;   in Loop: Header=BB72_6 Depth=1
	s_mov_b64 s[8:9], 0
                                        ; implicit-def: $vgpr6_vgpr7
	s_mov_b64 s[26:27], exec
	v_readlane_b32 s18, v58, 50
	v_readlane_b32 s19, v58, 51
	s_and_b64 s[18:19], s[26:27], s[18:19]
	s_mov_b64 exec, s[18:19]
	s_cbranch_execz .LBB72_268
; %bb.260:                              ;   in Loop: Header=BB72_6 Depth=1
	s_mov_b64 s[34:35], 0
	v_mov_b32_e32 v20, v22
	v_mov_b32_e32 v8, v0
                                        ; implicit-def: $sgpr8_sgpr9
	s_branch .LBB72_262
.LBB72_261:                             ;   in Loop: Header=BB72_262 Depth=2
	s_or_b64 exec, exec, s[18:19]
	s_waitcnt lgkmcnt(0)
	s_barrier
	s_waitcnt vmcnt(0)
	ds_read_b128 v[4:7], v21 offset:3072
	v_add_u32_e32 v8, s77, v8
	v_cmp_le_u32_e64 s[18:19], s6, v8
	v_add_u32_e32 v20, s78, v20
	s_waitcnt lgkmcnt(0)
	v_cmp_neq_f64_e32 vcc, 0, v[4:5]
	s_or_b64 s[18:19], s[18:19], vcc
	s_and_b64 s[18:19], exec, s[18:19]
	s_or_b64 s[34:35], s[18:19], s[34:35]
	s_andn2_b64 s[8:9], s[8:9], exec
	s_and_b64 s[18:19], vcc, exec
	s_or_b64 s[8:9], s[8:9], s[18:19]
	s_barrier
	s_andn2_b64 exec, exec, s[34:35]
	s_cbranch_execz .LBB72_267
.LBB72_262:                             ;   Parent Loop BB72_6 Depth=1
                                        ; =>  This Inner Loop Header: Depth=2
	v_cmp_gt_u32_e32 vcc, s60, v8
	s_waitcnt vmcnt(0)
	v_pk_mov_b32 v[4:5], 0, 0
	s_and_saveexec_b64 s[36:37], vcc
	s_cbranch_execz .LBB72_264
; %bb.263:                              ;   in Loop: Header=BB72_262 Depth=2
	v_lshlrev_b64 v[4:5], 3, v[20:21]
	v_mov_b32_e32 v2, s76
	v_add_co_u32_e64 v4, s[18:19], s33, v4
	v_addc_co_u32_e64 v5, s[18:19], v2, v5, s[18:19]
	global_load_dwordx2 v[4:5], v[4:5], off
.LBB72_264:                             ;   in Loop: Header=BB72_262 Depth=2
	s_or_b64 exec, exec, s[36:37]
	s_and_saveexec_b64 s[18:19], vcc
	s_cbranch_execz .LBB72_261
; %bb.265:                              ;   in Loop: Header=BB72_262 Depth=2
	s_waitcnt vmcnt(0)
	v_ashrrev_i32_e32 v2, 31, v5
	v_or_b32_e32 v6, 0x80000000, v2
	v_xor_b32_e32 v6, v6, v5
	v_xor_b32_e32 v2, v2, v4
	v_cmp_o_f64_e32 vcc, v[4:5], v[4:5]
	v_cndmask_b32_e32 v6, -1, v6, vcc
	v_cndmask_b32_e32 v2, -1, v2, vcc
	v_and_b32_e32 v7, v6, v29
	v_and_b32_e32 v6, v2, v28
	v_cmp_eq_u64_e32 vcc, v[6:7], v[26:27]
	s_and_b64 exec, exec, vcc
	s_cbranch_execz .LBB72_261
; %bb.266:                              ;   in Loop: Header=BB72_262 Depth=2
	v_mov_b32_e32 v2, v21
	ds_write_b128 v21, v[2:5] offset:3072
	s_branch .LBB72_261
.LBB72_267:                             ;   in Loop: Header=BB72_6 Depth=1
	s_or_b64 exec, exec, s[34:35]
	s_and_b64 s[8:9], s[8:9], exec
.LBB72_268:                             ;   in Loop: Header=BB72_6 Depth=1
	s_or_b64 exec, exec, s[26:27]
	s_mov_b64 s[38:39], 0
	s_mov_b64 s[36:37], -1
	s_mov_b64 s[26:27], 0
.LBB72_269:                             ;   in Loop: Header=BB72_6 Depth=1
	s_orn2_b64 s[8:9], s[8:9], exec
.LBB72_270:                             ;   in Loop: Header=BB72_6 Depth=1
	s_or_b64 exec, exec, s[30:31]
                                        ; implicit-def: $vgpr2
                                        ; implicit-def: $vgpr30
                                        ; implicit-def: $vgpr12_vgpr13
                                        ; implicit-def: $vgpr14_vgpr15
                                        ; implicit-def: $vgpr10_vgpr11
	s_and_saveexec_b64 s[30:31], s[8:9]
	s_cbranch_execz .LBB72_405
; %bb.271:                              ;   in Loop: Header=BB72_6 Depth=1
	s_xor_b64 s[18:19], s[16:17], -1
	s_mov_b64 s[8:9], 0
	v_mov_b32_e32 v30, 1
	v_mov_b32_e32 v2, 1
	s_and_saveexec_b64 s[16:17], s[18:19]
	s_cbranch_execz .LBB72_281
; %bb.272:                              ;   in Loop: Header=BB72_6 Depth=1
	v_cmp_ge_u32_e32 vcc, s11, v47
                                        ; implicit-def: $sgpr34
                                        ; implicit-def: $sgpr8_sgpr9
	s_and_saveexec_b64 s[18:19], vcc
	s_xor_b64 s[18:19], exec, s[18:19]
	s_cbranch_execz .LBB72_278
; %bb.273:                              ;   in Loop: Header=BB72_6 Depth=1
	ds_read_b32 v2, v21 offset:4096
	s_waitcnt lgkmcnt(0)
	v_cmp_ne_u32_e32 vcc, 0, v2
	s_cbranch_vccnz .LBB72_277
; %bb.274:                              ;   in Loop: Header=BB72_6 Depth=1
	s_mov_b64 s[8:9], exec
	v_readlane_b32 s34, v58, 16
	v_readlane_b32 s35, v58, 17
	s_and_b64 s[34:35], s[8:9], s[34:35]
	s_mov_b64 exec, s[34:35]
	s_cbranch_execz .LBB72_276
; %bb.275:                              ;   in Loop: Header=BB72_6 Depth=1
	v_mov_b32_e32 v2, s11
	ds_write_b32 v21, v2 offset:4100
.LBB72_276:                             ;   in Loop: Header=BB72_6 Depth=1
	s_or_b64 exec, exec, s[8:9]
	s_waitcnt lgkmcnt(0)
	s_barrier
.LBB72_277:                             ;   in Loop: Header=BB72_6 Depth=1
	v_or_b32_e32 v27, s23, v27
	v_or_b32_e32 v26, s22, v26
	v_or_b32_e32 v29, s23, v29
	v_or_b32_e32 v28, s22, v28
	s_mov_b64 s[8:9], 0
	s_mov_b32 s34, 5
.LBB72_278:                             ;   in Loop: Header=BB72_6 Depth=1
	s_or_saveexec_b64 s[18:19], s[18:19]
	v_mov_b32_e32 v2, s34
	s_xor_b64 exec, exec, s[18:19]
; %bb.279:                              ;   in Loop: Header=BB72_6 Depth=1
	v_subrev_u32_e32 v47, s11, v47
	v_mov_b32_e32 v2, 0
	s_or_b64 s[8:9], s[8:9], exec
; %bb.280:                              ;   in Loop: Header=BB72_6 Depth=1
	s_or_b64 exec, exec, s[18:19]
	s_and_b64 s[8:9], s[8:9], exec
	v_mov_b32_e32 v30, v47
.LBB72_281:                             ;   in Loop: Header=BB72_6 Depth=1
	s_or_b64 exec, exec, s[16:17]
	s_mov_b64 s[42:43], -1
                                        ; implicit-def: $sgpr16_sgpr17
                                        ; implicit-def: $sgpr40_sgpr41
                                        ; implicit-def: $sgpr46_sgpr47
	s_and_saveexec_b64 s[18:19], s[8:9]
	s_xor_b64 s[34:35], exec, s[18:19]
	s_cbranch_execz .LBB72_402
; %bb.282:                              ;   in Loop: Header=BB72_6 Depth=1
	s_cmp_eq_u32 s10, 1
	s_cselect_b64 s[8:9], -1, 0
	v_cmp_eq_u32_e32 vcc, 1, v30
	s_and_b64 s[16:17], s[8:9], vcc
	s_mov_b64 s[18:19], -1
                                        ; implicit-def: $sgpr40_sgpr41
                                        ; implicit-def: $sgpr42_sgpr43
                                        ; implicit-def: $sgpr44_sgpr45
	s_and_saveexec_b64 s[46:47], s[16:17]
	s_cbranch_execz .LBB72_308
; %bb.283:                              ;   in Loop: Header=BB72_6 Depth=1
	ds_read_b32 v2, v21 offset:4096
	s_waitcnt lgkmcnt(0)
	s_barrier
	v_readfirstlane_b32 s11, v2
	s_mov_b64 s[8:9], exec
	v_readlane_b32 s18, v58, 34
	v_readlane_b32 s19, v58, 35
	s_and_b64 s[18:19], s[8:9], s[18:19]
	s_mov_b64 exec, s[18:19]
	s_cbranch_execz .LBB72_285
; %bb.284:                              ;   in Loop: Header=BB72_6 Depth=1
	v_mov_b32_e32 v20, v21
	ds_write_b64 v37, v[20:21]
.LBB72_285:                             ;   in Loop: Header=BB72_6 Depth=1
	s_or_b64 exec, exec, s[8:9]
	s_lshl_b64 s[8:9], 2, s59
	v_and_b32_e32 v2, s25, v27
	s_waitcnt vmcnt(0)
	v_and_b32_e32 v4, s24, v26
	v_or_b32_e32 v27, s9, v2
	v_or_b32_e32 v26, s8, v4
	;; [unrolled: 1-line block ×4, first 2 shown]
	s_cmp_eq_u32 s11, 0
	s_waitcnt lgkmcnt(0)
	s_barrier
	s_cbranch_scc1 .LBB72_294
; %bb.286:                              ;   in Loop: Header=BB72_6 Depth=1
	v_readlane_b32 s8, v58, 27
	s_add_i32 s8, s11, s8
	v_readlane_b32 s9, v58, 49
	s_mul_hi_u32 s9, s8, s9
	s_mul_i32 s9, s9, s77
	s_sub_i32 s9, s8, s9
	s_sub_i32 s18, s9, s77
	s_cmp_ge_u32 s9, s77
	s_cselect_b32 s9, s18, s9
	s_sub_i32 s18, s9, s77
	s_cmp_ge_u32 s9, s77
	s_cselect_b32 s9, s18, s9
	s_sub_i32 s44, s8, s9
	v_cmp_gt_u32_e32 vcc, s44, v0
	s_mov_b64 s[8:9], 0
                                        ; implicit-def: $vgpr6_vgpr7
	s_and_saveexec_b64 s[40:41], vcc
	s_cbranch_execz .LBB72_296
; %bb.287:                              ;   in Loop: Header=BB72_6 Depth=1
	s_mov_b64 s[42:43], 0
	v_mov_b32_e32 v8, v36
	v_mov_b32_e32 v9, v0
                                        ; implicit-def: $sgpr8_sgpr9
	s_branch .LBB72_289
.LBB72_288:                             ;   in Loop: Header=BB72_289 Depth=2
	s_or_b64 exec, exec, s[18:19]
	s_waitcnt lgkmcnt(0)
	s_barrier
	ds_read_b128 v[4:7], v21 offset:3072
	v_add_u32_e32 v9, s77, v9
	v_cmp_le_u32_e64 s[18:19], s44, v9
	v_add_u32_e32 v8, s72, v8
	s_waitcnt lgkmcnt(0)
	v_cmp_neq_f64_e32 vcc, 0, v[4:5]
	s_or_b64 s[18:19], s[18:19], vcc
	s_and_b64 s[18:19], exec, s[18:19]
	s_or_b64 s[42:43], s[18:19], s[42:43]
	s_andn2_b64 s[8:9], s[8:9], exec
	s_and_b64 s[18:19], vcc, exec
	s_or_b64 s[8:9], s[8:9], s[18:19]
	s_barrier
	s_andn2_b64 exec, exec, s[42:43]
	s_cbranch_execz .LBB72_295
.LBB72_289:                             ;   Parent Loop BB72_6 Depth=1
                                        ; =>  This Inner Loop Header: Depth=2
	v_cmp_gt_u32_e32 vcc, s11, v9
	v_pk_mov_b32 v[4:5], 0, 0
	s_and_saveexec_b64 s[18:19], vcc
	s_cbranch_execz .LBB72_291
; %bb.290:                              ;   in Loop: Header=BB72_289 Depth=2
	ds_read_b64 v[4:5], v8
.LBB72_291:                             ;   in Loop: Header=BB72_289 Depth=2
	s_or_b64 exec, exec, s[18:19]
	s_and_saveexec_b64 s[18:19], vcc
	s_cbranch_execz .LBB72_288
; %bb.292:                              ;   in Loop: Header=BB72_289 Depth=2
	s_waitcnt lgkmcnt(0)
	v_ashrrev_i32_e32 v2, 31, v5
	v_or_b32_e32 v6, 0x80000000, v2
	v_xor_b32_e32 v6, v6, v5
	v_xor_b32_e32 v2, v2, v4
	v_cmp_o_f64_e32 vcc, v[4:5], v[4:5]
	v_cndmask_b32_e32 v6, -1, v6, vcc
	v_cndmask_b32_e32 v2, -1, v2, vcc
	v_and_b32_e32 v7, v6, v29
	v_and_b32_e32 v6, v2, v28
	v_cmp_eq_u64_e32 vcc, v[6:7], v[26:27]
	s_and_b64 exec, exec, vcc
	s_cbranch_execz .LBB72_288
; %bb.293:                              ;   in Loop: Header=BB72_289 Depth=2
	v_mov_b32_e32 v2, v21
	ds_write_b128 v21, v[2:5] offset:3072
	s_branch .LBB72_288
.LBB72_294:                             ;   in Loop: Header=BB72_6 Depth=1
	s_mov_b64 s[40:41], -1
	s_mov_b64 s[8:9], 0
                                        ; implicit-def: $sgpr42_sgpr43
                                        ; implicit-def: $vgpr6_vgpr7
	s_mov_b64 s[44:45], s[40:41]
	s_cbranch_execnz .LBB72_297
	s_branch .LBB72_307
.LBB72_295:                             ;   in Loop: Header=BB72_6 Depth=1
	s_or_b64 exec, exec, s[42:43]
	s_and_b64 s[8:9], s[8:9], exec
.LBB72_296:                             ;   in Loop: Header=BB72_6 Depth=1
	s_or_b64 exec, exec, s[40:41]
	s_mov_b64 s[40:41], 0
	s_mov_b64 s[42:43], -1
	s_mov_b64 s[44:45], s[40:41]
	s_branch .LBB72_307
.LBB72_297:                             ;   in Loop: Header=BB72_6 Depth=1
	s_mov_b64 s[8:9], 0
                                        ; implicit-def: $vgpr6_vgpr7
	s_mov_b64 s[40:41], exec
	v_readlane_b32 s18, v58, 50
	v_readlane_b32 s19, v58, 51
	s_and_b64 s[18:19], s[40:41], s[18:19]
	s_mov_b64 exec, s[18:19]
	s_cbranch_execz .LBB72_306
; %bb.298:                              ;   in Loop: Header=BB72_6 Depth=1
	s_mov_b64 s[42:43], 0
	v_mov_b32_e32 v20, v22
	v_mov_b32_e32 v8, v0
                                        ; implicit-def: $sgpr8_sgpr9
	s_branch .LBB72_300
.LBB72_299:                             ;   in Loop: Header=BB72_300 Depth=2
	s_or_b64 exec, exec, s[18:19]
	s_waitcnt lgkmcnt(0)
	s_barrier
	s_waitcnt vmcnt(0)
	ds_read_b128 v[4:7], v21 offset:3072
	v_add_u32_e32 v8, s77, v8
	v_cmp_le_u32_e64 s[18:19], s6, v8
	v_add_u32_e32 v20, s78, v20
	s_waitcnt lgkmcnt(0)
	v_cmp_neq_f64_e32 vcc, 0, v[4:5]
	s_or_b64 s[18:19], s[18:19], vcc
	s_and_b64 s[18:19], exec, s[18:19]
	s_or_b64 s[42:43], s[18:19], s[42:43]
	s_andn2_b64 s[8:9], s[8:9], exec
	s_and_b64 s[18:19], vcc, exec
	s_or_b64 s[8:9], s[8:9], s[18:19]
	s_barrier
	s_andn2_b64 exec, exec, s[42:43]
	s_cbranch_execz .LBB72_305
.LBB72_300:                             ;   Parent Loop BB72_6 Depth=1
                                        ; =>  This Inner Loop Header: Depth=2
	v_cmp_gt_u32_e32 vcc, s60, v8
	v_pk_mov_b32 v[4:5], 0, 0
	s_and_saveexec_b64 s[44:45], vcc
	s_cbranch_execz .LBB72_302
; %bb.301:                              ;   in Loop: Header=BB72_300 Depth=2
	v_lshlrev_b64 v[4:5], 3, v[20:21]
	v_mov_b32_e32 v2, s76
	v_add_co_u32_e64 v4, s[18:19], s33, v4
	v_addc_co_u32_e64 v5, s[18:19], v2, v5, s[18:19]
	global_load_dwordx2 v[4:5], v[4:5], off
.LBB72_302:                             ;   in Loop: Header=BB72_300 Depth=2
	s_or_b64 exec, exec, s[44:45]
	s_and_saveexec_b64 s[18:19], vcc
	s_cbranch_execz .LBB72_299
; %bb.303:                              ;   in Loop: Header=BB72_300 Depth=2
	s_waitcnt vmcnt(0)
	v_ashrrev_i32_e32 v2, 31, v5
	v_or_b32_e32 v6, 0x80000000, v2
	v_xor_b32_e32 v6, v6, v5
	v_xor_b32_e32 v2, v2, v4
	v_cmp_o_f64_e32 vcc, v[4:5], v[4:5]
	v_cndmask_b32_e32 v6, -1, v6, vcc
	v_cndmask_b32_e32 v2, -1, v2, vcc
	v_and_b32_e32 v7, v6, v29
	v_and_b32_e32 v6, v2, v28
	v_cmp_eq_u64_e32 vcc, v[6:7], v[26:27]
	s_and_b64 exec, exec, vcc
	s_cbranch_execz .LBB72_299
; %bb.304:                              ;   in Loop: Header=BB72_300 Depth=2
	v_mov_b32_e32 v2, v21
	ds_write_b128 v21, v[2:5] offset:3072
	s_branch .LBB72_299
.LBB72_305:                             ;   in Loop: Header=BB72_6 Depth=1
	s_or_b64 exec, exec, s[42:43]
	s_and_b64 s[8:9], s[8:9], exec
.LBB72_306:                             ;   in Loop: Header=BB72_6 Depth=1
	s_or_b64 exec, exec, s[40:41]
	s_mov_b64 s[42:43], 0
	s_mov_b64 s[40:41], -1
	s_mov_b64 s[44:45], 0
.LBB72_307:                             ;   in Loop: Header=BB72_6 Depth=1
	s_orn2_b64 s[18:19], s[8:9], exec
.LBB72_308:                             ;   in Loop: Header=BB72_6 Depth=1
	s_or_b64 exec, exec, s[46:47]
	s_mov_b64 s[8:9], 0
                                        ; implicit-def: $vgpr2
	s_and_saveexec_b64 s[46:47], s[18:19]
	s_cbranch_execz .LBB72_401
; %bb.309:                              ;   in Loop: Header=BB72_6 Depth=1
	s_xor_b64 s[8:9], s[16:17], -1
	s_mov_b64 s[52:53], 0
	v_mov_b32_e32 v8, 1
	v_mov_b32_e32 v2, 1
	s_and_saveexec_b64 s[16:17], s[8:9]
	s_cbranch_execz .LBB72_319
; %bb.310:                              ;   in Loop: Header=BB72_6 Depth=1
	v_cmp_ge_u32_e32 vcc, s10, v30
                                        ; implicit-def: $sgpr11
                                        ; implicit-def: $sgpr8_sgpr9
	s_and_saveexec_b64 s[18:19], vcc
	s_xor_b64 s[18:19], exec, s[18:19]
	s_cbranch_execz .LBB72_316
; %bb.311:                              ;   in Loop: Header=BB72_6 Depth=1
	ds_read_b32 v2, v21 offset:4096
	s_waitcnt lgkmcnt(0)
	v_cmp_ne_u32_e32 vcc, 0, v2
	s_cbranch_vccnz .LBB72_315
; %bb.312:                              ;   in Loop: Header=BB72_6 Depth=1
	s_mov_b64 s[8:9], exec
	v_readlane_b32 s48, v58, 16
	v_readlane_b32 s49, v58, 17
	s_and_b64 s[48:49], s[8:9], s[48:49]
	s_mov_b64 exec, s[48:49]
	s_cbranch_execz .LBB72_314
; %bb.313:                              ;   in Loop: Header=BB72_6 Depth=1
	v_mov_b32_e32 v2, s10
	ds_write_b32 v21, v2 offset:4100
.LBB72_314:                             ;   in Loop: Header=BB72_6 Depth=1
	s_or_b64 exec, exec, s[8:9]
	s_waitcnt lgkmcnt(0)
	s_barrier
.LBB72_315:                             ;   in Loop: Header=BB72_6 Depth=1
	s_lshl_b64 s[8:9], 2, s59
	v_and_b32_e32 v2, s25, v27
	s_waitcnt vmcnt(0)
	v_and_b32_e32 v4, s24, v26
	v_or_b32_e32 v27, s9, v2
	v_or_b32_e32 v26, s8, v4
	;; [unrolled: 1-line block ×4, first 2 shown]
	s_mov_b64 s[8:9], 0
	s_mov_b32 s11, 5
.LBB72_316:                             ;   in Loop: Header=BB72_6 Depth=1
	s_or_saveexec_b64 s[18:19], s[18:19]
	v_mov_b32_e32 v2, s11
	s_xor_b64 exec, exec, s[18:19]
; %bb.317:                              ;   in Loop: Header=BB72_6 Depth=1
	v_subrev_u32_e32 v30, s10, v30
	v_mov_b32_e32 v2, 0
	s_or_b64 s[8:9], s[8:9], exec
; %bb.318:                              ;   in Loop: Header=BB72_6 Depth=1
	s_or_b64 exec, exec, s[18:19]
	s_and_b64 s[52:53], s[8:9], exec
	v_mov_b32_e32 v8, v30
.LBB72_319:                             ;   in Loop: Header=BB72_6 Depth=1
	s_or_b64 exec, exec, s[16:17]
	s_mov_b64 s[8:9], -1
                                        ; implicit-def: $sgpr16_sgpr17
                                        ; implicit-def: $sgpr18_sgpr19
                                        ; implicit-def: $sgpr50_sgpr51
	s_and_saveexec_b64 s[48:49], s[52:53]
	s_cbranch_execz .LBB72_400
; %bb.320:                              ;   in Loop: Header=BB72_6 Depth=1
	s_cmp_eq_u32 s58, 1
	s_cselect_b64 s[8:9], -1, 0
	v_cmp_eq_u32_e32 vcc, 1, v8
	s_and_b64 s[16:17], s[8:9], vcc
	s_mov_b64 s[18:19], -1
                                        ; implicit-def: $sgpr50_sgpr51
                                        ; implicit-def: $sgpr52_sgpr53
                                        ; implicit-def: $sgpr54_sgpr55
	s_and_saveexec_b64 s[56:57], s[16:17]
	s_cbranch_execz .LBB72_346
; %bb.321:                              ;   in Loop: Header=BB72_6 Depth=1
	ds_read_b32 v2, v21 offset:4096
	s_waitcnt lgkmcnt(0)
	s_barrier
	v_readfirstlane_b32 s10, v2
	s_mov_b64 s[8:9], exec
	v_readlane_b32 s18, v58, 34
	v_readlane_b32 s19, v58, 35
	s_and_b64 s[18:19], s[8:9], s[18:19]
	s_mov_b64 exec, s[18:19]
	s_cbranch_execz .LBB72_323
; %bb.322:                              ;   in Loop: Header=BB72_6 Depth=1
	v_mov_b32_e32 v20, v21
	ds_write_b64 v37, v[20:21]
.LBB72_323:                             ;   in Loop: Header=BB72_6 Depth=1
	s_or_b64 exec, exec, s[8:9]
	s_lshl_b64 s[8:9], 1, s59
	v_and_b32_e32 v2, s25, v27
	s_waitcnt vmcnt(0)
	v_and_b32_e32 v4, s24, v26
	v_or_b32_e32 v27, s9, v2
	v_or_b32_e32 v26, s8, v4
	;; [unrolled: 1-line block ×4, first 2 shown]
	s_cmp_eq_u32 s10, 0
	s_waitcnt lgkmcnt(0)
	s_barrier
	s_cbranch_scc1 .LBB72_332
; %bb.324:                              ;   in Loop: Header=BB72_6 Depth=1
	v_readlane_b32 s8, v58, 27
	s_add_i32 s8, s10, s8
	v_readlane_b32 s9, v58, 49
	s_mul_hi_u32 s9, s8, s9
	s_mul_i32 s9, s9, s77
	s_sub_i32 s9, s8, s9
	s_sub_i32 s11, s9, s77
	s_cmp_ge_u32 s9, s77
	s_cselect_b32 s9, s11, s9
	s_sub_i32 s11, s9, s77
	s_cmp_ge_u32 s9, s77
	s_cselect_b32 s9, s11, s9
	s_sub_i32 s11, s8, s9
	v_cmp_gt_u32_e32 vcc, s11, v0
	s_mov_b64 s[8:9], 0
                                        ; implicit-def: $vgpr6_vgpr7
	s_and_saveexec_b64 s[50:51], vcc
	s_cbranch_execz .LBB72_334
; %bb.325:                              ;   in Loop: Header=BB72_6 Depth=1
	s_mov_b64 s[52:53], 0
	v_mov_b32_e32 v9, v36
	v_mov_b32_e32 v10, v0
                                        ; implicit-def: $sgpr8_sgpr9
	s_branch .LBB72_327
.LBB72_326:                             ;   in Loop: Header=BB72_327 Depth=2
	s_or_b64 exec, exec, s[18:19]
	s_waitcnt lgkmcnt(0)
	s_barrier
	ds_read_b128 v[4:7], v21 offset:3072
	v_add_u32_e32 v10, s77, v10
	v_cmp_le_u32_e64 s[18:19], s11, v10
	v_add_u32_e32 v9, s72, v9
	s_waitcnt lgkmcnt(0)
	v_cmp_neq_f64_e32 vcc, 0, v[4:5]
	s_or_b64 s[18:19], s[18:19], vcc
	s_and_b64 s[18:19], exec, s[18:19]
	s_or_b64 s[52:53], s[18:19], s[52:53]
	s_andn2_b64 s[8:9], s[8:9], exec
	s_and_b64 s[18:19], vcc, exec
	s_or_b64 s[8:9], s[8:9], s[18:19]
	s_barrier
	s_andn2_b64 exec, exec, s[52:53]
	s_cbranch_execz .LBB72_333
.LBB72_327:                             ;   Parent Loop BB72_6 Depth=1
                                        ; =>  This Inner Loop Header: Depth=2
	v_cmp_gt_u32_e32 vcc, s10, v10
	v_pk_mov_b32 v[4:5], 0, 0
	s_and_saveexec_b64 s[18:19], vcc
	s_cbranch_execz .LBB72_329
; %bb.328:                              ;   in Loop: Header=BB72_327 Depth=2
	ds_read_b64 v[4:5], v9
.LBB72_329:                             ;   in Loop: Header=BB72_327 Depth=2
	s_or_b64 exec, exec, s[18:19]
	s_and_saveexec_b64 s[18:19], vcc
	s_cbranch_execz .LBB72_326
; %bb.330:                              ;   in Loop: Header=BB72_327 Depth=2
	s_waitcnt lgkmcnt(0)
	v_ashrrev_i32_e32 v2, 31, v5
	v_or_b32_e32 v6, 0x80000000, v2
	v_xor_b32_e32 v6, v6, v5
	v_xor_b32_e32 v2, v2, v4
	v_cmp_o_f64_e32 vcc, v[4:5], v[4:5]
	v_cndmask_b32_e32 v6, -1, v6, vcc
	v_cndmask_b32_e32 v2, -1, v2, vcc
	v_and_b32_e32 v7, v6, v29
	v_and_b32_e32 v6, v2, v28
	v_cmp_eq_u64_e32 vcc, v[6:7], v[26:27]
	s_and_b64 exec, exec, vcc
	s_cbranch_execz .LBB72_326
; %bb.331:                              ;   in Loop: Header=BB72_327 Depth=2
	v_mov_b32_e32 v2, v21
	ds_write_b128 v21, v[2:5] offset:3072
	s_branch .LBB72_326
.LBB72_332:                             ;   in Loop: Header=BB72_6 Depth=1
	s_mov_b64 s[50:51], -1
	s_mov_b64 s[8:9], 0
                                        ; implicit-def: $sgpr52_sgpr53
                                        ; implicit-def: $vgpr6_vgpr7
	s_mov_b64 s[54:55], s[50:51]
	s_cbranch_execnz .LBB72_335
	s_branch .LBB72_345
.LBB72_333:                             ;   in Loop: Header=BB72_6 Depth=1
	s_or_b64 exec, exec, s[52:53]
	s_and_b64 s[8:9], s[8:9], exec
.LBB72_334:                             ;   in Loop: Header=BB72_6 Depth=1
	s_or_b64 exec, exec, s[50:51]
	s_mov_b64 s[50:51], 0
	s_mov_b64 s[52:53], -1
	s_mov_b64 s[54:55], s[50:51]
	s_branch .LBB72_345
.LBB72_335:                             ;   in Loop: Header=BB72_6 Depth=1
	s_mov_b64 s[8:9], 0
                                        ; implicit-def: $vgpr6_vgpr7
	s_mov_b64 s[50:51], exec
	v_readlane_b32 s10, v58, 50
	v_readlane_b32 s11, v58, 51
	s_and_b64 s[10:11], s[50:51], s[10:11]
	s_mov_b64 exec, s[10:11]
	s_cbranch_execz .LBB72_344
; %bb.336:                              ;   in Loop: Header=BB72_6 Depth=1
	s_mov_b64 s[52:53], 0
	v_mov_b32_e32 v20, v22
	v_mov_b32_e32 v9, v0
                                        ; implicit-def: $sgpr8_sgpr9
	s_branch .LBB72_338
.LBB72_337:                             ;   in Loop: Header=BB72_338 Depth=2
	s_or_b64 exec, exec, s[18:19]
	s_waitcnt lgkmcnt(0)
	s_barrier
	s_waitcnt vmcnt(0)
	ds_read_b128 v[4:7], v21 offset:3072
	v_add_u32_e32 v9, s77, v9
	v_cmp_le_u32_e64 s[18:19], s6, v9
	v_add_u32_e32 v20, s78, v20
	s_waitcnt lgkmcnt(0)
	v_cmp_neq_f64_e32 vcc, 0, v[4:5]
	s_or_b64 s[10:11], s[18:19], vcc
	s_and_b64 s[10:11], exec, s[10:11]
	s_or_b64 s[52:53], s[10:11], s[52:53]
	s_andn2_b64 s[8:9], s[8:9], exec
	s_and_b64 s[10:11], vcc, exec
	s_or_b64 s[8:9], s[8:9], s[10:11]
	s_barrier
	s_andn2_b64 exec, exec, s[52:53]
	s_cbranch_execz .LBB72_343
.LBB72_338:                             ;   Parent Loop BB72_6 Depth=1
                                        ; =>  This Inner Loop Header: Depth=2
	v_cmp_gt_u32_e32 vcc, s60, v9
	v_pk_mov_b32 v[4:5], 0, 0
	s_and_saveexec_b64 s[54:55], vcc
	s_cbranch_execz .LBB72_340
; %bb.339:                              ;   in Loop: Header=BB72_338 Depth=2
	v_lshlrev_b64 v[4:5], 3, v[20:21]
	v_mov_b32_e32 v2, s76
	v_add_co_u32_e64 v4, s[18:19], s33, v4
	v_addc_co_u32_e64 v5, s[18:19], v2, v5, s[18:19]
	global_load_dwordx2 v[4:5], v[4:5], off
.LBB72_340:                             ;   in Loop: Header=BB72_338 Depth=2
	s_or_b64 exec, exec, s[54:55]
	s_and_saveexec_b64 s[18:19], vcc
	s_cbranch_execz .LBB72_337
; %bb.341:                              ;   in Loop: Header=BB72_338 Depth=2
	s_waitcnt vmcnt(0)
	v_ashrrev_i32_e32 v2, 31, v5
	v_or_b32_e32 v6, 0x80000000, v2
	v_xor_b32_e32 v6, v6, v5
	v_xor_b32_e32 v2, v2, v4
	v_cmp_o_f64_e32 vcc, v[4:5], v[4:5]
	v_cndmask_b32_e32 v6, -1, v6, vcc
	v_cndmask_b32_e32 v2, -1, v2, vcc
	v_and_b32_e32 v7, v6, v29
	v_and_b32_e32 v6, v2, v28
	v_cmp_eq_u64_e32 vcc, v[6:7], v[26:27]
	s_and_b64 exec, exec, vcc
	s_cbranch_execz .LBB72_337
; %bb.342:                              ;   in Loop: Header=BB72_338 Depth=2
	v_mov_b32_e32 v2, v21
	ds_write_b128 v21, v[2:5] offset:3072
	s_branch .LBB72_337
.LBB72_343:                             ;   in Loop: Header=BB72_6 Depth=1
	s_or_b64 exec, exec, s[52:53]
	s_and_b64 s[8:9], s[8:9], exec
.LBB72_344:                             ;   in Loop: Header=BB72_6 Depth=1
	s_or_b64 exec, exec, s[50:51]
	s_mov_b64 s[52:53], 0
	s_mov_b64 s[50:51], -1
	s_mov_b64 s[54:55], 0
.LBB72_345:                             ;   in Loop: Header=BB72_6 Depth=1
	s_orn2_b64 s[18:19], s[8:9], exec
.LBB72_346:                             ;   in Loop: Header=BB72_6 Depth=1
	s_or_b64 exec, exec, s[56:57]
	s_mov_b64 s[8:9], 0
                                        ; implicit-def: $vgpr2
	s_and_saveexec_b64 s[56:57], s[18:19]
	s_cbranch_execz .LBB72_399
; %bb.347:                              ;   in Loop: Header=BB72_6 Depth=1
	s_xor_b64 s[8:9], s[16:17], -1
	s_mov_b64 s[80:81], 0
	v_mov_b32_e32 v9, 1
	v_mov_b32_e32 v2, 1
	s_and_saveexec_b64 s[16:17], s[8:9]
	s_cbranch_execz .LBB72_357
; %bb.348:                              ;   in Loop: Header=BB72_6 Depth=1
	v_cmp_ge_u32_e32 vcc, s58, v8
                                        ; implicit-def: $sgpr10
                                        ; implicit-def: $sgpr8_sgpr9
	s_and_saveexec_b64 s[18:19], vcc
	s_xor_b64 s[18:19], exec, s[18:19]
	s_cbranch_execz .LBB72_354
; %bb.349:                              ;   in Loop: Header=BB72_6 Depth=1
	ds_read_b32 v2, v21 offset:4096
	s_waitcnt lgkmcnt(0)
	v_cmp_ne_u32_e32 vcc, 0, v2
	s_cbranch_vccnz .LBB72_353
; %bb.350:                              ;   in Loop: Header=BB72_6 Depth=1
	s_mov_b64 s[8:9], exec
	v_readlane_b32 s10, v58, 16
	v_readlane_b32 s11, v58, 17
	s_and_b64 s[10:11], s[8:9], s[10:11]
	s_mov_b64 exec, s[10:11]
	s_cbranch_execz .LBB72_352
; %bb.351:                              ;   in Loop: Header=BB72_6 Depth=1
	v_mov_b32_e32 v2, s58
	ds_write_b32 v21, v2 offset:4100
.LBB72_352:                             ;   in Loop: Header=BB72_6 Depth=1
	s_or_b64 exec, exec, s[8:9]
	s_waitcnt lgkmcnt(0)
	s_barrier
.LBB72_353:                             ;   in Loop: Header=BB72_6 Depth=1
	s_lshl_b64 s[8:9], 1, s59
	v_and_b32_e32 v2, s25, v27
	s_waitcnt vmcnt(0)
	v_and_b32_e32 v4, s24, v26
	v_or_b32_e32 v27, s9, v2
	v_or_b32_e32 v26, s8, v4
	;; [unrolled: 1-line block ×4, first 2 shown]
	s_mov_b64 s[8:9], 0
	s_mov_b32 s10, 5
.LBB72_354:                             ;   in Loop: Header=BB72_6 Depth=1
	s_or_saveexec_b64 s[18:19], s[18:19]
	v_mov_b32_e32 v2, s10
	s_xor_b64 exec, exec, s[18:19]
; %bb.355:                              ;   in Loop: Header=BB72_6 Depth=1
	v_subrev_u32_e32 v8, s58, v8
	v_mov_b32_e32 v2, 0
	s_or_b64 s[8:9], s[8:9], exec
; %bb.356:                              ;   in Loop: Header=BB72_6 Depth=1
	s_or_b64 exec, exec, s[18:19]
	s_and_b64 s[80:81], s[8:9], exec
	v_mov_b32_e32 v9, v8
.LBB72_357:                             ;   in Loop: Header=BB72_6 Depth=1
	s_or_b64 exec, exec, s[16:17]
	s_mov_b64 s[8:9], -1
                                        ; implicit-def: $sgpr18_sgpr19
                                        ; implicit-def: $sgpr82_sgpr83
                                        ; implicit-def: $sgpr16_sgpr17
	s_and_saveexec_b64 s[58:59], s[80:81]
	s_cbranch_execz .LBB72_398
; %bb.358:                              ;   in Loop: Header=BB72_6 Depth=1
	s_cmp_eq_u32 s5, 1
	s_cselect_b64 s[8:9], -1, 0
	v_cmp_eq_u32_e32 vcc, 1, v9
	s_and_b64 s[10:11], s[8:9], vcc
	s_mov_b64 s[8:9], -1
                                        ; implicit-def: $sgpr18_sgpr19
                                        ; implicit-def: $sgpr82_sgpr83
                                        ; implicit-def: $sgpr16_sgpr17
	s_mov_b64 s[80:81], exec
	v_writelane_b32 v58, s10, 53
	v_writelane_b32 v58, s11, 54
	s_and_b64 s[10:11], s[80:81], s[10:11]
	s_mov_b64 exec, s[10:11]
	s_cbranch_execz .LBB72_385
; %bb.359:                              ;   in Loop: Header=BB72_6 Depth=1
	ds_read_b32 v2, v21 offset:4096
	s_waitcnt lgkmcnt(0)
	s_barrier
	v_readfirstlane_b32 s10, v2
	s_mov_b64 s[8:9], exec
	v_readlane_b32 s16, v58, 34
	v_readlane_b32 s17, v58, 35
	s_and_b64 s[16:17], s[8:9], s[16:17]
	s_mov_b64 exec, s[16:17]
	s_cbranch_execz .LBB72_361
; %bb.360:                              ;   in Loop: Header=BB72_6 Depth=1
	v_mov_b32_e32 v20, v21
	ds_write_b64 v37, v[20:21]
.LBB72_361:                             ;   in Loop: Header=BB72_6 Depth=1
	s_or_b64 exec, exec, s[8:9]
	v_and_b32_e32 v27, s25, v27
	v_and_b32_e32 v26, s24, v26
	v_or_b32_e32 v29, s23, v29
	v_or_b32_e32 v28, s22, v28
	s_cmp_eq_u32 s10, 0
	s_waitcnt lgkmcnt(0)
	s_barrier
	s_cbranch_scc1 .LBB72_370
; %bb.362:                              ;   in Loop: Header=BB72_6 Depth=1
	v_readlane_b32 s8, v58, 27
	s_add_i32 s8, s10, s8
	v_readlane_b32 s9, v58, 49
	s_mul_hi_u32 s9, s8, s9
	s_mul_i32 s9, s9, s77
	s_sub_i32 s9, s8, s9
	s_sub_i32 s11, s9, s77
	s_cmp_ge_u32 s9, s77
	s_cselect_b32 s9, s11, s9
	s_sub_i32 s11, s9, s77
	s_cmp_ge_u32 s9, s77
	s_cselect_b32 s9, s11, s9
	s_sub_i32 s11, s8, s9
	v_cmp_gt_u32_e32 vcc, s11, v0
	s_mov_b64 s[8:9], 0
                                        ; implicit-def: $vgpr6_vgpr7
	s_and_saveexec_b64 s[16:17], vcc
	s_cbranch_execz .LBB72_372
; %bb.363:                              ;   in Loop: Header=BB72_6 Depth=1
	s_mov_b64 s[82:83], 0
	v_mov_b32_e32 v8, v36
	v_mov_b32_e32 v10, v0
                                        ; implicit-def: $sgpr8_sgpr9
	s_branch .LBB72_365
.LBB72_364:                             ;   in Loop: Header=BB72_365 Depth=2
	s_or_b64 exec, exec, s[18:19]
	s_waitcnt lgkmcnt(0)
	s_barrier
	ds_read_b128 v[4:7], v21 offset:3072
	v_add_u32_e32 v10, s77, v10
	v_cmp_le_u32_e64 s[18:19], s11, v10
	v_add_u32_e32 v8, s72, v8
	s_waitcnt lgkmcnt(0)
	v_cmp_neq_f64_e32 vcc, 0, v[4:5]
	s_or_b64 s[18:19], s[18:19], vcc
	s_and_b64 s[18:19], exec, s[18:19]
	s_or_b64 s[82:83], s[18:19], s[82:83]
	s_andn2_b64 s[8:9], s[8:9], exec
	s_and_b64 s[18:19], vcc, exec
	s_or_b64 s[8:9], s[8:9], s[18:19]
	s_barrier
	s_andn2_b64 exec, exec, s[82:83]
	s_cbranch_execz .LBB72_371
.LBB72_365:                             ;   Parent Loop BB72_6 Depth=1
                                        ; =>  This Inner Loop Header: Depth=2
	v_cmp_gt_u32_e32 vcc, s10, v10
	s_waitcnt vmcnt(0)
	v_pk_mov_b32 v[4:5], 0, 0
	s_and_saveexec_b64 s[18:19], vcc
	s_cbranch_execz .LBB72_367
; %bb.366:                              ;   in Loop: Header=BB72_365 Depth=2
	ds_read_b64 v[4:5], v8
.LBB72_367:                             ;   in Loop: Header=BB72_365 Depth=2
	s_or_b64 exec, exec, s[18:19]
	s_and_saveexec_b64 s[18:19], vcc
	s_cbranch_execz .LBB72_364
; %bb.368:                              ;   in Loop: Header=BB72_365 Depth=2
	s_waitcnt lgkmcnt(0)
	v_ashrrev_i32_e32 v2, 31, v5
	v_or_b32_e32 v6, 0x80000000, v2
	v_xor_b32_e32 v6, v6, v5
	v_xor_b32_e32 v2, v2, v4
	v_cmp_o_f64_e32 vcc, v[4:5], v[4:5]
	v_cndmask_b32_e32 v6, -1, v6, vcc
	v_cndmask_b32_e32 v2, -1, v2, vcc
	v_and_b32_e32 v7, v6, v29
	v_and_b32_e32 v6, v2, v28
	v_cmp_eq_u64_e32 vcc, v[6:7], v[26:27]
	s_and_b64 exec, exec, vcc
	s_cbranch_execz .LBB72_364
; %bb.369:                              ;   in Loop: Header=BB72_365 Depth=2
	v_mov_b32_e32 v2, v21
	ds_write_b128 v21, v[2:5] offset:3072
	s_branch .LBB72_364
.LBB72_370:                             ;   in Loop: Header=BB72_6 Depth=1
	s_mov_b64 s[18:19], -1
	s_mov_b64 s[8:9], 0
                                        ; implicit-def: $sgpr82_sgpr83
                                        ; implicit-def: $vgpr6_vgpr7
	s_branch .LBB72_373
.LBB72_371:                             ;   in Loop: Header=BB72_6 Depth=1
	s_or_b64 exec, exec, s[82:83]
	s_and_b64 s[8:9], s[8:9], exec
.LBB72_372:                             ;   in Loop: Header=BB72_6 Depth=1
	s_or_b64 exec, exec, s[16:17]
	s_mov_b64 s[18:19], 0
	s_mov_b64 s[82:83], -1
.LBB72_373:                             ;   in Loop: Header=BB72_6 Depth=1
	s_and_b64 vcc, exec, s[18:19]
	s_mov_b64 s[16:17], s[18:19]
	s_cbranch_vccz .LBB72_384
; %bb.374:                              ;   in Loop: Header=BB72_6 Depth=1
	s_mov_b64 s[8:9], 0
                                        ; implicit-def: $vgpr6_vgpr7
	s_mov_b64 s[62:63], exec
	v_readlane_b32 s10, v58, 50
	v_readlane_b32 s11, v58, 51
	s_and_b64 s[10:11], s[62:63], s[10:11]
	s_mov_b64 exec, s[10:11]
	s_cbranch_execz .LBB72_383
; %bb.375:                              ;   in Loop: Header=BB72_6 Depth=1
	s_mov_b64 s[82:83], 0
	v_mov_b32_e32 v20, v22
	v_mov_b32_e32 v8, v0
                                        ; implicit-def: $sgpr8_sgpr9
	s_branch .LBB72_377
.LBB72_376:                             ;   in Loop: Header=BB72_377 Depth=2
	s_or_b64 exec, exec, s[18:19]
	s_waitcnt lgkmcnt(0)
	s_barrier
	s_waitcnt vmcnt(0)
	ds_read_b128 v[4:7], v21 offset:3072
	v_add_u32_e32 v8, s77, v8
	v_cmp_le_u32_e64 s[18:19], s6, v8
	v_add_u32_e32 v20, s78, v20
	s_waitcnt lgkmcnt(0)
	v_cmp_neq_f64_e32 vcc, 0, v[4:5]
	s_or_b64 s[10:11], s[18:19], vcc
	s_and_b64 s[10:11], exec, s[10:11]
	s_or_b64 s[82:83], s[10:11], s[82:83]
	s_andn2_b64 s[8:9], s[8:9], exec
	s_and_b64 s[10:11], vcc, exec
	s_or_b64 s[8:9], s[8:9], s[10:11]
	s_barrier
	s_andn2_b64 exec, exec, s[82:83]
	s_cbranch_execz .LBB72_382
.LBB72_377:                             ;   Parent Loop BB72_6 Depth=1
                                        ; =>  This Inner Loop Header: Depth=2
	v_cmp_gt_u32_e32 vcc, s60, v8
	s_waitcnt vmcnt(0)
	v_pk_mov_b32 v[4:5], 0, 0
	s_and_saveexec_b64 s[16:17], vcc
	s_cbranch_execz .LBB72_379
; %bb.378:                              ;   in Loop: Header=BB72_377 Depth=2
	v_lshlrev_b64 v[4:5], 3, v[20:21]
	v_mov_b32_e32 v2, s76
	v_add_co_u32_e64 v4, s[18:19], s33, v4
	v_addc_co_u32_e64 v5, s[18:19], v2, v5, s[18:19]
	global_load_dwordx2 v[4:5], v[4:5], off
.LBB72_379:                             ;   in Loop: Header=BB72_377 Depth=2
	s_or_b64 exec, exec, s[16:17]
	s_and_saveexec_b64 s[18:19], vcc
	s_cbranch_execz .LBB72_376
; %bb.380:                              ;   in Loop: Header=BB72_377 Depth=2
	s_waitcnt vmcnt(0)
	v_ashrrev_i32_e32 v2, 31, v5
	v_or_b32_e32 v6, 0x80000000, v2
	v_xor_b32_e32 v6, v6, v5
	v_xor_b32_e32 v2, v2, v4
	v_cmp_o_f64_e32 vcc, v[4:5], v[4:5]
	v_cndmask_b32_e32 v6, -1, v6, vcc
	v_cndmask_b32_e32 v2, -1, v2, vcc
	v_and_b32_e32 v7, v6, v29
	v_and_b32_e32 v6, v2, v28
	v_cmp_eq_u64_e32 vcc, v[6:7], v[26:27]
	s_and_b64 exec, exec, vcc
	s_cbranch_execz .LBB72_376
; %bb.381:                              ;   in Loop: Header=BB72_377 Depth=2
	v_mov_b32_e32 v2, v21
	ds_write_b128 v21, v[2:5] offset:3072
	s_branch .LBB72_376
.LBB72_382:                             ;   in Loop: Header=BB72_6 Depth=1
	s_or_b64 exec, exec, s[82:83]
	s_and_b64 s[8:9], s[8:9], exec
.LBB72_383:                             ;   in Loop: Header=BB72_6 Depth=1
	s_or_b64 exec, exec, s[62:63]
	s_mov_b64 s[82:83], 0
	s_mov_b64 s[18:19], -1
	s_mov_b64 s[16:17], 0
.LBB72_384:                             ;   in Loop: Header=BB72_6 Depth=1
	s_orn2_b64 s[8:9], s[8:9], exec
.LBB72_385:                             ;   in Loop: Header=BB72_6 Depth=1
	s_or_b64 exec, exec, s[80:81]
	s_mov_b64 vcc, 0
                                        ; implicit-def: $vgpr2
                                        ; implicit-def: $vgpr4
	s_and_saveexec_b64 s[80:81], s[8:9]
	s_cbranch_execz .LBB72_397
; %bb.386:                              ;   in Loop: Header=BB72_6 Depth=1
	v_readlane_b32 s8, v58, 53
	v_readlane_b32 s9, v58, 54
	s_xor_b64 s[10:11], s[8:9], -1
	v_mov_b32_e32 v2, 1
	s_waitcnt vmcnt(0)
	v_mov_b32_e32 v4, 1
	s_and_saveexec_b64 s[8:9], s[10:11]
	s_cbranch_execz .LBB72_396
; %bb.387:                              ;   in Loop: Header=BB72_6 Depth=1
	v_cmp_ge_u32_e32 vcc, s5, v9
                                        ; implicit-def: $sgpr10
	s_and_saveexec_b64 s[62:63], vcc
	s_xor_b64 s[62:63], exec, s[62:63]
	s_cbranch_execz .LBB72_393
; %bb.388:                              ;   in Loop: Header=BB72_6 Depth=1
	ds_read_b32 v2, v21 offset:4096
	s_waitcnt lgkmcnt(0)
	v_cmp_ne_u32_e32 vcc, 0, v2
	s_cbranch_vccnz .LBB72_392
; %bb.389:                              ;   in Loop: Header=BB72_6 Depth=1
	s_mov_b64 vcc, exec
	v_readlane_b32 s10, v58, 16
	v_readlane_b32 s11, v58, 17
	s_and_b64 s[10:11], vcc, s[10:11]
	s_mov_b64 exec, s[10:11]
	s_cbranch_execz .LBB72_391
; %bb.390:                              ;   in Loop: Header=BB72_6 Depth=1
	v_mov_b32_e32 v2, s5
	ds_write_b32 v21, v2 offset:4100
.LBB72_391:                             ;   in Loop: Header=BB72_6 Depth=1
	s_or_b64 exec, exec, vcc
	s_waitcnt lgkmcnt(0)
	s_barrier
.LBB72_392:                             ;   in Loop: Header=BB72_6 Depth=1
	v_and_b32_e32 v27, s25, v27
	v_and_b32_e32 v26, s24, v26
	v_or_b32_e32 v29, s23, v29
	v_or_b32_e32 v28, s22, v28
	s_mov_b32 s10, 5
.LBB72_393:                             ;   in Loop: Header=BB72_6 Depth=1
	s_or_saveexec_b64 s[22:23], s[62:63]
	v_mov_b32_e32 v2, s10
	s_xor_b64 exec, exec, s[22:23]
; %bb.394:                              ;   in Loop: Header=BB72_6 Depth=1
	v_subrev_u32_e32 v9, s5, v9
	v_mov_b32_e32 v2, 5
; %bb.395:                              ;   in Loop: Header=BB72_6 Depth=1
	s_or_b64 exec, exec, s[22:23]
	v_mov_b32_e32 v4, v9
.LBB72_396:                             ;   in Loop: Header=BB72_6 Depth=1
	s_or_b64 exec, exec, s[8:9]
	s_mov_b64 vcc, exec
.LBB72_397:                             ;   in Loop: Header=BB72_6 Depth=1
	s_or_b64 exec, exec, s[80:81]
	s_orn2_b64 s[8:9], vcc, exec
	s_waitcnt vmcnt(0)
	v_mov_b32_e32 v9, v4
.LBB72_398:                             ;   in Loop: Header=BB72_6 Depth=1
	s_or_b64 exec, exec, s[58:59]
	s_andn2_b64 s[10:11], s[50:51], exec
	s_and_b64 s[18:19], s[18:19], exec
	s_or_b64 s[50:51], s[10:11], s[18:19]
	s_andn2_b64 s[10:11], s[52:53], exec
	s_and_b64 s[18:19], s[82:83], exec
	s_or_b64 s[52:53], s[10:11], s[18:19]
	;; [unrolled: 3-line block ×3, first 2 shown]
	s_and_b64 s[8:9], s[8:9], exec
	v_mov_b32_e32 v8, v9
.LBB72_399:                             ;   in Loop: Header=BB72_6 Depth=1
	s_or_b64 exec, exec, s[56:57]
	s_and_b64 s[50:51], s[50:51], exec
	s_and_b64 s[18:19], s[52:53], exec
	;; [unrolled: 1-line block ×3, first 2 shown]
	s_orn2_b64 s[8:9], s[8:9], exec
.LBB72_400:                             ;   in Loop: Header=BB72_6 Depth=1
	s_or_b64 exec, exec, s[48:49]
	s_andn2_b64 s[10:11], s[40:41], exec
	s_and_b64 s[22:23], s[50:51], exec
	s_or_b64 s[40:41], s[10:11], s[22:23]
	s_andn2_b64 s[10:11], s[42:43], exec
	s_and_b64 s[18:19], s[18:19], exec
	s_or_b64 s[42:43], s[10:11], s[18:19]
	;; [unrolled: 3-line block ×3, first 2 shown]
	s_and_b64 s[8:9], s[8:9], exec
	v_mov_b32_e32 v30, v8
.LBB72_401:                             ;   in Loop: Header=BB72_6 Depth=1
	s_or_b64 exec, exec, s[46:47]
	s_and_b64 s[46:47], s[40:41], exec
	s_and_b64 s[40:41], s[42:43], exec
	;; [unrolled: 1-line block ×3, first 2 shown]
	s_orn2_b64 s[42:43], s[8:9], exec
.LBB72_402:                             ;   in Loop: Header=BB72_6 Depth=1
	s_or_b64 exec, exec, s[34:35]
	s_mov_b64 s[8:9], s[28:29]
	s_mov_b64 s[18:19], s[20:21]
	s_and_saveexec_b64 s[22:23], s[42:43]
; %bb.403:                              ;   in Loop: Header=BB72_6 Depth=1
	v_cmp_ne_u32_e64 s[18:19], 5, v2
	v_cmp_eq_u32_e32 vcc, 5, v2
	s_andn2_b64 s[8:9], s[20:21], exec
	s_and_b64 s[10:11], s[18:19], exec
	s_or_b64 s[18:19], s[8:9], s[10:11]
	s_andn2_b64 s[8:9], s[28:29], exec
	s_and_b64 s[10:11], vcc, exec
	s_andn2_b64 s[46:47], s[46:47], exec
	s_andn2_b64 s[40:41], s[40:41], exec
	s_andn2_b64 s[16:17], s[16:17], exec
	s_or_b64 s[8:9], s[8:9], s[10:11]
; %bb.404:                              ;   in Loop: Header=BB72_6 Depth=1
	s_or_b64 exec, exec, s[22:23]
	s_andn2_b64 s[10:11], s[36:37], exec
	s_and_b64 s[22:23], s[46:47], exec
	s_or_b64 s[36:37], s[10:11], s[22:23]
	s_andn2_b64 s[10:11], s[38:39], exec
	s_and_b64 s[22:23], s[40:41], exec
	s_or_b64 s[38:39], s[10:11], s[22:23]
	;; [unrolled: 3-line block ×5, first 2 shown]
	s_waitcnt vmcnt(0)
	v_pk_mov_b32 v[12:13], v[26:27], v[26:27] op_sel:[0,1]
	v_pk_mov_b32 v[14:15], v[28:29], v[28:29] op_sel:[0,1]
	;; [unrolled: 1-line block ×3, first 2 shown]
.LBB72_405:                             ;   in Loop: Header=BB72_6 Depth=1
	s_or_b64 exec, exec, s[30:31]
	s_mov_b64 s[34:35], s[26:27]
	s_mov_b64 s[30:31], s[26:27]
	s_and_saveexec_b64 s[8:9], s[28:29]
.LBB72_406:                             ;   in Loop: Header=BB72_6 Depth=1
	v_mov_b32_e32 v2, 0
	s_andn2_b64 s[26:27], s[26:27], exec
	s_andn2_b64 s[36:37], s[36:37], exec
	;; [unrolled: 1-line block ×5, first 2 shown]
	s_or_b64 s[20:21], s[20:21], exec
.LBB72_407:                             ;   in Loop: Header=BB72_6 Depth=1
	s_or_b64 exec, exec, s[8:9]
	s_andn2_b64 s[8:9], s[88:89], exec
	s_and_b64 s[10:11], s[26:27], exec
	s_or_b64 s[88:89], s[8:9], s[10:11]
	s_andn2_b64 s[8:9], s[86:87], exec
	s_and_b64 s[10:11], s[36:37], exec
	s_or_b64 s[86:87], s[8:9], s[10:11]
	;; [unrolled: 3-line block ×4, first 2 shown]
	s_andn2_b64 s[8:9], s[70:71], exec
	s_and_b64 s[10:11], s[30:31], exec
	s_mov_b64 s[16:17], -1
	s_or_b64 s[70:71], s[8:9], s[10:11]
                                        ; implicit-def: $vgpr28_vgpr29
                                        ; implicit-def: $vgpr26_vgpr27
                                        ; implicit-def: $vgpr47
                                        ; implicit-def: $vgpr6_vgpr7
	s_and_saveexec_b64 s[8:9], s[20:21]
	s_xor_b64 s[8:9], exec, s[8:9]
	s_cbranch_execz .LBB72_5
; %bb.408:                              ;   in Loop: Header=BB72_6 Depth=1
	v_cmp_eq_u32_e32 vcc, 0, v2
	s_mov_b64 s[18:19], -1
	s_and_saveexec_b64 s[20:21], vcc
	s_cbranch_execz .LBB72_4
; %bb.409:                              ;   in Loop: Header=BB72_6 Depth=1
	s_xor_b32 s4, s4, 1
	s_add_i32 s5, s73, -2
	s_cmp_eq_u32 s73, 0
	s_cselect_b64 s[10:11], -1, 0
	s_xor_b64 s[18:19], exec, -1
	s_orn2_b64 s[16:17], s[10:11], exec
	s_mov_b32 s73, s5
	s_branch .LBB72_4
.LBB72_410:
	s_or_b64 exec, exec, s[90:91]
	s_xor_b64 s[8:9], s[68:69], -1
	s_xor_b64 s[18:19], s[66:67], -1
	;; [unrolled: 1-line block ×5, first 2 shown]
	s_mov_b64 s[12:13], 0
	s_and_saveexec_b64 s[6:7], s[4:5]
	s_xor_b64 s[10:11], exec, s[6:7]
	s_cbranch_execnz .LBB72_415
; %bb.411:
	s_andn2_saveexec_b64 s[0:1], s[10:11]
	s_cbranch_execnz .LBB72_434
.LBB72_412:
	s_or_b64 exec, exec, s[0:1]
	s_and_saveexec_b64 s[0:1], s[12:13]
.LBB72_413:
	; divergent unreachable
.LBB72_414:
	s_endpgm
.LBB72_415:
	s_mov_b64 s[14:15], 0
	s_and_saveexec_b64 s[4:5], s[16:17]
	s_xor_b64 s[12:13], exec, s[4:5]
	s_cbranch_execz .LBB72_432
; %bb.416:
	s_mov_b64 s[16:17], 0
	s_and_saveexec_b64 s[4:5], s[18:19]
	s_xor_b64 s[14:15], exec, s[4:5]
	s_cbranch_execz .LBB72_430
; %bb.417:
	;; [unrolled: 5-line block ×3, first 2 shown]
	s_and_saveexec_b64 s[4:5], s[2:3]
	s_xor_b64 s[2:3], exec, s[4:5]
	s_cbranch_execz .LBB72_420
; %bb.419:
	s_waitcnt vmcnt(0)
	v_lshrrev_b32_e32 v1, 31, v13
	v_add_co_u32_e32 v1, vcc, -1, v1
	v_addc_co_u32_e64 v2, s[4:5], 0, -1, vcc
	v_or_b32_e32 v2, 0x80000000, v2
	v_xor_b32_e32 v11, v2, v13
	v_xor_b32_e32 v10, v1, v12
.LBB72_420:
	s_or_b64 exec, exec, s[2:3]
	s_mov_b64 s[2:3], exec
	v_readlane_b32 s4, v58, 16
	v_readlane_b32 s5, v58, 17
	;; [unrolled: 1-line block ×3, first 2 shown]
	s_and_b64 s[4:5], s[2:3], s[4:5]
	v_readlane_b32 s31, v58, 20
	v_readlane_b32 s20, v58, 52
	s_mov_b64 exec, s[4:5]
	s_cbranch_execz .LBB72_422
; %bb.421:
	v_mov_b32_e32 v1, 0
	ds_write_b32 v1, v1 offset:4108
.LBB72_422:
	s_or_b64 exec, exec, s[2:3]
	v_pk_mov_b32 v[6:7], 0, 0
	s_waitcnt lgkmcnt(0)
	s_barrier
	s_mov_b64 s[2:3], exec
	v_readlane_b32 s4, v58, 32
	v_readlane_b32 s5, v58, 33
	s_and_b64 s[4:5], s[2:3], s[4:5]
	s_mov_b64 exec, s[4:5]
	s_cbranch_execz .LBB72_424
; %bb.423:
	global_load_dwordx2 v[6:7], v[18:19], off
.LBB72_424:
	s_or_b64 exec, exec, s[2:3]
	v_readlane_b32 s5, v58, 12
	v_readlane_b32 s7, v58, 13
	s_mul_i32 s2, s7, s5
	v_readlane_b32 s6, v58, 18
	s_add_i32 s40, s60, 63
	s_sub_i32 s2, s6, s2
	s_andn2_b32 s40, s40, 63
	s_add_i32 s3, s7, 1
	s_sub_i32 s4, s2, s5
	s_cmp_ge_u32 s2, s5
	s_cselect_b32 s3, s3, s7
	s_cselect_b32 s2, s4, s2
	s_add_i32 s4, s3, 1
	s_cmp_ge_u32 s2, s5
	s_cselect_b32 s2, s4, s3
	s_mul_i32 s3, s2, s5
	v_readlane_b32 s4, v58, 2
	s_sub_i32 s3, s6, s3
	v_readlane_b32 s5, v58, 3
	s_mul_i32 s3, s3, s5
	s_mul_i32 s2, s2, s4
	v_readlane_b32 s7, v58, 14
	v_readlane_b32 s8, v58, 15
	s_add_i32 s2, s2, s3
	s_mul_i32 s3, s8, s7
	s_sub_i32 s3, s6, s3
	s_add_i32 s4, s8, 1
	s_sub_i32 s5, s3, s7
	s_cmp_ge_u32 s3, s7
	s_cselect_b32 s4, s4, s8
	s_cselect_b32 s3, s5, s3
	s_add_i32 s5, s4, 1
	s_cmp_ge_u32 s3, s7
	s_cselect_b32 s3, s5, s4
	s_mul_i32 s4, s3, s7
	s_sub_i32 s4, s6, s4
	v_readlane_b32 s6, v58, 4
	v_readlane_b32 s7, v58, 5
	s_mul_i32 s4, s4, s7
	s_mul_i32 s3, s3, s6
	s_add_i32 s4, s3, s4
	s_mov_b32 s3, 0
	s_lshl_b64 s[6:7], s[2:3], 3
	v_readlane_b32 s8, v58, 8
	v_readlane_b32 s9, v58, 9
	s_add_u32 s41, s8, s6
	s_mov_b32 s5, s3
	s_addc_u32 s42, s9, s7
	s_lshl_b64 s[2:3], s[4:5], 3
	v_readlane_b32 s4, v58, 0
	v_readlane_b32 s5, v58, 1
	s_add_u32 s43, s4, s2
	s_addc_u32 s44, s5, s3
	v_readlane_b32 s2, v58, 6
	v_readlane_b32 s3, v58, 7
	v_ashrrev_i32_e32 v1, 31, v11
	s_load_dword s45, s[2:3], 0x1c8
	s_load_dword s46, s[2:3], 0x2a8
	v_or_b32_e32 v2, 0x80000000, v1
	v_xor_b32_e32 v2, v2, v11
	v_xor_b32_e32 v1, v1, v10
	v_cmp_o_f64_e32 vcc, v[10:11], v[10:11]
	v_cndmask_b32_e32 v3, -1, v2, vcc
	v_cndmask_b32_e32 v2, -1, v1, vcc
	v_add_u32_e32 v1, s77, v0
	v_cmp_gt_u32_e32 vcc, s40, v0
	s_mov_b64 s[18:19], -1
	s_mov_b64 s[2:3], 0
	s_waitcnt vmcnt(0)
	v_mul_lo_u32 v4, s20, v1
	s_mov_b64 s[4:5], 0
	s_and_saveexec_b64 s[8:9], vcc
	s_cbranch_execnz .LBB72_435
; %bb.425:
	s_or_b64 exec, exec, s[8:9]
	s_and_saveexec_b64 s[8:9], s[18:19]
	s_cbranch_execnz .LBB72_452
.LBB72_426:
	s_or_b64 exec, exec, s[8:9]
	s_and_saveexec_b64 s[0:1], s[4:5]
	s_xor_b64 s[0:1], exec, s[0:1]
	s_cbranch_execnz .LBB72_476
.LBB72_427:
	s_or_b64 exec, exec, s[0:1]
	s_and_b64 s[18:19], s[2:3], exec
.LBB72_428:
	s_andn2_saveexec_b64 s[0:1], s[16:17]
	s_cbranch_execnz .LBB72_479
.LBB72_429:
	s_or_b64 exec, exec, s[0:1]
	s_and_b64 s[16:17], s[18:19], exec
.LBB72_430:
	s_andn2_saveexec_b64 s[0:1], s[14:15]
	s_cbranch_execnz .LBB72_478
.LBB72_431:
	s_or_b64 exec, exec, s[0:1]
	s_and_b64 s[14:15], s[16:17], exec
.LBB72_432:
	s_andn2_saveexec_b64 s[0:1], s[12:13]
	s_cbranch_execnz .LBB72_477
.LBB72_433:
	s_or_b64 exec, exec, s[0:1]
	s_and_b64 s[12:13], s[14:15], exec
	s_andn2_saveexec_b64 s[0:1], s[10:11]
	s_cbranch_execz .LBB72_412
.LBB72_434:
	s_or_b64 s[12:13], s[12:13], exec
	s_trap 2
	s_or_b64 exec, exec, s[0:1]
	s_and_saveexec_b64 s[0:1], s[12:13]
	s_cbranch_execnz .LBB72_413
	s_branch .LBB72_414
.LBB72_435:
	v_mul_lo_u32 v8, s20, v1
	s_mov_b64 s[18:19], 0
	v_mov_b32_e32 v9, 0
	v_mov_b32_e32 v12, v0
                                        ; implicit-def: $sgpr20_sgpr21
                                        ; implicit-def: $vgpr5
	s_branch .LBB72_437
.LBB72_436:                             ;   in Loop: Header=BB72_437 Depth=1
	s_or_b64 exec, exec, s[22:23]
	s_xor_b64 s[6:7], s[26:27], -1
	s_and_b64 s[4:5], exec, s[4:5]
	s_or_b64 s[18:19], s[4:5], s[18:19]
	s_andn2_b64 s[4:5], s[20:21], exec
	s_and_b64 s[6:7], s[6:7], exec
	s_or_b64 s[20:21], s[4:5], s[6:7]
	s_waitcnt vmcnt(0)
	v_pk_mov_b32 v[6:7], v[10:11], v[10:11] op_sel:[0,1]
	v_mov_b32_e32 v12, v1
	s_andn2_b64 exec, exec, s[18:19]
	s_cbranch_execz .LBB72_451
.LBB72_437:                             ; =>This Inner Loop Header: Depth=1
	v_add_u32_e32 v1, s77, v12
	v_cmp_gt_u32_e32 vcc, s60, v1
	v_pk_mov_b32 v[10:11], 0, 0
	s_and_saveexec_b64 s[4:5], vcc
	s_cbranch_execz .LBB72_439
; %bb.438:                              ;   in Loop: Header=BB72_437 Depth=1
	v_lshlrev_b64 v[10:11], 3, v[8:9]
	v_mov_b32_e32 v13, s76
	v_add_co_u32_e32 v10, vcc, s33, v10
	v_addc_co_u32_e32 v11, vcc, v13, v11, vcc
	global_load_dwordx2 v[10:11], v[10:11], off
.LBB72_439:                             ;   in Loop: Header=BB72_437 Depth=1
	s_or_b64 exec, exec, s[4:5]
	v_cmp_gt_u32_e32 vcc, s60, v12
	s_mov_b64 s[22:23], 0
	s_and_saveexec_b64 s[4:5], vcc
	s_cbranch_execz .LBB72_441
; %bb.440:                              ;   in Loop: Header=BB72_437 Depth=1
	v_ashrrev_i32_e32 v13, 31, v7
	v_or_b32_e32 v14, 0x80000000, v13
	v_xor_b32_e32 v14, v14, v7
	v_xor_b32_e32 v13, v13, v6
	v_cmp_o_f64_e32 vcc, v[6:7], v[6:7]
	v_cndmask_b32_e32 v15, -1, v14, vcc
	v_cndmask_b32_e32 v14, -1, v13, vcc
	v_cmp_gt_u64_e32 vcc, v[14:15], v[2:3]
	v_cndmask_b32_e64 v13, 0, 1, vcc
	v_cmp_lt_u64_e32 vcc, v[14:15], v[2:3]
	v_cndmask_b32_e64 v14, 0, 1, vcc
	v_cndmask_b32_e64 v13, v14, v13, s[30:31]
	v_and_b32_e32 v13, 1, v13
	v_cmp_eq_u32_e32 vcc, 1, v13
	s_and_b64 s[22:23], vcc, exec
.LBB72_441:                             ;   in Loop: Header=BB72_437 Depth=1
	s_or_b64 exec, exec, s[4:5]
	v_cndmask_b32_e64 v13, 0, 1, s[22:23]
	v_cmp_ne_u32_e32 vcc, 0, v13
	s_cmp_lg_u64 vcc, 0
	s_cselect_b64 s[4:5], -1, 0
	s_and_b64 s[4:5], s[0:1], s[4:5]
	s_and_saveexec_b64 s[24:25], s[4:5]
	s_cbranch_execz .LBB72_445
; %bb.442:                              ;   in Loop: Header=BB72_437 Depth=1
	s_mov_b64 s[28:29], exec
	s_waitcnt lgkmcnt(0)
	v_mbcnt_lo_u32_b32 v5, s28, 0
	v_mbcnt_hi_u32_b32 v5, s29, v5
	s_bcnt1_i32_b64 s6, vcc
	v_cmp_eq_u32_e64 s[4:5], 0, v5
                                        ; implicit-def: $vgpr13
	s_and_saveexec_b64 s[26:27], s[4:5]
	s_cbranch_execz .LBB72_444
; %bb.443:                              ;   in Loop: Header=BB72_437 Depth=1
	s_bcnt1_i32_b64 s4, s[28:29]
	s_mul_i32 s4, s6, s4
	v_mov_b32_e32 v13, s4
	ds_add_rtn_u32 v13, v9, v13 offset:4108
.LBB72_444:                             ;   in Loop: Header=BB72_437 Depth=1
	s_or_b64 exec, exec, s[26:27]
	s_waitcnt lgkmcnt(0)
	v_readfirstlane_b32 s4, v13
	v_mov_b32_e32 v13, s4
	v_mad_u32_u24 v5, s6, v5, v13
.LBB72_445:                             ;   in Loop: Header=BB72_437 Depth=1
	s_or_b64 exec, exec, s[24:25]
	s_waitcnt lgkmcnt(0)
	ds_bpermute_b32 v5, v23, v5
	s_mov_b64 s[4:5], -1
	s_mov_b64 s[28:29], -1
                                        ; implicit-def: $sgpr26_sgpr27
	s_and_saveexec_b64 s[24:25], s[22:23]
	s_cbranch_execz .LBB72_449
; %bb.446:                              ;   in Loop: Header=BB72_437 Depth=1
	v_and_b32_e32 v14, vcc_lo, v16
	v_and_b32_e32 v13, vcc_hi, v17
	v_bcnt_u32_b32 v14, v14, 0
	v_bcnt_u32_b32 v13, v13, v14
	s_waitcnt lgkmcnt(0)
	v_add_u32_e32 v13, v5, v13
	v_cmp_gt_u32_e32 vcc, s61, v13
	s_mov_b64 s[22:23], 0
	s_and_saveexec_b64 s[26:27], vcc
	s_cbranch_execz .LBB72_448
; %bb.447:                              ;   in Loop: Header=BB72_437 Depth=1
	v_mul_lo_u32 v14, v13, s45
	v_mov_b32_e32 v15, v9
	v_lshlrev_b64 v[14:15], 3, v[14:15]
	v_mul_lo_u32 v20, v13, s46
	v_mov_b32_e32 v13, s42
	v_add_co_u32_e32 v14, vcc, s41, v14
	v_addc_co_u32_e32 v15, vcc, v13, v15, vcc
	v_mov_b32_e32 v21, v9
	global_store_dwordx2 v[14:15], v[6:7], off
	v_lshlrev_b64 v[6:7], 3, v[20:21]
	v_mov_b32_e32 v14, s44
	v_add_co_u32_e32 v6, vcc, s43, v6
	s_mov_b64 s[22:23], exec
	v_mov_b32_e32 v13, v9
	v_addc_co_u32_e32 v7, vcc, v14, v7, vcc
	global_store_dwordx2 v[6:7], v[12:13], off
.LBB72_448:                             ;   in Loop: Header=BB72_437 Depth=1
	s_or_b64 exec, exec, s[26:27]
	s_mov_b64 s[26:27], -1
	s_orn2_b64 s[28:29], s[22:23], exec
.LBB72_449:                             ;   in Loop: Header=BB72_437 Depth=1
	s_or_b64 exec, exec, s[24:25]
	s_and_saveexec_b64 s[22:23], s[28:29]
	s_cbranch_execz .LBB72_436
; %bb.450:                              ;   in Loop: Header=BB72_437 Depth=1
	v_cmp_le_u32_e32 vcc, s40, v1
	v_add_u32_e32 v8, s78, v8
	s_andn2_b64 s[26:27], s[26:27], exec
	s_orn2_b64 s[4:5], vcc, exec
	s_branch .LBB72_436
.LBB72_451:
	s_or_b64 exec, exec, s[18:19]
	s_mov_b64 s[4:5], exec
	s_orn2_b64 s[18:19], s[20:21], exec
	s_or_b64 exec, exec, s[8:9]
	s_and_saveexec_b64 s[8:9], s[18:19]
	s_cbranch_execz .LBB72_426
.LBB72_452:
	v_pk_mov_b32 v[6:7], 0, 0
	s_waitcnt lgkmcnt(0)
	s_barrier
	s_mov_b64 s[2:3], exec
	v_readlane_b32 s6, v58, 32
	v_readlane_b32 s7, v58, 33
	s_and_b64 s[6:7], s[2:3], s[6:7]
	s_mov_b64 exec, s[6:7]
	s_cbranch_execz .LBB72_454
; %bb.453:
	global_load_dwordx2 v[6:7], v[18:19], off
.LBB72_454:
	s_or_b64 exec, exec, s[2:3]
	s_mov_b64 s[6:7], 0
	v_mov_b32_e32 v5, 0
                                        ; implicit-def: $sgpr18_sgpr19
                                        ; implicit-def: $sgpr20_sgpr21
                                        ; implicit-def: $sgpr22_sgpr23
                                        ; implicit-def: $vgpr12
	s_branch .LBB72_457
.LBB72_455:                             ;   in Loop: Header=BB72_457 Depth=1
	s_or_b64 exec, exec, s[28:29]
	s_andn2_b64 s[22:23], s[22:23], exec
	s_and_b64 s[26:27], s[34:35], exec
	s_andn2_b64 s[20:21], s[20:21], exec
	s_and_b64 s[2:3], s[2:3], exec
	s_or_b64 s[22:23], s[22:23], s[26:27]
	s_or_b64 s[20:21], s[20:21], s[2:3]
	v_mov_b32_e32 v0, v13
	v_pk_mov_b32 v[6:7], v[10:11], v[10:11] op_sel:[0,1]
.LBB72_456:                             ;   in Loop: Header=BB72_457 Depth=1
	s_or_b64 exec, exec, s[24:25]
	s_xor_b64 s[2:3], s[22:23], -1
	s_and_b64 s[24:25], exec, s[20:21]
	s_or_b64 s[6:7], s[24:25], s[6:7]
	s_andn2_b64 s[18:19], s[18:19], exec
	s_and_b64 s[2:3], s[2:3], exec
	s_or_b64 s[18:19], s[18:19], s[2:3]
	s_andn2_b64 exec, exec, s[6:7]
	s_cbranch_execz .LBB72_474
.LBB72_457:                             ; =>This Inner Loop Header: Depth=1
	v_cmp_gt_u32_e32 vcc, s40, v0
	s_or_b64 s[22:23], s[22:23], exec
	s_or_b64 s[20:21], s[20:21], exec
	s_and_saveexec_b64 s[24:25], vcc
	s_cbranch_execz .LBB72_456
; %bb.458:                              ;   in Loop: Header=BB72_457 Depth=1
	v_add_u32_e32 v13, s77, v0
	v_cmp_gt_u32_e32 vcc, s60, v13
	v_pk_mov_b32 v[8:9], 0, 0
	s_and_saveexec_b64 s[2:3], vcc
	s_cbranch_execz .LBB72_460
; %bb.459:                              ;   in Loop: Header=BB72_457 Depth=1
	v_lshlrev_b64 v[8:9], 3, v[4:5]
	v_mov_b32_e32 v1, s76
	v_add_co_u32_e32 v8, vcc, s33, v8
	v_addc_co_u32_e32 v9, vcc, v1, v9, vcc
	global_load_dwordx2 v[8:9], v[8:9], off
.LBB72_460:                             ;   in Loop: Header=BB72_457 Depth=1
	s_or_b64 exec, exec, s[2:3]
	v_cmp_gt_u32_e32 vcc, s60, v0
	s_mov_b64 s[28:29], 0
	s_and_saveexec_b64 s[2:3], vcc
	s_cbranch_execz .LBB72_462
; %bb.461:                              ;   in Loop: Header=BB72_457 Depth=1
	s_waitcnt vmcnt(0)
	v_ashrrev_i32_e32 v1, 31, v7
	v_or_b32_e32 v10, 0x80000000, v1
	v_xor_b32_e32 v10, v10, v7
	v_xor_b32_e32 v1, v1, v6
	v_cmp_o_f64_e32 vcc, v[6:7], v[6:7]
	v_cndmask_b32_e32 v11, -1, v10, vcc
	v_cndmask_b32_e32 v10, -1, v1, vcc
	v_cmp_eq_u64_e32 vcc, v[10:11], v[2:3]
	s_and_b64 s[28:29], vcc, exec
.LBB72_462:                             ;   in Loop: Header=BB72_457 Depth=1
	s_or_b64 exec, exec, s[2:3]
	v_cndmask_b32_e64 v1, 0, 1, s[28:29]
	v_cmp_ne_u32_e32 vcc, 0, v1
	s_cmp_lg_u64 vcc, 0
	s_cselect_b64 s[2:3], -1, 0
	s_and_b64 s[2:3], s[0:1], s[2:3]
	s_and_saveexec_b64 s[26:27], s[2:3]
	s_cbranch_execz .LBB72_466
; %bb.463:                              ;   in Loop: Header=BB72_457 Depth=1
	s_mov_b64 s[34:35], exec
	v_mbcnt_lo_u32_b32 v1, s34, 0
	v_mbcnt_hi_u32_b32 v1, s35, v1
	s_bcnt1_i32_b64 s36, vcc
	v_cmp_eq_u32_e64 s[2:3], 0, v1
                                        ; implicit-def: $vgpr10
	s_and_saveexec_b64 s[30:31], s[2:3]
	s_cbranch_execz .LBB72_465
; %bb.464:                              ;   in Loop: Header=BB72_457 Depth=1
	s_bcnt1_i32_b64 s2, s[34:35]
	s_mul_i32 s2, s36, s2
	v_mov_b32_e32 v10, s2
	ds_add_rtn_u32 v10, v5, v10 offset:4108
.LBB72_465:                             ;   in Loop: Header=BB72_457 Depth=1
	s_or_b64 exec, exec, s[30:31]
	s_waitcnt lgkmcnt(0)
	v_readfirstlane_b32 s2, v10
	v_mov_b32_e32 v10, s2
	v_mad_u32_u24 v12, s36, v1, v10
.LBB72_466:                             ;   in Loop: Header=BB72_457 Depth=1
	s_or_b64 exec, exec, s[26:27]
	ds_bpermute_b32 v12, v23, v12
	s_cmp_eq_u64 vcc, 0
	s_cselect_b64 s[26:27], -1, 0
	s_mov_b64 s[30:31], -1
	s_mov_b64 s[34:35], -1
	s_waitcnt lgkmcnt(0)
	v_cmp_gt_u32_e64 s[2:3], s61, v12
	s_or_b64 s[26:27], s[26:27], s[2:3]
	s_waitcnt vmcnt(0)
	v_cndmask_b32_e64 v11, v7, v9, s[26:27]
	s_and_b64 s[36:37], s[28:29], s[26:27]
	v_cndmask_b32_e64 v10, v6, v8, s[26:27]
	s_mov_b64 s[2:3], -1
	s_and_saveexec_b64 s[28:29], s[36:37]
	s_cbranch_execz .LBB72_472
; %bb.467:                              ;   in Loop: Header=BB72_457 Depth=1
	v_and_b32_e32 v10, vcc_lo, v16
	v_and_b32_e32 v1, vcc_hi, v17
	v_bcnt_u32_b32 v10, v10, 0
	v_bcnt_u32_b32 v1, v1, v10
	v_sub_u32_e32 v10, s61, v12
	v_cmp_le_u32_e64 s[30:31], v10, v1
	v_cmp_gt_u32_e32 vcc, v10, v1
	s_mov_b64 s[36:37], -1
	s_and_saveexec_b64 s[34:35], vcc
	s_cbranch_execz .LBB72_471
; %bb.468:                              ;   in Loop: Header=BB72_457 Depth=1
	v_add_u32_e32 v1, v12, v1
	v_cmp_gt_u32_e32 vcc, s61, v1
	s_mov_b64 s[38:39], s[30:31]
	s_and_saveexec_b64 s[36:37], vcc
	s_cbranch_execz .LBB72_470
; %bb.469:                              ;   in Loop: Header=BB72_457 Depth=1
	v_mul_lo_u32 v10, v1, s45
	v_mov_b32_e32 v11, v5
	v_lshlrev_b64 v[10:11], 3, v[10:11]
	v_mul_lo_u32 v14, v1, s46
	v_mov_b32_e32 v1, s42
	v_add_co_u32_e32 v10, vcc, s41, v10
	v_addc_co_u32_e32 v11, vcc, v1, v11, vcc
	v_mov_b32_e32 v15, v5
	global_store_dwordx2 v[10:11], v[6:7], off
	v_lshlrev_b64 v[6:7], 3, v[14:15]
	v_mov_b32_e32 v10, s44
	v_add_co_u32_e32 v6, vcc, s43, v6
	v_mov_b32_e32 v1, v5
	v_addc_co_u32_e32 v7, vcc, v10, v7, vcc
	s_or_b64 s[38:39], s[30:31], exec
	global_store_dwordx2 v[6:7], v[0:1], off
.LBB72_470:                             ;   in Loop: Header=BB72_457 Depth=1
	s_or_b64 exec, exec, s[36:37]
	s_andn2_b64 s[30:31], s[30:31], exec
	s_and_b64 s[38:39], s[38:39], exec
	s_xor_b64 s[36:37], exec, -1
	s_or_b64 s[30:31], s[30:31], s[38:39]
.LBB72_471:                             ;   in Loop: Header=BB72_457 Depth=1
	s_or_b64 exec, exec, s[34:35]
	s_orn2_b64 s[34:35], s[36:37], exec
	s_or_b64 s[26:27], s[26:27], exec
	s_orn2_b64 s[30:31], s[30:31], exec
	v_pk_mov_b32 v[10:11], v[8:9], v[8:9] op_sel:[0,1]
.LBB72_472:                             ;   in Loop: Header=BB72_457 Depth=1
	s_or_b64 exec, exec, s[28:29]
	s_and_saveexec_b64 s[28:29], s[30:31]
	s_cbranch_execz .LBB72_455
; %bb.473:                              ;   in Loop: Header=BB72_457 Depth=1
	s_xor_b64 s[2:3], s[26:27], -1
	v_add_u32_e32 v4, s78, v4
	s_or_b64 s[34:35], s[34:35], exec
	s_orn2_b64 s[2:3], s[2:3], exec
	s_branch .LBB72_455
.LBB72_474:
	s_or_b64 exec, exec, s[6:7]
	s_mov_b64 s[0:1], 0
	s_and_saveexec_b64 s[2:3], s[18:19]
	s_xor_b64 s[2:3], exec, s[2:3]
	s_cbranch_execnz .LBB72_480
.LBB72_475:
	s_or_b64 exec, exec, s[2:3]
	s_and_b64 s[2:3], s[0:1], exec
	s_andn2_b64 s[4:5], s[4:5], exec
	s_or_b64 exec, exec, s[8:9]
	s_and_saveexec_b64 s[0:1], s[4:5]
	s_xor_b64 s[0:1], exec, s[0:1]
	s_cbranch_execz .LBB72_427
.LBB72_476:
	s_or_b64 s[2:3], s[2:3], exec
	s_trap 2
	s_branch .LBB72_427
.LBB72_477:
	s_or_b64 s[14:15], s[14:15], exec
	s_trap 2
	s_branch .LBB72_433
.LBB72_478:
	s_or_b64 s[16:17], s[16:17], exec
	s_trap 2
	s_branch .LBB72_431
.LBB72_479:
	s_trap 2
	s_or_b64 s[18:19], s[18:19], exec
	s_branch .LBB72_429
.LBB72_480:
	s_mov_b64 s[0:1], exec
	s_trap 2
	s_branch .LBB72_475
	.section	.rodata,"a",@progbits
	.p2align	6, 0x0
	.amdhsa_kernel _ZN2at6native6sbtopk10gatherTopKIdjLi2ELb0EEEvNS_4cuda6detail10TensorInfoIKT_T0_EES8_S8_bS8_S8_NS5_IS6_S8_EES8_NS5_IlS8_EES8_PS6_
		.amdhsa_group_segment_fixed_size 4112
		.amdhsa_private_segment_fixed_size 0
		.amdhsa_kernarg_size 952
		.amdhsa_user_sgpr_count 6
		.amdhsa_user_sgpr_private_segment_buffer 1
		.amdhsa_user_sgpr_dispatch_ptr 0
		.amdhsa_user_sgpr_queue_ptr 0
		.amdhsa_user_sgpr_kernarg_segment_ptr 1
		.amdhsa_user_sgpr_dispatch_id 0
		.amdhsa_user_sgpr_flat_scratch_init 0
		.amdhsa_user_sgpr_kernarg_preload_length 0
		.amdhsa_user_sgpr_kernarg_preload_offset 0
		.amdhsa_user_sgpr_private_segment_size 0
		.amdhsa_uses_dynamic_stack 0
		.amdhsa_system_sgpr_private_segment_wavefront_offset 0
		.amdhsa_system_sgpr_workgroup_id_x 1
		.amdhsa_system_sgpr_workgroup_id_y 1
		.amdhsa_system_sgpr_workgroup_id_z 1
		.amdhsa_system_sgpr_workgroup_info 0
		.amdhsa_system_vgpr_workitem_id 0
		.amdhsa_next_free_vgpr 59
		.amdhsa_next_free_sgpr 96
		.amdhsa_accum_offset 60
		.amdhsa_reserve_vcc 1
		.amdhsa_reserve_flat_scratch 0
		.amdhsa_float_round_mode_32 0
		.amdhsa_float_round_mode_16_64 0
		.amdhsa_float_denorm_mode_32 3
		.amdhsa_float_denorm_mode_16_64 3
		.amdhsa_dx10_clamp 1
		.amdhsa_ieee_mode 1
		.amdhsa_fp16_overflow 0
		.amdhsa_tg_split 0
		.amdhsa_exception_fp_ieee_invalid_op 0
		.amdhsa_exception_fp_denorm_src 0
		.amdhsa_exception_fp_ieee_div_zero 0
		.amdhsa_exception_fp_ieee_overflow 0
		.amdhsa_exception_fp_ieee_underflow 0
		.amdhsa_exception_fp_ieee_inexact 0
		.amdhsa_exception_int_div_zero 0
	.end_amdhsa_kernel
	.section	.text._ZN2at6native6sbtopk10gatherTopKIdjLi2ELb0EEEvNS_4cuda6detail10TensorInfoIKT_T0_EES8_S8_bS8_S8_NS5_IS6_S8_EES8_NS5_IlS8_EES8_PS6_,"axG",@progbits,_ZN2at6native6sbtopk10gatherTopKIdjLi2ELb0EEEvNS_4cuda6detail10TensorInfoIKT_T0_EES8_S8_bS8_S8_NS5_IS6_S8_EES8_NS5_IlS8_EES8_PS6_,comdat
.Lfunc_end72:
	.size	_ZN2at6native6sbtopk10gatherTopKIdjLi2ELb0EEEvNS_4cuda6detail10TensorInfoIKT_T0_EES8_S8_bS8_S8_NS5_IS6_S8_EES8_NS5_IlS8_EES8_PS6_, .Lfunc_end72-_ZN2at6native6sbtopk10gatherTopKIdjLi2ELb0EEEvNS_4cuda6detail10TensorInfoIKT_T0_EES8_S8_bS8_S8_NS5_IS6_S8_EES8_NS5_IlS8_EES8_PS6_
                                        ; -- End function
	.section	.AMDGPU.csdata,"",@progbits
; Kernel info:
; codeLenInByte = 17508
; NumSgprs: 100
; NumVgprs: 59
; NumAgprs: 0
; TotalNumVgprs: 59
; ScratchSize: 0
; MemoryBound: 0
; FloatMode: 240
; IeeeMode: 1
; LDSByteSize: 4112 bytes/workgroup (compile time only)
; SGPRBlocks: 12
; VGPRBlocks: 7
; NumSGPRsForWavesPerEU: 100
; NumVGPRsForWavesPerEU: 59
; AccumOffset: 60
; Occupancy: 8
; WaveLimiterHint : 1
; COMPUTE_PGM_RSRC2:SCRATCH_EN: 0
; COMPUTE_PGM_RSRC2:USER_SGPR: 6
; COMPUTE_PGM_RSRC2:TRAP_HANDLER: 0
; COMPUTE_PGM_RSRC2:TGID_X_EN: 1
; COMPUTE_PGM_RSRC2:TGID_Y_EN: 1
; COMPUTE_PGM_RSRC2:TGID_Z_EN: 1
; COMPUTE_PGM_RSRC2:TIDIG_COMP_CNT: 0
; COMPUTE_PGM_RSRC3_GFX90A:ACCUM_OFFSET: 14
; COMPUTE_PGM_RSRC3_GFX90A:TG_SPLIT: 0
	.section	.text._ZN2at6native6mbtopk23computeBlockDigitCountsIdjmLi3EEEvNS_4cuda6detail10TensorInfoIKT_T0_EEjPjjS8_iijT1_PSB_Ps,"axG",@progbits,_ZN2at6native6mbtopk23computeBlockDigitCountsIdjmLi3EEEvNS_4cuda6detail10TensorInfoIKT_T0_EEjPjjS8_iijT1_PSB_Ps,comdat
	.protected	_ZN2at6native6mbtopk23computeBlockDigitCountsIdjmLi3EEEvNS_4cuda6detail10TensorInfoIKT_T0_EEjPjjS8_iijT1_PSB_Ps ; -- Begin function _ZN2at6native6mbtopk23computeBlockDigitCountsIdjmLi3EEEvNS_4cuda6detail10TensorInfoIKT_T0_EEjPjjS8_iijT1_PSB_Ps
	.globl	_ZN2at6native6mbtopk23computeBlockDigitCountsIdjmLi3EEEvNS_4cuda6detail10TensorInfoIKT_T0_EEjPjjS8_iijT1_PSB_Ps
	.p2align	8
	.type	_ZN2at6native6mbtopk23computeBlockDigitCountsIdjmLi3EEEvNS_4cuda6detail10TensorInfoIKT_T0_EEjPjjS8_iijT1_PSB_Ps,@function
_ZN2at6native6mbtopk23computeBlockDigitCountsIdjmLi3EEEvNS_4cuda6detail10TensorInfoIKT_T0_EEjPjjS8_iijT1_PSB_Ps: ; @_ZN2at6native6mbtopk23computeBlockDigitCountsIdjmLi3EEEvNS_4cuda6detail10TensorInfoIKT_T0_EEjPjjS8_iijT1_PSB_Ps
; %bb.0:
	s_load_dword s19, s[4:5], 0xf8
	s_load_dwordx4 s[12:15], s[4:5], 0xe8
	s_load_dwordx2 s[0:1], s[4:5], 0x118
	s_mov_b32 s17, 0
	s_waitcnt lgkmcnt(0)
	v_cvt_f32_u32_e32 v1, s19
	s_sub_i32 s2, 0, s19
	s_mul_i32 s1, s1, s8
	s_add_i32 s1, s1, s7
	v_rcp_iflag_f32_e32 v1, v1
	s_mul_i32 s18, s1, s0
	s_add_i32 s18, s18, s6
	v_mul_f32_e32 v1, 0x4f7ffffe, v1
	v_cvt_u32_f32_e32 v1, v1
	v_readfirstlane_b32 s0, v1
	s_mul_i32 s2, s2, s0
	s_mul_hi_u32 s1, s0, s2
	s_add_i32 s0, s0, s1
	s_mul_hi_u32 s0, s18, s0
	s_mul_i32 s1, s0, s19
	s_sub_i32 s1, s18, s1
	s_add_i32 s2, s0, 1
	s_sub_i32 s3, s1, s19
	s_cmp_ge_u32 s1, s19
	s_cselect_b32 s0, s2, s0
	s_cselect_b32 s1, s3, s1
	s_add_i32 s2, s0, 1
	s_cmp_ge_u32 s1, s19
	s_cselect_b32 s16, s2, s0
	s_cmp_ge_u32 s16, s12
	s_cbranch_scc1 .LBB73_23
; %bb.1:
	s_load_dwordx2 s[0:1], s[4:5], 0xc
	s_load_dwordx4 s[8:11], s[4:5], 0x100
	s_load_dwordx2 s[2:3], s[4:5], 0x110
	s_lshl_b64 s[6:7], s[16:17], 3
	s_waitcnt lgkmcnt(0)
	s_add_u32 s10, s10, s6
	v_cvt_f32_u32_e32 v1, s1
	v_cvt_f32_u32_e32 v2, s0
	s_addc_u32 s11, s11, s7
	s_sub_i32 s6, 0, s1
	v_rcp_iflag_f32_e32 v1, v1
	v_rcp_iflag_f32_e32 v2, v2
	v_mul_f32_e32 v1, 0x4f7ffffe, v1
	v_cvt_u32_f32_e32 v1, v1
	v_mul_f32_e32 v2, 0x4f7ffffe, v2
	v_cvt_u32_f32_e32 v2, v2
	v_readfirstlane_b32 s7, v1
	s_mul_i32 s6, s6, s7
	s_mul_hi_u32 s6, s7, s6
	s_add_i32 s7, s7, s6
	s_mul_hi_u32 s6, s16, s7
	s_mul_i32 s7, s6, s1
	s_sub_i32 s7, s16, s7
	s_add_i32 s12, s6, 1
	s_sub_i32 s17, s7, s1
	s_cmp_ge_u32 s7, s1
	s_cselect_b32 s6, s12, s6
	s_cselect_b32 s7, s17, s7
	s_add_i32 s12, s6, 1
	s_cmp_ge_u32 s7, s1
	s_cselect_b32 s20, s12, s6
	s_movk_i32 s6, 0x100
	v_readfirstlane_b32 s21, v2
	v_cmp_gt_u32_e32 vcc, s6, v0
	v_lshlrev_b32_e32 v1, 2, v0
	s_and_saveexec_b64 s[6:7], vcc
	s_cbranch_execz .LBB73_3
; %bb.2:
	v_mov_b32_e32 v2, 0
	ds_write_b32 v1, v2
.LBB73_3:
	s_or_b64 exec, exec, s[6:7]
	s_load_dword s12, s[4:5], 0xd8
	s_mul_i32 s6, s16, s19
	s_sub_i32 s6, s18, s6
	s_add_i32 s7, s6, 1
	s_mul_i32 s6, s15, s6
	s_lshl_b32 s22, s6, 8
	s_waitcnt lgkmcnt(0)
	s_sub_i32 s6, s12, s22
	s_add_u32 s6, s6, 0xff
	s_addc_u32 s17, 0, 0
	v_mov_b32_e32 v2, s6
	v_alignbit_b32 v2, s17, v2, 8
	s_cmp_lt_u32 s7, s19
	v_readfirstlane_b32 s6, v2
	s_cselect_b32 s15, s15, s6
	s_cmp_lt_i32 s15, 1
	s_mov_b32 s17, 0
	s_barrier
	s_cbranch_scc1 .LBB73_19
; %bb.4:
	s_sub_i32 s6, 0, s0
	s_mul_i32 s6, s6, s21
	s_mul_hi_u32 s6, s21, s6
	s_add_i32 s21, s21, s6
	s_load_dwordx4 s[24:27], s[4:5], 0x6c
	s_load_dwordx2 s[28:29], s[4:5], 0x0
	s_load_dwordx2 s[6:7], s[10:11], 0x0
	s_mul_hi_u32 s4, s20, s21
	s_mul_i32 s5, s4, s0
	s_mul_i32 s1, s20, s1
	s_sub_i32 s5, s20, s5
	s_sub_i32 s1, s16, s1
	s_add_i32 s10, s4, 1
	s_sub_i32 s11, s5, s0
	s_cmp_ge_u32 s5, s0
	s_cselect_b32 s4, s10, s4
	s_cselect_b32 s5, s11, s5
	s_add_i32 s10, s4, 1
	s_cmp_ge_u32 s5, s0
	s_cselect_b32 s4, s10, s4
	s_mul_i32 s0, s4, s0
	s_sub_i32 s0, s20, s0
	s_waitcnt lgkmcnt(0)
	s_mul_i32 s1, s1, s26
	s_mul_i32 s0, s0, s25
	s_add_i32 s0, s0, s1
	s_mul_i32 s4, s4, s24
	s_add_i32 s16, s0, s4
	s_lshl_b64 s[0:1], s[16:17], 3
	s_add_u32 s11, s28, s0
	s_addc_u32 s16, s29, s1
	s_and_b32 s10, s14, 0xff
	s_cmp_eq_u32 s15, 1
	v_add_u32_e32 v6, s22, v0
	s_cbranch_scc1 .LBB73_14
; %bb.5:
	v_add_u32_e32 v2, 0x100, v6
	s_and_b32 s14, s15, 0x7ffffffe
	v_mul_lo_u32 v7, s13, v2
	s_lshl_b32 s17, s13, 9
	v_mul_lo_u32 v8, s13, v6
	s_mov_b32 s19, 0
	v_mov_b32_e32 v3, 0
	v_mov_b32_e32 v9, 1
	;; [unrolled: 1-line block ×4, first 2 shown]
	s_mov_b32 s20, 0
	s_branch .LBB73_7
.LBB73_6:                               ;   in Loop: Header=BB73_7 Depth=1
	s_or_b64 exec, exec, s[4:5]
	s_add_i32 s20, s20, 2
	s_add_i32 s19, s19, s17
	s_cmp_eq_u32 s14, s20
	v_add_u32_e32 v11, 0x200, v11
	s_cbranch_scc1 .LBB73_13
.LBB73_7:                               ; =>This Inner Loop Header: Depth=1
	v_cmp_gt_u32_e64 s[0:1], s12, v11
	s_and_saveexec_b64 s[4:5], s[0:1]
	s_cbranch_execz .LBB73_10
; %bb.8:                                ;   in Loop: Header=BB73_7 Depth=1
	v_add_u32_e32 v2, s19, v8
	v_lshlrev_b64 v[4:5], 3, v[2:3]
	v_mov_b32_e32 v2, s16
	v_add_co_u32_e64 v4, s[0:1], s11, v4
	v_addc_co_u32_e64 v5, s[0:1], v2, v5, s[0:1]
	global_load_dwordx2 v[4:5], v[4:5], off
	s_waitcnt vmcnt(0)
	v_ashrrev_i32_e32 v2, 31, v5
	v_or_b32_e32 v12, 0x80000000, v2
	v_xor_b32_e32 v2, v2, v4
	v_xor_b32_e32 v12, v12, v5
	v_cmp_o_f64_e64 s[0:1], v[4:5], v[4:5]
	v_cndmask_b32_e64 v5, -1, v12, s[0:1]
	v_cndmask_b32_e64 v4, -1, v2, s[0:1]
	v_xor_b32_e32 v2, s7, v5
	v_xor_b32_e32 v12, s6, v4
	v_and_b32_e32 v13, s9, v2
	v_and_b32_e32 v12, s8, v12
	v_cmp_eq_u64_e64 s[0:1], 0, v[12:13]
	s_and_b64 exec, exec, s[0:1]
	s_cbranch_execz .LBB73_10
; %bb.9:                                ;   in Loop: Header=BB73_7 Depth=1
	v_lshrrev_b64 v[4:5], s10, v[4:5]
	v_lshlrev_b32_sdwa v2, v10, v4 dst_sel:DWORD dst_unused:UNUSED_PAD src0_sel:DWORD src1_sel:BYTE_0
	ds_add_u32 v2, v9
.LBB73_10:                              ;   in Loop: Header=BB73_7 Depth=1
	s_or_b64 exec, exec, s[4:5]
	v_add_u32_e32 v2, 0x100, v11
	v_cmp_gt_u32_e64 s[0:1], s12, v2
	s_and_saveexec_b64 s[4:5], s[0:1]
	s_cbranch_execz .LBB73_6
; %bb.11:                               ;   in Loop: Header=BB73_7 Depth=1
	v_add_u32_e32 v2, s19, v7
	v_lshlrev_b64 v[4:5], 3, v[2:3]
	v_mov_b32_e32 v2, s16
	v_add_co_u32_e64 v4, s[0:1], s11, v4
	v_addc_co_u32_e64 v5, s[0:1], v2, v5, s[0:1]
	global_load_dwordx2 v[4:5], v[4:5], off
	s_waitcnt vmcnt(0)
	v_ashrrev_i32_e32 v2, 31, v5
	v_or_b32_e32 v12, 0x80000000, v2
	v_xor_b32_e32 v2, v2, v4
	v_xor_b32_e32 v12, v12, v5
	v_cmp_o_f64_e64 s[0:1], v[4:5], v[4:5]
	v_cndmask_b32_e64 v5, -1, v12, s[0:1]
	v_cndmask_b32_e64 v4, -1, v2, s[0:1]
	v_xor_b32_e32 v2, s7, v5
	v_xor_b32_e32 v12, s6, v4
	v_and_b32_e32 v13, s9, v2
	v_and_b32_e32 v12, s8, v12
	v_cmp_eq_u64_e64 s[0:1], 0, v[12:13]
	s_and_b64 exec, exec, s[0:1]
	s_cbranch_execz .LBB73_6
; %bb.12:                               ;   in Loop: Header=BB73_7 Depth=1
	v_lshrrev_b64 v[4:5], s10, v[4:5]
	v_lshlrev_b32_sdwa v2, v10, v4 dst_sel:DWORD dst_unused:UNUSED_PAD src0_sel:DWORD src1_sel:BYTE_0
	ds_add_u32 v2, v9
	s_branch .LBB73_6
.LBB73_13:
	s_lshl_b32 s17, s14, 8
.LBB73_14:
	s_bitcmp0_b32 s15, 0
	s_cbranch_scc1 .LBB73_19
; %bb.15:
	v_add_u32_e32 v2, s17, v6
	v_cmp_gt_u32_e64 s[0:1], s12, v2
	s_and_saveexec_b64 s[4:5], s[0:1]
	s_cbranch_execz .LBB73_18
; %bb.16:
	v_mul_lo_u32 v2, v2, s13
	v_mov_b32_e32 v3, 0
	v_lshlrev_b64 v[2:3], 3, v[2:3]
	v_mov_b32_e32 v4, s16
	v_add_co_u32_e64 v2, s[0:1], s11, v2
	v_addc_co_u32_e64 v3, s[0:1], v4, v3, s[0:1]
	global_load_dwordx2 v[2:3], v[2:3], off
	s_waitcnt vmcnt(0)
	v_ashrrev_i32_e32 v4, 31, v3
	v_or_b32_e32 v5, 0x80000000, v4
	v_xor_b32_e32 v4, v4, v2
	v_xor_b32_e32 v5, v5, v3
	v_cmp_o_f64_e64 s[0:1], v[2:3], v[2:3]
	v_cndmask_b32_e64 v3, -1, v5, s[0:1]
	v_cndmask_b32_e64 v2, -1, v4, s[0:1]
	v_xor_b32_e32 v4, s7, v3
	v_xor_b32_e32 v6, s6, v2
	v_and_b32_e32 v5, s9, v4
	v_and_b32_e32 v4, s8, v6
	v_cmp_eq_u64_e64 s[0:1], 0, v[4:5]
	s_and_b64 exec, exec, s[0:1]
	s_cbranch_execz .LBB73_18
; %bb.17:
	v_lshrrev_b64 v[2:3], s10, v[2:3]
	v_mov_b32_e32 v3, 2
	v_lshlrev_b32_sdwa v2, v3, v2 dst_sel:DWORD dst_unused:UNUSED_PAD src0_sel:DWORD src1_sel:BYTE_0
	v_mov_b32_e32 v3, 1
	ds_add_u32 v2, v3
.LBB73_18:
	s_or_b64 exec, exec, s[4:5]
.LBB73_19:
	v_mov_b32_e32 v2, 0
	s_waitcnt lgkmcnt(0)
	s_barrier
	s_and_saveexec_b64 s[0:1], vcc
	s_cbranch_execz .LBB73_21
; %bb.20:
	ds_read_b32 v2, v1
.LBB73_21:
	s_or_b64 exec, exec, s[0:1]
	s_and_saveexec_b64 s[0:1], vcc
	s_cbranch_execz .LBB73_23
; %bb.22:
	v_lshl_or_b32 v0, s18, 8, v0
	v_mov_b32_e32 v1, 0
	v_lshlrev_b64 v[0:1], 1, v[0:1]
	v_mov_b32_e32 v3, s3
	v_add_co_u32_e32 v0, vcc, s2, v0
	v_addc_co_u32_e32 v1, vcc, v3, v1, vcc
	s_waitcnt lgkmcnt(0)
	global_store_short v[0:1], v2, off
.LBB73_23:
	s_endpgm
	.section	.rodata,"a",@progbits
	.p2align	6, 0x0
	.amdhsa_kernel _ZN2at6native6mbtopk23computeBlockDigitCountsIdjmLi3EEEvNS_4cuda6detail10TensorInfoIKT_T0_EEjPjjS8_iijT1_PSB_Ps
		.amdhsa_group_segment_fixed_size 1024
		.amdhsa_private_segment_fixed_size 0
		.amdhsa_kernarg_size 536
		.amdhsa_user_sgpr_count 6
		.amdhsa_user_sgpr_private_segment_buffer 1
		.amdhsa_user_sgpr_dispatch_ptr 0
		.amdhsa_user_sgpr_queue_ptr 0
		.amdhsa_user_sgpr_kernarg_segment_ptr 1
		.amdhsa_user_sgpr_dispatch_id 0
		.amdhsa_user_sgpr_flat_scratch_init 0
		.amdhsa_user_sgpr_kernarg_preload_length 0
		.amdhsa_user_sgpr_kernarg_preload_offset 0
		.amdhsa_user_sgpr_private_segment_size 0
		.amdhsa_uses_dynamic_stack 0
		.amdhsa_system_sgpr_private_segment_wavefront_offset 0
		.amdhsa_system_sgpr_workgroup_id_x 1
		.amdhsa_system_sgpr_workgroup_id_y 1
		.amdhsa_system_sgpr_workgroup_id_z 1
		.amdhsa_system_sgpr_workgroup_info 0
		.amdhsa_system_vgpr_workitem_id 0
		.amdhsa_next_free_vgpr 14
		.amdhsa_next_free_sgpr 30
		.amdhsa_accum_offset 16
		.amdhsa_reserve_vcc 1
		.amdhsa_reserve_flat_scratch 0
		.amdhsa_float_round_mode_32 0
		.amdhsa_float_round_mode_16_64 0
		.amdhsa_float_denorm_mode_32 3
		.amdhsa_float_denorm_mode_16_64 3
		.amdhsa_dx10_clamp 1
		.amdhsa_ieee_mode 1
		.amdhsa_fp16_overflow 0
		.amdhsa_tg_split 0
		.amdhsa_exception_fp_ieee_invalid_op 0
		.amdhsa_exception_fp_denorm_src 0
		.amdhsa_exception_fp_ieee_div_zero 0
		.amdhsa_exception_fp_ieee_overflow 0
		.amdhsa_exception_fp_ieee_underflow 0
		.amdhsa_exception_fp_ieee_inexact 0
		.amdhsa_exception_int_div_zero 0
	.end_amdhsa_kernel
	.section	.text._ZN2at6native6mbtopk23computeBlockDigitCountsIdjmLi3EEEvNS_4cuda6detail10TensorInfoIKT_T0_EEjPjjS8_iijT1_PSB_Ps,"axG",@progbits,_ZN2at6native6mbtopk23computeBlockDigitCountsIdjmLi3EEEvNS_4cuda6detail10TensorInfoIKT_T0_EEjPjjS8_iijT1_PSB_Ps,comdat
.Lfunc_end73:
	.size	_ZN2at6native6mbtopk23computeBlockDigitCountsIdjmLi3EEEvNS_4cuda6detail10TensorInfoIKT_T0_EEjPjjS8_iijT1_PSB_Ps, .Lfunc_end73-_ZN2at6native6mbtopk23computeBlockDigitCountsIdjmLi3EEEvNS_4cuda6detail10TensorInfoIKT_T0_EEjPjjS8_iijT1_PSB_Ps
                                        ; -- End function
	.section	.AMDGPU.csdata,"",@progbits
; Kernel info:
; codeLenInByte = 1280
; NumSgprs: 34
; NumVgprs: 14
; NumAgprs: 0
; TotalNumVgprs: 14
; ScratchSize: 0
; MemoryBound: 0
; FloatMode: 240
; IeeeMode: 1
; LDSByteSize: 1024 bytes/workgroup (compile time only)
; SGPRBlocks: 4
; VGPRBlocks: 1
; NumSGPRsForWavesPerEU: 34
; NumVGPRsForWavesPerEU: 14
; AccumOffset: 16
; Occupancy: 8
; WaveLimiterHint : 1
; COMPUTE_PGM_RSRC2:SCRATCH_EN: 0
; COMPUTE_PGM_RSRC2:USER_SGPR: 6
; COMPUTE_PGM_RSRC2:TRAP_HANDLER: 0
; COMPUTE_PGM_RSRC2:TGID_X_EN: 1
; COMPUTE_PGM_RSRC2:TGID_Y_EN: 1
; COMPUTE_PGM_RSRC2:TGID_Z_EN: 1
; COMPUTE_PGM_RSRC2:TIDIG_COMP_CNT: 0
; COMPUTE_PGM_RSRC3_GFX90A:ACCUM_OFFSET: 3
; COMPUTE_PGM_RSRC3_GFX90A:TG_SPLIT: 0
	.section	.text._ZN2at6native6mbtopk10gatherTopKIdjLi3EEEvNS_4cuda6detail10TensorInfoIKT_T0_EES8_S8_bjS8_NS5_IS6_S8_EES8_NS5_IlS8_EES8_jjPS6_PjSD_j,"axG",@progbits,_ZN2at6native6mbtopk10gatherTopKIdjLi3EEEvNS_4cuda6detail10TensorInfoIKT_T0_EES8_S8_bjS8_NS5_IS6_S8_EES8_NS5_IlS8_EES8_jjPS6_PjSD_j,comdat
	.protected	_ZN2at6native6mbtopk10gatherTopKIdjLi3EEEvNS_4cuda6detail10TensorInfoIKT_T0_EES8_S8_bjS8_NS5_IS6_S8_EES8_NS5_IlS8_EES8_jjPS6_PjSD_j ; -- Begin function _ZN2at6native6mbtopk10gatherTopKIdjLi3EEEvNS_4cuda6detail10TensorInfoIKT_T0_EES8_S8_bjS8_NS5_IS6_S8_EES8_NS5_IlS8_EES8_jjPS6_PjSD_j
	.globl	_ZN2at6native6mbtopk10gatherTopKIdjLi3EEEvNS_4cuda6detail10TensorInfoIKT_T0_EES8_S8_bjS8_NS5_IS6_S8_EES8_NS5_IlS8_EES8_jjPS6_PjSD_j
	.p2align	8
	.type	_ZN2at6native6mbtopk10gatherTopKIdjLi3EEEvNS_4cuda6detail10TensorInfoIKT_T0_EES8_S8_bjS8_NS5_IS6_S8_EES8_NS5_IlS8_EES8_jjPS6_PjSD_j,@function
_ZN2at6native6mbtopk10gatherTopKIdjLi3EEEvNS_4cuda6detail10TensorInfoIKT_T0_EES8_S8_bjS8_NS5_IS6_S8_EES8_NS5_IlS8_EES8_jjPS6_PjSD_j: ; @_ZN2at6native6mbtopk10gatherTopKIdjLi3EEEvNS_4cuda6detail10TensorInfoIKT_T0_EES8_S8_bjS8_NS5_IS6_S8_EES8_NS5_IlS8_EES8_jjPS6_PjSD_j
; %bb.0:
	s_load_dwordx2 s[0:1], s[4:5], 0x2d8
	s_load_dword s2, s[4:5], 0x2d0
	s_waitcnt lgkmcnt(0)
	s_mul_i32 s1, s1, s8
	s_add_i32 s1, s1, s7
	s_mul_i32 s0, s1, s0
	s_add_i32 s0, s0, s6
	s_cmp_ge_u32 s0, s2
	s_cbranch_scc1 .LBB74_40
; %bb.1:
	s_load_dwordx8 s[8:15], s[4:5], 0x2a8
	s_load_dwordx4 s[16:19], s[4:5], 0x23c
	s_load_dwordx2 s[38:39], s[4:5], 0x1dc
	s_load_dwordx2 s[6:7], s[4:5], 0x1d0
	s_load_dwordx4 s[20:23], s[4:5], 0x15c
	s_load_dwordx2 s[40:41], s[4:5], 0xfc
	s_load_dwordx2 s[34:35], s[4:5], 0xf0
	;; [unrolled: 3-line block ×3, first 2 shown]
	s_mov_b32 s43, 0
	s_waitcnt lgkmcnt(0)
	v_cvt_f32_u32_e32 v1, s10
	s_sub_i32 s1, 0, s10
	v_cvt_f32_u32_e32 v2, s45
	v_rcp_iflag_f32_e32 v1, v1
	v_mul_f32_e32 v1, 0x4f7ffffe, v1
	v_cvt_u32_f32_e32 v1, v1
	v_readfirstlane_b32 s2, v1
	s_mul_i32 s1, s1, s2
	s_mul_hi_u32 s1, s2, s1
	s_add_i32 s2, s2, s1
	v_rcp_iflag_f32_e32 v1, v2
	s_mul_hi_u32 s1, s0, s2
	s_mul_i32 s2, s1, s10
	s_sub_i32 s2, s0, s2
	s_add_i32 s3, s1, 1
	s_sub_i32 s11, s2, s10
	v_mul_f32_e32 v1, 0x4f7ffffe, v1
	s_cmp_ge_u32 s2, s10
	v_cvt_u32_f32_e32 v1, v1
	s_cselect_b32 s1, s3, s1
	s_cselect_b32 s2, s11, s2
	s_add_i32 s3, s1, 1
	s_cmp_ge_u32 s2, s10
	s_cselect_b32 s42, s3, s1
	v_readfirstlane_b32 s1, v1
	v_cvt_f32_u32_e32 v1, s44
	s_mul_i32 s28, s42, s10
	s_sub_i32 s11, s0, s28
	s_sub_i32 s0, 0, s45
	s_mul_i32 s0, s0, s1
	s_mul_hi_u32 s0, s1, s0
	v_rcp_iflag_f32_e32 v1, v1
	s_add_i32 s1, s1, s0
	v_cvt_f32_u32_e32 v2, s41
	s_mul_hi_u32 s0, s42, s1
	s_mul_i32 s1, s0, s45
	s_sub_i32 s1, s42, s1
	v_mul_f32_e32 v1, 0x4f7ffffe, v1
	s_add_i32 s2, s0, 1
	s_sub_i32 s3, s1, s45
	v_cvt_u32_f32_e32 v1, v1
	v_rcp_iflag_f32_e32 v2, v2
	s_cmp_ge_u32 s1, s45
	s_cselect_b32 s0, s2, s0
	s_cselect_b32 s1, s3, s1
	s_add_i32 s2, s0, 1
	s_cmp_ge_u32 s1, s45
	v_readfirstlane_b32 s1, v1
	v_mul_f32_e32 v1, 0x4f7ffffe, v2
	s_cselect_b32 s19, s2, s0
	s_sub_i32 s0, 0, s44
	v_cvt_u32_f32_e32 v1, v1
	s_mul_i32 s0, s0, s1
	s_mul_hi_u32 s0, s1, s0
	s_add_i32 s1, s1, s0
	s_mul_hi_u32 s23, s19, s1
	v_readfirstlane_b32 s1, v1
	v_cvt_f32_u32_e32 v1, s40
	s_sub_i32 s0, 0, s41
	s_mul_i32 s0, s0, s1
	s_mul_hi_u32 s0, s1, s0
	v_rcp_iflag_f32_e32 v1, v1
	s_add_i32 s1, s1, s0
	v_cvt_f32_u32_e32 v2, s39
	s_mul_hi_u32 s0, s42, s1
	s_mul_i32 s1, s0, s41
	s_sub_i32 s1, s42, s1
	v_mul_f32_e32 v1, 0x4f7ffffe, v1
	s_add_i32 s2, s0, 1
	s_sub_i32 s3, s1, s41
	v_cvt_u32_f32_e32 v1, v1
	v_rcp_iflag_f32_e32 v2, v2
	s_cmp_ge_u32 s1, s41
	s_cselect_b32 s0, s2, s0
	s_cselect_b32 s1, s3, s1
	s_add_i32 s2, s0, 1
	s_cmp_ge_u32 s1, s41
	v_readfirstlane_b32 s1, v1
	v_mul_f32_e32 v1, 0x4f7ffffe, v2
	v_cvt_u32_f32_e32 v1, v1
	s_cselect_b32 s27, s2, s0
	s_sub_i32 s0, 0, s40
	s_mul_i32 s0, s0, s1
	s_mul_hi_u32 s0, s1, s0
	s_add_i32 s2, s1, s0
	v_readfirstlane_b32 s1, v1
	v_cvt_f32_u32_e32 v1, s38
	s_sub_i32 s0, 0, s39
	s_mul_i32 s0, s0, s1
	s_mul_hi_u32 s0, s1, s0
	s_add_i32 s1, s1, s0
	v_rcp_iflag_f32_e32 v1, v1
	s_mul_hi_u32 s0, s42, s1
	s_mul_i32 s1, s0, s39
	s_sub_i32 s1, s42, s1
	s_add_i32 s3, s0, 1
	s_sub_i32 s29, s1, s39
	v_mul_f32_e32 v1, 0x4f7ffffe, v1
	s_cmp_ge_u32 s1, s39
	v_cvt_u32_f32_e32 v1, v1
	s_cselect_b32 s0, s3, s0
	s_cselect_b32 s1, s29, s1
	s_add_i32 s3, s0, 1
	s_cmp_ge_u32 s1, s39
	s_cselect_b32 s33, s3, s0
	s_sub_i32 s0, 0, s38
	v_readfirstlane_b32 s1, v1
	s_mul_i32 s0, s0, s1
	s_mul_hi_u32 s0, s1, s0
	s_add_i32 s3, s1, s0
	s_lshl_b64 s[0:1], s[42:43], 3
	s_add_u32 s0, s12, s0
	s_addc_u32 s1, s13, s1
	s_load_dwordx2 s[46:47], s[0:1], 0x0
	s_mul_hi_u32 s55, s27, s2
	s_mul_hi_u32 s54, s33, s3
	v_cmp_ne_u32_e64 s[0:1], 0, v0
	v_cmp_eq_u32_e64 s[2:3], 0, v0
	s_and_saveexec_b64 s[12:13], s[2:3]
	s_cbranch_execz .LBB74_17
; %bb.2:
	s_load_dwordx2 s[48:49], s[4:5], 0x2c8
	s_mov_b32 s29, s43
	s_lshl_b64 s[50:51], s[28:29], 2
	s_add_u32 s28, s14, s50
	s_addc_u32 s29, s15, s51
	s_waitcnt lgkmcnt(0)
	s_add_u32 s30, s48, s50
	s_addc_u32 s31, s49, s51
	s_cmp_lt_u32 s10, 4
	s_cbranch_scc1 .LBB74_14
; %bb.3:
	s_mov_b32 s56, s43
	s_mov_b32 s57, s43
	;; [unrolled: 1-line block ×3, first 2 shown]
.LBB74_4:                               ; =>This Inner Loop Header: Depth=1
	s_add_u32 s28, s14, s50
	s_addc_u32 s29, s15, s51
	s_load_dwordx4 s[28:31], s[28:29], 0x0
	s_add_u32 s52, s48, s50
	s_addc_u32 s53, s49, s51
	s_cmp_ge_u32 s58, s11
	s_cbranch_scc0 .LBB74_11
; %bb.5:                                ;   in Loop: Header=BB74_4 Depth=1
	s_add_i32 s59, s58, 1
	s_cmp_ge_u32 s59, s11
	s_cbranch_scc0 .LBB74_12
.LBB74_6:                               ;   in Loop: Header=BB74_4 Depth=1
	s_add_i32 s59, s59, 1
	s_cmp_ge_u32 s59, s11
	s_cbranch_scc0 .LBB74_13
.LBB74_7:                               ;   in Loop: Header=BB74_4 Depth=1
	s_add_i32 s59, s59, 1
	s_cmp_ge_u32 s59, s11
	s_cbranch_scc1 .LBB74_9
.LBB74_8:                               ;   in Loop: Header=BB74_4 Depth=1
	s_load_dword s52, s[52:53], 0xc
	s_waitcnt lgkmcnt(0)
	s_add_i32 s43, s43, s31
	s_add_i32 s56, s52, s56
.LBB74_9:                               ;   in Loop: Header=BB74_4 Depth=1
	s_waitcnt lgkmcnt(0)
	s_add_i32 s28, s28, s57
	s_add_i32 s28, s28, s29
	;; [unrolled: 1-line block ×4, first 2 shown]
	s_add_u32 s14, s14, 16
	s_addc_u32 s15, s15, 0
	s_add_u32 s48, s48, 16
	s_addc_u32 s49, s49, 0
	s_add_i32 s53, s59, 4
	s_add_u32 s30, s48, s50
	s_addc_u32 s31, s49, s51
	s_add_u32 s28, s14, s50
	s_addc_u32 s29, s15, s51
	s_add_i32 s52, s59, 1
	s_cmp_ge_u32 s53, s10
	s_cbranch_scc1 .LBB74_15
; %bb.10:                               ;   in Loop: Header=BB74_4 Depth=1
	s_mov_b32 s58, s52
	s_branch .LBB74_4
.LBB74_11:                              ;   in Loop: Header=BB74_4 Depth=1
	s_load_dword s59, s[52:53], 0x0
	s_waitcnt lgkmcnt(0)
	s_add_i32 s43, s28, s43
	s_add_i32 s56, s59, s56
	;; [unrolled: 1-line block ×3, first 2 shown]
	s_cmp_ge_u32 s59, s11
	s_cbranch_scc1 .LBB74_6
.LBB74_12:                              ;   in Loop: Header=BB74_4 Depth=1
	s_load_dword s60, s[52:53], 0x4
	s_waitcnt lgkmcnt(0)
	s_add_i32 s43, s43, s29
	s_add_i32 s56, s60, s56
	;; [unrolled: 1-line block ×3, first 2 shown]
	s_cmp_ge_u32 s59, s11
	s_cbranch_scc1 .LBB74_7
.LBB74_13:                              ;   in Loop: Header=BB74_4 Depth=1
	s_load_dword s60, s[52:53], 0x8
	s_waitcnt lgkmcnt(0)
	s_add_i32 s43, s43, s30
	s_add_i32 s56, s60, s56
	;; [unrolled: 1-line block ×3, first 2 shown]
	s_cmp_ge_u32 s59, s11
	s_cbranch_scc0 .LBB74_8
	s_branch .LBB74_9
.LBB74_14:
	s_mov_b32 s56, 0
	s_mov_b32 s57, 0
	;; [unrolled: 1-line block ×3, first 2 shown]
	s_cmp_ge_u32 s14, s10
	s_cbranch_scc0 .LBB74_38
	s_branch .LBB74_16
.LBB74_15:
	s_add_i32 s14, s58, 4
	s_cmp_ge_u32 s14, s10
	s_cbranch_scc0 .LBB74_38
.LBB74_16:
	v_mov_b32_e32 v2, s56
	v_mov_b32_e32 v3, s57
	;; [unrolled: 1-line block ×4, first 2 shown]
	ds_write_b96 v1, v[2:4] offset:1056
.LBB74_17:
	s_or_b64 exec, exec, s[12:13]
	s_load_dwordx4 s[12:15], s[4:5], 0xd8
	s_waitcnt lgkmcnt(0)
	s_mul_i32 s15, s9, s11
	s_lshl_b32 s15, s15, 8
	s_add_i32 s28, s11, 1
	s_mov_b32 s11, 0
	s_sub_i32 s29, s12, s15
	s_add_u32 s29, s29, 0xff
	s_addc_u32 s30, 0, 0
	v_mov_b32_e32 v1, s29
	v_alignbit_b32 v1, s30, v1, 8
	s_cmp_lt_u32 s28, s10
	v_readfirstlane_b32 s10, v1
	s_cselect_b32 s9, s9, s10
	s_cmp_eq_u32 s9, 0
	s_barrier
	s_cbranch_scc1 .LBB74_40
; %bb.18:
	s_mul_i32 s10, s19, s45
	s_sub_i32 s10, s42, s10
	s_mul_i32 s10, s10, s26
	s_mul_i32 s26, s23, s44
	s_sub_i32 s26, s19, s26
	s_add_i32 s28, s23, 1
	s_sub_i32 s29, s26, s44
	s_cmp_ge_u32 s26, s44
	s_cselect_b32 s23, s28, s23
	s_cselect_b32 s26, s29, s26
	s_add_i32 s28, s23, 1
	s_cmp_ge_u32 s26, s44
	s_cselect_b32 s23, s28, s23
	s_mul_i32 s26, s23, s44
	s_sub_i32 s19, s19, s26
	s_mul_i32 s19, s19, s25
	s_add_i32 s10, s19, s10
	s_mul_i32 s19, s27, s41
	s_sub_i32 s19, s42, s19
	s_mul_i32 s19, s19, s22
	s_mul_i32 s22, s55, s40
	;; [unrolled: 1-line block ×3, first 2 shown]
	s_sub_i32 s22, s27, s22
	s_add_i32 s10, s10, s23
	s_add_i32 s23, s55, 1
	s_sub_i32 s24, s22, s40
	s_cmp_ge_u32 s22, s40
	s_cselect_b32 s23, s23, s55
	s_cselect_b32 s22, s24, s22
	s_add_i32 s24, s23, 1
	s_cmp_ge_u32 s22, s40
	s_cselect_b32 s22, s24, s23
	s_mul_i32 s23, s22, s40
	s_sub_i32 s23, s27, s23
	s_mul_i32 s21, s23, s21
	s_add_i32 s19, s21, s19
	s_mul_i32 s22, s22, s20
	s_add_i32 s20, s19, s22
	s_mul_i32 s19, s33, s39
	s_sub_i32 s19, s42, s19
	s_mul_i32 s19, s19, s18
	s_mul_i32 s18, s54, s38
	s_sub_i32 s18, s33, s18
	s_add_i32 s21, s54, 1
	s_sub_i32 s22, s18, s38
	s_cmp_ge_u32 s18, s38
	s_cselect_b32 s21, s21, s54
	s_cselect_b32 s18, s22, s18
	s_add_i32 s22, s21, 1
	s_cmp_ge_u32 s18, s38
	s_cselect_b32 s18, s22, s21
	s_mul_i32 s21, s18, s38
	s_sub_i32 s21, s33, s21
	s_mul_i32 s17, s21, s17
	s_add_i32 s17, s17, s19
	s_mul_i32 s18, s18, s16
	s_add_i32 s22, s17, s18
	s_lshl_b64 s[16:17], s[10:11], 3
	s_add_u32 s16, s36, s16
	s_mov_b32 s21, s11
	s_addc_u32 s17, s37, s17
	s_lshl_b64 s[18:19], s[20:21], 3
	v_mov_b32_e32 v1, 0
	s_add_u32 s18, s34, s18
	s_mov_b32 s23, s11
	ds_read_b96 v[2:4], v1 offset:1056
	s_addc_u32 s19, s35, s19
	s_lshl_b64 s[10:11], s[22:23], 3
	s_add_u32 s20, s6, s10
	s_addc_u32 s21, s7, s11
	s_ashr_i32 s6, s47, 31
	s_or_b32 s7, s6, 0x80000000
	v_cmp_o_f64_e64 s[10:11], s[46:47], s[46:47]
	s_xor_b64 s[6:7], s[6:7], s[46:47]
	s_waitcnt lgkmcnt(0)
	v_add_u32_e32 v5, v2, v3
	v_lshrrev_b32_e32 v2, 5, v0
	s_and_b64 s[10:11], s[10:11], exec
	v_add_lshl_u32 v8, v2, v0, 2
	v_lshlrev_b32_e32 v2, 2, v0
	v_lshrrev_b32_e32 v3, 3, v0
	s_cselect_b32 s11, s7, -1
	s_cselect_b32 s10, s6, -1
	s_bitcmp1_b32 s14, 0
	s_load_dword s14, s[4:5], 0xe8
	s_load_dword s22, s[4:5], 0x1c8
	v_add_lshl_u32 v9, v3, v2, 2
	v_add_u32_e32 v2, -1, v0
	v_lshrrev_b32_e32 v3, 5, v2
	v_add_lshl_u32 v10, v3, v2, 2
	v_mbcnt_lo_u32_b32 v3, -1, 0
	v_add_u32_e32 v2, s15, v0
	v_mbcnt_hi_u32_b32 v11, -1, v3
	s_cselect_b64 s[6:7], -1, 0
	v_cmp_gt_u32_e64 s[4:5], 64, v0
	s_waitcnt lgkmcnt(0)
	v_mul_lo_u32 v0, s14, v2
	s_lshl_b32 s23, s14, 8
	v_and_b32_e32 v12, 15, v11
	v_bfe_i32 v13, v11, 4, 1
	v_add_u32_e32 v14, -1, v11
	v_and_b32_e32 v15, 64, v11
                                        ; implicit-def: $vgpr6_vgpr7
	s_branch .LBB74_21
.LBB74_19:                              ;   in Loop: Header=BB74_21 Depth=1
	s_or_b64 exec, exec, s[14:15]
	v_add_u32_e32 v5, v18, v5
.LBB74_20:                              ;   in Loop: Header=BB74_21 Depth=1
	s_add_i32 s9, s9, -1
	v_add_u32_e32 v4, v17, v4
	v_add_u32_e32 v0, s23, v0
	s_cmp_lg_u32 s9, 0
	v_add_u32_e32 v2, 0x100, v2
	s_cbranch_scc0 .LBB74_40
.LBB74_21:                              ; =>This Inner Loop Header: Depth=1
	v_cmp_gt_u32_e32 vcc, s12, v2
	v_mov_b32_e32 v3, 0
	v_mov_b32_e32 v16, 0
	s_and_saveexec_b64 s[14:15], vcc
	s_cbranch_execz .LBB74_23
; %bb.22:                               ;   in Loop: Header=BB74_21 Depth=1
	v_lshlrev_b64 v[6:7], 3, v[0:1]
	v_mov_b32_e32 v3, s17
	v_add_co_u32_e32 v6, vcc, s16, v6
	v_addc_co_u32_e32 v7, vcc, v3, v7, vcc
	global_load_dwordx2 v[6:7], v[6:7], off
	s_waitcnt vmcnt(0)
	v_ashrrev_i32_e32 v3, 31, v7
	v_or_b32_e32 v16, 0x80000000, v3
	v_xor_b32_e32 v3, v3, v6
	v_xor_b32_e32 v16, v16, v7
	v_cmp_o_f64_e32 vcc, v[6:7], v[6:7]
	v_cndmask_b32_e32 v17, -1, v16, vcc
	v_cndmask_b32_e32 v16, -1, v3, vcc
	v_cmp_lt_u64_e32 vcc, s[10:11], v[16:17]
	v_cndmask_b32_e64 v3, 0, 1, vcc
	v_cmp_gt_u64_e32 vcc, s[10:11], v[16:17]
	v_cndmask_b32_e64 v18, 0, 1, vcc
	v_cndmask_b32_e64 v3, v18, v3, s[6:7]
	v_cmp_eq_u64_e32 vcc, s[10:11], v[16:17]
	v_and_b32_e32 v3, 1, v3
	v_cndmask_b32_e64 v16, 0, 1, vcc
.LBB74_23:                              ;   in Loop: Header=BB74_21 Depth=1
	s_or_b64 exec, exec, s[14:15]
	ds_write_b32 v8, v3
	s_waitcnt lgkmcnt(0)
	s_barrier
	s_and_saveexec_b64 s[14:15], s[4:5]
	s_cbranch_execz .LBB74_25
; %bb.24:                               ;   in Loop: Header=BB74_21 Depth=1
	ds_read2_b32 v[18:19], v9 offset1:1
	ds_read2_b32 v[20:21], v9 offset0:2 offset1:3
	v_cmp_ne_u32_e32 vcc, 0, v12
	; wave barrier
	s_waitcnt lgkmcnt(1)
	v_add_u32_e32 v17, v19, v18
	s_waitcnt lgkmcnt(0)
	v_add3_u32 v17, v17, v20, v21
	s_nop 1
	v_mov_b32_dpp v19, v17 row_shr:1 row_mask:0xf bank_mask:0xf
	v_cndmask_b32_e32 v19, 0, v19, vcc
	v_add_u32_e32 v17, v19, v17
	v_cmp_lt_u32_e32 vcc, 1, v12
	s_nop 0
	v_mov_b32_dpp v19, v17 row_shr:2 row_mask:0xf bank_mask:0xf
	v_cndmask_b32_e32 v19, 0, v19, vcc
	v_add_u32_e32 v17, v17, v19
	v_cmp_lt_u32_e32 vcc, 3, v12
	;; [unrolled: 5-line block ×4, first 2 shown]
	s_nop 0
	v_mov_b32_dpp v19, v17 row_bcast:15 row_mask:0xf bank_mask:0xf
	v_and_b32_e32 v19, v13, v19
	v_add_u32_e32 v17, v17, v19
	s_nop 1
	v_mov_b32_dpp v19, v17 row_bcast:31 row_mask:0xf bank_mask:0xf
	v_cndmask_b32_e32 v19, 0, v19, vcc
	v_cmp_lt_i32_e32 vcc, v14, v15
	v_add_u32_e32 v17, v17, v19
	v_cndmask_b32_e32 v19, v14, v11, vcc
	v_lshlrev_b32_e32 v19, 2, v19
	ds_bpermute_b32 v17, v19, v17
	s_waitcnt lgkmcnt(0)
	v_add_u32_e32 v17, v17, v18
	v_cndmask_b32_e64 v17, v17, v3, s[2:3]
	ds_write_b32 v9, v17
	; wave barrier
	ds_read2_b32 v[18:19], v9 offset0:1 offset1:2
	ds_read_b32 v20, v9 offset:12
	s_waitcnt lgkmcnt(1)
	v_add_u32_e32 v17, v18, v17
	v_add_u32_e32 v18, v19, v17
	ds_write2_b32 v9, v17, v18 offset0:1 offset1:2
	s_waitcnt lgkmcnt(1)
	v_add_u32_e32 v17, v20, v18
	ds_write_b32 v9, v17 offset:12
.LBB74_25:                              ;   in Loop: Header=BB74_21 Depth=1
	s_or_b64 exec, exec, s[14:15]
	v_mov_b32_e32 v18, 0
	s_waitcnt lgkmcnt(0)
	s_barrier
	s_and_saveexec_b64 s[14:15], s[0:1]
	s_cbranch_execz .LBB74_27
; %bb.26:                               ;   in Loop: Header=BB74_21 Depth=1
	ds_read_b32 v18, v10
.LBB74_27:                              ;   in Loop: Header=BB74_21 Depth=1
	s_or_b64 exec, exec, s[14:15]
	ds_read_b32 v17, v1 offset:1048
	v_cmp_ne_u32_e32 vcc, 0, v3
	s_waitcnt lgkmcnt(0)
	s_barrier
	s_and_saveexec_b64 s[14:15], vcc
	s_cbranch_execz .LBB74_29
; %bb.28:                               ;   in Loop: Header=BB74_21 Depth=1
	v_add_u32_e32 v20, v18, v4
	v_mul_lo_u32 v18, v20, s22
	v_mov_b32_e32 v19, v1
	v_lshlrev_b64 v[18:19], 3, v[18:19]
	v_mov_b32_e32 v3, s19
	v_add_co_u32_e32 v18, vcc, s18, v18
	v_addc_co_u32_e32 v19, vcc, v3, v19, vcc
	global_store_dwordx2 v[18:19], v[6:7], off
	v_mul_lo_u32 v18, v20, s8
	v_mov_b32_e32 v19, v1
	v_lshlrev_b64 v[18:19], 3, v[18:19]
	v_mov_b32_e32 v20, s21
	v_add_co_u32_e32 v18, vcc, s20, v18
	v_mov_b32_e32 v3, v1
	v_addc_co_u32_e32 v19, vcc, v20, v19, vcc
	global_store_dwordx2 v[18:19], v[2:3], off
.LBB74_29:                              ;   in Loop: Header=BB74_21 Depth=1
	s_or_b64 exec, exec, s[14:15]
	v_cmp_le_u32_e32 vcc, s13, v5
	s_cbranch_vccnz .LBB74_20
; %bb.30:                               ;   in Loop: Header=BB74_21 Depth=1
	ds_write_b32 v8, v16
	s_waitcnt lgkmcnt(0)
	s_barrier
	s_and_saveexec_b64 s[14:15], s[4:5]
	s_cbranch_execz .LBB74_32
; %bb.31:                               ;   in Loop: Header=BB74_21 Depth=1
	ds_read2_b32 v[18:19], v9 offset1:1
	ds_read2_b32 v[20:21], v9 offset0:2 offset1:3
	v_cmp_ne_u32_e32 vcc, 0, v12
	; wave barrier
	s_waitcnt lgkmcnt(1)
	v_add_u32_e32 v3, v19, v18
	s_waitcnt lgkmcnt(0)
	v_add3_u32 v3, v3, v20, v21
	s_nop 1
	v_mov_b32_dpp v19, v3 row_shr:1 row_mask:0xf bank_mask:0xf
	v_cndmask_b32_e32 v19, 0, v19, vcc
	v_add_u32_e32 v3, v19, v3
	v_cmp_lt_u32_e32 vcc, 1, v12
	s_nop 0
	v_mov_b32_dpp v19, v3 row_shr:2 row_mask:0xf bank_mask:0xf
	v_cndmask_b32_e32 v19, 0, v19, vcc
	v_add_u32_e32 v3, v3, v19
	v_cmp_lt_u32_e32 vcc, 3, v12
	;; [unrolled: 5-line block ×4, first 2 shown]
	s_nop 0
	v_mov_b32_dpp v19, v3 row_bcast:15 row_mask:0xf bank_mask:0xf
	v_and_b32_e32 v19, v13, v19
	v_add_u32_e32 v3, v3, v19
	s_nop 1
	v_mov_b32_dpp v19, v3 row_bcast:31 row_mask:0xf bank_mask:0xf
	v_cndmask_b32_e32 v19, 0, v19, vcc
	v_cmp_lt_i32_e32 vcc, v14, v15
	v_add_u32_e32 v3, v3, v19
	v_cndmask_b32_e32 v19, v14, v11, vcc
	v_lshlrev_b32_e32 v19, 2, v19
	ds_bpermute_b32 v3, v19, v3
	s_waitcnt lgkmcnt(0)
	v_add_u32_e32 v3, v3, v18
	v_cndmask_b32_e64 v3, v3, v16, s[2:3]
	ds_write_b32 v9, v3
	; wave barrier
	ds_read2_b32 v[18:19], v9 offset0:1 offset1:2
	ds_read_b32 v20, v9 offset:12
	s_waitcnt lgkmcnt(1)
	v_add_u32_e32 v3, v18, v3
	v_add_u32_e32 v18, v19, v3
	ds_write2_b32 v9, v3, v18 offset0:1 offset1:2
	s_waitcnt lgkmcnt(1)
	v_add_u32_e32 v3, v20, v18
	ds_write_b32 v9, v3 offset:12
.LBB74_32:                              ;   in Loop: Header=BB74_21 Depth=1
	s_or_b64 exec, exec, s[14:15]
	v_mov_b32_e32 v3, 0
	s_waitcnt lgkmcnt(0)
	s_barrier
	s_and_saveexec_b64 s[14:15], s[0:1]
	s_cbranch_execz .LBB74_34
; %bb.33:                               ;   in Loop: Header=BB74_21 Depth=1
	ds_read_b32 v3, v10
.LBB74_34:                              ;   in Loop: Header=BB74_21 Depth=1
	s_or_b64 exec, exec, s[14:15]
	ds_read_b32 v18, v1 offset:1048
	v_cmp_ne_u32_e32 vcc, 0, v16
	s_waitcnt lgkmcnt(0)
	s_barrier
	s_and_saveexec_b64 s[14:15], vcc
	s_cbranch_execz .LBB74_19
; %bb.35:                               ;   in Loop: Header=BB74_21 Depth=1
	v_add_u32_e32 v16, v3, v5
	v_cmp_gt_u32_e32 vcc, s13, v16
	s_and_b64 exec, exec, vcc
	s_cbranch_execz .LBB74_19
; %bb.36:                               ;   in Loop: Header=BB74_21 Depth=1
	v_mul_lo_u32 v20, v16, s22
	v_mov_b32_e32 v21, v1
	v_lshlrev_b64 v[20:21], 3, v[20:21]
	v_mov_b32_e32 v3, s19
	v_add_co_u32_e32 v20, vcc, s18, v20
	v_addc_co_u32_e32 v21, vcc, v3, v21, vcc
	global_store_dwordx2 v[20:21], v[6:7], off
	v_mul_lo_u32 v20, v16, s8
	v_mov_b32_e32 v21, v1
	v_lshlrev_b64 v[20:21], 3, v[20:21]
	v_mov_b32_e32 v16, s21
	v_add_co_u32_e32 v20, vcc, s20, v20
	v_mov_b32_e32 v3, v1
	v_addc_co_u32_e32 v21, vcc, v16, v21, vcc
	global_store_dwordx2 v[20:21], v[2:3], off
	s_branch .LBB74_19
.LBB74_37:                              ;   in Loop: Header=BB74_38 Depth=1
	s_add_u32 s28, s28, 4
	s_addc_u32 s29, s29, 0
	s_waitcnt lgkmcnt(0)
	s_add_i32 s57, s15, s57
	s_add_u32 s30, s30, 4
	s_addc_u32 s31, s31, 0
	s_add_i32 s14, s14, 1
	s_cmp_lt_u32 s14, s10
	s_cbranch_scc0 .LBB74_16
.LBB74_38:                              ; =>This Inner Loop Header: Depth=1
	s_load_dword s15, s[28:29], 0x0
	s_cmp_ge_u32 s14, s11
	s_cbranch_scc1 .LBB74_37
; %bb.39:                               ;   in Loop: Header=BB74_38 Depth=1
	s_load_dword s48, s[30:31], 0x0
	s_waitcnt lgkmcnt(0)
	s_add_i32 s43, s15, s43
	s_add_i32 s56, s48, s56
	s_branch .LBB74_37
.LBB74_40:
	s_endpgm
	.section	.rodata,"a",@progbits
	.p2align	6, 0x0
	.amdhsa_kernel _ZN2at6native6mbtopk10gatherTopKIdjLi3EEEvNS_4cuda6detail10TensorInfoIKT_T0_EES8_S8_bjS8_NS5_IS6_S8_EES8_NS5_IlS8_EES8_jjPS6_PjSD_j
		.amdhsa_group_segment_fixed_size 1068
		.amdhsa_private_segment_fixed_size 0
		.amdhsa_kernarg_size 984
		.amdhsa_user_sgpr_count 6
		.amdhsa_user_sgpr_private_segment_buffer 1
		.amdhsa_user_sgpr_dispatch_ptr 0
		.amdhsa_user_sgpr_queue_ptr 0
		.amdhsa_user_sgpr_kernarg_segment_ptr 1
		.amdhsa_user_sgpr_dispatch_id 0
		.amdhsa_user_sgpr_flat_scratch_init 0
		.amdhsa_user_sgpr_kernarg_preload_length 0
		.amdhsa_user_sgpr_kernarg_preload_offset 0
		.amdhsa_user_sgpr_private_segment_size 0
		.amdhsa_uses_dynamic_stack 0
		.amdhsa_system_sgpr_private_segment_wavefront_offset 0
		.amdhsa_system_sgpr_workgroup_id_x 1
		.amdhsa_system_sgpr_workgroup_id_y 1
		.amdhsa_system_sgpr_workgroup_id_z 1
		.amdhsa_system_sgpr_workgroup_info 0
		.amdhsa_system_vgpr_workitem_id 0
		.amdhsa_next_free_vgpr 22
		.amdhsa_next_free_sgpr 61
		.amdhsa_accum_offset 24
		.amdhsa_reserve_vcc 1
		.amdhsa_reserve_flat_scratch 0
		.amdhsa_float_round_mode_32 0
		.amdhsa_float_round_mode_16_64 0
		.amdhsa_float_denorm_mode_32 3
		.amdhsa_float_denorm_mode_16_64 3
		.amdhsa_dx10_clamp 1
		.amdhsa_ieee_mode 1
		.amdhsa_fp16_overflow 0
		.amdhsa_tg_split 0
		.amdhsa_exception_fp_ieee_invalid_op 0
		.amdhsa_exception_fp_denorm_src 0
		.amdhsa_exception_fp_ieee_div_zero 0
		.amdhsa_exception_fp_ieee_overflow 0
		.amdhsa_exception_fp_ieee_underflow 0
		.amdhsa_exception_fp_ieee_inexact 0
		.amdhsa_exception_int_div_zero 0
	.end_amdhsa_kernel
	.section	.text._ZN2at6native6mbtopk10gatherTopKIdjLi3EEEvNS_4cuda6detail10TensorInfoIKT_T0_EES8_S8_bjS8_NS5_IS6_S8_EES8_NS5_IlS8_EES8_jjPS6_PjSD_j,"axG",@progbits,_ZN2at6native6mbtopk10gatherTopKIdjLi3EEEvNS_4cuda6detail10TensorInfoIKT_T0_EES8_S8_bjS8_NS5_IS6_S8_EES8_NS5_IlS8_EES8_jjPS6_PjSD_j,comdat
.Lfunc_end74:
	.size	_ZN2at6native6mbtopk10gatherTopKIdjLi3EEEvNS_4cuda6detail10TensorInfoIKT_T0_EES8_S8_bjS8_NS5_IS6_S8_EES8_NS5_IlS8_EES8_jjPS6_PjSD_j, .Lfunc_end74-_ZN2at6native6mbtopk10gatherTopKIdjLi3EEEvNS_4cuda6detail10TensorInfoIKT_T0_EES8_S8_bjS8_NS5_IS6_S8_EES8_NS5_IlS8_EES8_jjPS6_PjSD_j
                                        ; -- End function
	.section	.AMDGPU.csdata,"",@progbits
; Kernel info:
; codeLenInByte = 2756
; NumSgprs: 65
; NumVgprs: 22
; NumAgprs: 0
; TotalNumVgprs: 22
; ScratchSize: 0
; MemoryBound: 0
; FloatMode: 240
; IeeeMode: 1
; LDSByteSize: 1068 bytes/workgroup (compile time only)
; SGPRBlocks: 8
; VGPRBlocks: 2
; NumSGPRsForWavesPerEU: 65
; NumVGPRsForWavesPerEU: 22
; AccumOffset: 24
; Occupancy: 8
; WaveLimiterHint : 1
; COMPUTE_PGM_RSRC2:SCRATCH_EN: 0
; COMPUTE_PGM_RSRC2:USER_SGPR: 6
; COMPUTE_PGM_RSRC2:TRAP_HANDLER: 0
; COMPUTE_PGM_RSRC2:TGID_X_EN: 1
; COMPUTE_PGM_RSRC2:TGID_Y_EN: 1
; COMPUTE_PGM_RSRC2:TGID_Z_EN: 1
; COMPUTE_PGM_RSRC2:TIDIG_COMP_CNT: 0
; COMPUTE_PGM_RSRC3_GFX90A:ACCUM_OFFSET: 5
; COMPUTE_PGM_RSRC3_GFX90A:TG_SPLIT: 0
	.section	.text._ZN2at6native6sbtopk10gatherTopKIdjLi3ELb0EEEvNS_4cuda6detail10TensorInfoIKT_T0_EES8_S8_bS8_S8_NS5_IS6_S8_EES8_NS5_IlS8_EES8_PS6_,"axG",@progbits,_ZN2at6native6sbtopk10gatherTopKIdjLi3ELb0EEEvNS_4cuda6detail10TensorInfoIKT_T0_EES8_S8_bS8_S8_NS5_IS6_S8_EES8_NS5_IlS8_EES8_PS6_,comdat
	.protected	_ZN2at6native6sbtopk10gatherTopKIdjLi3ELb0EEEvNS_4cuda6detail10TensorInfoIKT_T0_EES8_S8_bS8_S8_NS5_IS6_S8_EES8_NS5_IlS8_EES8_PS6_ ; -- Begin function _ZN2at6native6sbtopk10gatherTopKIdjLi3ELb0EEEvNS_4cuda6detail10TensorInfoIKT_T0_EES8_S8_bS8_S8_NS5_IS6_S8_EES8_NS5_IlS8_EES8_PS6_
	.globl	_ZN2at6native6sbtopk10gatherTopKIdjLi3ELb0EEEvNS_4cuda6detail10TensorInfoIKT_T0_EES8_S8_bS8_S8_NS5_IS6_S8_EES8_NS5_IlS8_EES8_PS6_
	.p2align	8
	.type	_ZN2at6native6sbtopk10gatherTopKIdjLi3ELb0EEEvNS_4cuda6detail10TensorInfoIKT_T0_EES8_S8_bS8_S8_NS5_IS6_S8_EES8_NS5_IlS8_EES8_PS6_,@function
_ZN2at6native6sbtopk10gatherTopKIdjLi3ELb0EEEvNS_4cuda6detail10TensorInfoIKT_T0_EES8_S8_bS8_S8_NS5_IS6_S8_EES8_NS5_IlS8_EES8_PS6_: ; @_ZN2at6native6sbtopk10gatherTopKIdjLi3ELb0EEEvNS_4cuda6detail10TensorInfoIKT_T0_EES8_S8_bS8_S8_NS5_IS6_S8_EES8_NS5_IlS8_EES8_PS6_
; %bb.0:
	s_load_dwordx2 s[12:13], s[4:5], 0x2b8
	s_load_dwordx4 s[60:63], s[4:5], 0xd8
	s_add_u32 s10, s4, 0x2b8
	s_addc_u32 s11, s5, 0
	s_waitcnt lgkmcnt(0)
	s_mul_i32 s0, s13, s8
	s_add_i32 s0, s0, s7
	s_mul_i32 s0, s0, s12
	s_add_i32 s13, s0, s6
	s_cmp_ge_u32 s13, s63
	s_cbranch_scc1 .LBB75_414
; %bb.1:
	s_load_dwordx4 s[0:3], s[4:5], 0x23c
                                        ; implicit-def: $vgpr59 : SGPR spill to VGPR lane
	s_load_dwordx2 s[16:17], s[4:5], 0xc
	s_load_dwordx2 s[14:15], s[4:5], 0x0
	s_load_dword s20, s[4:5], 0xe8
	s_waitcnt lgkmcnt(0)
	v_writelane_b32 v59, s0, 0
	v_writelane_b32 v59, s1, 1
	;; [unrolled: 1-line block ×4, first 2 shown]
	s_load_dwordx2 s[18:19], s[4:5], 0x1dc
	s_load_dwordx2 s[0:1], s[4:5], 0x1d0
	v_cvt_f32_u32_e32 v1, s17
	s_waitcnt lgkmcnt(0)
	v_writelane_b32 v59, s0, 4
	v_writelane_b32 v59, s1, 5
	s_load_dwordx4 s[0:3], s[4:5], 0x15c
	v_rcp_iflag_f32_e32 v1, v1
	v_mul_f32_e32 v1, 0x4f7ffffe, v1
	s_waitcnt lgkmcnt(0)
	v_writelane_b32 v59, s0, 6
	v_writelane_b32 v59, s1, 7
	;; [unrolled: 1-line block ×4, first 2 shown]
	s_load_dwordx2 s[22:23], s[4:5], 0xfc
	s_load_dwordx2 s[0:1], s[4:5], 0xf0
	v_cvt_u32_f32_e32 v1, v1
	s_waitcnt lgkmcnt(0)
	v_cvt_f32_u32_e32 v2, s23
	v_writelane_b32 v59, s0, 10
	v_writelane_b32 v59, s1, 11
	;; [unrolled: 1-line block ×4, first 2 shown]
	s_load_dwordx4 s[0:3], s[4:5], 0x6c
	s_mov_b32 s4, 0
	v_writelane_b32 v59, s4, 14
	v_writelane_b32 v59, s5, 15
	v_readfirstlane_b32 s4, v1
	v_cvt_f32_u32_e32 v1, s16
	s_waitcnt lgkmcnt(0)
	s_sub_i32 s3, 0, s17
	s_mul_i32 s3, s3, s4
	s_mul_hi_u32 s3, s4, s3
	s_add_i32 s4, s4, s3
	v_rcp_iflag_f32_e32 v1, v1
	s_mul_hi_u32 s3, s13, s4
	s_mul_i32 s4, s3, s17
	s_sub_i32 s4, s13, s4
	s_add_i32 s5, s3, 1
	s_sub_i32 s7, s4, s17
	v_mul_f32_e32 v1, 0x4f7ffffe, v1
	s_cmp_ge_u32 s4, s17
	v_cvt_u32_f32_e32 v1, v1
	v_rcp_iflag_f32_e32 v2, v2
	s_cselect_b32 s3, s5, s3
	s_cselect_b32 s4, s7, s4
	s_add_i32 s5, s3, 1
	s_cmp_ge_u32 s4, s17
	s_cselect_b32 s3, s5, s3
	v_readfirstlane_b32 s5, v1
	v_mul_f32_e32 v1, 0x4f7ffffe, v2
	v_cvt_u32_f32_e32 v1, v1
	s_sub_i32 s4, 0, s16
	s_mul_i32 s4, s4, s5
	s_mul_hi_u32 s4, s5, s4
	v_readfirstlane_b32 s7, v1
	v_cvt_f32_u32_e32 v1, s22
	s_add_i32 s5, s5, s4
	s_mul_hi_u32 s4, s3, s5
	s_sub_i32 s5, 0, s23
	s_mul_i32 s5, s5, s7
	s_mul_hi_u32 s5, s7, s5
	v_rcp_iflag_f32_e32 v1, v1
	s_add_i32 s7, s7, s5
	v_cvt_f32_u32_e32 v2, s19
	s_mul_hi_u32 s5, s13, s7
	s_mul_i32 s7, s5, s23
	s_sub_i32 s7, s13, s7
	v_mul_f32_e32 v1, 0x4f7ffffe, v1
	s_add_i32 s8, s5, 1
	s_sub_i32 s9, s7, s23
	v_cvt_u32_f32_e32 v1, v1
	v_rcp_iflag_f32_e32 v2, v2
	s_cmp_ge_u32 s7, s23
	s_cselect_b32 s5, s8, s5
	s_cselect_b32 s7, s9, s7
	s_add_i32 s8, s5, 1
	s_cmp_ge_u32 s7, s23
	v_readfirstlane_b32 s7, v1
	v_mul_f32_e32 v1, 0x4f7ffffe, v2
	s_cselect_b32 s8, s8, s5
	v_writelane_b32 v59, s22, 16
	s_sub_i32 s5, 0, s22
	v_cvt_u32_f32_e32 v1, v1
	s_mul_i32 s5, s5, s7
	s_mul_hi_u32 s5, s7, s5
	v_writelane_b32 v59, s23, 17
	s_add_i32 s7, s7, s5
	v_writelane_b32 v59, s8, 18
	s_mul_hi_u32 s5, s8, s7
	v_readfirstlane_b32 s7, v1
	v_cvt_f32_u32_e32 v1, s18
	v_writelane_b32 v59, s5, 19
	s_sub_i32 s5, 0, s19
	s_mul_i32 s5, s5, s7
	s_mul_hi_u32 s5, s7, s5
	s_add_i32 s7, s7, s5
	v_rcp_iflag_f32_e32 v1, v1
	s_mul_hi_u32 s5, s13, s7
	s_mul_i32 s7, s5, s19
	s_sub_i32 s7, s13, s7
	s_add_i32 s8, s5, 1
	s_sub_i32 s9, s7, s19
	v_mul_f32_e32 v1, 0x4f7ffffe, v1
	s_cmp_ge_u32 s7, s19
	v_cvt_u32_f32_e32 v1, v1
	s_cselect_b32 s5, s8, s5
	s_cselect_b32 s7, s9, s7
	s_add_i32 s8, s5, 1
	s_cmp_ge_u32 s7, s19
	s_cselect_b32 s8, s8, s5
	v_writelane_b32 v59, s18, 20
	s_sub_i32 s5, 0, s18
	v_readfirstlane_b32 s7, v1
	s_mul_i32 s5, s5, s7
	s_mul_hi_u32 s5, s7, s5
	v_writelane_b32 v59, s19, 21
	s_add_i32 s7, s7, s5
	v_writelane_b32 v59, s8, 22
	s_mul_hi_u32 s5, s8, s7
	v_writelane_b32 v59, s5, 23
	v_cmp_eq_u32_e64 s[18:19], 0, v0
	s_mov_b64 s[8:9], exec
	v_writelane_b32 v59, s18, 24
	v_writelane_b32 v59, s19, 25
	s_and_b64 s[18:19], s[8:9], s[18:19]
	s_mov_b64 exec, s[18:19]
	s_cbranch_execz .LBB75_3
; %bb.2:
	v_mov_b32_e32 v2, 0
	v_mov_b32_e32 v3, s60
	;; [unrolled: 1-line block ×3, first 2 shown]
	ds_write_b96 v2, v[2:4] offset:4096
.LBB75_3:
	s_or_b64 exec, exec, s[8:9]
	s_mul_i32 s5, s3, s17
	s_sub_i32 s5, s13, s5
	s_mul_i32 s5, s5, s2
	s_mul_i32 s2, s4, s16
	s_sub_i32 s2, s3, s2
	s_add_i32 s7, s4, 1
	s_sub_i32 s8, s2, s16
	s_cmp_ge_u32 s2, s16
	s_cselect_b32 s4, s7, s4
	s_cselect_b32 s2, s8, s2
	s_add_i32 s7, s4, 1
	s_cmp_ge_u32 s2, s16
	s_cselect_b32 s2, s7, s4
	s_mul_i32 s4, s2, s16
	s_sub_i32 s3, s3, s4
	s_mul_i32 s1, s3, s1
	s_add_i32 s1, s1, s5
	s_mul_i32 s2, s2, s0
	s_add_i32 s0, s1, s2
	s_mov_b32 s1, 0
	s_lshl_b64 s[0:1], s[0:1], 3
	s_add_u32 s33, s14, s0
	s_waitcnt lgkmcnt(0)
	s_barrier
	s_load_dword s0, s[10:11], 0xc
	s_addc_u32 s84, s15, s1
	s_bitcmp1_b32 s62, 0
	v_mbcnt_lo_u32_b32 v1, -1, 0
	v_writelane_b32 v59, s13, 26
	s_cselect_b64 s[2:3], -1, 0
	v_mbcnt_hi_u32_b32 v1, -1, v1
	v_writelane_b32 v59, s2, 27
	s_waitcnt lgkmcnt(0)
	s_and_b32 s85, s0, 0xffff
	s_bfe_u32 s5, s0, 0xa0006
	v_cmp_gt_u32_e32 vcc, 64, v0
	v_cmp_gt_i32_e64 s[0:1], 4, v1
	v_writelane_b32 v59, s3, 28
	s_xor_b64 s[2:3], s[2:3], -1
	s_lshl_b32 s87, s85, 2
	s_and_b64 s[82:83], vcc, s[0:1]
	v_writelane_b32 v59, s2, 29
	s_cmpk_gt_u32 s60, 0x180
	v_writelane_b32 v59, s3, 30
	s_cselect_b64 s[0:1], -1, 0
	v_writelane_b32 v59, s0, 31
	s_cmp_gt_u32 s85, 63
	v_writelane_b32 v59, s1, 32
	s_cselect_b64 s[0:1], -1, 0
	v_writelane_b32 v59, s0, 33
	v_writelane_b32 v59, s1, 34
	s_add_i32 s0, s85, -1
	s_add_i32 s2, s0, s60
	s_cmp_lt_u32 s6, s12
	v_writelane_b32 v59, s0, 35
	s_cselect_b32 s0, 12, 18
	s_add_u32 s0, s10, s0
	s_addc_u32 s1, s11, 0
	v_writelane_b32 v59, s0, 36
	s_add_i32 s3, s5, -2
	v_writelane_b32 v59, s1, 37
	s_lshr_b32 s0, s3, 1
	s_add_i32 s4, s0, 1
	s_cmpk_gt_u32 s85, 0x7f
	v_mov_b32_e32 v21, 0
	s_cselect_b64 s[0:1], -1, 0
	v_writelane_b32 v59, s0, 38
	v_mul_lo_u32 v22, v0, s20
	v_mov_b32_e32 v23, v21
	v_writelane_b32 v59, s1, 39
	v_cmp_gt_u32_e64 s[6:7], s60, v0
	v_lshlrev_b64 v[2:3], 3, v[22:23]
	v_writelane_b32 v59, s6, 40
	v_mov_b32_e32 v4, s84
	v_add_co_u32_e32 v18, vcc, s33, v2
	v_lshrrev_b32_e32 v2, 4, v0
	v_writelane_b32 v59, s7, 41
	v_addc_co_u32_e32 v19, vcc, v4, v3, vcc
	v_and_b32_e32 v35, 60, v2
	v_cmp_gt_u32_e64 s[6:7], 2, v0
	v_lshlrev_b64 v[2:3], v1, -1
	v_writelane_b32 v59, s6, 42
	v_not_b32_e32 v16, v2
	v_cvt_f32_u32_e32 v2, s87
	v_writelane_b32 v59, s7, 43
	s_and_b32 s6, s5, 0x3fe
	s_and_b32 s7, s4, 7
	s_cmp_gt_u32 s3, 13
	s_cselect_b64 s[8:9], -1, 0
	v_writelane_b32 v59, s8, 44
	v_rcp_iflag_f32_e32 v2, v2
	v_writelane_b32 v59, s9, 45
	s_and_b32 s3, s4, -8
	v_writelane_b32 v59, s3, 46
	s_cmp_lg_u32 s7, 0
	v_writelane_b32 v59, s7, 47
	s_cselect_b64 s[8:9], -1, 0
	v_writelane_b32 v59, s8, 48
	v_mul_f32_e32 v2, 0x4f7ffffe, v2
	v_writelane_b32 v59, s9, 49
	v_cvt_u32_f32_e32 v2, v2
	v_writelane_b32 v59, s5, 50
	s_cmp_lg_u32 s6, s5
	v_writelane_b32 v59, s6, 51
	s_cselect_b64 s[4:5], -1, 0
	v_writelane_b32 v59, s4, 52
	v_writelane_b32 v59, s5, 53
	s_sub_i32 s3, 0, s87
	v_readfirstlane_b32 s4, v2
	s_mul_i32 s3, s3, s4
	s_mul_hi_u32 s3, s4, s3
	s_add_i32 s3, s4, s3
	v_cvt_f32_u32_e32 v2, s85
	v_writelane_b32 v59, s3, 54
	s_mul_hi_u32 s3, s60, s3
	s_mul_i32 s3, s3, s87
	s_sub_i32 s3, s60, s3
	s_sub_i32 s4, s3, s87
	v_rcp_iflag_f32_e32 v5, v2
	s_cmp_ge_u32 s3, s87
	s_cselect_b32 s3, s4, s3
	s_sub_i32 s4, s3, s87
	s_cmp_ge_u32 s3, s87
	v_mul_f32_e32 v5, 0x4f7ffffe, v5
	s_cselect_b32 s3, s4, s3
	v_cvt_u32_f32_e32 v5, v5
	v_lshlrev_b32_e32 v34, 2, v0
	s_sub_i32 s13, s60, s3
	v_cmp_gt_u32_e64 s[4:5], s13, v34
	v_writelane_b32 v59, s4, 55
	v_writelane_b32 v59, s5, 56
	s_sub_i32 s4, 0, s85
	v_readfirstlane_b32 s5, v5
	s_mul_i32 s4, s4, s5
	s_mul_hi_u32 s4, s5, s4
	s_add_i32 s4, s5, s4
	v_writelane_b32 v59, s4, 57
	s_mul_hi_u32 s4, s2, s4
	s_mul_i32 s4, s4, s85
	s_sub_i32 s4, s2, s4
	s_sub_i32 s5, s4, s85
	v_add_u32_e32 v38, s13, v0
	s_cmp_ge_u32 s4, s85
	v_mul_lo_u32 v20, v38, s20
	s_cselect_b32 s4, s5, s4
	v_not_b32_e32 v17, v3
	v_lshlrev_b64 v[2:3], 3, v[20:21]
	s_sub_i32 s5, s4, s85
	v_add_co_u32_e32 v24, vcc, s33, v2
	s_cmp_ge_u32 s4, s85
	v_mul_lo_u32 v2, s20, v34
	s_cselect_b32 s4, s5, s4
	v_add_u32_e32 v39, s20, v2
	v_or_b32_e32 v2, 2, v34
	s_sub_i32 s6, s2, s4
	v_mul_lo_u32 v40, s20, v2
	v_or_b32_e32 v2, 3, v34
	s_add_i32 s2, s85, s60
	v_cmp_gt_u32_e64 s[4:5], s6, v0
	v_mul_lo_u32 v41, s20, v2
	v_add_u32_e32 v2, s2, v0
	v_lshlrev_b32_e32 v36, 3, v0
	v_lshlrev_b32_e32 v4, 2, v1
	v_mov_b32_e32 v6, s84
	v_writelane_b32 v59, s4, 58
	s_mul_i32 s86, s20, s85
	v_subrev_u32_e32 v2, s3, v2
	v_pk_mov_b32 v[26:27], 0, 0
	v_cmp_eq_u32_e64 s[0:1], 0, v1
	v_add_u32_e32 v37, 0xc00, v36
	v_and_b32_e32 v23, 0x100, v4
	v_cmp_gt_u32_e64 s[14:15], s60, v38
	v_addc_co_u32_e32 v25, vcc, v6, v3, vcc
	v_writelane_b32 v59, s5, 59
	s_lshl_b32 s7, s86, 2
	v_lshlrev_b32_e32 v42, 2, v22
	v_mul_lo_u32 v43, s20, v2
	v_lshlrev_b32_e32 v44, 5, v0
	s_lshl_b32 s12, s85, 5
	s_lshl_b32 s80, s85, 3
	v_or_b32_e32 v45, 0xc00, v4
	s_mov_b32 s81, 62
	s_mov_b64 s[74:75], 0
	v_pk_mov_b32 v[6:7], 0, 0
	v_mov_b32_e32 v47, s61
	v_mov_b32_e32 v3, 0x3ff00000
	;; [unrolled: 1-line block ×3, first 2 shown]
	v_pk_mov_b32 v[28:29], v[26:27], v[26:27] op_sel:[0,1]
	s_mov_b32 s4, 0
	v_writelane_b32 v59, s20, 60
                                        ; implicit-def: $sgpr64_sgpr65
                                        ; implicit-def: $sgpr66_sgpr67
                                        ; implicit-def: $sgpr68_sgpr69
                                        ; implicit-def: $sgpr70_sgpr71
                                        ; implicit-def: $sgpr2_sgpr3
                                        ; implicit-def: $sgpr76_sgpr77
                                        ; implicit-def: $sgpr78_sgpr79
                                        ; implicit-def: $sgpr92_sgpr93
                                        ; implicit-def: $sgpr94_sgpr95
                                        ; implicit-def: $sgpr72_sgpr73
	s_branch .LBB75_6
.LBB75_4:                               ;   in Loop: Header=BB75_6 Depth=1
	s_or_b64 exec, exec, s[20:21]
	s_andn2_b64 s[10:11], s[72:73], exec
	s_and_b64 s[18:19], s[18:19], exec
	s_or_b64 s[72:73], s[10:11], s[18:19]
	s_andn2_b64 s[94:95], s[94:95], exec
	s_andn2_b64 s[92:93], s[92:93], exec
	s_andn2_b64 s[78:79], s[78:79], exec
	s_andn2_b64 s[76:77], s[76:77], exec
	s_orn2_b64 s[16:17], s[16:17], exec
	v_pk_mov_b32 v[28:29], v[14:15], v[14:15] op_sel:[0,1]
	s_waitcnt vmcnt(0)
	v_pk_mov_b32 v[26:27], v[12:13], v[12:13] op_sel:[0,1]
	v_mov_b32_e32 v47, v30
	v_pk_mov_b32 v[6:7], v[10:11], v[10:11] op_sel:[0,1]
.LBB75_5:                               ;   in Loop: Header=BB75_6 Depth=1
	s_or_b64 exec, exec, s[8:9]
	s_and_b64 s[8:9], exec, s[16:17]
	s_or_b64 s[74:75], s[8:9], s[74:75]
	s_andn2_b64 s[2:3], s[2:3], exec
	s_and_b64 s[8:9], s[72:73], exec
	s_or_b64 s[2:3], s[2:3], s[8:9]
	s_andn2_b64 s[8:9], s[70:71], exec
	s_and_b64 s[10:11], s[94:95], exec
	;; [unrolled: 3-line block ×5, first 2 shown]
	s_or_b64 s[64:65], s[8:9], s[10:11]
	s_andn2_b64 exec, exec, s[74:75]
	s_cbranch_execz .LBB75_410
.LBB75_6:                               ; =>This Loop Header: Depth=1
                                        ;     Child Loop BB75_14 Depth 2
                                        ;     Child Loop BB75_32 Depth 2
	;; [unrolled: 1-line block ×25, first 2 shown]
	s_waitcnt vmcnt(0)
	ds_read_b64 v[4:5], v21 offset:4096
	s_waitcnt lgkmcnt(0)
	v_readfirstlane_b32 s5, v4
	s_cmp_lg_u32 s5, 0
	s_cbranch_scc1 .LBB75_39
; %bb.7:                                ;   in Loop: Header=BB75_6 Depth=1
	v_readlane_b32 s8, v59, 31
	v_readlane_b32 s9, v59, 32
	s_and_b64 vcc, exec, s[8:9]
	s_cbranch_vccz .LBB75_22
; %bb.8:                                ;   in Loop: Header=BB75_6 Depth=1
	s_movk_i32 s5, 0x181
	v_cmp_gt_u32_e32 vcc, s5, v5
	s_mov_b64 s[16:17], 0
	s_mov_b64 s[8:9], 0
	s_cbranch_vccz .LBB75_23
; %bb.9:                                ;   in Loop: Header=BB75_6 Depth=1
	v_pk_mov_b32 v[4:5], 0, 0
	s_mov_b64 s[8:9], exec
	v_readlane_b32 s10, v59, 40
	v_readlane_b32 s11, v59, 41
	s_and_b64 s[10:11], s[8:9], s[10:11]
	s_mov_b64 exec, s[10:11]
	s_cbranch_execz .LBB75_11
; %bb.10:                               ;   in Loop: Header=BB75_6 Depth=1
	global_load_dwordx2 v[4:5], v[18:19], off
.LBB75_11:                              ;   in Loop: Header=BB75_6 Depth=1
	s_or_b64 exec, exec, s[8:9]
	s_mov_b64 s[22:23], exec
	v_readlane_b32 s8, v59, 40
	v_readlane_b32 s9, v59, 41
	s_and_b64 s[8:9], s[22:23], s[8:9]
	s_mov_b64 exec, s[8:9]
	s_cbranch_execz .LBB75_24
; %bb.12:                               ;   in Loop: Header=BB75_6 Depth=1
	v_readlane_b32 s8, v59, 36
	v_readlane_b32 s9, v59, 37
	;; [unrolled: 1-line block ×3, first 2 shown]
	s_mov_b64 s[24:25], 0
	v_mov_b32_e32 v11, v0
	s_nop 1
	global_load_ushort v2, v21, s[8:9]
	s_waitcnt vmcnt(0)
	v_add_u32_e32 v8, v0, v2
	v_mul_lo_u32 v10, s5, v2
	v_mul_lo_u32 v20, s5, v8
	s_branch .LBB75_14
.LBB75_13:                              ;   in Loop: Header=BB75_14 Depth=2
	s_or_b64 exec, exec, s[8:9]
	v_add_u32_e32 v20, v20, v10
	s_waitcnt vmcnt(0)
	v_pk_mov_b32 v[4:5], v[8:9], v[8:9] op_sel:[0,1]
	s_andn2_b64 exec, exec, s[24:25]
	s_cbranch_execz .LBB75_24
.LBB75_14:                              ;   Parent Loop BB75_6 Depth=1
                                        ; =>  This Inner Loop Header: Depth=2
	v_add_u32_e32 v11, v11, v2
	v_cmp_gt_u32_e64 s[18:19], s60, v11
	v_cmp_le_u32_e32 vcc, s60, v11
	v_pk_mov_b32 v[8:9], 0, 0
	s_and_saveexec_b64 s[8:9], s[18:19]
	s_cbranch_execz .LBB75_16
; %bb.15:                               ;   in Loop: Header=BB75_14 Depth=2
	v_lshlrev_b64 v[8:9], 3, v[20:21]
	s_waitcnt lgkmcnt(0)
	v_mov_b32_e32 v12, s84
	v_add_co_u32_e64 v8, s[18:19], s33, v8
	v_addc_co_u32_e64 v9, s[18:19], v12, v9, s[18:19]
	global_load_dwordx2 v[8:9], v[8:9], off
.LBB75_16:                              ;   in Loop: Header=BB75_14 Depth=2
	s_or_b64 exec, exec, s[8:9]
	s_waitcnt lgkmcnt(0)
	v_ashrrev_i32_e32 v12, 31, v5
	v_or_b32_e32 v13, 0x80000000, v12
	v_xor_b32_e32 v13, v13, v5
	v_xor_b32_e32 v12, v12, v4
	v_cmp_o_f64_e64 s[18:19], v[4:5], v[4:5]
	v_cndmask_b32_e64 v13, -1, v13, s[18:19]
	v_cndmask_b32_e64 v12, -1, v12, s[18:19]
	v_and_b32_e32 v13, v13, v29
	v_and_b32_e32 v12, v12, v28
	v_cmp_eq_u64_e64 s[18:19], v[12:13], v[26:27]
	s_cmp_lg_u64 s[18:19], 0
	s_cselect_b64 s[8:9], -1, 0
	s_and_b64 s[10:11], s[0:1], s[8:9]
	v_mov_b32_e32 v12, 0
	s_and_saveexec_b64 s[8:9], s[10:11]
	s_cbranch_execz .LBB75_20
; %bb.17:                               ;   in Loop: Header=BB75_14 Depth=2
	s_mov_b64 s[28:29], exec
	v_mbcnt_lo_u32_b32 v12, s28, 0
	v_mbcnt_hi_u32_b32 v12, s29, v12
	s_bcnt1_i32_b64 s5, s[18:19]
	v_cmp_eq_u32_e64 s[20:21], 0, v12
                                        ; implicit-def: $vgpr13
	s_and_saveexec_b64 s[26:27], s[20:21]
	s_cbranch_execz .LBB75_19
; %bb.18:                               ;   in Loop: Header=BB75_14 Depth=2
	s_bcnt1_i32_b64 s10, s[28:29]
	s_mul_i32 s10, s5, s10
	v_mov_b32_e32 v13, s10
	ds_add_rtn_u32 v13, v21, v13 offset:4104
.LBB75_19:                              ;   in Loop: Header=BB75_14 Depth=2
	s_or_b64 exec, exec, s[26:27]
	s_waitcnt lgkmcnt(0)
	v_readfirstlane_b32 s10, v13
	v_mov_b32_e32 v13, s10
	v_mad_u32_u24 v12, s5, v12, v13
.LBB75_20:                              ;   in Loop: Header=BB75_14 Depth=2
	s_or_b64 exec, exec, s[8:9]
	ds_bpermute_b32 v12, v23, v12
	s_and_b64 s[8:9], exec, vcc
	s_or_b64 s[24:25], s[8:9], s[24:25]
	s_and_saveexec_b64 s[8:9], s[18:19]
	s_cbranch_execz .LBB75_13
; %bb.21:                               ;   in Loop: Header=BB75_14 Depth=2
	v_and_b32_e32 v14, s18, v16
	v_and_b32_e32 v13, s19, v17
	v_bcnt_u32_b32 v14, v14, 0
	v_bcnt_u32_b32 v13, v13, v14
	v_lshlrev_b32_e32 v13, 3, v13
	s_waitcnt lgkmcnt(0)
	v_lshl_add_u32 v12, v12, 3, v13
	ds_write_b64 v12, v[4:5]
	s_branch .LBB75_13
.LBB75_22:                              ;   in Loop: Header=BB75_6 Depth=1
	s_mov_b64 s[8:9], 0
                                        ; implicit-def: $sgpr5
	s_cbranch_execnz .LBB75_27
	s_branch .LBB75_37
.LBB75_23:                              ;   in Loop: Header=BB75_6 Depth=1
	s_mov_b32 s5, 0
	s_and_b64 vcc, exec, s[16:17]
	s_cbranch_vccnz .LBB75_27
	s_branch .LBB75_37
.LBB75_24:                              ;   in Loop: Header=BB75_6 Depth=1
	s_or_b64 exec, exec, s[22:23]
	s_waitcnt lgkmcnt(0)
	s_barrier
	s_mov_b64 s[8:9], exec
	v_readlane_b32 s10, v59, 24
	v_readlane_b32 s11, v59, 25
	s_and_b64 s[10:11], s[8:9], s[10:11]
	s_mov_b64 exec, s[10:11]
	s_cbranch_execz .LBB75_26
; %bb.25:                               ;   in Loop: Header=BB75_6 Depth=1
	ds_read_b32 v2, v21 offset:4104
	s_waitcnt lgkmcnt(0)
	ds_write_b32 v21, v2 offset:4096
.LBB75_26:                              ;   in Loop: Header=BB75_6 Depth=1
	s_or_b64 exec, exec, s[8:9]
	s_waitcnt lgkmcnt(0)
	s_barrier
	s_mov_b64 s[8:9], -1
	s_mov_b32 s5, 0
	s_and_b64 vcc, exec, s[16:17]
	s_cbranch_vccz .LBB75_37
.LBB75_27:                              ;   in Loop: Header=BB75_6 Depth=1
	s_waitcnt vmcnt(0)
	v_pk_mov_b32 v[4:5], 0, 0
	s_mov_b64 s[8:9], exec
	v_readlane_b32 s10, v59, 40
	v_readlane_b32 s11, v59, 41
	s_and_b64 s[10:11], s[8:9], s[10:11]
	s_mov_b64 exec, s[10:11]
	s_cbranch_execz .LBB75_29
; %bb.28:                               ;   in Loop: Header=BB75_6 Depth=1
	global_load_dwordx2 v[4:5], v[18:19], off
.LBB75_29:                              ;   in Loop: Header=BB75_6 Depth=1
	s_or_b64 exec, exec, s[8:9]
	s_mov_b64 s[8:9], exec
	v_readlane_b32 s10, v59, 40
	v_readlane_b32 s11, v59, 41
	s_and_b64 s[10:11], s[8:9], s[10:11]
	s_mov_b64 exec, s[10:11]
	s_cbranch_execz .LBB75_34
; %bb.30:                               ;   in Loop: Header=BB75_6 Depth=1
	v_readlane_b32 s10, v59, 36
	v_readlane_b32 s11, v59, 37
	;; [unrolled: 1-line block ×3, first 2 shown]
	s_mov_b64 s[16:17], 0
	v_mov_b32_e32 v10, v36
	v_mov_b32_e32 v13, v0
	s_nop 0
	global_load_ushort v2, v21, s[10:11]
	s_waitcnt vmcnt(0)
	v_add_u32_e32 v8, v0, v2
	v_lshlrev_b32_e32 v11, 3, v2
	v_mul_lo_u32 v12, s5, v2
	v_mul_lo_u32 v20, s5, v8
	s_branch .LBB75_32
.LBB75_31:                              ;   in Loop: Header=BB75_32 Depth=2
	s_or_b64 exec, exec, s[20:21]
	s_and_b64 s[10:11], exec, vcc
	s_or_b64 s[16:17], s[10:11], s[16:17]
	ds_write_b64 v10, v[4:5]
	v_add_u32_e32 v10, v10, v11
	v_add_u32_e32 v20, v20, v12
	s_waitcnt vmcnt(0)
	v_pk_mov_b32 v[4:5], v[8:9], v[8:9] op_sel:[0,1]
	s_andn2_b64 exec, exec, s[16:17]
	s_cbranch_execz .LBB75_34
.LBB75_32:                              ;   Parent Loop BB75_6 Depth=1
                                        ; =>  This Inner Loop Header: Depth=2
	v_add_u32_e32 v13, v13, v2
	v_cmp_gt_u32_e64 s[18:19], s60, v13
	v_cmp_le_u32_e32 vcc, s60, v13
	v_pk_mov_b32 v[8:9], 0, 0
	s_and_saveexec_b64 s[20:21], s[18:19]
	s_cbranch_execz .LBB75_31
; %bb.33:                               ;   in Loop: Header=BB75_32 Depth=2
	v_lshlrev_b64 v[8:9], 3, v[20:21]
	v_mov_b32_e32 v14, s84
	v_add_co_u32_e64 v8, s[18:19], s33, v8
	v_addc_co_u32_e64 v9, s[18:19], v14, v9, s[18:19]
	global_load_dwordx2 v[8:9], v[8:9], off
	s_branch .LBB75_31
.LBB75_34:                              ;   in Loop: Header=BB75_6 Depth=1
	s_or_b64 exec, exec, s[8:9]
	s_waitcnt lgkmcnt(0)
	s_barrier
	s_mov_b64 s[8:9], exec
	v_readlane_b32 s10, v59, 24
	v_readlane_b32 s11, v59, 25
	s_and_b64 s[10:11], s[8:9], s[10:11]
	s_mov_b64 exec, s[10:11]
	s_cbranch_execz .LBB75_36
; %bb.35:                               ;   in Loop: Header=BB75_6 Depth=1
	v_mov_b32_e32 v2, s60
	ds_write_b32 v21, v2 offset:4096
.LBB75_36:                              ;   in Loop: Header=BB75_6 Depth=1
	s_or_b64 exec, exec, s[8:9]
	s_mov_b64 s[8:9], -1
	s_waitcnt lgkmcnt(0)
	s_barrier
                                        ; implicit-def: $sgpr5
.LBB75_37:                              ;   in Loop: Header=BB75_6 Depth=1
	s_and_b64 vcc, exec, s[8:9]
	s_cbranch_vccz .LBB75_39
; %bb.38:                               ;   in Loop: Header=BB75_6 Depth=1
	ds_read_b32 v2, v21 offset:4096
	s_waitcnt lgkmcnt(0)
	v_readfirstlane_b32 s5, v2
.LBB75_39:                              ;   in Loop: Header=BB75_6 Depth=1
	s_cmp_lt_i32 s5, 1
	s_cbranch_scc0 .LBB75_51
; %bb.40:                               ;   in Loop: Header=BB75_6 Depth=1
	v_mov_b32_e32 v8, 0
	s_mov_b32 s8, 0
	v_mov_b32_e32 v9, 0
	v_mov_b32_e32 v10, v8
	;; [unrolled: 1-line block ×3, first 2 shown]
	s_mov_b64 s[48:49], exec
	v_readlane_b32 s10, v59, 55
	v_readlane_b32 s11, v59, 56
	s_and_b64 s[10:11], s[48:49], s[10:11]
	s_mov_b64 exec, s[10:11]
	s_cbranch_execz .LBB75_44
; %bb.41:                               ;   in Loop: Header=BB75_6 Depth=1
	s_and_b32 s9, s81, 0xfe
	s_mov_b64 s[50:51], 0
	s_mov_b32 s10, 0
	s_mov_b32 s11, 0
	;; [unrolled: 1-line block ×4, first 2 shown]
	v_mov_b32_e32 v2, v34
.LBB75_42:                              ;   Parent Loop BB75_6 Depth=1
                                        ; =>  This Inner Loop Header: Depth=2
	v_add_u32_e32 v20, s8, v42
	v_lshlrev_b64 v[12:13], 3, v[20:21]
	s_waitcnt vmcnt(0)
	v_mov_b32_e32 v4, s84
	v_add_u32_e32 v20, s8, v39
	v_add_co_u32_e64 v12, s[18:19], s33, v12
	v_lshlrev_b64 v[14:15], 3, v[20:21]
	v_addc_co_u32_e64 v13, s[18:19], v4, v13, s[18:19]
	v_add_u32_e32 v20, s8, v40
	v_add_co_u32_e64 v14, s[18:19], s33, v14
	v_lshlrev_b64 v[30:31], 3, v[20:21]
	v_addc_co_u32_e64 v15, s[18:19], v4, v15, s[18:19]
	v_add_u32_e32 v20, s8, v41
	v_add_co_u32_e64 v30, s[18:19], s33, v30
	global_load_dwordx2 v[12:13], v[12:13], off
	v_lshlrev_b64 v[32:33], 3, v[20:21]
	global_load_dwordx2 v[14:15], v[14:15], off
	v_addc_co_u32_e64 v31, s[18:19], v4, v31, s[18:19]
	global_load_dwordx2 v[30:31], v[30:31], off
	v_add_co_u32_e64 v32, s[18:19], s33, v32
	v_addc_co_u32_e64 v33, s[18:19], v4, v33, s[18:19]
	global_load_dwordx2 v[32:33], v[32:33], off
	v_mov_b32_e32 v11, v21
	v_mov_b32_e32 v9, v21
	;; [unrolled: 1-line block ×3, first 2 shown]
	v_add_u32_e32 v2, s87, v2
	v_cmp_le_u32_e32 vcc, s13, v2
	s_add_i32 s8, s8, s7
	s_waitcnt vmcnt(3)
	v_ashrrev_i32_e32 v4, 31, v13
	v_or_b32_e32 v8, 0x80000000, v4
	s_waitcnt vmcnt(2)
	v_ashrrev_i32_e32 v10, 31, v15
	v_xor_b32_e32 v4, v4, v12
	v_cmp_o_f64_e64 s[18:19], v[12:13], v[12:13]
	v_xor_b32_e32 v8, v8, v13
	v_or_b32_e32 v20, 0x80000000, v10
	s_waitcnt vmcnt(1)
	v_ashrrev_i32_e32 v48, 31, v31
	v_xor_b32_e32 v10, v10, v14
	v_cndmask_b32_e64 v12, -1, v4, s[18:19]
	v_cmp_o_f64_e64 s[20:21], v[14:15], v[14:15]
	v_cndmask_b32_e64 v13, -1, v8, s[18:19]
	v_xor_b32_e32 v4, v20, v15
	v_or_b32_e32 v8, 0x80000000, v48
	s_waitcnt vmcnt(0)
	v_ashrrev_i32_e32 v49, 31, v33
	v_xor_b32_e32 v20, v48, v30
	v_cndmask_b32_e64 v14, -1, v10, s[20:21]
	v_and_b32_e32 v48, v12, v28
	v_cmp_o_f64_e64 s[18:19], v[30:31], v[30:31]
	v_cndmask_b32_e64 v15, -1, v4, s[20:21]
	v_xor_b32_e32 v4, v8, v31
	v_or_b32_e32 v8, 0x80000000, v49
	v_xor_b32_e32 v10, v49, v32
	v_and_b32_e32 v49, v13, v29
	v_lshrrev_b64 v[12:13], s9, v[12:13]
	v_cndmask_b32_e64 v30, -1, v20, s[18:19]
	v_and_b32_e32 v20, 3, v12
	v_cmp_o_f64_e64 s[20:21], v[32:33], v[32:33]
	v_cndmask_b32_e64 v31, -1, v4, s[18:19]
	v_cmp_eq_u64_e64 s[18:19], v[48:49], v[26:27]
	v_lshrrev_b64 v[12:13], s9, v[14:15]
	v_cmp_eq_u64_e64 s[22:23], 0, v[20:21]
	v_and_b32_e32 v50, v14, v28
	v_xor_b32_e32 v4, v8, v33
	v_cndmask_b32_e64 v14, -1, v10, s[20:21]
	v_and_b32_e32 v10, 3, v12
	v_cmp_eq_u64_e64 s[24:25], 1, v[20:21]
	s_and_b64 s[22:23], s[18:19], s[22:23]
	v_and_b32_e32 v51, v15, v29
	v_cndmask_b32_e64 v15, -1, v4, s[20:21]
	v_lshrrev_b64 v[12:13], s9, v[30:31]
	v_cmp_eq_u64_e64 s[26:27], 2, v[20:21]
	v_cmp_eq_u64_e64 s[34:35], 0, v[10:11]
	;; [unrolled: 1-line block ×5, first 2 shown]
	v_cndmask_b32_e64 v10, 0, 1, s[22:23]
	s_and_b64 s[22:23], s[18:19], s[24:25]
	v_and_b32_e32 v32, v30, v28
	v_cmp_eq_u64_e64 s[20:21], v[50:51], v[26:27]
	v_and_b32_e32 v33, v31, v29
	v_and_b32_e32 v8, 3, v12
	v_lshrrev_b64 v[12:13], s9, v[14:15]
	v_cndmask_b32_e64 v11, 0, 1, s[22:23]
	s_and_b64 s[22:23], s[18:19], s[26:27]
	v_cmp_eq_u64_e64 s[28:29], 3, v[20:21]
	v_cmp_eq_u64_e64 s[30:31], v[32:33], v[26:27]
	v_cndmask_b32_e64 v13, 0, 1, s[22:23]
	v_cmp_eq_u64_e64 s[22:23], 0, v[8:9]
	s_and_b64 s[34:35], s[20:21], s[34:35]
	s_and_b64 s[36:37], s[20:21], s[36:37]
	v_and_b32_e32 v30, v14, v28
	v_and_b32_e32 v31, v15, v29
	s_and_b64 s[18:19], s[18:19], s[28:29]
	v_and_b32_e32 v4, 3, v12
	v_cmp_eq_u64_e64 s[24:25], 1, v[8:9]
	v_cmp_eq_u64_e64 s[26:27], 2, v[8:9]
	;; [unrolled: 1-line block ×3, first 2 shown]
	v_cmp_ne_u32_e64 s[42:43], 0, v10
	v_cndmask_b32_e64 v8, 0, 1, s[34:35]
	v_cmp_ne_u32_e64 s[34:35], 0, v11
	v_cndmask_b32_e64 v9, 0, 1, s[36:37]
	s_and_b64 s[38:39], s[20:21], s[38:39]
	s_and_b64 s[20:21], s[20:21], s[40:41]
	;; [unrolled: 1-line block ×3, first 2 shown]
	v_cndmask_b32_e64 v14, 0, 1, s[18:19]
	v_cmp_eq_u64_e64 s[18:19], v[30:31], v[26:27]
	v_cmp_ne_u32_e64 s[36:37], 0, v13
	v_cndmask_b32_e64 v11, 0, 1, s[20:21]
	v_cmp_eq_u64_e64 s[20:21], 0, v[4:5]
	v_cmp_eq_u64_e64 s[40:41], 1, v[4:5]
	;; [unrolled: 1-line block ×4, first 2 shown]
	s_bcnt1_i32_b64 s52, s[42:43]
	v_cndmask_b32_e64 v4, 0, 1, s[22:23]
	s_bcnt1_i32_b64 s34, s[34:35]
	v_cmp_ne_u32_e64 s[22:23], 0, v9
	s_and_b64 s[24:25], s[30:31], s[24:25]
	s_and_b64 s[26:27], s[30:31], s[26:27]
	v_cndmask_b32_e64 v10, 0, 1, s[38:39]
	v_cmp_ne_u32_e64 s[38:39], 0, v14
	v_cmp_ne_u32_e64 s[42:43], 0, v8
	v_cndmask_b32_e64 v5, 0, 1, s[24:25]
	s_bcnt1_i32_b64 s35, s[36:37]
	v_cndmask_b32_e64 v8, 0, 1, s[26:27]
	s_and_b64 s[28:29], s[30:31], s[28:29]
	s_and_b64 s[20:21], s[18:19], s[20:21]
	s_add_i32 s31, s17, s52
	s_bcnt1_i32_b64 s37, s[22:23]
	s_and_b64 s[22:23], s[18:19], s[40:41]
	s_add_i32 s34, s16, s34
	s_and_b64 s[16:17], s[18:19], s[44:45]
	v_cmp_ne_u32_e64 s[24:25], 0, v10
	s_bcnt1_i32_b64 s36, s[38:39]
	v_cmp_ne_u32_e64 s[26:27], 0, v11
	v_cndmask_b32_e64 v9, 0, 1, s[28:29]
	v_cmp_ne_u32_e64 s[28:29], 0, v4
	v_cndmask_b32_e64 v4, 0, 1, s[20:21]
	;; [unrolled: 2-line block ×4, first 2 shown]
	s_and_b64 s[16:17], s[18:19], s[46:47]
	s_bcnt1_i32_b64 s30, s[42:43]
	s_bcnt1_i32_b64 s38, s[24:25]
	s_add_i32 s11, s11, s35
	s_bcnt1_i32_b64 s26, s[26:27]
	v_cmp_ne_u32_e64 s[24:25], 0, v9
	v_cndmask_b32_e64 v9, 0, 1, s[16:17]
	s_add_i32 s10, s10, s36
	s_bcnt1_i32_b64 s16, s[28:29]
	v_cmp_ne_u32_e64 s[18:19], 0, v4
	s_add_i32 s17, s31, s30
	s_bcnt1_i32_b64 s27, s[20:21]
	v_cmp_ne_u32_e64 s[20:21], 0, v5
	;; [unrolled: 3-line block ×4, first 2 shown]
	s_add_i32 s10, s10, s26
	s_bcnt1_i32_b64 s18, s[18:19]
	s_add_i32 s16, s17, s16
	s_bcnt1_i32_b64 s19, s[20:21]
	;; [unrolled: 2-line block ×4, first 2 shown]
	s_add_i32 s10, s10, s30
	s_add_i32 s17, s16, s18
	;; [unrolled: 1-line block ×5, first 2 shown]
	s_or_b64 s[50:51], vcc, s[50:51]
	v_mov_b32_e32 v8, s17
	v_mov_b32_e32 v9, s16
	;; [unrolled: 1-line block ×4, first 2 shown]
	s_andn2_b64 exec, exec, s[50:51]
	s_cbranch_execnz .LBB75_42
; %bb.43:                               ;   in Loop: Header=BB75_6 Depth=1
	s_or_b64 exec, exec, s[50:51]
.LBB75_44:                              ;   in Loop: Header=BB75_6 Depth=1
	s_or_b64 exec, exec, s[48:49]
	v_pk_mov_b32 v[12:13], 0, 0
	s_and_saveexec_b64 s[8:9], s[14:15]
	s_cbranch_execz .LBB75_46
; %bb.45:                               ;   in Loop: Header=BB75_6 Depth=1
	global_load_dwordx2 v[12:13], v[24:25], off
.LBB75_46:                              ;   in Loop: Header=BB75_6 Depth=1
	s_or_b64 exec, exec, s[8:9]
	s_mov_b64 s[16:17], 0
	s_mov_b64 s[88:89], 0
	s_and_saveexec_b64 s[20:21], s[14:15]
	s_cbranch_execz .LBB75_53
; %bb.47:                               ;   in Loop: Header=BB75_6 Depth=1
	s_and_b32 s10, s81, 0xfe
	s_mov_b64 s[8:9], 0
	s_waitcnt vmcnt(0)
	v_mov_b32_e32 v4, v43
	v_mov_b32_e32 v2, v38
	s_branch .LBB75_49
.LBB75_48:                              ;   in Loop: Header=BB75_49 Depth=2
	s_or_b64 exec, exec, s[22:23]
	v_ashrrev_i32_e32 v5, 31, v13
	v_or_b32_e32 v20, 0x80000000, v5
	s_and_b64 s[18:19], exec, vcc
	v_xor_b32_e32 v20, v20, v13
	v_xor_b32_e32 v5, v5, v12
	v_cmp_o_f64_e32 vcc, v[12:13], v[12:13]
	v_cndmask_b32_e32 v13, -1, v20, vcc
	v_cndmask_b32_e32 v12, -1, v5, vcc
	v_and_b32_e32 v31, v13, v29
	v_and_b32_e32 v30, v12, v28
	v_lshrrev_b64 v[12:13], s10, v[12:13]
	v_and_b32_e32 v20, 3, v12
	s_or_b64 s[8:9], s[18:19], s[8:9]
	v_cmp_eq_u64_e32 vcc, v[30:31], v[26:27]
	v_cmp_eq_u64_e64 s[18:19], 0, v[20:21]
	s_and_b64 s[18:19], vcc, s[18:19]
	v_cndmask_b32_e64 v5, 0, 1, s[18:19]
	v_cmp_ne_u32_e64 s[18:19], 0, v5
	s_bcnt1_i32_b64 s11, s[18:19]
	v_cmp_eq_u64_e64 s[18:19], 1, v[20:21]
	s_and_b64 s[18:19], vcc, s[18:19]
	v_cndmask_b32_e64 v5, 0, 1, s[18:19]
	v_cmp_ne_u32_e64 s[18:19], 0, v5
	v_add_u32_e32 v8, s11, v8
	s_bcnt1_i32_b64 s11, s[18:19]
	v_cmp_eq_u64_e64 s[18:19], 2, v[20:21]
	s_and_b64 s[18:19], vcc, s[18:19]
	v_cndmask_b32_e64 v5, 0, 1, s[18:19]
	v_cmp_ne_u32_e64 s[18:19], 0, v5
	v_add_u32_e32 v9, s11, v9
	s_bcnt1_i32_b64 s11, s[18:19]
	v_cmp_eq_u64_e64 s[18:19], 3, v[20:21]
	s_and_b64 s[18:19], vcc, s[18:19]
	v_cndmask_b32_e64 v5, 0, 1, s[18:19]
	v_cmp_ne_u32_e32 vcc, 0, v5
	v_add_u32_e32 v10, s11, v10
	s_bcnt1_i32_b64 s11, vcc
	v_add_u32_e32 v11, s11, v11
	v_add_u32_e32 v4, s86, v4
	s_waitcnt vmcnt(0)
	v_pk_mov_b32 v[12:13], v[14:15], v[14:15] op_sel:[0,1]
	s_andn2_b64 exec, exec, s[8:9]
	s_cbranch_execz .LBB75_52
.LBB75_49:                              ;   Parent Loop BB75_6 Depth=1
                                        ; =>  This Inner Loop Header: Depth=2
	v_add_u32_e32 v2, s85, v2
	v_cmp_gt_u32_e64 s[18:19], s60, v2
	v_cmp_le_u32_e32 vcc, s60, v2
	v_pk_mov_b32 v[14:15], 0, 0
	s_and_saveexec_b64 s[22:23], s[18:19]
	s_cbranch_execz .LBB75_48
; %bb.50:                               ;   in Loop: Header=BB75_49 Depth=2
	v_mov_b32_e32 v5, v21
	v_lshlrev_b64 v[14:15], 3, v[4:5]
	v_mov_b32_e32 v5, s84
	v_add_co_u32_e64 v14, s[18:19], s33, v14
	v_addc_co_u32_e64 v15, s[18:19], v5, v15, s[18:19]
	global_load_dwordx2 v[14:15], v[14:15], off
	s_branch .LBB75_48
.LBB75_51:                              ;   in Loop: Header=BB75_6 Depth=1
	s_mov_b64 s[88:89], 0
                                        ; implicit-def: $vgpr11
	s_cbranch_execnz .LBB75_54
	s_branch .LBB75_63
.LBB75_52:                              ;   in Loop: Header=BB75_6 Depth=1
	s_or_b64 exec, exec, s[8:9]
	s_mov_b64 s[88:89], exec
.LBB75_53:                              ;   in Loop: Header=BB75_6 Depth=1
	s_or_b64 exec, exec, s[20:21]
	s_and_b64 vcc, exec, s[16:17]
	s_cbranch_vccz .LBB75_63
.LBB75_54:                              ;   in Loop: Header=BB75_6 Depth=1
	v_readlane_b32 s8, v59, 54
	s_mul_hi_u32 s8, s5, s8
	s_mul_i32 s8, s8, s87
	s_sub_i32 s8, s5, s8
	s_sub_i32 s9, s8, s87
	s_cmp_ge_u32 s8, s87
	s_cselect_b32 s8, s9, s8
	s_sub_i32 s9, s8, s87
	s_cmp_ge_u32 s8, s87
	s_cselect_b32 s8, s9, s8
	s_sub_i32 s8, s5, s8
	v_cmp_gt_u32_e32 vcc, s8, v34
	s_mov_b32 s9, 0
	v_mov_b32_e32 v8, 0
	v_mov_b32_e32 v9, 0
	;; [unrolled: 1-line block ×4, first 2 shown]
	s_and_saveexec_b64 s[90:91], vcc
	s_cbranch_execz .LBB75_58
; %bb.55:                               ;   in Loop: Header=BB75_6 Depth=1
	s_and_b32 s10, s81, 0xfe
	s_mov_b64 s[16:17], 0
	v_mov_b32_e32 v2, v44
	s_mov_b32 s11, 0
	s_mov_b32 s62, 0
	;; [unrolled: 1-line block ×3, first 2 shown]
	v_mov_b32_e32 v48, v34
.LBB75_56:                              ;   Parent Loop BB75_6 Depth=1
                                        ; =>  This Inner Loop Header: Depth=2
	s_waitcnt vmcnt(0)
	ds_read_b128 v[12:15], v2
	ds_read_b128 v[8:11], v2 offset:16
	v_mov_b32_e32 v5, v21
	v_mov_b32_e32 v31, v21
	;; [unrolled: 1-line block ×3, first 2 shown]
	s_waitcnt lgkmcnt(1)
	v_ashrrev_i32_e32 v4, 31, v13
	v_ashrrev_i32_e32 v20, 31, v15
	s_waitcnt lgkmcnt(0)
	v_ashrrev_i32_e32 v30, 31, v9
	v_ashrrev_i32_e32 v32, 31, v11
	v_xor_b32_e32 v49, v20, v14
	v_cmp_o_f64_e64 s[18:19], v[14:15], v[14:15]
	v_xor_b32_e32 v14, v30, v8
	v_cmp_o_f64_e64 s[20:21], v[8:9], v[8:9]
	v_or_b32_e32 v8, 0x80000000, v4
	v_xor_b32_e32 v50, v32, v10
	v_cmp_o_f64_e64 s[22:23], v[10:11], v[10:11]
	v_xor_b32_e32 v4, v4, v12
	v_or_b32_e32 v10, 0x80000000, v20
	v_or_b32_e32 v20, 0x80000000, v30
	v_cmp_o_f64_e64 s[24:25], v[12:13], v[12:13]
	v_xor_b32_e32 v13, v8, v13
	v_or_b32_e32 v30, 0x80000000, v32
	v_xor_b32_e32 v15, v10, v15
	v_xor_b32_e32 v20, v20, v9
	v_cndmask_b32_e64 v8, -1, v4, s[24:25]
	v_cndmask_b32_e64 v9, -1, v13, s[24:25]
	v_xor_b32_e32 v30, v30, v11
	v_cndmask_b32_e64 v10, -1, v49, s[18:19]
	v_cndmask_b32_e64 v12, -1, v14, s[20:21]
	;; [unrolled: 1-line block ×4, first 2 shown]
	v_and_b32_e32 v50, v8, v28
	v_and_b32_e32 v51, v9, v29
	v_lshrrev_b64 v[8:9], s10, v[8:9]
	v_cndmask_b32_e64 v13, -1, v20, s[20:21]
	v_and_b32_e32 v52, v10, v28
	v_and_b32_e32 v53, v11, v29
	v_lshrrev_b64 v[10:11], s10, v[10:11]
	v_and_b32_e32 v20, 3, v8
	v_cndmask_b32_e64 v15, -1, v30, s[22:23]
	v_and_b32_e32 v54, v12, v28
	v_and_b32_e32 v55, v13, v29
	v_lshrrev_b64 v[12:13], s10, v[12:13]
	v_cmp_eq_u64_e64 s[18:19], v[50:51], v[26:27]
	v_and_b32_e32 v4, 3, v10
	v_cmp_eq_u64_e64 s[26:27], 0, v[20:21]
	v_and_b32_e32 v56, v14, v28
	v_and_b32_e32 v57, v15, v29
	v_lshrrev_b64 v[14:15], s10, v[14:15]
	v_cmp_eq_u64_e64 s[20:21], v[52:53], v[26:27]
	v_and_b32_e32 v30, 3, v12
	v_cmp_eq_u64_e64 s[28:29], 0, v[4:5]
	s_and_b64 s[26:27], s[18:19], s[26:27]
	v_cmp_eq_u64_e64 s[22:23], v[54:55], v[26:27]
	v_and_b32_e32 v32, 3, v14
	v_cmp_eq_u64_e64 s[30:31], 0, v[30:31]
	v_cmp_eq_u64_e64 s[38:39], 1, v[4:5]
	;; [unrolled: 1-line block ×4, first 2 shown]
	v_cndmask_b32_e64 v4, 0, 1, s[26:27]
	s_and_b64 s[26:27], s[20:21], s[28:29]
	v_cmp_eq_u64_e64 s[24:25], v[56:57], v[26:27]
	v_cmp_eq_u64_e64 s[34:35], 0, v[32:33]
	v_cndmask_b32_e64 v5, 0, 1, s[26:27]
	s_and_b64 s[26:27], s[22:23], s[30:31]
	v_cmp_eq_u64_e64 s[36:37], 1, v[20:21]
	v_cndmask_b32_e64 v8, 0, 1, s[26:27]
	s_and_b64 s[26:27], s[24:25], s[34:35]
	v_cndmask_b32_e64 v9, 0, 1, s[26:27]
	s_and_b64 s[26:27], s[18:19], s[36:37]
	v_cmp_eq_u64_e64 s[40:41], 1, v[30:31]
	v_cndmask_b32_e64 v10, 0, 1, s[26:27]
	s_and_b64 s[26:27], s[20:21], s[38:39]
	v_cmp_eq_u64_e64 s[42:43], 1, v[32:33]
	;; [unrolled: 3-line block ×3, first 2 shown]
	v_cmp_eq_u64_e64 s[52:53], 3, v[20:21]
	v_cndmask_b32_e64 v12, 0, 1, s[26:27]
	s_and_b64 s[26:27], s[24:25], s[42:43]
	v_cndmask_b32_e64 v13, 0, 1, s[26:27]
	s_and_b64 s[26:27], s[18:19], s[44:45]
	s_and_b64 s[18:19], s[18:19], s[52:53]
	v_cmp_eq_u64_e64 s[48:49], 2, v[30:31]
	v_cmp_eq_u64_e64 s[56:57], 3, v[30:31]
	v_cndmask_b32_e64 v14, 0, 1, s[26:27]
	s_and_b64 s[26:27], s[20:21], s[46:47]
	v_cndmask_b32_e64 v31, 0, 1, s[18:19]
	s_and_b64 s[18:19], s[20:21], s[54:55]
	v_cmp_eq_u64_e64 s[50:51], 2, v[32:33]
	v_cmp_eq_u64_e64 s[58:59], 3, v[32:33]
	v_cndmask_b32_e64 v15, 0, 1, s[26:27]
	s_and_b64 s[26:27], s[22:23], s[48:49]
	v_cndmask_b32_e64 v32, 0, 1, s[18:19]
	s_and_b64 s[18:19], s[22:23], s[56:57]
	;; [unrolled: 2-line block ×4, first 2 shown]
	v_cndmask_b32_e64 v30, 0, 1, s[26:27]
	v_cndmask_b32_e64 v49, 0, 1, s[18:19]
	v_cmp_ne_u32_e64 s[18:19], 0, v4
	v_cmp_ne_u32_e64 s[20:21], 0, v5
	;; [unrolled: 1-line block ×11, first 2 shown]
	s_bcnt1_i32_b64 s18, s[18:19]
	s_bcnt1_i32_b64 s19, s[20:21]
	;; [unrolled: 1-line block ×8, first 2 shown]
	v_cmp_ne_u32_e64 s[34:35], 0, v13
	v_cmp_ne_u32_e64 s[40:41], 0, v20
	;; [unrolled: 1-line block ×3, first 2 shown]
	s_bcnt1_i32_b64 s23, s[28:29]
	s_bcnt1_i32_b64 s27, s[38:39]
	;; [unrolled: 1-line block ×3, first 2 shown]
	s_add_i32 s18, s63, s18
	s_add_i32 s22, s62, s22
	;; [unrolled: 1-line block ×4, first 2 shown]
	v_cmp_ne_u32_e64 s[42:43], 0, v30
	v_cmp_ne_u32_e64 s[50:51], 0, v49
	s_bcnt1_i32_b64 s25, s[34:35]
	s_bcnt1_i32_b64 s28, s[40:41]
	;; [unrolled: 1-line block ×3, first 2 shown]
	s_add_i32 s18, s18, s19
	s_add_i32 s19, s22, s23
	s_add_i32 s11, s11, s27
	s_add_i32 s9, s9, s31
	v_add_u32_e32 v48, s87, v48
	s_bcnt1_i32_b64 s29, s[42:43]
	s_bcnt1_i32_b64 s35, s[50:51]
	s_add_i32 s18, s18, s20
	s_add_i32 s19, s19, s24
	;; [unrolled: 1-line block ×4, first 2 shown]
	v_cmp_le_u32_e32 vcc, s8, v48
	s_add_i32 s63, s18, s21
	s_add_i32 s62, s19, s25
	s_add_i32 s11, s11, s29
	s_add_i32 s9, s9, s35
	v_add_u32_e32 v2, s12, v2
	s_or_b64 s[16:17], vcc, s[16:17]
	v_mov_b32_e32 v8, s63
	v_mov_b32_e32 v9, s62
	;; [unrolled: 1-line block ×4, first 2 shown]
	s_andn2_b64 exec, exec, s[16:17]
	s_cbranch_execnz .LBB75_56
; %bb.57:                               ;   in Loop: Header=BB75_6 Depth=1
	s_or_b64 exec, exec, s[16:17]
.LBB75_58:                              ;   in Loop: Header=BB75_6 Depth=1
	s_or_b64 exec, exec, s[90:91]
	v_add_u32_e32 v2, s8, v0
	v_cmp_gt_u32_e32 vcc, s5, v2
	s_and_saveexec_b64 s[16:17], vcc
	s_cbranch_execz .LBB75_62
; %bb.59:                               ;   in Loop: Header=BB75_6 Depth=1
	s_and_b32 s8, s81, 0xfe
	s_waitcnt vmcnt(0)
	v_lshlrev_b32_e32 v4, 3, v2
	s_mov_b64 s[28:29], 0
.LBB75_60:                              ;   Parent Loop BB75_6 Depth=1
                                        ; =>  This Inner Loop Header: Depth=2
	ds_read_b64 v[12:13], v4
	v_add_u32_e32 v2, s85, v2
	v_cmp_le_u32_e32 vcc, s5, v2
	v_add_u32_e32 v4, s80, v4
	s_waitcnt lgkmcnt(0)
	v_ashrrev_i32_e32 v5, 31, v13
	v_or_b32_e32 v14, 0x80000000, v5
	v_xor_b32_e32 v5, v5, v12
	v_cmp_o_f64_e64 s[18:19], v[12:13], v[12:13]
	v_xor_b32_e32 v13, v14, v13
	v_cndmask_b32_e64 v12, -1, v5, s[18:19]
	v_cndmask_b32_e64 v13, -1, v13, s[18:19]
	v_and_b32_e32 v14, v12, v28
	v_and_b32_e32 v15, v13, v29
	v_lshrrev_b64 v[12:13], s8, v[12:13]
	v_and_b32_e32 v20, 3, v12
	v_cmp_eq_u64_e64 s[18:19], v[14:15], v[26:27]
	v_cmp_eq_u64_e64 s[20:21], 0, v[20:21]
	;; [unrolled: 1-line block ×3, first 2 shown]
	s_and_b64 s[10:11], s[18:19], s[20:21]
	v_cmp_eq_u64_e64 s[24:25], 2, v[20:21]
	v_cndmask_b32_e64 v5, 0, 1, s[10:11]
	s_and_b64 s[10:11], s[18:19], s[22:23]
	v_cmp_eq_u64_e64 s[26:27], 3, v[20:21]
	v_cndmask_b32_e64 v12, 0, 1, s[10:11]
	s_and_b64 s[10:11], s[18:19], s[24:25]
	v_cndmask_b32_e64 v13, 0, 1, s[10:11]
	s_and_b64 s[10:11], s[18:19], s[26:27]
	v_cndmask_b32_e64 v14, 0, 1, s[10:11]
	v_cmp_ne_u32_e64 s[18:19], 0, v5
	v_cmp_ne_u32_e64 s[20:21], 0, v12
	;; [unrolled: 1-line block ×4, first 2 shown]
	s_bcnt1_i32_b64 s9, s[18:19]
	s_bcnt1_i32_b64 s10, s[20:21]
	;; [unrolled: 1-line block ×4, first 2 shown]
	v_add_u32_e32 v8, s9, v8
	v_add_u32_e32 v9, s10, v9
	;; [unrolled: 1-line block ×3, first 2 shown]
	s_or_b64 s[28:29], vcc, s[28:29]
	v_add_u32_e32 v11, s18, v11
	s_andn2_b64 exec, exec, s[28:29]
	s_cbranch_execnz .LBB75_60
; %bb.61:                               ;   in Loop: Header=BB75_6 Depth=1
	s_or_b64 exec, exec, s[28:29]
	s_or_b64 s[88:89], s[88:89], exec
.LBB75_62:                              ;   in Loop: Header=BB75_6 Depth=1
	s_or_b64 exec, exec, s[16:17]
.LBB75_63:                              ;   in Loop: Header=BB75_6 Depth=1
	s_and_saveexec_b64 s[8:9], s[88:89]
	s_or_b64 exec, exec, s[8:9]
	s_lshl_b32 s5, s4, 6
	s_and_saveexec_b64 s[8:9], s[0:1]
	s_cbranch_execz .LBB75_65
; %bb.64:                               ;   in Loop: Header=BB75_6 Depth=1
	v_or_b32_e32 v2, s5, v35
	v_lshlrev_b32_e32 v2, 2, v2
	ds_write_b128 v2, v[8:11] offset:3072
.LBB75_65:                              ;   in Loop: Header=BB75_6 Depth=1
	s_or_b64 exec, exec, s[8:9]
	s_waitcnt lgkmcnt(0)
	s_barrier
	s_and_saveexec_b64 s[16:17], s[82:83]
	s_cbranch_execz .LBB75_79
; %bb.66:                               ;   in Loop: Header=BB75_6 Depth=1
	v_readlane_b32 s8, v59, 33
	v_readlane_b32 s9, v59, 34
	v_add_u32_e32 v2, s5, v1
	s_andn2_b64 vcc, exec, s[8:9]
	s_waitcnt vmcnt(0)
	v_mov_b32_e32 v4, 0
	s_cbranch_vccnz .LBB75_78
; %bb.67:                               ;   in Loop: Header=BB75_6 Depth=1
	v_readlane_b32 s8, v59, 38
	v_readlane_b32 s9, v59, 39
	s_mov_b32 s10, 0
	s_and_b64 vcc, exec, s[8:9]
	v_mov_b32_e32 v4, 0
	s_cbranch_vccz .LBB75_71
; %bb.68:                               ;   in Loop: Header=BB75_6 Depth=1
	v_readlane_b32 s8, v59, 44
	v_readlane_b32 s10, v59, 14
	v_readlane_b32 s9, v59, 45
	v_lshl_add_u32 v8, v2, 2, v46
	v_readlane_b32 s11, v59, 15
	s_andn2_b64 vcc, exec, s[8:9]
	s_cbranch_vccnz .LBB75_72
; %bb.69:                               ;   in Loop: Header=BB75_6 Depth=1
	s_mov_b32 s19, 1
	s_mov_b32 s18, 0
	v_mov_b32_e32 v4, 0
	v_readlane_b32 s8, v59, 46
	v_mov_b32_e32 v5, 0
.LBB75_70:                              ;   Parent Loop BB75_6 Depth=1
                                        ; =>  This Inner Loop Header: Depth=2
	v_lshl_add_u32 v9, s18, 4, v8
	v_lshl_add_u32 v20, s19, 4, v8
	ds_read2_b32 v[10:11], v9 offset1:8
	ds_read2_b32 v[12:13], v20 offset1:8
	ds_read2_b32 v[14:15], v9 offset0:16 offset1:24
	ds_read2_b32 v[30:31], v20 offset0:16 offset1:24
	;; [unrolled: 1-line block ×6, first 2 shown]
	s_waitcnt lgkmcnt(7)
	v_add3_u32 v4, v10, v4, v11
	s_waitcnt lgkmcnt(6)
	v_add3_u32 v5, v12, v5, v13
	;; [unrolled: 2-line block ×3, first 2 shown]
	v_add3_u32 v4, v14, v4, v15
	s_add_i32 s19, s19, 16
	s_add_i32 s18, s18, 16
	s_add_i32 s8, s8, -8
	s_waitcnt lgkmcnt(3)
	v_add3_u32 v4, v32, v4, v33
	s_waitcnt lgkmcnt(2)
	v_add3_u32 v5, v48, v5, v49
	s_cmp_lg_u32 s8, 0
	s_waitcnt lgkmcnt(0)
	v_add3_u32 v5, v52, v5, v53
	v_add3_u32 v4, v50, v4, v51
	s_cbranch_scc1 .LBB75_70
	s_branch .LBB75_73
.LBB75_71:                              ;   in Loop: Header=BB75_6 Depth=1
	s_cbranch_execnz .LBB75_76
	s_branch .LBB75_78
.LBB75_72:                              ;   in Loop: Header=BB75_6 Depth=1
	s_mov_b32 s11, s10
	v_pk_mov_b32 v[4:5], s[10:11], s[10:11] op_sel:[0,1]
	s_mov_b32 s11, 1
	s_mov_b64 s[18:19], s[10:11]
.LBB75_73:                              ;   in Loop: Header=BB75_6 Depth=1
	v_readlane_b32 s8, v59, 48
	v_readlane_b32 s9, v59, 49
	s_andn2_b64 vcc, exec, s[8:9]
	v_readlane_b32 s8, v59, 47
	s_cbranch_vccnz .LBB75_75
.LBB75_74:                              ;   Parent Loop BB75_6 Depth=1
                                        ; =>  This Inner Loop Header: Depth=2
	v_lshl_add_u32 v9, s18, 4, v8
	v_lshl_add_u32 v10, s19, 4, v8
	ds_read_b32 v10, v10
	ds_read_b32 v9, v9
	s_add_i32 s19, s19, 2
	s_add_i32 s18, s18, 2
	s_add_i32 s8, s8, -1
	s_cmp_lg_u32 s8, 0
	s_waitcnt lgkmcnt(1)
	v_add_u32_e32 v5, v10, v5
	s_waitcnt lgkmcnt(0)
	v_add_u32_e32 v4, v9, v4
	s_cbranch_scc1 .LBB75_74
.LBB75_75:                              ;   in Loop: Header=BB75_6 Depth=1
	v_writelane_b32 v59, s10, 14
	v_writelane_b32 v59, s11, 15
	v_readlane_b32 s8, v59, 52
	v_add_u32_e32 v4, v4, v5
	v_readlane_b32 s10, v59, 51
	v_readlane_b32 s9, v59, 53
	s_and_b64 vcc, exec, s[8:9]
	s_cbranch_vccz .LBB75_78
.LBB75_76:                              ;   in Loop: Header=BB75_6 Depth=1
	s_lshl_b32 s8, s4, 8
	s_lshl_b32 s9, s10, 4
	s_add_i32 s8, s8, s9
	v_add_u32_e32 v5, s8, v45
	v_readlane_b32 s8, v59, 50
	s_sub_i32 s8, s8, s10
.LBB75_77:                              ;   Parent Loop BB75_6 Depth=1
                                        ; =>  This Inner Loop Header: Depth=2
	ds_read_b32 v8, v5
	s_add_i32 s8, s8, -1
	v_add_u32_e32 v5, 16, v5
	s_cmp_eq_u32 s8, 0
	s_waitcnt lgkmcnt(0)
	v_add_u32_e32 v4, v8, v4
	s_cbranch_scc0 .LBB75_77
.LBB75_78:                              ;   in Loop: Header=BB75_6 Depth=1
	v_lshlrev_b32_e32 v2, 2, v2
	ds_write_b32 v2, v4 offset:3072
.LBB75_79:                              ;   in Loop: Header=BB75_6 Depth=1
	s_or_b64 exec, exec, s[16:17]
	s_lshl_b32 s5, s5, 2
	v_mov_b32_e32 v2, s5
	s_waitcnt lgkmcnt(0)
	s_barrier
	ds_read_b128 v[8:11], v2 offset:3072
	s_and_b32 s59, s81, 0xfe
	v_readlane_b32 s8, v59, 29
	s_lshl_b64 s[22:23], 3, s59
	v_readlane_b32 s9, v59, 30
	s_waitcnt lgkmcnt(0)
	v_readfirstlane_b32 s5, v8
	v_readfirstlane_b32 s58, v9
	;; [unrolled: 1-line block ×4, first 2 shown]
	s_not_b64 s[24:25], s[22:23]
	s_andn2_b64 vcc, exec, s[8:9]
	v_cmp_eq_u32_e64 s[18:19], 1, v47
	s_cbranch_vccnz .LBB75_92
; %bb.80:                               ;   in Loop: Header=BB75_6 Depth=1
	s_cmp_eq_u32 s5, 1
	s_cselect_b64 s[8:9], -1, 0
	s_and_b64 s[16:17], s[8:9], s[18:19]
	s_mov_b64 s[8:9], -1
	s_waitcnt vmcnt(0)
	v_pk_mov_b32 v[12:13], v[26:27], v[26:27] op_sel:[0,1]
	v_pk_mov_b32 v[14:15], v[28:29], v[28:29] op_sel:[0,1]
	;; [unrolled: 1-line block ×3, first 2 shown]
                                        ; implicit-def: $sgpr26_sgpr27
                                        ; implicit-def: $sgpr34_sgpr35
                                        ; implicit-def: $sgpr30_sgpr31
	s_and_saveexec_b64 s[28:29], s[16:17]
	s_cbranch_execz .LBB75_108
; %bb.81:                               ;   in Loop: Header=BB75_6 Depth=1
	ds_read_b32 v2, v21 offset:4096
	s_waitcnt lgkmcnt(0)
	s_barrier
	v_readfirstlane_b32 s34, v2
	s_mov_b64 s[8:9], exec
	v_readlane_b32 s20, v59, 42
	v_readlane_b32 s21, v59, 43
	s_and_b64 s[20:21], s[8:9], s[20:21]
	s_mov_b64 exec, s[20:21]
	s_cbranch_execz .LBB75_83
; %bb.82:                               ;   in Loop: Header=BB75_6 Depth=1
	v_mov_b32_e32 v20, v21
	ds_write_b64 v37, v[20:21]
.LBB75_83:                              ;   in Loop: Header=BB75_6 Depth=1
	s_or_b64 exec, exec, s[8:9]
	v_and_b32_e32 v13, s25, v27
	v_and_b32_e32 v12, s24, v26
	v_or_b32_e32 v15, s23, v29
	v_or_b32_e32 v14, s22, v28
	s_cmp_eq_u32 s34, 0
	s_waitcnt lgkmcnt(0)
	s_barrier
	s_cbranch_scc1 .LBB75_94
; %bb.84:                               ;   in Loop: Header=BB75_6 Depth=1
	v_readlane_b32 s8, v59, 35
	s_add_i32 s8, s34, s8
	v_readlane_b32 s9, v59, 57
	s_mul_hi_u32 s9, s8, s9
	s_mul_i32 s9, s9, s85
	s_sub_i32 s9, s8, s9
	s_sub_i32 s20, s9, s85
	s_cmp_ge_u32 s9, s85
	s_cselect_b32 s9, s20, s9
	s_sub_i32 s20, s9, s85
	s_cmp_ge_u32 s9, s85
	s_cselect_b32 s9, s20, s9
	s_sub_i32 s35, s8, s9
	v_cmp_gt_u32_e32 vcc, s35, v0
	s_mov_b64 s[8:9], 0
                                        ; implicit-def: $vgpr10_vgpr11
	s_and_saveexec_b64 s[26:27], vcc
	s_cbranch_execz .LBB75_96
; %bb.85:                               ;   in Loop: Header=BB75_6 Depth=1
	s_mov_b64 s[30:31], 0
	v_mov_b32_e32 v20, v36
	v_mov_b32_e32 v30, v0
                                        ; implicit-def: $sgpr8_sgpr9
	s_branch .LBB75_87
.LBB75_86:                              ;   in Loop: Header=BB75_87 Depth=2
	s_or_b64 exec, exec, s[20:21]
	s_waitcnt lgkmcnt(0)
	s_barrier
	ds_read_b128 v[8:11], v21 offset:3072
	v_add_u32_e32 v30, s85, v30
	v_cmp_le_u32_e64 s[20:21], s35, v30
	v_add_u32_e32 v20, s80, v20
	s_waitcnt lgkmcnt(0)
	v_cmp_neq_f64_e32 vcc, 0, v[8:9]
	s_or_b64 s[20:21], s[20:21], vcc
	s_and_b64 s[20:21], exec, s[20:21]
	s_or_b64 s[30:31], s[20:21], s[30:31]
	s_andn2_b64 s[8:9], s[8:9], exec
	s_and_b64 s[20:21], vcc, exec
	s_or_b64 s[8:9], s[8:9], s[20:21]
	s_barrier
	s_andn2_b64 exec, exec, s[30:31]
	s_cbranch_execz .LBB75_95
.LBB75_87:                              ;   Parent Loop BB75_6 Depth=1
                                        ; =>  This Inner Loop Header: Depth=2
	v_cmp_gt_u32_e32 vcc, s34, v30
	v_pk_mov_b32 v[4:5], 0, 0
	s_and_saveexec_b64 s[20:21], vcc
	s_cbranch_execz .LBB75_89
; %bb.88:                               ;   in Loop: Header=BB75_87 Depth=2
	ds_read_b64 v[4:5], v20
.LBB75_89:                              ;   in Loop: Header=BB75_87 Depth=2
	s_or_b64 exec, exec, s[20:21]
	s_and_saveexec_b64 s[20:21], vcc
	s_cbranch_execz .LBB75_86
; %bb.90:                               ;   in Loop: Header=BB75_87 Depth=2
	s_waitcnt lgkmcnt(0)
	v_ashrrev_i32_e32 v2, 31, v5
	v_or_b32_e32 v8, 0x80000000, v2
	v_xor_b32_e32 v8, v8, v5
	v_xor_b32_e32 v2, v2, v4
	v_cmp_o_f64_e32 vcc, v[4:5], v[4:5]
	v_cndmask_b32_e32 v8, -1, v8, vcc
	v_cndmask_b32_e32 v2, -1, v2, vcc
	v_and_b32_e32 v9, v8, v15
	v_and_b32_e32 v8, v2, v14
	v_cmp_eq_u64_e32 vcc, v[8:9], v[12:13]
	s_and_b64 exec, exec, vcc
	s_cbranch_execz .LBB75_86
; %bb.91:                               ;   in Loop: Header=BB75_87 Depth=2
	v_mov_b32_e32 v2, v21
	ds_write_b128 v21, v[2:5] offset:3072
	s_branch .LBB75_86
.LBB75_92:                              ;   in Loop: Header=BB75_6 Depth=1
	s_mov_b64 s[28:29], 0
	s_mov_b64 s[20:21], 0
                                        ; implicit-def: $sgpr30_sgpr31
                                        ; implicit-def: $sgpr34_sgpr35
                                        ; implicit-def: $sgpr26_sgpr27
                                        ; implicit-def: $vgpr2
                                        ; implicit-def: $vgpr30
                                        ; implicit-def: $vgpr12_vgpr13
                                        ; implicit-def: $vgpr14_vgpr15
                                        ; implicit-def: $vgpr10_vgpr11
	s_cbranch_execnz .LBB75_244
.LBB75_93:                              ;   in Loop: Header=BB75_6 Depth=1
	s_mov_b64 s[36:37], s[26:27]
	s_mov_b64 s[38:39], s[26:27]
	s_and_saveexec_b64 s[8:9], s[28:29]
	s_cbranch_execnz .LBB75_406
	s_branch .LBB75_407
.LBB75_94:                              ;   in Loop: Header=BB75_6 Depth=1
	s_mov_b64 s[26:27], -1
	s_mov_b64 s[8:9], 0
                                        ; implicit-def: $sgpr30_sgpr31
                                        ; implicit-def: $vgpr10_vgpr11
	s_mov_b64 s[34:35], s[26:27]
	s_cbranch_execnz .LBB75_97
	s_branch .LBB75_107
.LBB75_95:                              ;   in Loop: Header=BB75_6 Depth=1
	s_or_b64 exec, exec, s[30:31]
	s_and_b64 s[8:9], s[8:9], exec
.LBB75_96:                              ;   in Loop: Header=BB75_6 Depth=1
	s_or_b64 exec, exec, s[26:27]
	s_mov_b64 s[30:31], -1
	s_mov_b64 s[26:27], 0
	s_mov_b64 s[34:35], s[26:27]
	s_branch .LBB75_107
.LBB75_97:                              ;   in Loop: Header=BB75_6 Depth=1
	s_mov_b64 s[8:9], 0
                                        ; implicit-def: $vgpr10_vgpr11
	s_mov_b64 s[26:27], exec
	v_readlane_b32 s20, v59, 58
	v_readlane_b32 s21, v59, 59
	s_and_b64 s[20:21], s[26:27], s[20:21]
	s_mov_b64 exec, s[20:21]
	s_cbranch_execz .LBB75_106
; %bb.98:                               ;   in Loop: Header=BB75_6 Depth=1
	s_mov_b64 s[30:31], 0
	v_mov_b32_e32 v20, v22
	v_mov_b32_e32 v30, v0
                                        ; implicit-def: $sgpr8_sgpr9
	s_branch .LBB75_100
.LBB75_99:                              ;   in Loop: Header=BB75_100 Depth=2
	s_or_b64 exec, exec, s[20:21]
	s_waitcnt lgkmcnt(0)
	s_barrier
	ds_read_b128 v[8:11], v21 offset:3072
	v_add_u32_e32 v30, s85, v30
	v_cmp_le_u32_e64 s[20:21], s6, v30
	v_add_u32_e32 v20, s86, v20
	s_waitcnt lgkmcnt(0)
	v_cmp_neq_f64_e32 vcc, 0, v[8:9]
	s_or_b64 s[20:21], s[20:21], vcc
	s_and_b64 s[20:21], exec, s[20:21]
	s_or_b64 s[30:31], s[20:21], s[30:31]
	s_andn2_b64 s[8:9], s[8:9], exec
	s_and_b64 s[20:21], vcc, exec
	s_or_b64 s[8:9], s[8:9], s[20:21]
	s_barrier
	s_andn2_b64 exec, exec, s[30:31]
	s_cbranch_execz .LBB75_105
.LBB75_100:                             ;   Parent Loop BB75_6 Depth=1
                                        ; =>  This Inner Loop Header: Depth=2
	v_cmp_gt_u32_e32 vcc, s60, v30
	s_waitcnt vmcnt(0)
	v_pk_mov_b32 v[4:5], 0, 0
	s_and_saveexec_b64 s[34:35], vcc
	s_cbranch_execz .LBB75_102
; %bb.101:                              ;   in Loop: Header=BB75_100 Depth=2
	v_lshlrev_b64 v[4:5], 3, v[20:21]
	v_mov_b32_e32 v2, s84
	v_add_co_u32_e64 v4, s[20:21], s33, v4
	v_addc_co_u32_e64 v5, s[20:21], v2, v5, s[20:21]
	global_load_dwordx2 v[4:5], v[4:5], off
.LBB75_102:                             ;   in Loop: Header=BB75_100 Depth=2
	s_or_b64 exec, exec, s[34:35]
	s_and_saveexec_b64 s[20:21], vcc
	s_cbranch_execz .LBB75_99
; %bb.103:                              ;   in Loop: Header=BB75_100 Depth=2
	s_waitcnt vmcnt(0)
	v_ashrrev_i32_e32 v2, 31, v5
	v_or_b32_e32 v8, 0x80000000, v2
	v_xor_b32_e32 v8, v8, v5
	v_xor_b32_e32 v2, v2, v4
	v_cmp_o_f64_e32 vcc, v[4:5], v[4:5]
	v_cndmask_b32_e32 v8, -1, v8, vcc
	v_cndmask_b32_e32 v2, -1, v2, vcc
	v_and_b32_e32 v9, v8, v15
	v_and_b32_e32 v8, v2, v14
	v_cmp_eq_u64_e32 vcc, v[8:9], v[12:13]
	s_and_b64 exec, exec, vcc
	s_cbranch_execz .LBB75_99
; %bb.104:                              ;   in Loop: Header=BB75_100 Depth=2
	v_mov_b32_e32 v2, v21
	ds_write_b128 v21, v[2:5] offset:3072
	s_branch .LBB75_99
.LBB75_105:                             ;   in Loop: Header=BB75_6 Depth=1
	s_or_b64 exec, exec, s[30:31]
	s_and_b64 s[8:9], s[8:9], exec
.LBB75_106:                             ;   in Loop: Header=BB75_6 Depth=1
	s_or_b64 exec, exec, s[26:27]
	s_mov_b64 s[34:35], -1
	s_mov_b64 s[26:27], 0
	s_mov_b64 s[30:31], 0
.LBB75_107:                             ;   in Loop: Header=BB75_6 Depth=1
	s_orn2_b64 s[8:9], s[8:9], exec
.LBB75_108:                             ;   in Loop: Header=BB75_6 Depth=1
	s_or_b64 exec, exec, s[28:29]
	s_mov_b64 s[36:37], 0
	s_mov_b64 s[28:29], 0
	;; [unrolled: 1-line block ×3, first 2 shown]
                                        ; implicit-def: $vgpr2
                                        ; implicit-def: $vgpr30
	s_and_saveexec_b64 s[38:39], s[8:9]
	s_cbranch_execz .LBB75_243
; %bb.109:                              ;   in Loop: Header=BB75_6 Depth=1
	s_xor_b64 s[20:21], s[16:17], -1
	s_mov_b64 s[8:9], 0
	v_mov_b32_e32 v30, 1
	v_mov_b32_e32 v2, 1
	s_and_saveexec_b64 s[16:17], s[20:21]
	s_cbranch_execz .LBB75_119
; %bb.110:                              ;   in Loop: Header=BB75_6 Depth=1
	v_cmp_ge_u32_e32 vcc, s5, v47
                                        ; implicit-def: $sgpr28
                                        ; implicit-def: $sgpr8_sgpr9
	s_and_saveexec_b64 s[20:21], vcc
	s_xor_b64 s[20:21], exec, s[20:21]
	s_cbranch_execz .LBB75_116
; %bb.111:                              ;   in Loop: Header=BB75_6 Depth=1
	ds_read_b32 v2, v21 offset:4096
	s_waitcnt lgkmcnt(0)
	v_cmp_ne_u32_e32 vcc, 0, v2
	s_cbranch_vccnz .LBB75_115
; %bb.112:                              ;   in Loop: Header=BB75_6 Depth=1
	s_mov_b64 s[8:9], exec
	v_readlane_b32 s28, v59, 24
	v_readlane_b32 s29, v59, 25
	s_and_b64 s[28:29], s[8:9], s[28:29]
	s_mov_b64 exec, s[28:29]
	s_cbranch_execz .LBB75_114
; %bb.113:                              ;   in Loop: Header=BB75_6 Depth=1
	v_mov_b32_e32 v2, s5
	ds_write_b32 v21, v2 offset:4100
.LBB75_114:                             ;   in Loop: Header=BB75_6 Depth=1
	s_or_b64 exec, exec, s[8:9]
	s_waitcnt lgkmcnt(0)
	s_barrier
.LBB75_115:                             ;   in Loop: Header=BB75_6 Depth=1
	v_and_b32_e32 v13, s25, v13
	v_and_b32_e32 v12, s24, v12
	v_or_b32_e32 v15, s23, v15
	v_or_b32_e32 v14, s22, v14
	s_mov_b64 s[8:9], 0
	s_mov_b32 s28, 8
.LBB75_116:                             ;   in Loop: Header=BB75_6 Depth=1
	s_or_saveexec_b64 s[20:21], s[20:21]
	v_mov_b32_e32 v2, s28
	v_mov_b32_e32 v30, v47
	s_xor_b64 exec, exec, s[20:21]
; %bb.117:                              ;   in Loop: Header=BB75_6 Depth=1
	v_subrev_u32_e32 v30, s5, v47
	v_mov_b32_e32 v2, 0
	s_or_b64 s[8:9], s[8:9], exec
; %bb.118:                              ;   in Loop: Header=BB75_6 Depth=1
	s_or_b64 exec, exec, s[20:21]
	s_and_b64 s[8:9], s[8:9], exec
.LBB75_119:                             ;   in Loop: Header=BB75_6 Depth=1
	s_or_b64 exec, exec, s[16:17]
	s_mov_b64 s[42:43], -1
                                        ; implicit-def: $sgpr16_sgpr17
                                        ; implicit-def: $sgpr40_sgpr41
                                        ; implicit-def: $sgpr46_sgpr47
	s_and_saveexec_b64 s[20:21], s[8:9]
	s_xor_b64 s[28:29], exec, s[20:21]
	s_cbranch_execz .LBB75_240
; %bb.120:                              ;   in Loop: Header=BB75_6 Depth=1
	s_cmp_eq_u32 s58, 1
	s_cselect_b64 s[8:9], -1, 0
	v_cmp_eq_u32_e32 vcc, 1, v30
	s_and_b64 s[16:17], s[8:9], vcc
	s_mov_b64 s[20:21], -1
                                        ; implicit-def: $sgpr40_sgpr41
                                        ; implicit-def: $sgpr44_sgpr45
                                        ; implicit-def: $sgpr42_sgpr43
	s_and_saveexec_b64 s[46:47], s[16:17]
	s_cbranch_execz .LBB75_146
; %bb.121:                              ;   in Loop: Header=BB75_6 Depth=1
	ds_read_b32 v2, v21 offset:4096
	s_waitcnt lgkmcnt(0)
	s_barrier
	v_readfirstlane_b32 s44, v2
	s_mov_b64 s[8:9], exec
	v_readlane_b32 s20, v59, 42
	v_readlane_b32 s21, v59, 43
	s_and_b64 s[20:21], s[8:9], s[20:21]
	s_mov_b64 exec, s[20:21]
	s_cbranch_execz .LBB75_123
; %bb.122:                              ;   in Loop: Header=BB75_6 Depth=1
	v_mov_b32_e32 v20, v21
	ds_write_b64 v37, v[20:21]
.LBB75_123:                             ;   in Loop: Header=BB75_6 Depth=1
	s_or_b64 exec, exec, s[8:9]
	s_lshl_b64 s[8:9], 1, s59
	v_and_b32_e32 v2, s25, v13
	s_waitcnt vmcnt(0)
	v_and_b32_e32 v4, s24, v12
	v_or_b32_e32 v13, s9, v2
	v_or_b32_e32 v12, s8, v4
	;; [unrolled: 1-line block ×4, first 2 shown]
	s_cmp_eq_u32 s44, 0
	s_waitcnt lgkmcnt(0)
	s_barrier
	s_cbranch_scc1 .LBB75_132
; %bb.124:                              ;   in Loop: Header=BB75_6 Depth=1
	v_readlane_b32 s8, v59, 35
	s_add_i32 s8, s44, s8
	v_readlane_b32 s9, v59, 57
	s_mul_hi_u32 s9, s8, s9
	s_mul_i32 s9, s9, s85
	s_sub_i32 s9, s8, s9
	s_sub_i32 s20, s9, s85
	s_cmp_ge_u32 s9, s85
	s_cselect_b32 s9, s20, s9
	s_sub_i32 s20, s9, s85
	s_cmp_ge_u32 s9, s85
	s_cselect_b32 s9, s20, s9
	s_sub_i32 s45, s8, s9
	v_cmp_gt_u32_e32 vcc, s45, v0
	s_mov_b64 s[8:9], 0
                                        ; implicit-def: $vgpr10_vgpr11
	s_and_saveexec_b64 s[40:41], vcc
	s_cbranch_execz .LBB75_134
; %bb.125:                              ;   in Loop: Header=BB75_6 Depth=1
	s_mov_b64 s[42:43], 0
	v_mov_b32_e32 v20, v36
	v_mov_b32_e32 v31, v0
                                        ; implicit-def: $sgpr8_sgpr9
	s_branch .LBB75_127
.LBB75_126:                             ;   in Loop: Header=BB75_127 Depth=2
	s_or_b64 exec, exec, s[20:21]
	s_waitcnt lgkmcnt(0)
	s_barrier
	ds_read_b128 v[8:11], v21 offset:3072
	v_add_u32_e32 v31, s85, v31
	v_cmp_le_u32_e64 s[20:21], s45, v31
	v_add_u32_e32 v20, s80, v20
	s_waitcnt lgkmcnt(0)
	v_cmp_neq_f64_e32 vcc, 0, v[8:9]
	s_or_b64 s[20:21], s[20:21], vcc
	s_and_b64 s[20:21], exec, s[20:21]
	s_or_b64 s[42:43], s[20:21], s[42:43]
	s_andn2_b64 s[8:9], s[8:9], exec
	s_and_b64 s[20:21], vcc, exec
	s_or_b64 s[8:9], s[8:9], s[20:21]
	s_barrier
	s_andn2_b64 exec, exec, s[42:43]
	s_cbranch_execz .LBB75_133
.LBB75_127:                             ;   Parent Loop BB75_6 Depth=1
                                        ; =>  This Inner Loop Header: Depth=2
	v_cmp_gt_u32_e32 vcc, s44, v31
	v_pk_mov_b32 v[4:5], 0, 0
	s_and_saveexec_b64 s[20:21], vcc
	s_cbranch_execz .LBB75_129
; %bb.128:                              ;   in Loop: Header=BB75_127 Depth=2
	ds_read_b64 v[4:5], v20
.LBB75_129:                             ;   in Loop: Header=BB75_127 Depth=2
	s_or_b64 exec, exec, s[20:21]
	s_and_saveexec_b64 s[20:21], vcc
	s_cbranch_execz .LBB75_126
; %bb.130:                              ;   in Loop: Header=BB75_127 Depth=2
	s_waitcnt lgkmcnt(0)
	v_ashrrev_i32_e32 v2, 31, v5
	v_or_b32_e32 v8, 0x80000000, v2
	v_xor_b32_e32 v8, v8, v5
	v_xor_b32_e32 v2, v2, v4
	v_cmp_o_f64_e32 vcc, v[4:5], v[4:5]
	v_cndmask_b32_e32 v8, -1, v8, vcc
	v_cndmask_b32_e32 v2, -1, v2, vcc
	v_and_b32_e32 v9, v8, v15
	v_and_b32_e32 v8, v2, v14
	v_cmp_eq_u64_e32 vcc, v[8:9], v[12:13]
	s_and_b64 exec, exec, vcc
	s_cbranch_execz .LBB75_126
; %bb.131:                              ;   in Loop: Header=BB75_127 Depth=2
	v_mov_b32_e32 v2, v21
	ds_write_b128 v21, v[2:5] offset:3072
	s_branch .LBB75_126
.LBB75_132:                             ;   in Loop: Header=BB75_6 Depth=1
	s_mov_b64 s[40:41], -1
	s_mov_b64 s[8:9], 0
                                        ; implicit-def: $sgpr42_sgpr43
                                        ; implicit-def: $vgpr10_vgpr11
	s_mov_b64 s[44:45], s[40:41]
	s_cbranch_execnz .LBB75_135
	s_branch .LBB75_145
.LBB75_133:                             ;   in Loop: Header=BB75_6 Depth=1
	s_or_b64 exec, exec, s[42:43]
	s_and_b64 s[8:9], s[8:9], exec
.LBB75_134:                             ;   in Loop: Header=BB75_6 Depth=1
	s_or_b64 exec, exec, s[40:41]
	s_mov_b64 s[42:43], -1
	s_mov_b64 s[40:41], 0
	s_mov_b64 s[44:45], s[40:41]
	s_branch .LBB75_145
.LBB75_135:                             ;   in Loop: Header=BB75_6 Depth=1
	s_mov_b64 s[8:9], 0
                                        ; implicit-def: $vgpr10_vgpr11
	s_mov_b64 s[40:41], exec
	v_readlane_b32 s20, v59, 58
	v_readlane_b32 s21, v59, 59
	s_and_b64 s[20:21], s[40:41], s[20:21]
	s_mov_b64 exec, s[20:21]
	s_cbranch_execz .LBB75_144
; %bb.136:                              ;   in Loop: Header=BB75_6 Depth=1
	s_mov_b64 s[42:43], 0
	v_mov_b32_e32 v20, v22
	v_mov_b32_e32 v31, v0
                                        ; implicit-def: $sgpr8_sgpr9
	s_branch .LBB75_138
.LBB75_137:                             ;   in Loop: Header=BB75_138 Depth=2
	s_or_b64 exec, exec, s[20:21]
	s_waitcnt lgkmcnt(0)
	s_barrier
	ds_read_b128 v[8:11], v21 offset:3072
	v_add_u32_e32 v31, s85, v31
	v_cmp_le_u32_e64 s[20:21], s6, v31
	v_add_u32_e32 v20, s86, v20
	s_waitcnt lgkmcnt(0)
	v_cmp_neq_f64_e32 vcc, 0, v[8:9]
	s_or_b64 s[20:21], s[20:21], vcc
	s_and_b64 s[20:21], exec, s[20:21]
	s_or_b64 s[42:43], s[20:21], s[42:43]
	s_andn2_b64 s[8:9], s[8:9], exec
	s_and_b64 s[20:21], vcc, exec
	s_or_b64 s[8:9], s[8:9], s[20:21]
	s_barrier
	s_andn2_b64 exec, exec, s[42:43]
	s_cbranch_execz .LBB75_143
.LBB75_138:                             ;   Parent Loop BB75_6 Depth=1
                                        ; =>  This Inner Loop Header: Depth=2
	v_cmp_gt_u32_e32 vcc, s60, v31
	s_waitcnt vmcnt(0)
	v_pk_mov_b32 v[4:5], 0, 0
	s_and_saveexec_b64 s[44:45], vcc
	s_cbranch_execz .LBB75_140
; %bb.139:                              ;   in Loop: Header=BB75_138 Depth=2
	v_lshlrev_b64 v[4:5], 3, v[20:21]
	v_mov_b32_e32 v2, s84
	v_add_co_u32_e64 v4, s[20:21], s33, v4
	v_addc_co_u32_e64 v5, s[20:21], v2, v5, s[20:21]
	global_load_dwordx2 v[4:5], v[4:5], off
.LBB75_140:                             ;   in Loop: Header=BB75_138 Depth=2
	s_or_b64 exec, exec, s[44:45]
	s_and_saveexec_b64 s[20:21], vcc
	s_cbranch_execz .LBB75_137
; %bb.141:                              ;   in Loop: Header=BB75_138 Depth=2
	s_waitcnt vmcnt(0)
	v_ashrrev_i32_e32 v2, 31, v5
	v_or_b32_e32 v8, 0x80000000, v2
	v_xor_b32_e32 v8, v8, v5
	v_xor_b32_e32 v2, v2, v4
	v_cmp_o_f64_e32 vcc, v[4:5], v[4:5]
	v_cndmask_b32_e32 v8, -1, v8, vcc
	v_cndmask_b32_e32 v2, -1, v2, vcc
	v_and_b32_e32 v9, v8, v15
	v_and_b32_e32 v8, v2, v14
	v_cmp_eq_u64_e32 vcc, v[8:9], v[12:13]
	s_and_b64 exec, exec, vcc
	s_cbranch_execz .LBB75_137
; %bb.142:                              ;   in Loop: Header=BB75_138 Depth=2
	v_mov_b32_e32 v2, v21
	ds_write_b128 v21, v[2:5] offset:3072
	s_branch .LBB75_137
.LBB75_143:                             ;   in Loop: Header=BB75_6 Depth=1
	s_or_b64 exec, exec, s[42:43]
	s_and_b64 s[8:9], s[8:9], exec
.LBB75_144:                             ;   in Loop: Header=BB75_6 Depth=1
	s_or_b64 exec, exec, s[40:41]
	s_mov_b64 s[44:45], -1
	s_mov_b64 s[40:41], 0
	s_mov_b64 s[42:43], 0
.LBB75_145:                             ;   in Loop: Header=BB75_6 Depth=1
	s_orn2_b64 s[20:21], s[8:9], exec
.LBB75_146:                             ;   in Loop: Header=BB75_6 Depth=1
	s_or_b64 exec, exec, s[46:47]
	s_mov_b64 s[8:9], 0
                                        ; implicit-def: $vgpr2
	s_and_saveexec_b64 s[46:47], s[20:21]
	s_cbranch_execz .LBB75_239
; %bb.147:                              ;   in Loop: Header=BB75_6 Depth=1
	s_xor_b64 s[8:9], s[16:17], -1
	s_mov_b64 s[52:53], 0
	v_mov_b32_e32 v31, 1
	v_mov_b32_e32 v2, 1
	s_and_saveexec_b64 s[16:17], s[8:9]
	s_cbranch_execz .LBB75_157
; %bb.148:                              ;   in Loop: Header=BB75_6 Depth=1
	v_cmp_ge_u32_e32 vcc, s58, v30
                                        ; implicit-def: $sgpr48
                                        ; implicit-def: $sgpr8_sgpr9
	s_and_saveexec_b64 s[20:21], vcc
	s_xor_b64 s[20:21], exec, s[20:21]
	s_cbranch_execz .LBB75_154
; %bb.149:                              ;   in Loop: Header=BB75_6 Depth=1
	ds_read_b32 v2, v21 offset:4096
	s_waitcnt lgkmcnt(0)
	v_cmp_ne_u32_e32 vcc, 0, v2
	s_cbranch_vccnz .LBB75_153
; %bb.150:                              ;   in Loop: Header=BB75_6 Depth=1
	s_mov_b64 s[8:9], exec
	v_readlane_b32 s48, v59, 24
	v_readlane_b32 s49, v59, 25
	s_and_b64 s[48:49], s[8:9], s[48:49]
	s_mov_b64 exec, s[48:49]
	s_cbranch_execz .LBB75_152
; %bb.151:                              ;   in Loop: Header=BB75_6 Depth=1
	v_mov_b32_e32 v2, s58
	ds_write_b32 v21, v2 offset:4100
.LBB75_152:                             ;   in Loop: Header=BB75_6 Depth=1
	s_or_b64 exec, exec, s[8:9]
	s_waitcnt lgkmcnt(0)
	s_barrier
.LBB75_153:                             ;   in Loop: Header=BB75_6 Depth=1
	s_lshl_b64 s[8:9], 1, s59
	v_and_b32_e32 v2, s25, v13
	s_waitcnt vmcnt(0)
	v_and_b32_e32 v4, s24, v12
	v_or_b32_e32 v13, s9, v2
	v_or_b32_e32 v12, s8, v4
	;; [unrolled: 1-line block ×4, first 2 shown]
	s_mov_b64 s[8:9], 0
	s_mov_b32 s48, 8
.LBB75_154:                             ;   in Loop: Header=BB75_6 Depth=1
	s_or_saveexec_b64 s[20:21], s[20:21]
	v_mov_b32_e32 v2, s48
	s_xor_b64 exec, exec, s[20:21]
; %bb.155:                              ;   in Loop: Header=BB75_6 Depth=1
	v_subrev_u32_e32 v30, s58, v30
	v_mov_b32_e32 v2, 0
	s_or_b64 s[8:9], s[8:9], exec
; %bb.156:                              ;   in Loop: Header=BB75_6 Depth=1
	s_or_b64 exec, exec, s[20:21]
	s_and_b64 s[52:53], s[8:9], exec
	v_mov_b32_e32 v31, v30
.LBB75_157:                             ;   in Loop: Header=BB75_6 Depth=1
	s_or_b64 exec, exec, s[16:17]
	s_mov_b64 s[8:9], -1
                                        ; implicit-def: $sgpr16_sgpr17
                                        ; implicit-def: $sgpr20_sgpr21
                                        ; implicit-def: $sgpr50_sgpr51
	s_and_saveexec_b64 s[48:49], s[52:53]
	s_cbranch_execz .LBB75_238
; %bb.158:                              ;   in Loop: Header=BB75_6 Depth=1
	s_cmp_eq_u32 s10, 1
	s_cselect_b64 s[8:9], -1, 0
	v_cmp_eq_u32_e32 vcc, 1, v31
	s_and_b64 s[16:17], s[8:9], vcc
	s_mov_b64 s[20:21], -1
                                        ; implicit-def: $sgpr50_sgpr51
                                        ; implicit-def: $sgpr54_sgpr55
                                        ; implicit-def: $sgpr52_sgpr53
	s_and_saveexec_b64 s[56:57], s[16:17]
	s_cbranch_execz .LBB75_184
; %bb.159:                              ;   in Loop: Header=BB75_6 Depth=1
	ds_read_b32 v2, v21 offset:4096
	s_waitcnt lgkmcnt(0)
	s_barrier
	v_readfirstlane_b32 s54, v2
	s_mov_b64 s[8:9], exec
	v_readlane_b32 s20, v59, 42
	v_readlane_b32 s21, v59, 43
	s_and_b64 s[20:21], s[8:9], s[20:21]
	s_mov_b64 exec, s[20:21]
	s_cbranch_execz .LBB75_161
; %bb.160:                              ;   in Loop: Header=BB75_6 Depth=1
	v_mov_b32_e32 v20, v21
	ds_write_b64 v37, v[20:21]
.LBB75_161:                             ;   in Loop: Header=BB75_6 Depth=1
	s_or_b64 exec, exec, s[8:9]
	s_lshl_b64 s[8:9], 2, s59
	v_and_b32_e32 v2, s25, v13
	s_waitcnt vmcnt(0)
	v_and_b32_e32 v4, s24, v12
	v_or_b32_e32 v13, s9, v2
	v_or_b32_e32 v12, s8, v4
	;; [unrolled: 1-line block ×4, first 2 shown]
	s_cmp_eq_u32 s54, 0
	s_waitcnt lgkmcnt(0)
	s_barrier
	s_cbranch_scc1 .LBB75_170
; %bb.162:                              ;   in Loop: Header=BB75_6 Depth=1
	v_readlane_b32 s8, v59, 35
	s_add_i32 s8, s54, s8
	v_readlane_b32 s9, v59, 57
	s_mul_hi_u32 s9, s8, s9
	s_mul_i32 s9, s9, s85
	s_sub_i32 s9, s8, s9
	s_sub_i32 s20, s9, s85
	s_cmp_ge_u32 s9, s85
	s_cselect_b32 s9, s20, s9
	s_sub_i32 s20, s9, s85
	s_cmp_ge_u32 s9, s85
	s_cselect_b32 s9, s20, s9
	s_sub_i32 s55, s8, s9
	v_cmp_gt_u32_e32 vcc, s55, v0
	s_mov_b64 s[8:9], 0
                                        ; implicit-def: $vgpr10_vgpr11
	s_and_saveexec_b64 s[50:51], vcc
	s_cbranch_execz .LBB75_172
; %bb.163:                              ;   in Loop: Header=BB75_6 Depth=1
	s_mov_b64 s[52:53], 0
	v_mov_b32_e32 v20, v36
	v_mov_b32_e32 v30, v0
                                        ; implicit-def: $sgpr8_sgpr9
	s_branch .LBB75_165
.LBB75_164:                             ;   in Loop: Header=BB75_165 Depth=2
	s_or_b64 exec, exec, s[20:21]
	s_waitcnt lgkmcnt(0)
	s_barrier
	ds_read_b128 v[8:11], v21 offset:3072
	v_add_u32_e32 v30, s85, v30
	v_cmp_le_u32_e64 s[20:21], s55, v30
	v_add_u32_e32 v20, s80, v20
	s_waitcnt lgkmcnt(0)
	v_cmp_neq_f64_e32 vcc, 0, v[8:9]
	s_or_b64 s[20:21], s[20:21], vcc
	s_and_b64 s[20:21], exec, s[20:21]
	s_or_b64 s[52:53], s[20:21], s[52:53]
	s_andn2_b64 s[8:9], s[8:9], exec
	s_and_b64 s[20:21], vcc, exec
	s_or_b64 s[8:9], s[8:9], s[20:21]
	s_barrier
	s_andn2_b64 exec, exec, s[52:53]
	s_cbranch_execz .LBB75_171
.LBB75_165:                             ;   Parent Loop BB75_6 Depth=1
                                        ; =>  This Inner Loop Header: Depth=2
	v_cmp_gt_u32_e32 vcc, s54, v30
	v_pk_mov_b32 v[4:5], 0, 0
	s_and_saveexec_b64 s[20:21], vcc
	s_cbranch_execz .LBB75_167
; %bb.166:                              ;   in Loop: Header=BB75_165 Depth=2
	ds_read_b64 v[4:5], v20
.LBB75_167:                             ;   in Loop: Header=BB75_165 Depth=2
	s_or_b64 exec, exec, s[20:21]
	s_and_saveexec_b64 s[20:21], vcc
	s_cbranch_execz .LBB75_164
; %bb.168:                              ;   in Loop: Header=BB75_165 Depth=2
	s_waitcnt lgkmcnt(0)
	v_ashrrev_i32_e32 v2, 31, v5
	v_or_b32_e32 v8, 0x80000000, v2
	v_xor_b32_e32 v8, v8, v5
	v_xor_b32_e32 v2, v2, v4
	v_cmp_o_f64_e32 vcc, v[4:5], v[4:5]
	v_cndmask_b32_e32 v8, -1, v8, vcc
	v_cndmask_b32_e32 v2, -1, v2, vcc
	v_and_b32_e32 v9, v8, v15
	v_and_b32_e32 v8, v2, v14
	v_cmp_eq_u64_e32 vcc, v[8:9], v[12:13]
	s_and_b64 exec, exec, vcc
	s_cbranch_execz .LBB75_164
; %bb.169:                              ;   in Loop: Header=BB75_165 Depth=2
	v_mov_b32_e32 v2, v21
	ds_write_b128 v21, v[2:5] offset:3072
	s_branch .LBB75_164
.LBB75_170:                             ;   in Loop: Header=BB75_6 Depth=1
	s_mov_b64 s[50:51], -1
	s_mov_b64 s[8:9], 0
                                        ; implicit-def: $sgpr52_sgpr53
                                        ; implicit-def: $vgpr10_vgpr11
	s_mov_b64 s[54:55], s[50:51]
	s_cbranch_execnz .LBB75_173
	s_branch .LBB75_183
.LBB75_171:                             ;   in Loop: Header=BB75_6 Depth=1
	s_or_b64 exec, exec, s[52:53]
	s_and_b64 s[8:9], s[8:9], exec
.LBB75_172:                             ;   in Loop: Header=BB75_6 Depth=1
	s_or_b64 exec, exec, s[50:51]
	s_mov_b64 s[52:53], -1
	s_mov_b64 s[50:51], 0
	s_mov_b64 s[54:55], s[50:51]
	s_branch .LBB75_183
.LBB75_173:                             ;   in Loop: Header=BB75_6 Depth=1
	s_mov_b64 s[8:9], 0
                                        ; implicit-def: $vgpr10_vgpr11
	s_mov_b64 s[50:51], exec
	v_readlane_b32 s20, v59, 58
	v_readlane_b32 s21, v59, 59
	s_and_b64 s[20:21], s[50:51], s[20:21]
	s_mov_b64 exec, s[20:21]
	s_cbranch_execz .LBB75_182
; %bb.174:                              ;   in Loop: Header=BB75_6 Depth=1
	s_mov_b64 s[52:53], 0
	v_mov_b32_e32 v20, v22
	v_mov_b32_e32 v30, v0
                                        ; implicit-def: $sgpr8_sgpr9
	s_branch .LBB75_176
.LBB75_175:                             ;   in Loop: Header=BB75_176 Depth=2
	s_or_b64 exec, exec, s[20:21]
	s_waitcnt lgkmcnt(0)
	s_barrier
	ds_read_b128 v[8:11], v21 offset:3072
	v_add_u32_e32 v30, s85, v30
	v_cmp_le_u32_e64 s[20:21], s6, v30
	v_add_u32_e32 v20, s86, v20
	s_waitcnt lgkmcnt(0)
	v_cmp_neq_f64_e32 vcc, 0, v[8:9]
	s_or_b64 s[20:21], s[20:21], vcc
	s_and_b64 s[20:21], exec, s[20:21]
	s_or_b64 s[52:53], s[20:21], s[52:53]
	s_andn2_b64 s[8:9], s[8:9], exec
	s_and_b64 s[20:21], vcc, exec
	s_or_b64 s[8:9], s[8:9], s[20:21]
	s_barrier
	s_andn2_b64 exec, exec, s[52:53]
	s_cbranch_execz .LBB75_181
.LBB75_176:                             ;   Parent Loop BB75_6 Depth=1
                                        ; =>  This Inner Loop Header: Depth=2
	v_cmp_gt_u32_e32 vcc, s60, v30
	s_waitcnt vmcnt(0)
	v_pk_mov_b32 v[4:5], 0, 0
	s_and_saveexec_b64 s[54:55], vcc
	s_cbranch_execz .LBB75_178
; %bb.177:                              ;   in Loop: Header=BB75_176 Depth=2
	v_lshlrev_b64 v[4:5], 3, v[20:21]
	v_mov_b32_e32 v2, s84
	v_add_co_u32_e64 v4, s[20:21], s33, v4
	v_addc_co_u32_e64 v5, s[20:21], v2, v5, s[20:21]
	global_load_dwordx2 v[4:5], v[4:5], off
.LBB75_178:                             ;   in Loop: Header=BB75_176 Depth=2
	s_or_b64 exec, exec, s[54:55]
	s_and_saveexec_b64 s[20:21], vcc
	s_cbranch_execz .LBB75_175
; %bb.179:                              ;   in Loop: Header=BB75_176 Depth=2
	s_waitcnt vmcnt(0)
	v_ashrrev_i32_e32 v2, 31, v5
	v_or_b32_e32 v8, 0x80000000, v2
	v_xor_b32_e32 v8, v8, v5
	v_xor_b32_e32 v2, v2, v4
	v_cmp_o_f64_e32 vcc, v[4:5], v[4:5]
	v_cndmask_b32_e32 v8, -1, v8, vcc
	v_cndmask_b32_e32 v2, -1, v2, vcc
	v_and_b32_e32 v9, v8, v15
	v_and_b32_e32 v8, v2, v14
	v_cmp_eq_u64_e32 vcc, v[8:9], v[12:13]
	s_and_b64 exec, exec, vcc
	s_cbranch_execz .LBB75_175
; %bb.180:                              ;   in Loop: Header=BB75_176 Depth=2
	v_mov_b32_e32 v2, v21
	ds_write_b128 v21, v[2:5] offset:3072
	s_branch .LBB75_175
.LBB75_181:                             ;   in Loop: Header=BB75_6 Depth=1
	s_or_b64 exec, exec, s[52:53]
	s_and_b64 s[8:9], s[8:9], exec
.LBB75_182:                             ;   in Loop: Header=BB75_6 Depth=1
	s_or_b64 exec, exec, s[50:51]
	s_mov_b64 s[54:55], -1
	s_mov_b64 s[50:51], 0
	s_mov_b64 s[52:53], 0
.LBB75_183:                             ;   in Loop: Header=BB75_6 Depth=1
	s_orn2_b64 s[20:21], s[8:9], exec
.LBB75_184:                             ;   in Loop: Header=BB75_6 Depth=1
	s_or_b64 exec, exec, s[56:57]
	s_mov_b64 s[8:9], 0
                                        ; implicit-def: $vgpr2
	s_and_saveexec_b64 s[56:57], s[20:21]
	s_cbranch_execz .LBB75_237
; %bb.185:                              ;   in Loop: Header=BB75_6 Depth=1
	s_xor_b64 s[8:9], s[16:17], -1
	s_mov_b64 s[88:89], 0
	v_mov_b32_e32 v30, 1
	v_mov_b32_e32 v2, 1
	s_and_saveexec_b64 s[16:17], s[8:9]
	s_cbranch_execz .LBB75_195
; %bb.186:                              ;   in Loop: Header=BB75_6 Depth=1
	v_cmp_ge_u32_e32 vcc, s10, v31
                                        ; implicit-def: $sgpr62
                                        ; implicit-def: $sgpr8_sgpr9
	s_and_saveexec_b64 s[20:21], vcc
	s_xor_b64 s[20:21], exec, s[20:21]
	s_cbranch_execz .LBB75_192
; %bb.187:                              ;   in Loop: Header=BB75_6 Depth=1
	ds_read_b32 v2, v21 offset:4096
	s_waitcnt lgkmcnt(0)
	v_cmp_ne_u32_e32 vcc, 0, v2
	s_cbranch_vccnz .LBB75_191
; %bb.188:                              ;   in Loop: Header=BB75_6 Depth=1
	s_mov_b64 s[8:9], exec
	v_readlane_b32 s62, v59, 24
	v_readlane_b32 s63, v59, 25
	s_and_b64 s[62:63], s[8:9], s[62:63]
	s_mov_b64 exec, s[62:63]
	s_cbranch_execz .LBB75_190
; %bb.189:                              ;   in Loop: Header=BB75_6 Depth=1
	v_mov_b32_e32 v2, s10
	ds_write_b32 v21, v2 offset:4100
.LBB75_190:                             ;   in Loop: Header=BB75_6 Depth=1
	s_or_b64 exec, exec, s[8:9]
	s_waitcnt lgkmcnt(0)
	s_barrier
.LBB75_191:                             ;   in Loop: Header=BB75_6 Depth=1
	s_lshl_b64 s[8:9], 2, s59
	v_and_b32_e32 v2, s25, v13
	s_waitcnt vmcnt(0)
	v_and_b32_e32 v4, s24, v12
	v_or_b32_e32 v13, s9, v2
	v_or_b32_e32 v12, s8, v4
	;; [unrolled: 1-line block ×4, first 2 shown]
	s_mov_b64 s[8:9], 0
	s_mov_b32 s62, 8
.LBB75_192:                             ;   in Loop: Header=BB75_6 Depth=1
	s_or_saveexec_b64 s[20:21], s[20:21]
	v_mov_b32_e32 v2, s62
	s_xor_b64 exec, exec, s[20:21]
; %bb.193:                              ;   in Loop: Header=BB75_6 Depth=1
	v_subrev_u32_e32 v31, s10, v31
	v_mov_b32_e32 v2, 0
	s_or_b64 s[8:9], s[8:9], exec
; %bb.194:                              ;   in Loop: Header=BB75_6 Depth=1
	s_or_b64 exec, exec, s[20:21]
	s_and_b64 s[88:89], s[8:9], exec
	v_mov_b32_e32 v30, v31
.LBB75_195:                             ;   in Loop: Header=BB75_6 Depth=1
	s_or_b64 exec, exec, s[16:17]
	s_mov_b64 s[8:9], -1
                                        ; implicit-def: $sgpr20_sgpr21
                                        ; implicit-def: $sgpr16_sgpr17
                                        ; implicit-def: $sgpr90_sgpr91
	s_mov_b64 s[62:63], exec
                                        ; implicit-def: $vgpr58 : SGPR spill to VGPR lane
	v_writelane_b32 v59, s62, 63
	v_writelane_b32 v58, s63, 0
	s_and_b64 s[62:63], s[62:63], s[88:89]
	s_mov_b64 exec, s[62:63]
	s_cbranch_execz .LBB75_236
; %bb.196:                              ;   in Loop: Header=BB75_6 Depth=1
	s_cmp_eq_u32 s11, 1
	s_cselect_b64 s[8:9], -1, 0
	v_cmp_eq_u32_e32 vcc, 1, v30
	s_and_b64 s[62:63], s[8:9], vcc
	s_mov_b64 s[8:9], -1
                                        ; implicit-def: $sgpr20_sgpr21
                                        ; implicit-def: $sgpr16_sgpr17
                                        ; implicit-def: $sgpr90_sgpr91
	s_mov_b64 s[88:89], exec
	v_writelane_b32 v58, s62, 1
	v_writelane_b32 v58, s63, 2
	s_and_b64 s[62:63], s[88:89], s[62:63]
	s_mov_b64 exec, s[62:63]
	s_cbranch_execz .LBB75_223
; %bb.197:                              ;   in Loop: Header=BB75_6 Depth=1
	ds_read_b32 v2, v21 offset:4096
	s_waitcnt lgkmcnt(0)
	s_barrier
	v_readfirstlane_b32 s62, v2
	s_mov_b64 s[8:9], exec
	v_readlane_b32 s16, v59, 42
	v_readlane_b32 s17, v59, 43
	s_and_b64 s[16:17], s[8:9], s[16:17]
	s_mov_b64 exec, s[16:17]
	s_cbranch_execz .LBB75_199
; %bb.198:                              ;   in Loop: Header=BB75_6 Depth=1
	v_mov_b32_e32 v20, v21
	ds_write_b64 v37, v[20:21]
.LBB75_199:                             ;   in Loop: Header=BB75_6 Depth=1
	s_or_b64 exec, exec, s[8:9]
	v_or_b32_e32 v13, s23, v13
	v_or_b32_e32 v12, s22, v12
	v_or_b32_e32 v15, s23, v15
	v_or_b32_e32 v14, s22, v14
	s_cmp_eq_u32 s62, 0
	s_waitcnt lgkmcnt(0)
	s_barrier
	s_cbranch_scc1 .LBB75_208
; %bb.200:                              ;   in Loop: Header=BB75_6 Depth=1
	v_readlane_b32 s8, v59, 35
	s_add_i32 s8, s62, s8
	v_readlane_b32 s9, v59, 57
	s_mul_hi_u32 s9, s8, s9
	s_mul_i32 s9, s9, s85
	s_sub_i32 s9, s8, s9
	s_sub_i32 s16, s9, s85
	s_cmp_ge_u32 s9, s85
	s_cselect_b32 s9, s16, s9
	s_sub_i32 s16, s9, s85
	s_cmp_ge_u32 s9, s85
	s_cselect_b32 s9, s16, s9
	s_sub_i32 s63, s8, s9
	s_mov_b64 s[8:9], 0
	v_cmp_gt_u32_e32 vcc, s63, v0
                                        ; implicit-def: $vgpr10_vgpr11
	s_mov_b64 s[16:17], exec
	v_writelane_b32 v58, s16, 3
	s_and_b64 s[20:21], s[16:17], vcc
	v_writelane_b32 v58, s17, 4
	s_mov_b64 exec, s[20:21]
	s_cbranch_execz .LBB75_210
; %bb.201:                              ;   in Loop: Header=BB75_6 Depth=1
	s_mov_b64 s[90:91], 0
	v_mov_b32_e32 v20, v36
	v_mov_b32_e32 v31, v0
                                        ; implicit-def: $sgpr8_sgpr9
	s_branch .LBB75_203
.LBB75_202:                             ;   in Loop: Header=BB75_203 Depth=2
	s_or_b64 exec, exec, s[20:21]
	s_waitcnt lgkmcnt(0)
	s_barrier
	ds_read_b128 v[8:11], v21 offset:3072
	v_add_u32_e32 v31, s85, v31
	v_cmp_le_u32_e64 s[20:21], s63, v31
	v_add_u32_e32 v20, s80, v20
	s_waitcnt lgkmcnt(0)
	v_cmp_neq_f64_e32 vcc, 0, v[8:9]
	s_or_b64 s[16:17], s[20:21], vcc
	s_and_b64 s[16:17], exec, s[16:17]
	s_or_b64 s[90:91], s[16:17], s[90:91]
	s_andn2_b64 s[8:9], s[8:9], exec
	s_and_b64 s[16:17], vcc, exec
	s_or_b64 s[8:9], s[8:9], s[16:17]
	s_barrier
	s_andn2_b64 exec, exec, s[90:91]
	s_cbranch_execz .LBB75_209
.LBB75_203:                             ;   Parent Loop BB75_6 Depth=1
                                        ; =>  This Inner Loop Header: Depth=2
	v_cmp_gt_u32_e32 vcc, s62, v31
	s_waitcnt vmcnt(0)
	v_pk_mov_b32 v[4:5], 0, 0
	s_and_saveexec_b64 s[20:21], vcc
	s_cbranch_execz .LBB75_205
; %bb.204:                              ;   in Loop: Header=BB75_203 Depth=2
	ds_read_b64 v[4:5], v20
.LBB75_205:                             ;   in Loop: Header=BB75_203 Depth=2
	s_or_b64 exec, exec, s[20:21]
	s_and_saveexec_b64 s[20:21], vcc
	s_cbranch_execz .LBB75_202
; %bb.206:                              ;   in Loop: Header=BB75_203 Depth=2
	s_waitcnt lgkmcnt(0)
	v_ashrrev_i32_e32 v2, 31, v5
	v_or_b32_e32 v8, 0x80000000, v2
	v_xor_b32_e32 v8, v8, v5
	v_xor_b32_e32 v2, v2, v4
	v_cmp_o_f64_e32 vcc, v[4:5], v[4:5]
	v_cndmask_b32_e32 v8, -1, v8, vcc
	v_cndmask_b32_e32 v2, -1, v2, vcc
	v_and_b32_e32 v9, v8, v15
	v_and_b32_e32 v8, v2, v14
	v_cmp_eq_u64_e32 vcc, v[8:9], v[12:13]
	s_and_b64 exec, exec, vcc
	s_cbranch_execz .LBB75_202
; %bb.207:                              ;   in Loop: Header=BB75_203 Depth=2
	v_mov_b32_e32 v2, v21
	ds_write_b128 v21, v[2:5] offset:3072
	s_branch .LBB75_202
.LBB75_208:                             ;   in Loop: Header=BB75_6 Depth=1
	s_mov_b64 s[20:21], -1
	s_mov_b64 s[8:9], 0
                                        ; implicit-def: $sgpr90_sgpr91
                                        ; implicit-def: $vgpr10_vgpr11
	s_branch .LBB75_211
.LBB75_209:                             ;   in Loop: Header=BB75_6 Depth=1
	s_or_b64 exec, exec, s[90:91]
	s_and_b64 s[8:9], s[8:9], exec
.LBB75_210:                             ;   in Loop: Header=BB75_6 Depth=1
	v_readlane_b32 s16, v58, 3
	v_readlane_b32 s17, v58, 4
	s_or_b64 exec, exec, s[16:17]
	s_mov_b64 s[90:91], -1
	s_mov_b64 s[20:21], 0
.LBB75_211:                             ;   in Loop: Header=BB75_6 Depth=1
	s_and_b64 vcc, exec, s[20:21]
	s_mov_b64 s[16:17], s[20:21]
	s_cbranch_vccz .LBB75_222
; %bb.212:                              ;   in Loop: Header=BB75_6 Depth=1
	s_mov_b64 s[8:9], 0
                                        ; implicit-def: $vgpr10_vgpr11
	s_mov_b64 s[62:63], exec
	v_readlane_b32 s16, v59, 58
	v_readlane_b32 s17, v59, 59
	s_and_b64 s[16:17], s[62:63], s[16:17]
	s_mov_b64 exec, s[16:17]
	s_cbranch_execz .LBB75_221
; %bb.213:                              ;   in Loop: Header=BB75_6 Depth=1
	s_mov_b64 s[90:91], 0
	v_mov_b32_e32 v20, v22
	v_mov_b32_e32 v31, v0
                                        ; implicit-def: $sgpr8_sgpr9
	s_branch .LBB75_215
.LBB75_214:                             ;   in Loop: Header=BB75_215 Depth=2
	s_or_b64 exec, exec, s[20:21]
	s_waitcnt lgkmcnt(0)
	s_barrier
	ds_read_b128 v[8:11], v21 offset:3072
	v_add_u32_e32 v31, s85, v31
	v_cmp_le_u32_e64 s[20:21], s6, v31
	v_add_u32_e32 v20, s86, v20
	s_waitcnt lgkmcnt(0)
	v_cmp_neq_f64_e32 vcc, 0, v[8:9]
	s_or_b64 s[16:17], s[20:21], vcc
	s_and_b64 s[16:17], exec, s[16:17]
	s_or_b64 s[90:91], s[16:17], s[90:91]
	s_andn2_b64 s[8:9], s[8:9], exec
	s_and_b64 s[16:17], vcc, exec
	s_or_b64 s[8:9], s[8:9], s[16:17]
	s_barrier
	s_andn2_b64 exec, exec, s[90:91]
	s_cbranch_execz .LBB75_220
.LBB75_215:                             ;   Parent Loop BB75_6 Depth=1
                                        ; =>  This Inner Loop Header: Depth=2
	v_cmp_gt_u32_e32 vcc, s60, v31
	s_waitcnt vmcnt(0)
	v_pk_mov_b32 v[4:5], 0, 0
	s_and_saveexec_b64 s[16:17], vcc
	s_cbranch_execz .LBB75_217
; %bb.216:                              ;   in Loop: Header=BB75_215 Depth=2
	v_lshlrev_b64 v[4:5], 3, v[20:21]
	v_mov_b32_e32 v2, s84
	v_add_co_u32_e64 v4, s[20:21], s33, v4
	v_addc_co_u32_e64 v5, s[20:21], v2, v5, s[20:21]
	global_load_dwordx2 v[4:5], v[4:5], off
.LBB75_217:                             ;   in Loop: Header=BB75_215 Depth=2
	s_or_b64 exec, exec, s[16:17]
	s_and_saveexec_b64 s[20:21], vcc
	s_cbranch_execz .LBB75_214
; %bb.218:                              ;   in Loop: Header=BB75_215 Depth=2
	s_waitcnt vmcnt(0)
	v_ashrrev_i32_e32 v2, 31, v5
	v_or_b32_e32 v8, 0x80000000, v2
	v_xor_b32_e32 v8, v8, v5
	v_xor_b32_e32 v2, v2, v4
	v_cmp_o_f64_e32 vcc, v[4:5], v[4:5]
	v_cndmask_b32_e32 v8, -1, v8, vcc
	v_cndmask_b32_e32 v2, -1, v2, vcc
	v_and_b32_e32 v9, v8, v15
	v_and_b32_e32 v8, v2, v14
	v_cmp_eq_u64_e32 vcc, v[8:9], v[12:13]
	s_and_b64 exec, exec, vcc
	s_cbranch_execz .LBB75_214
; %bb.219:                              ;   in Loop: Header=BB75_215 Depth=2
	v_mov_b32_e32 v2, v21
	ds_write_b128 v21, v[2:5] offset:3072
	s_branch .LBB75_214
.LBB75_220:                             ;   in Loop: Header=BB75_6 Depth=1
	s_or_b64 exec, exec, s[90:91]
	s_and_b64 s[8:9], s[8:9], exec
.LBB75_221:                             ;   in Loop: Header=BB75_6 Depth=1
	s_or_b64 exec, exec, s[62:63]
	s_mov_b64 s[16:17], -1
	s_mov_b64 s[20:21], 0
	s_mov_b64 s[90:91], 0
.LBB75_222:                             ;   in Loop: Header=BB75_6 Depth=1
	s_orn2_b64 s[8:9], s[8:9], exec
.LBB75_223:                             ;   in Loop: Header=BB75_6 Depth=1
	s_or_b64 exec, exec, s[88:89]
	s_mov_b64 vcc, 0
                                        ; implicit-def: $vgpr2
                                        ; implicit-def: $vgpr4
	s_and_saveexec_b64 s[88:89], s[8:9]
	s_cbranch_execz .LBB75_235
; %bb.224:                              ;   in Loop: Header=BB75_6 Depth=1
	v_readlane_b32 s8, v58, 1
	v_readlane_b32 s9, v58, 2
	s_xor_b64 s[62:63], s[8:9], -1
	v_mov_b32_e32 v2, 1
	s_waitcnt vmcnt(0)
	v_mov_b32_e32 v4, 1
	s_and_saveexec_b64 s[8:9], s[62:63]
	s_cbranch_execz .LBB75_234
; %bb.225:                              ;   in Loop: Header=BB75_6 Depth=1
	v_cmp_ge_u32_e32 vcc, s11, v30
                                        ; implicit-def: $sgpr62
                                        ; kill: killed $sgpr62
	s_and_saveexec_b64 s[62:63], vcc
	s_xor_b64 s[62:63], exec, s[62:63]
	s_cbranch_execz .LBB75_231
; %bb.226:                              ;   in Loop: Header=BB75_6 Depth=1
	ds_read_b32 v2, v21 offset:4096
	s_waitcnt lgkmcnt(0)
	v_cmp_ne_u32_e32 vcc, 0, v2
	s_cbranch_vccnz .LBB75_230
; %bb.227:                              ;   in Loop: Header=BB75_6 Depth=1
	v_writelane_b32 v58, s62, 5
	v_writelane_b32 v58, s63, 6
	s_mov_b64 vcc, exec
	v_readlane_b32 s62, v59, 24
	v_readlane_b32 s63, v59, 25
	s_and_b64 s[62:63], vcc, s[62:63]
	s_mov_b64 exec, s[62:63]
	s_cbranch_execz .LBB75_229
; %bb.228:                              ;   in Loop: Header=BB75_6 Depth=1
	v_mov_b32_e32 v2, s11
	ds_write_b32 v21, v2 offset:4100
.LBB75_229:                             ;   in Loop: Header=BB75_6 Depth=1
	s_or_b64 exec, exec, vcc
	v_readlane_b32 s62, v58, 5
	v_readlane_b32 s63, v58, 6
	s_waitcnt lgkmcnt(0)
	s_barrier
.LBB75_230:                             ;   in Loop: Header=BB75_6 Depth=1
	v_or_b32_e32 v13, s23, v13
	v_or_b32_e32 v12, s22, v12
	;; [unrolled: 1-line block ×4, first 2 shown]
	s_mov_b32 vcc_lo, 8
	v_writelane_b32 v58, vcc_lo, 7
.LBB75_231:                             ;   in Loop: Header=BB75_6 Depth=1
	s_or_saveexec_b64 vcc, s[62:63]
	v_readlane_b32 s62, v58, 7
	v_mov_b32_e32 v2, s62
	s_xor_b64 exec, exec, vcc
; %bb.232:                              ;   in Loop: Header=BB75_6 Depth=1
	v_subrev_u32_e32 v30, s11, v30
	v_mov_b32_e32 v2, 8
; %bb.233:                              ;   in Loop: Header=BB75_6 Depth=1
	s_or_b64 exec, exec, vcc
	v_mov_b32_e32 v4, v30
.LBB75_234:                             ;   in Loop: Header=BB75_6 Depth=1
	s_or_b64 exec, exec, s[8:9]
	s_mov_b64 vcc, exec
.LBB75_235:                             ;   in Loop: Header=BB75_6 Depth=1
	s_or_b64 exec, exec, s[88:89]
	s_orn2_b64 s[8:9], vcc, exec
	s_waitcnt vmcnt(0)
	v_mov_b32_e32 v30, v4
.LBB75_236:                             ;   in Loop: Header=BB75_6 Depth=1
	v_readlane_b32 s62, v59, 63
	v_readlane_b32 s63, v58, 0
	s_or_b64 exec, exec, s[62:63]
	s_andn2_b64 s[50:51], s[50:51], exec
	s_and_b64 s[20:21], s[20:21], exec
	s_or_b64 s[50:51], s[50:51], s[20:21]
	s_andn2_b64 s[20:21], s[54:55], exec
	s_and_b64 s[16:17], s[16:17], exec
	s_or_b64 s[54:55], s[20:21], s[16:17]
	;; [unrolled: 3-line block ×3, first 2 shown]
	s_and_b64 s[8:9], s[8:9], exec
	v_mov_b32_e32 v31, v30
.LBB75_237:                             ;   in Loop: Header=BB75_6 Depth=1
	s_or_b64 exec, exec, s[56:57]
	s_and_b64 s[50:51], s[50:51], exec
	s_and_b64 s[20:21], s[54:55], exec
	;; [unrolled: 1-line block ×3, first 2 shown]
	s_orn2_b64 s[8:9], s[8:9], exec
.LBB75_238:                             ;   in Loop: Header=BB75_6 Depth=1
	s_or_b64 exec, exec, s[48:49]
	s_andn2_b64 s[44:45], s[44:45], exec
	s_and_b64 s[20:21], s[20:21], exec
	s_andn2_b64 s[40:41], s[40:41], exec
	s_and_b64 s[48:49], s[50:51], exec
	s_or_b64 s[44:45], s[44:45], s[20:21]
	s_andn2_b64 s[20:21], s[42:43], exec
	s_and_b64 s[16:17], s[16:17], exec
	s_or_b64 s[40:41], s[40:41], s[48:49]
	s_or_b64 s[42:43], s[20:21], s[16:17]
	s_and_b64 s[8:9], s[8:9], exec
	v_mov_b32_e32 v30, v31
.LBB75_239:                             ;   in Loop: Header=BB75_6 Depth=1
	s_or_b64 exec, exec, s[46:47]
	s_and_b64 s[46:47], s[40:41], exec
	s_and_b64 s[40:41], s[44:45], exec
	;; [unrolled: 1-line block ×3, first 2 shown]
	s_orn2_b64 s[42:43], s[8:9], exec
.LBB75_240:                             ;   in Loop: Header=BB75_6 Depth=1
	s_or_b64 exec, exec, s[28:29]
	s_mov_b64 s[8:9], 0
	s_mov_b64 s[20:21], 0
	s_and_saveexec_b64 s[28:29], s[42:43]
	s_xor_b64 s[28:29], exec, s[28:29]
; %bb.241:                              ;   in Loop: Header=BB75_6 Depth=1
	v_cmp_eq_u32_e32 vcc, 8, v2
	v_cmp_ne_u32_e64 s[20:21], 8, v2
	s_andn2_b64 s[46:47], s[46:47], exec
	s_andn2_b64 s[40:41], s[40:41], exec
	;; [unrolled: 1-line block ×3, first 2 shown]
	s_and_b64 s[20:21], s[20:21], exec
	s_and_b64 s[8:9], vcc, exec
; %bb.242:                              ;   in Loop: Header=BB75_6 Depth=1
	s_or_b64 exec, exec, s[28:29]
	s_andn2_b64 s[26:27], s[26:27], exec
	s_and_b64 s[28:29], s[46:47], exec
	s_or_b64 s[26:27], s[26:27], s[28:29]
	s_andn2_b64 s[28:29], s[34:35], exec
	s_and_b64 s[34:35], s[40:41], exec
	s_or_b64 s[34:35], s[28:29], s[34:35]
	;; [unrolled: 3-line block ×3, first 2 shown]
	s_and_b64 s[20:21], s[20:21], exec
	s_and_b64 s[28:29], s[8:9], exec
.LBB75_243:                             ;   in Loop: Header=BB75_6 Depth=1
	s_or_b64 exec, exec, s[38:39]
	s_and_b64 vcc, exec, s[36:37]
	s_cbranch_vccz .LBB75_93
.LBB75_244:                             ;   in Loop: Header=BB75_6 Depth=1
	s_cmp_eq_u32 s11, 1
	s_cselect_b64 s[8:9], -1, 0
	s_and_b64 s[16:17], s[8:9], s[18:19]
	s_mov_b64 s[8:9], -1
                                        ; implicit-def: $sgpr36_sgpr37
                                        ; implicit-def: $sgpr38_sgpr39
                                        ; implicit-def: $sgpr26_sgpr27
	s_and_saveexec_b64 s[30:31], s[16:17]
	s_cbranch_execz .LBB75_270
; %bb.245:                              ;   in Loop: Header=BB75_6 Depth=1
	ds_read_b32 v2, v21 offset:4096
	s_waitcnt lgkmcnt(0)
	s_barrier
	v_readfirstlane_b32 s36, v2
	s_mov_b64 s[8:9], exec
	v_readlane_b32 s18, v59, 42
	v_readlane_b32 s19, v59, 43
	s_and_b64 s[18:19], s[8:9], s[18:19]
	s_mov_b64 exec, s[18:19]
	s_cbranch_execz .LBB75_247
; %bb.246:                              ;   in Loop: Header=BB75_6 Depth=1
	v_mov_b32_e32 v20, v21
	ds_write_b64 v37, v[20:21]
.LBB75_247:                             ;   in Loop: Header=BB75_6 Depth=1
	s_or_b64 exec, exec, s[8:9]
	v_or_b32_e32 v27, s23, v27
	v_or_b32_e32 v26, s22, v26
	;; [unrolled: 1-line block ×4, first 2 shown]
	s_cmp_eq_u32 s36, 0
	s_waitcnt lgkmcnt(0)
	s_barrier
	s_cbranch_scc1 .LBB75_256
; %bb.248:                              ;   in Loop: Header=BB75_6 Depth=1
	v_readlane_b32 s8, v59, 35
	s_add_i32 s8, s36, s8
	v_readlane_b32 s9, v59, 57
	s_mul_hi_u32 s9, s8, s9
	s_mul_i32 s9, s9, s85
	s_sub_i32 s9, s8, s9
	s_sub_i32 s18, s9, s85
	s_cmp_ge_u32 s9, s85
	s_cselect_b32 s9, s18, s9
	s_sub_i32 s18, s9, s85
	s_cmp_ge_u32 s9, s85
	s_cselect_b32 s9, s18, s9
	s_sub_i32 s37, s8, s9
	v_cmp_gt_u32_e32 vcc, s37, v0
	s_mov_b64 s[8:9], 0
                                        ; implicit-def: $vgpr6_vgpr7
	s_and_saveexec_b64 s[26:27], vcc
	s_cbranch_execz .LBB75_258
; %bb.249:                              ;   in Loop: Header=BB75_6 Depth=1
	s_mov_b64 s[34:35], 0
	v_mov_b32_e32 v8, v36
	v_mov_b32_e32 v9, v0
                                        ; implicit-def: $sgpr8_sgpr9
	s_branch .LBB75_251
.LBB75_250:                             ;   in Loop: Header=BB75_251 Depth=2
	s_or_b64 exec, exec, s[18:19]
	s_waitcnt lgkmcnt(0)
	s_barrier
	ds_read_b128 v[4:7], v21 offset:3072
	v_add_u32_e32 v9, s85, v9
	v_cmp_le_u32_e64 s[18:19], s37, v9
	v_add_u32_e32 v8, s80, v8
	s_waitcnt lgkmcnt(0)
	v_cmp_neq_f64_e32 vcc, 0, v[4:5]
	s_or_b64 s[18:19], s[18:19], vcc
	s_and_b64 s[18:19], exec, s[18:19]
	s_or_b64 s[34:35], s[18:19], s[34:35]
	s_andn2_b64 s[8:9], s[8:9], exec
	s_and_b64 s[18:19], vcc, exec
	s_or_b64 s[8:9], s[8:9], s[18:19]
	s_barrier
	s_andn2_b64 exec, exec, s[34:35]
	s_cbranch_execz .LBB75_257
.LBB75_251:                             ;   Parent Loop BB75_6 Depth=1
                                        ; =>  This Inner Loop Header: Depth=2
	v_cmp_gt_u32_e32 vcc, s36, v9
	s_waitcnt vmcnt(0)
	v_pk_mov_b32 v[4:5], 0, 0
	s_and_saveexec_b64 s[18:19], vcc
	s_cbranch_execz .LBB75_253
; %bb.252:                              ;   in Loop: Header=BB75_251 Depth=2
	ds_read_b64 v[4:5], v8
.LBB75_253:                             ;   in Loop: Header=BB75_251 Depth=2
	s_or_b64 exec, exec, s[18:19]
	s_and_saveexec_b64 s[18:19], vcc
	s_cbranch_execz .LBB75_250
; %bb.254:                              ;   in Loop: Header=BB75_251 Depth=2
	s_waitcnt lgkmcnt(0)
	v_ashrrev_i32_e32 v2, 31, v5
	v_or_b32_e32 v6, 0x80000000, v2
	v_xor_b32_e32 v6, v6, v5
	v_xor_b32_e32 v2, v2, v4
	v_cmp_o_f64_e32 vcc, v[4:5], v[4:5]
	v_cndmask_b32_e32 v6, -1, v6, vcc
	v_cndmask_b32_e32 v2, -1, v2, vcc
	v_and_b32_e32 v7, v6, v29
	v_and_b32_e32 v6, v2, v28
	v_cmp_eq_u64_e32 vcc, v[6:7], v[26:27]
	s_and_b64 exec, exec, vcc
	s_cbranch_execz .LBB75_250
; %bb.255:                              ;   in Loop: Header=BB75_251 Depth=2
	v_mov_b32_e32 v2, v21
	ds_write_b128 v21, v[2:5] offset:3072
	s_branch .LBB75_250
.LBB75_256:                             ;   in Loop: Header=BB75_6 Depth=1
	s_mov_b64 s[36:37], -1
	s_mov_b64 s[8:9], 0
                                        ; implicit-def: $sgpr38_sgpr39
                                        ; implicit-def: $vgpr6_vgpr7
	s_mov_b64 s[26:27], s[36:37]
	s_cbranch_execnz .LBB75_259
	s_branch .LBB75_269
.LBB75_257:                             ;   in Loop: Header=BB75_6 Depth=1
	s_or_b64 exec, exec, s[34:35]
	s_and_b64 s[8:9], s[8:9], exec
.LBB75_258:                             ;   in Loop: Header=BB75_6 Depth=1
	s_or_b64 exec, exec, s[26:27]
	s_mov_b64 s[36:37], 0
	s_mov_b64 s[38:39], -1
	s_mov_b64 s[26:27], s[36:37]
	s_branch .LBB75_269
.LBB75_259:                             ;   in Loop: Header=BB75_6 Depth=1
	s_mov_b64 s[8:9], 0
                                        ; implicit-def: $vgpr6_vgpr7
	s_mov_b64 s[26:27], exec
	v_readlane_b32 s18, v59, 58
	v_readlane_b32 s19, v59, 59
	s_and_b64 s[18:19], s[26:27], s[18:19]
	s_mov_b64 exec, s[18:19]
	s_cbranch_execz .LBB75_268
; %bb.260:                              ;   in Loop: Header=BB75_6 Depth=1
	s_mov_b64 s[34:35], 0
	v_mov_b32_e32 v20, v22
	v_mov_b32_e32 v8, v0
                                        ; implicit-def: $sgpr8_sgpr9
	s_branch .LBB75_262
.LBB75_261:                             ;   in Loop: Header=BB75_262 Depth=2
	s_or_b64 exec, exec, s[18:19]
	s_waitcnt lgkmcnt(0)
	s_barrier
	s_waitcnt vmcnt(0)
	ds_read_b128 v[4:7], v21 offset:3072
	v_add_u32_e32 v8, s85, v8
	v_cmp_le_u32_e64 s[18:19], s6, v8
	v_add_u32_e32 v20, s86, v20
	s_waitcnt lgkmcnt(0)
	v_cmp_neq_f64_e32 vcc, 0, v[4:5]
	s_or_b64 s[18:19], s[18:19], vcc
	s_and_b64 s[18:19], exec, s[18:19]
	s_or_b64 s[34:35], s[18:19], s[34:35]
	s_andn2_b64 s[8:9], s[8:9], exec
	s_and_b64 s[18:19], vcc, exec
	s_or_b64 s[8:9], s[8:9], s[18:19]
	s_barrier
	s_andn2_b64 exec, exec, s[34:35]
	s_cbranch_execz .LBB75_267
.LBB75_262:                             ;   Parent Loop BB75_6 Depth=1
                                        ; =>  This Inner Loop Header: Depth=2
	v_cmp_gt_u32_e32 vcc, s60, v8
	s_waitcnt vmcnt(0)
	v_pk_mov_b32 v[4:5], 0, 0
	s_and_saveexec_b64 s[36:37], vcc
	s_cbranch_execz .LBB75_264
; %bb.263:                              ;   in Loop: Header=BB75_262 Depth=2
	v_lshlrev_b64 v[4:5], 3, v[20:21]
	v_mov_b32_e32 v2, s84
	v_add_co_u32_e64 v4, s[18:19], s33, v4
	v_addc_co_u32_e64 v5, s[18:19], v2, v5, s[18:19]
	global_load_dwordx2 v[4:5], v[4:5], off
.LBB75_264:                             ;   in Loop: Header=BB75_262 Depth=2
	s_or_b64 exec, exec, s[36:37]
	s_and_saveexec_b64 s[18:19], vcc
	s_cbranch_execz .LBB75_261
; %bb.265:                              ;   in Loop: Header=BB75_262 Depth=2
	s_waitcnt vmcnt(0)
	v_ashrrev_i32_e32 v2, 31, v5
	v_or_b32_e32 v6, 0x80000000, v2
	v_xor_b32_e32 v6, v6, v5
	v_xor_b32_e32 v2, v2, v4
	v_cmp_o_f64_e32 vcc, v[4:5], v[4:5]
	v_cndmask_b32_e32 v6, -1, v6, vcc
	v_cndmask_b32_e32 v2, -1, v2, vcc
	v_and_b32_e32 v7, v6, v29
	v_and_b32_e32 v6, v2, v28
	v_cmp_eq_u64_e32 vcc, v[6:7], v[26:27]
	s_and_b64 exec, exec, vcc
	s_cbranch_execz .LBB75_261
; %bb.266:                              ;   in Loop: Header=BB75_262 Depth=2
	v_mov_b32_e32 v2, v21
	ds_write_b128 v21, v[2:5] offset:3072
	s_branch .LBB75_261
.LBB75_267:                             ;   in Loop: Header=BB75_6 Depth=1
	s_or_b64 exec, exec, s[34:35]
	s_and_b64 s[8:9], s[8:9], exec
.LBB75_268:                             ;   in Loop: Header=BB75_6 Depth=1
	s_or_b64 exec, exec, s[26:27]
	s_mov_b64 s[38:39], 0
	s_mov_b64 s[36:37], -1
	s_mov_b64 s[26:27], 0
.LBB75_269:                             ;   in Loop: Header=BB75_6 Depth=1
	s_orn2_b64 s[8:9], s[8:9], exec
.LBB75_270:                             ;   in Loop: Header=BB75_6 Depth=1
	s_or_b64 exec, exec, s[30:31]
                                        ; implicit-def: $vgpr2
                                        ; implicit-def: $vgpr30
                                        ; implicit-def: $vgpr12_vgpr13
                                        ; implicit-def: $vgpr14_vgpr15
                                        ; implicit-def: $vgpr10_vgpr11
	s_and_saveexec_b64 s[30:31], s[8:9]
	s_cbranch_execz .LBB75_405
; %bb.271:                              ;   in Loop: Header=BB75_6 Depth=1
	s_xor_b64 s[18:19], s[16:17], -1
	s_mov_b64 s[8:9], 0
	v_mov_b32_e32 v30, 1
	v_mov_b32_e32 v2, 1
	s_and_saveexec_b64 s[16:17], s[18:19]
	s_cbranch_execz .LBB75_281
; %bb.272:                              ;   in Loop: Header=BB75_6 Depth=1
	v_cmp_ge_u32_e32 vcc, s11, v47
                                        ; implicit-def: $sgpr34
                                        ; implicit-def: $sgpr8_sgpr9
	s_and_saveexec_b64 s[18:19], vcc
	s_xor_b64 s[18:19], exec, s[18:19]
	s_cbranch_execz .LBB75_278
; %bb.273:                              ;   in Loop: Header=BB75_6 Depth=1
	ds_read_b32 v2, v21 offset:4096
	s_waitcnt lgkmcnt(0)
	v_cmp_ne_u32_e32 vcc, 0, v2
	s_cbranch_vccnz .LBB75_277
; %bb.274:                              ;   in Loop: Header=BB75_6 Depth=1
	s_mov_b64 s[8:9], exec
	v_readlane_b32 s34, v59, 24
	v_readlane_b32 s35, v59, 25
	s_and_b64 s[34:35], s[8:9], s[34:35]
	s_mov_b64 exec, s[34:35]
	s_cbranch_execz .LBB75_276
; %bb.275:                              ;   in Loop: Header=BB75_6 Depth=1
	v_mov_b32_e32 v2, s11
	ds_write_b32 v21, v2 offset:4100
.LBB75_276:                             ;   in Loop: Header=BB75_6 Depth=1
	s_or_b64 exec, exec, s[8:9]
	s_waitcnt lgkmcnt(0)
	s_barrier
.LBB75_277:                             ;   in Loop: Header=BB75_6 Depth=1
	v_or_b32_e32 v27, s23, v27
	v_or_b32_e32 v26, s22, v26
	;; [unrolled: 1-line block ×4, first 2 shown]
	s_mov_b64 s[8:9], 0
	s_mov_b32 s34, 5
.LBB75_278:                             ;   in Loop: Header=BB75_6 Depth=1
	s_or_saveexec_b64 s[18:19], s[18:19]
	v_mov_b32_e32 v2, s34
	s_xor_b64 exec, exec, s[18:19]
; %bb.279:                              ;   in Loop: Header=BB75_6 Depth=1
	v_subrev_u32_e32 v47, s11, v47
	v_mov_b32_e32 v2, 0
	s_or_b64 s[8:9], s[8:9], exec
; %bb.280:                              ;   in Loop: Header=BB75_6 Depth=1
	s_or_b64 exec, exec, s[18:19]
	s_and_b64 s[8:9], s[8:9], exec
	v_mov_b32_e32 v30, v47
.LBB75_281:                             ;   in Loop: Header=BB75_6 Depth=1
	s_or_b64 exec, exec, s[16:17]
	s_mov_b64 s[42:43], -1
                                        ; implicit-def: $sgpr16_sgpr17
                                        ; implicit-def: $sgpr40_sgpr41
                                        ; implicit-def: $sgpr46_sgpr47
	s_and_saveexec_b64 s[18:19], s[8:9]
	s_xor_b64 s[34:35], exec, s[18:19]
	s_cbranch_execz .LBB75_402
; %bb.282:                              ;   in Loop: Header=BB75_6 Depth=1
	s_cmp_eq_u32 s10, 1
	s_cselect_b64 s[8:9], -1, 0
	v_cmp_eq_u32_e32 vcc, 1, v30
	s_and_b64 s[16:17], s[8:9], vcc
	s_mov_b64 s[18:19], -1
                                        ; implicit-def: $sgpr40_sgpr41
                                        ; implicit-def: $sgpr42_sgpr43
                                        ; implicit-def: $sgpr44_sgpr45
	s_and_saveexec_b64 s[46:47], s[16:17]
	s_cbranch_execz .LBB75_308
; %bb.283:                              ;   in Loop: Header=BB75_6 Depth=1
	ds_read_b32 v2, v21 offset:4096
	s_waitcnt lgkmcnt(0)
	s_barrier
	v_readfirstlane_b32 s11, v2
	s_mov_b64 s[8:9], exec
	v_readlane_b32 s18, v59, 42
	v_readlane_b32 s19, v59, 43
	s_and_b64 s[18:19], s[8:9], s[18:19]
	s_mov_b64 exec, s[18:19]
	s_cbranch_execz .LBB75_285
; %bb.284:                              ;   in Loop: Header=BB75_6 Depth=1
	v_mov_b32_e32 v20, v21
	ds_write_b64 v37, v[20:21]
.LBB75_285:                             ;   in Loop: Header=BB75_6 Depth=1
	s_or_b64 exec, exec, s[8:9]
	s_lshl_b64 s[8:9], 2, s59
	v_and_b32_e32 v2, s25, v27
	s_waitcnt vmcnt(0)
	v_and_b32_e32 v4, s24, v26
	v_or_b32_e32 v27, s9, v2
	v_or_b32_e32 v26, s8, v4
	;; [unrolled: 1-line block ×4, first 2 shown]
	s_cmp_eq_u32 s11, 0
	s_waitcnt lgkmcnt(0)
	s_barrier
	s_cbranch_scc1 .LBB75_294
; %bb.286:                              ;   in Loop: Header=BB75_6 Depth=1
	v_readlane_b32 s8, v59, 35
	s_add_i32 s8, s11, s8
	v_readlane_b32 s9, v59, 57
	s_mul_hi_u32 s9, s8, s9
	s_mul_i32 s9, s9, s85
	s_sub_i32 s9, s8, s9
	s_sub_i32 s18, s9, s85
	s_cmp_ge_u32 s9, s85
	s_cselect_b32 s9, s18, s9
	s_sub_i32 s18, s9, s85
	s_cmp_ge_u32 s9, s85
	s_cselect_b32 s9, s18, s9
	s_sub_i32 s44, s8, s9
	v_cmp_gt_u32_e32 vcc, s44, v0
	s_mov_b64 s[8:9], 0
                                        ; implicit-def: $vgpr6_vgpr7
	s_and_saveexec_b64 s[40:41], vcc
	s_cbranch_execz .LBB75_296
; %bb.287:                              ;   in Loop: Header=BB75_6 Depth=1
	s_mov_b64 s[42:43], 0
	v_mov_b32_e32 v8, v36
	v_mov_b32_e32 v9, v0
                                        ; implicit-def: $sgpr8_sgpr9
	s_branch .LBB75_289
.LBB75_288:                             ;   in Loop: Header=BB75_289 Depth=2
	s_or_b64 exec, exec, s[18:19]
	s_waitcnt lgkmcnt(0)
	s_barrier
	ds_read_b128 v[4:7], v21 offset:3072
	v_add_u32_e32 v9, s85, v9
	v_cmp_le_u32_e64 s[18:19], s44, v9
	v_add_u32_e32 v8, s80, v8
	s_waitcnt lgkmcnt(0)
	v_cmp_neq_f64_e32 vcc, 0, v[4:5]
	s_or_b64 s[18:19], s[18:19], vcc
	s_and_b64 s[18:19], exec, s[18:19]
	s_or_b64 s[42:43], s[18:19], s[42:43]
	s_andn2_b64 s[8:9], s[8:9], exec
	s_and_b64 s[18:19], vcc, exec
	s_or_b64 s[8:9], s[8:9], s[18:19]
	s_barrier
	s_andn2_b64 exec, exec, s[42:43]
	s_cbranch_execz .LBB75_295
.LBB75_289:                             ;   Parent Loop BB75_6 Depth=1
                                        ; =>  This Inner Loop Header: Depth=2
	v_cmp_gt_u32_e32 vcc, s11, v9
	v_pk_mov_b32 v[4:5], 0, 0
	s_and_saveexec_b64 s[18:19], vcc
	s_cbranch_execz .LBB75_291
; %bb.290:                              ;   in Loop: Header=BB75_289 Depth=2
	ds_read_b64 v[4:5], v8
.LBB75_291:                             ;   in Loop: Header=BB75_289 Depth=2
	s_or_b64 exec, exec, s[18:19]
	s_and_saveexec_b64 s[18:19], vcc
	s_cbranch_execz .LBB75_288
; %bb.292:                              ;   in Loop: Header=BB75_289 Depth=2
	s_waitcnt lgkmcnt(0)
	v_ashrrev_i32_e32 v2, 31, v5
	v_or_b32_e32 v6, 0x80000000, v2
	v_xor_b32_e32 v6, v6, v5
	v_xor_b32_e32 v2, v2, v4
	v_cmp_o_f64_e32 vcc, v[4:5], v[4:5]
	v_cndmask_b32_e32 v6, -1, v6, vcc
	v_cndmask_b32_e32 v2, -1, v2, vcc
	v_and_b32_e32 v7, v6, v29
	v_and_b32_e32 v6, v2, v28
	v_cmp_eq_u64_e32 vcc, v[6:7], v[26:27]
	s_and_b64 exec, exec, vcc
	s_cbranch_execz .LBB75_288
; %bb.293:                              ;   in Loop: Header=BB75_289 Depth=2
	v_mov_b32_e32 v2, v21
	ds_write_b128 v21, v[2:5] offset:3072
	s_branch .LBB75_288
.LBB75_294:                             ;   in Loop: Header=BB75_6 Depth=1
	s_mov_b64 s[40:41], -1
	s_mov_b64 s[8:9], 0
                                        ; implicit-def: $sgpr42_sgpr43
                                        ; implicit-def: $vgpr6_vgpr7
	s_mov_b64 s[44:45], s[40:41]
	s_cbranch_execnz .LBB75_297
	s_branch .LBB75_307
.LBB75_295:                             ;   in Loop: Header=BB75_6 Depth=1
	s_or_b64 exec, exec, s[42:43]
	s_and_b64 s[8:9], s[8:9], exec
.LBB75_296:                             ;   in Loop: Header=BB75_6 Depth=1
	s_or_b64 exec, exec, s[40:41]
	s_mov_b64 s[40:41], 0
	s_mov_b64 s[42:43], -1
	s_mov_b64 s[44:45], s[40:41]
	s_branch .LBB75_307
.LBB75_297:                             ;   in Loop: Header=BB75_6 Depth=1
	s_mov_b64 s[8:9], 0
                                        ; implicit-def: $vgpr6_vgpr7
	s_mov_b64 s[40:41], exec
	v_readlane_b32 s18, v59, 58
	v_readlane_b32 s19, v59, 59
	s_and_b64 s[18:19], s[40:41], s[18:19]
	s_mov_b64 exec, s[18:19]
	s_cbranch_execz .LBB75_306
; %bb.298:                              ;   in Loop: Header=BB75_6 Depth=1
	s_mov_b64 s[42:43], 0
	v_mov_b32_e32 v20, v22
	v_mov_b32_e32 v8, v0
                                        ; implicit-def: $sgpr8_sgpr9
	s_branch .LBB75_300
.LBB75_299:                             ;   in Loop: Header=BB75_300 Depth=2
	s_or_b64 exec, exec, s[18:19]
	s_waitcnt lgkmcnt(0)
	s_barrier
	s_waitcnt vmcnt(0)
	ds_read_b128 v[4:7], v21 offset:3072
	v_add_u32_e32 v8, s85, v8
	v_cmp_le_u32_e64 s[18:19], s6, v8
	v_add_u32_e32 v20, s86, v20
	s_waitcnt lgkmcnt(0)
	v_cmp_neq_f64_e32 vcc, 0, v[4:5]
	s_or_b64 s[18:19], s[18:19], vcc
	s_and_b64 s[18:19], exec, s[18:19]
	s_or_b64 s[42:43], s[18:19], s[42:43]
	s_andn2_b64 s[8:9], s[8:9], exec
	s_and_b64 s[18:19], vcc, exec
	s_or_b64 s[8:9], s[8:9], s[18:19]
	s_barrier
	s_andn2_b64 exec, exec, s[42:43]
	s_cbranch_execz .LBB75_305
.LBB75_300:                             ;   Parent Loop BB75_6 Depth=1
                                        ; =>  This Inner Loop Header: Depth=2
	v_cmp_gt_u32_e32 vcc, s60, v8
	v_pk_mov_b32 v[4:5], 0, 0
	s_and_saveexec_b64 s[44:45], vcc
	s_cbranch_execz .LBB75_302
; %bb.301:                              ;   in Loop: Header=BB75_300 Depth=2
	v_lshlrev_b64 v[4:5], 3, v[20:21]
	v_mov_b32_e32 v2, s84
	v_add_co_u32_e64 v4, s[18:19], s33, v4
	v_addc_co_u32_e64 v5, s[18:19], v2, v5, s[18:19]
	global_load_dwordx2 v[4:5], v[4:5], off
.LBB75_302:                             ;   in Loop: Header=BB75_300 Depth=2
	s_or_b64 exec, exec, s[44:45]
	s_and_saveexec_b64 s[18:19], vcc
	s_cbranch_execz .LBB75_299
; %bb.303:                              ;   in Loop: Header=BB75_300 Depth=2
	s_waitcnt vmcnt(0)
	v_ashrrev_i32_e32 v2, 31, v5
	v_or_b32_e32 v6, 0x80000000, v2
	v_xor_b32_e32 v6, v6, v5
	v_xor_b32_e32 v2, v2, v4
	v_cmp_o_f64_e32 vcc, v[4:5], v[4:5]
	v_cndmask_b32_e32 v6, -1, v6, vcc
	v_cndmask_b32_e32 v2, -1, v2, vcc
	v_and_b32_e32 v7, v6, v29
	v_and_b32_e32 v6, v2, v28
	v_cmp_eq_u64_e32 vcc, v[6:7], v[26:27]
	s_and_b64 exec, exec, vcc
	s_cbranch_execz .LBB75_299
; %bb.304:                              ;   in Loop: Header=BB75_300 Depth=2
	v_mov_b32_e32 v2, v21
	ds_write_b128 v21, v[2:5] offset:3072
	s_branch .LBB75_299
.LBB75_305:                             ;   in Loop: Header=BB75_6 Depth=1
	s_or_b64 exec, exec, s[42:43]
	s_and_b64 s[8:9], s[8:9], exec
.LBB75_306:                             ;   in Loop: Header=BB75_6 Depth=1
	s_or_b64 exec, exec, s[40:41]
	s_mov_b64 s[42:43], 0
	s_mov_b64 s[40:41], -1
	s_mov_b64 s[44:45], 0
.LBB75_307:                             ;   in Loop: Header=BB75_6 Depth=1
	s_orn2_b64 s[18:19], s[8:9], exec
.LBB75_308:                             ;   in Loop: Header=BB75_6 Depth=1
	s_or_b64 exec, exec, s[46:47]
	s_mov_b64 s[8:9], 0
                                        ; implicit-def: $vgpr2
	s_and_saveexec_b64 s[46:47], s[18:19]
	s_cbranch_execz .LBB75_401
; %bb.309:                              ;   in Loop: Header=BB75_6 Depth=1
	s_xor_b64 s[8:9], s[16:17], -1
	s_mov_b64 s[52:53], 0
	v_mov_b32_e32 v8, 1
	v_mov_b32_e32 v2, 1
	s_and_saveexec_b64 s[16:17], s[8:9]
	s_cbranch_execz .LBB75_319
; %bb.310:                              ;   in Loop: Header=BB75_6 Depth=1
	v_cmp_ge_u32_e32 vcc, s10, v30
                                        ; implicit-def: $sgpr11
                                        ; implicit-def: $sgpr8_sgpr9
	s_and_saveexec_b64 s[18:19], vcc
	s_xor_b64 s[18:19], exec, s[18:19]
	s_cbranch_execz .LBB75_316
; %bb.311:                              ;   in Loop: Header=BB75_6 Depth=1
	ds_read_b32 v2, v21 offset:4096
	s_waitcnt lgkmcnt(0)
	v_cmp_ne_u32_e32 vcc, 0, v2
	s_cbranch_vccnz .LBB75_315
; %bb.312:                              ;   in Loop: Header=BB75_6 Depth=1
	s_mov_b64 s[8:9], exec
	v_readlane_b32 s48, v59, 24
	v_readlane_b32 s49, v59, 25
	s_and_b64 s[48:49], s[8:9], s[48:49]
	s_mov_b64 exec, s[48:49]
	s_cbranch_execz .LBB75_314
; %bb.313:                              ;   in Loop: Header=BB75_6 Depth=1
	v_mov_b32_e32 v2, s10
	ds_write_b32 v21, v2 offset:4100
.LBB75_314:                             ;   in Loop: Header=BB75_6 Depth=1
	s_or_b64 exec, exec, s[8:9]
	s_waitcnt lgkmcnt(0)
	s_barrier
.LBB75_315:                             ;   in Loop: Header=BB75_6 Depth=1
	s_lshl_b64 s[8:9], 2, s59
	v_and_b32_e32 v2, s25, v27
	s_waitcnt vmcnt(0)
	v_and_b32_e32 v4, s24, v26
	v_or_b32_e32 v27, s9, v2
	v_or_b32_e32 v26, s8, v4
	;; [unrolled: 1-line block ×4, first 2 shown]
	s_mov_b64 s[8:9], 0
	s_mov_b32 s11, 5
.LBB75_316:                             ;   in Loop: Header=BB75_6 Depth=1
	s_or_saveexec_b64 s[18:19], s[18:19]
	v_mov_b32_e32 v2, s11
	s_xor_b64 exec, exec, s[18:19]
; %bb.317:                              ;   in Loop: Header=BB75_6 Depth=1
	v_subrev_u32_e32 v30, s10, v30
	v_mov_b32_e32 v2, 0
	s_or_b64 s[8:9], s[8:9], exec
; %bb.318:                              ;   in Loop: Header=BB75_6 Depth=1
	s_or_b64 exec, exec, s[18:19]
	s_and_b64 s[52:53], s[8:9], exec
	v_mov_b32_e32 v8, v30
.LBB75_319:                             ;   in Loop: Header=BB75_6 Depth=1
	s_or_b64 exec, exec, s[16:17]
	s_mov_b64 s[8:9], -1
                                        ; implicit-def: $sgpr16_sgpr17
                                        ; implicit-def: $sgpr18_sgpr19
                                        ; implicit-def: $sgpr50_sgpr51
	s_and_saveexec_b64 s[48:49], s[52:53]
	s_cbranch_execz .LBB75_400
; %bb.320:                              ;   in Loop: Header=BB75_6 Depth=1
	s_cmp_eq_u32 s58, 1
	s_cselect_b64 s[8:9], -1, 0
	v_cmp_eq_u32_e32 vcc, 1, v8
	s_and_b64 s[16:17], s[8:9], vcc
	s_mov_b64 s[18:19], -1
                                        ; implicit-def: $sgpr50_sgpr51
                                        ; implicit-def: $sgpr52_sgpr53
                                        ; implicit-def: $sgpr54_sgpr55
	s_and_saveexec_b64 s[56:57], s[16:17]
	s_cbranch_execz .LBB75_346
; %bb.321:                              ;   in Loop: Header=BB75_6 Depth=1
	ds_read_b32 v2, v21 offset:4096
	s_waitcnt lgkmcnt(0)
	s_barrier
	v_readfirstlane_b32 s10, v2
	s_mov_b64 s[8:9], exec
	v_readlane_b32 s18, v59, 42
	v_readlane_b32 s19, v59, 43
	s_and_b64 s[18:19], s[8:9], s[18:19]
	s_mov_b64 exec, s[18:19]
	s_cbranch_execz .LBB75_323
; %bb.322:                              ;   in Loop: Header=BB75_6 Depth=1
	v_mov_b32_e32 v20, v21
	ds_write_b64 v37, v[20:21]
.LBB75_323:                             ;   in Loop: Header=BB75_6 Depth=1
	s_or_b64 exec, exec, s[8:9]
	s_lshl_b64 s[8:9], 1, s59
	v_and_b32_e32 v2, s25, v27
	s_waitcnt vmcnt(0)
	v_and_b32_e32 v4, s24, v26
	v_or_b32_e32 v27, s9, v2
	v_or_b32_e32 v26, s8, v4
	;; [unrolled: 1-line block ×4, first 2 shown]
	s_cmp_eq_u32 s10, 0
	s_waitcnt lgkmcnt(0)
	s_barrier
	s_cbranch_scc1 .LBB75_332
; %bb.324:                              ;   in Loop: Header=BB75_6 Depth=1
	v_readlane_b32 s8, v59, 35
	s_add_i32 s8, s10, s8
	v_readlane_b32 s9, v59, 57
	s_mul_hi_u32 s9, s8, s9
	s_mul_i32 s9, s9, s85
	s_sub_i32 s9, s8, s9
	s_sub_i32 s11, s9, s85
	s_cmp_ge_u32 s9, s85
	s_cselect_b32 s9, s11, s9
	s_sub_i32 s11, s9, s85
	s_cmp_ge_u32 s9, s85
	s_cselect_b32 s9, s11, s9
	s_sub_i32 s11, s8, s9
	v_cmp_gt_u32_e32 vcc, s11, v0
	s_mov_b64 s[8:9], 0
                                        ; implicit-def: $vgpr6_vgpr7
	s_and_saveexec_b64 s[50:51], vcc
	s_cbranch_execz .LBB75_334
; %bb.325:                              ;   in Loop: Header=BB75_6 Depth=1
	s_mov_b64 s[52:53], 0
	v_mov_b32_e32 v9, v36
	v_mov_b32_e32 v10, v0
                                        ; implicit-def: $sgpr8_sgpr9
	s_branch .LBB75_327
.LBB75_326:                             ;   in Loop: Header=BB75_327 Depth=2
	s_or_b64 exec, exec, s[18:19]
	s_waitcnt lgkmcnt(0)
	s_barrier
	ds_read_b128 v[4:7], v21 offset:3072
	v_add_u32_e32 v10, s85, v10
	v_cmp_le_u32_e64 s[18:19], s11, v10
	v_add_u32_e32 v9, s80, v9
	s_waitcnt lgkmcnt(0)
	v_cmp_neq_f64_e32 vcc, 0, v[4:5]
	s_or_b64 s[18:19], s[18:19], vcc
	s_and_b64 s[18:19], exec, s[18:19]
	s_or_b64 s[52:53], s[18:19], s[52:53]
	s_andn2_b64 s[8:9], s[8:9], exec
	s_and_b64 s[18:19], vcc, exec
	s_or_b64 s[8:9], s[8:9], s[18:19]
	s_barrier
	s_andn2_b64 exec, exec, s[52:53]
	s_cbranch_execz .LBB75_333
.LBB75_327:                             ;   Parent Loop BB75_6 Depth=1
                                        ; =>  This Inner Loop Header: Depth=2
	v_cmp_gt_u32_e32 vcc, s10, v10
	v_pk_mov_b32 v[4:5], 0, 0
	s_and_saveexec_b64 s[18:19], vcc
	s_cbranch_execz .LBB75_329
; %bb.328:                              ;   in Loop: Header=BB75_327 Depth=2
	ds_read_b64 v[4:5], v9
.LBB75_329:                             ;   in Loop: Header=BB75_327 Depth=2
	s_or_b64 exec, exec, s[18:19]
	s_and_saveexec_b64 s[18:19], vcc
	s_cbranch_execz .LBB75_326
; %bb.330:                              ;   in Loop: Header=BB75_327 Depth=2
	s_waitcnt lgkmcnt(0)
	v_ashrrev_i32_e32 v2, 31, v5
	v_or_b32_e32 v6, 0x80000000, v2
	v_xor_b32_e32 v6, v6, v5
	v_xor_b32_e32 v2, v2, v4
	v_cmp_o_f64_e32 vcc, v[4:5], v[4:5]
	v_cndmask_b32_e32 v6, -1, v6, vcc
	v_cndmask_b32_e32 v2, -1, v2, vcc
	v_and_b32_e32 v7, v6, v29
	v_and_b32_e32 v6, v2, v28
	v_cmp_eq_u64_e32 vcc, v[6:7], v[26:27]
	s_and_b64 exec, exec, vcc
	s_cbranch_execz .LBB75_326
; %bb.331:                              ;   in Loop: Header=BB75_327 Depth=2
	v_mov_b32_e32 v2, v21
	ds_write_b128 v21, v[2:5] offset:3072
	s_branch .LBB75_326
.LBB75_332:                             ;   in Loop: Header=BB75_6 Depth=1
	s_mov_b64 s[50:51], -1
	s_mov_b64 s[8:9], 0
                                        ; implicit-def: $sgpr52_sgpr53
                                        ; implicit-def: $vgpr6_vgpr7
	s_mov_b64 s[54:55], s[50:51]
	s_cbranch_execnz .LBB75_335
	s_branch .LBB75_345
.LBB75_333:                             ;   in Loop: Header=BB75_6 Depth=1
	s_or_b64 exec, exec, s[52:53]
	s_and_b64 s[8:9], s[8:9], exec
.LBB75_334:                             ;   in Loop: Header=BB75_6 Depth=1
	s_or_b64 exec, exec, s[50:51]
	s_mov_b64 s[50:51], 0
	s_mov_b64 s[52:53], -1
	s_mov_b64 s[54:55], s[50:51]
	s_branch .LBB75_345
.LBB75_335:                             ;   in Loop: Header=BB75_6 Depth=1
	s_mov_b64 s[8:9], 0
                                        ; implicit-def: $vgpr6_vgpr7
	s_mov_b64 s[50:51], exec
	v_readlane_b32 s10, v59, 58
	v_readlane_b32 s11, v59, 59
	s_and_b64 s[10:11], s[50:51], s[10:11]
	s_mov_b64 exec, s[10:11]
	s_cbranch_execz .LBB75_344
; %bb.336:                              ;   in Loop: Header=BB75_6 Depth=1
	s_mov_b64 s[52:53], 0
	v_mov_b32_e32 v20, v22
	v_mov_b32_e32 v9, v0
                                        ; implicit-def: $sgpr8_sgpr9
	s_branch .LBB75_338
.LBB75_337:                             ;   in Loop: Header=BB75_338 Depth=2
	s_or_b64 exec, exec, s[18:19]
	s_waitcnt lgkmcnt(0)
	s_barrier
	s_waitcnt vmcnt(0)
	ds_read_b128 v[4:7], v21 offset:3072
	v_add_u32_e32 v9, s85, v9
	v_cmp_le_u32_e64 s[18:19], s6, v9
	v_add_u32_e32 v20, s86, v20
	s_waitcnt lgkmcnt(0)
	v_cmp_neq_f64_e32 vcc, 0, v[4:5]
	s_or_b64 s[10:11], s[18:19], vcc
	s_and_b64 s[10:11], exec, s[10:11]
	s_or_b64 s[52:53], s[10:11], s[52:53]
	s_andn2_b64 s[8:9], s[8:9], exec
	s_and_b64 s[10:11], vcc, exec
	s_or_b64 s[8:9], s[8:9], s[10:11]
	s_barrier
	s_andn2_b64 exec, exec, s[52:53]
	s_cbranch_execz .LBB75_343
.LBB75_338:                             ;   Parent Loop BB75_6 Depth=1
                                        ; =>  This Inner Loop Header: Depth=2
	v_cmp_gt_u32_e32 vcc, s60, v9
	v_pk_mov_b32 v[4:5], 0, 0
	s_and_saveexec_b64 s[54:55], vcc
	s_cbranch_execz .LBB75_340
; %bb.339:                              ;   in Loop: Header=BB75_338 Depth=2
	v_lshlrev_b64 v[4:5], 3, v[20:21]
	v_mov_b32_e32 v2, s84
	v_add_co_u32_e64 v4, s[18:19], s33, v4
	v_addc_co_u32_e64 v5, s[18:19], v2, v5, s[18:19]
	global_load_dwordx2 v[4:5], v[4:5], off
.LBB75_340:                             ;   in Loop: Header=BB75_338 Depth=2
	s_or_b64 exec, exec, s[54:55]
	s_and_saveexec_b64 s[18:19], vcc
	s_cbranch_execz .LBB75_337
; %bb.341:                              ;   in Loop: Header=BB75_338 Depth=2
	s_waitcnt vmcnt(0)
	v_ashrrev_i32_e32 v2, 31, v5
	v_or_b32_e32 v6, 0x80000000, v2
	v_xor_b32_e32 v6, v6, v5
	v_xor_b32_e32 v2, v2, v4
	v_cmp_o_f64_e32 vcc, v[4:5], v[4:5]
	v_cndmask_b32_e32 v6, -1, v6, vcc
	v_cndmask_b32_e32 v2, -1, v2, vcc
	v_and_b32_e32 v7, v6, v29
	v_and_b32_e32 v6, v2, v28
	v_cmp_eq_u64_e32 vcc, v[6:7], v[26:27]
	s_and_b64 exec, exec, vcc
	s_cbranch_execz .LBB75_337
; %bb.342:                              ;   in Loop: Header=BB75_338 Depth=2
	v_mov_b32_e32 v2, v21
	ds_write_b128 v21, v[2:5] offset:3072
	s_branch .LBB75_337
.LBB75_343:                             ;   in Loop: Header=BB75_6 Depth=1
	s_or_b64 exec, exec, s[52:53]
	s_and_b64 s[8:9], s[8:9], exec
.LBB75_344:                             ;   in Loop: Header=BB75_6 Depth=1
	s_or_b64 exec, exec, s[50:51]
	s_mov_b64 s[52:53], 0
	s_mov_b64 s[50:51], -1
	s_mov_b64 s[54:55], 0
.LBB75_345:                             ;   in Loop: Header=BB75_6 Depth=1
	s_orn2_b64 s[18:19], s[8:9], exec
.LBB75_346:                             ;   in Loop: Header=BB75_6 Depth=1
	s_or_b64 exec, exec, s[56:57]
	s_mov_b64 s[8:9], 0
                                        ; implicit-def: $vgpr2
	s_and_saveexec_b64 s[56:57], s[18:19]
	s_cbranch_execz .LBB75_399
; %bb.347:                              ;   in Loop: Header=BB75_6 Depth=1
	s_xor_b64 s[8:9], s[16:17], -1
	s_mov_b64 s[88:89], 0
	v_mov_b32_e32 v9, 1
	v_mov_b32_e32 v2, 1
	s_and_saveexec_b64 s[16:17], s[8:9]
	s_cbranch_execz .LBB75_357
; %bb.348:                              ;   in Loop: Header=BB75_6 Depth=1
	v_cmp_ge_u32_e32 vcc, s58, v8
                                        ; implicit-def: $sgpr10
                                        ; implicit-def: $sgpr8_sgpr9
	s_and_saveexec_b64 s[18:19], vcc
	s_xor_b64 s[18:19], exec, s[18:19]
	s_cbranch_execz .LBB75_354
; %bb.349:                              ;   in Loop: Header=BB75_6 Depth=1
	ds_read_b32 v2, v21 offset:4096
	s_waitcnt lgkmcnt(0)
	v_cmp_ne_u32_e32 vcc, 0, v2
	s_cbranch_vccnz .LBB75_353
; %bb.350:                              ;   in Loop: Header=BB75_6 Depth=1
	s_mov_b64 s[8:9], exec
	v_readlane_b32 s10, v59, 24
	v_readlane_b32 s11, v59, 25
	s_and_b64 s[10:11], s[8:9], s[10:11]
	s_mov_b64 exec, s[10:11]
	s_cbranch_execz .LBB75_352
; %bb.351:                              ;   in Loop: Header=BB75_6 Depth=1
	v_mov_b32_e32 v2, s58
	ds_write_b32 v21, v2 offset:4100
.LBB75_352:                             ;   in Loop: Header=BB75_6 Depth=1
	s_or_b64 exec, exec, s[8:9]
	s_waitcnt lgkmcnt(0)
	s_barrier
.LBB75_353:                             ;   in Loop: Header=BB75_6 Depth=1
	s_lshl_b64 s[8:9], 1, s59
	v_and_b32_e32 v2, s25, v27
	s_waitcnt vmcnt(0)
	v_and_b32_e32 v4, s24, v26
	v_or_b32_e32 v27, s9, v2
	v_or_b32_e32 v26, s8, v4
	;; [unrolled: 1-line block ×4, first 2 shown]
	s_mov_b64 s[8:9], 0
	s_mov_b32 s10, 5
.LBB75_354:                             ;   in Loop: Header=BB75_6 Depth=1
	s_or_saveexec_b64 s[18:19], s[18:19]
	v_mov_b32_e32 v2, s10
	s_xor_b64 exec, exec, s[18:19]
; %bb.355:                              ;   in Loop: Header=BB75_6 Depth=1
	v_subrev_u32_e32 v8, s58, v8
	v_mov_b32_e32 v2, 0
	s_or_b64 s[8:9], s[8:9], exec
; %bb.356:                              ;   in Loop: Header=BB75_6 Depth=1
	s_or_b64 exec, exec, s[18:19]
	s_and_b64 s[88:89], s[8:9], exec
	v_mov_b32_e32 v9, v8
.LBB75_357:                             ;   in Loop: Header=BB75_6 Depth=1
	s_or_b64 exec, exec, s[16:17]
	s_mov_b64 s[8:9], -1
                                        ; implicit-def: $sgpr18_sgpr19
                                        ; implicit-def: $sgpr90_sgpr91
                                        ; implicit-def: $sgpr16_sgpr17
	s_and_saveexec_b64 s[58:59], s[88:89]
	s_cbranch_execz .LBB75_398
; %bb.358:                              ;   in Loop: Header=BB75_6 Depth=1
	s_cmp_eq_u32 s5, 1
	s_cselect_b64 s[8:9], -1, 0
	v_cmp_eq_u32_e32 vcc, 1, v9
	s_and_b64 s[10:11], s[8:9], vcc
	s_mov_b64 s[8:9], -1
                                        ; implicit-def: $sgpr18_sgpr19
                                        ; implicit-def: $sgpr90_sgpr91
                                        ; implicit-def: $sgpr16_sgpr17
	s_mov_b64 s[88:89], exec
	v_writelane_b32 v59, s10, 61
	v_writelane_b32 v59, s11, 62
	s_and_b64 s[10:11], s[88:89], s[10:11]
	s_mov_b64 exec, s[10:11]
	s_cbranch_execz .LBB75_385
; %bb.359:                              ;   in Loop: Header=BB75_6 Depth=1
	ds_read_b32 v2, v21 offset:4096
	s_waitcnt lgkmcnt(0)
	s_barrier
	v_readfirstlane_b32 s10, v2
	s_mov_b64 s[8:9], exec
	v_readlane_b32 s16, v59, 42
	v_readlane_b32 s17, v59, 43
	s_and_b64 s[16:17], s[8:9], s[16:17]
	s_mov_b64 exec, s[16:17]
	s_cbranch_execz .LBB75_361
; %bb.360:                              ;   in Loop: Header=BB75_6 Depth=1
	v_mov_b32_e32 v20, v21
	ds_write_b64 v37, v[20:21]
.LBB75_361:                             ;   in Loop: Header=BB75_6 Depth=1
	s_or_b64 exec, exec, s[8:9]
	v_and_b32_e32 v27, s25, v27
	v_and_b32_e32 v26, s24, v26
	v_or_b32_e32 v29, s23, v29
	v_or_b32_e32 v28, s22, v28
	s_cmp_eq_u32 s10, 0
	s_waitcnt lgkmcnt(0)
	s_barrier
	s_cbranch_scc1 .LBB75_370
; %bb.362:                              ;   in Loop: Header=BB75_6 Depth=1
	v_readlane_b32 s8, v59, 35
	s_add_i32 s8, s10, s8
	v_readlane_b32 s9, v59, 57
	s_mul_hi_u32 s9, s8, s9
	s_mul_i32 s9, s9, s85
	s_sub_i32 s9, s8, s9
	s_sub_i32 s11, s9, s85
	s_cmp_ge_u32 s9, s85
	s_cselect_b32 s9, s11, s9
	s_sub_i32 s11, s9, s85
	s_cmp_ge_u32 s9, s85
	s_cselect_b32 s9, s11, s9
	s_sub_i32 s11, s8, s9
	v_cmp_gt_u32_e32 vcc, s11, v0
	s_mov_b64 s[8:9], 0
                                        ; implicit-def: $vgpr6_vgpr7
	s_and_saveexec_b64 s[16:17], vcc
	s_cbranch_execz .LBB75_372
; %bb.363:                              ;   in Loop: Header=BB75_6 Depth=1
	s_mov_b64 s[90:91], 0
	v_mov_b32_e32 v8, v36
	v_mov_b32_e32 v10, v0
                                        ; implicit-def: $sgpr8_sgpr9
	s_branch .LBB75_365
.LBB75_364:                             ;   in Loop: Header=BB75_365 Depth=2
	s_or_b64 exec, exec, s[18:19]
	s_waitcnt lgkmcnt(0)
	s_barrier
	ds_read_b128 v[4:7], v21 offset:3072
	v_add_u32_e32 v10, s85, v10
	v_cmp_le_u32_e64 s[18:19], s11, v10
	v_add_u32_e32 v8, s80, v8
	s_waitcnt lgkmcnt(0)
	v_cmp_neq_f64_e32 vcc, 0, v[4:5]
	s_or_b64 s[18:19], s[18:19], vcc
	s_and_b64 s[18:19], exec, s[18:19]
	s_or_b64 s[90:91], s[18:19], s[90:91]
	s_andn2_b64 s[8:9], s[8:9], exec
	s_and_b64 s[18:19], vcc, exec
	s_or_b64 s[8:9], s[8:9], s[18:19]
	s_barrier
	s_andn2_b64 exec, exec, s[90:91]
	s_cbranch_execz .LBB75_371
.LBB75_365:                             ;   Parent Loop BB75_6 Depth=1
                                        ; =>  This Inner Loop Header: Depth=2
	v_cmp_gt_u32_e32 vcc, s10, v10
	s_waitcnt vmcnt(0)
	v_pk_mov_b32 v[4:5], 0, 0
	s_and_saveexec_b64 s[18:19], vcc
	s_cbranch_execz .LBB75_367
; %bb.366:                              ;   in Loop: Header=BB75_365 Depth=2
	ds_read_b64 v[4:5], v8
.LBB75_367:                             ;   in Loop: Header=BB75_365 Depth=2
	s_or_b64 exec, exec, s[18:19]
	s_and_saveexec_b64 s[18:19], vcc
	s_cbranch_execz .LBB75_364
; %bb.368:                              ;   in Loop: Header=BB75_365 Depth=2
	s_waitcnt lgkmcnt(0)
	v_ashrrev_i32_e32 v2, 31, v5
	v_or_b32_e32 v6, 0x80000000, v2
	v_xor_b32_e32 v6, v6, v5
	v_xor_b32_e32 v2, v2, v4
	v_cmp_o_f64_e32 vcc, v[4:5], v[4:5]
	v_cndmask_b32_e32 v6, -1, v6, vcc
	v_cndmask_b32_e32 v2, -1, v2, vcc
	v_and_b32_e32 v7, v6, v29
	v_and_b32_e32 v6, v2, v28
	v_cmp_eq_u64_e32 vcc, v[6:7], v[26:27]
	s_and_b64 exec, exec, vcc
	s_cbranch_execz .LBB75_364
; %bb.369:                              ;   in Loop: Header=BB75_365 Depth=2
	v_mov_b32_e32 v2, v21
	ds_write_b128 v21, v[2:5] offset:3072
	s_branch .LBB75_364
.LBB75_370:                             ;   in Loop: Header=BB75_6 Depth=1
	s_mov_b64 s[18:19], -1
	s_mov_b64 s[8:9], 0
                                        ; implicit-def: $sgpr90_sgpr91
                                        ; implicit-def: $vgpr6_vgpr7
	s_branch .LBB75_373
.LBB75_371:                             ;   in Loop: Header=BB75_6 Depth=1
	s_or_b64 exec, exec, s[90:91]
	s_and_b64 s[8:9], s[8:9], exec
.LBB75_372:                             ;   in Loop: Header=BB75_6 Depth=1
	s_or_b64 exec, exec, s[16:17]
	s_mov_b64 s[18:19], 0
	s_mov_b64 s[90:91], -1
.LBB75_373:                             ;   in Loop: Header=BB75_6 Depth=1
	s_and_b64 vcc, exec, s[18:19]
	s_mov_b64 s[16:17], s[18:19]
	s_cbranch_vccz .LBB75_384
; %bb.374:                              ;   in Loop: Header=BB75_6 Depth=1
	s_mov_b64 s[8:9], 0
                                        ; implicit-def: $vgpr6_vgpr7
	s_mov_b64 s[62:63], exec
	v_readlane_b32 s10, v59, 58
	v_readlane_b32 s11, v59, 59
	s_and_b64 s[10:11], s[62:63], s[10:11]
	s_mov_b64 exec, s[10:11]
	s_cbranch_execz .LBB75_383
; %bb.375:                              ;   in Loop: Header=BB75_6 Depth=1
	s_mov_b64 s[90:91], 0
	v_mov_b32_e32 v20, v22
	v_mov_b32_e32 v8, v0
                                        ; implicit-def: $sgpr8_sgpr9
	s_branch .LBB75_377
.LBB75_376:                             ;   in Loop: Header=BB75_377 Depth=2
	s_or_b64 exec, exec, s[18:19]
	s_waitcnt lgkmcnt(0)
	s_barrier
	s_waitcnt vmcnt(0)
	ds_read_b128 v[4:7], v21 offset:3072
	v_add_u32_e32 v8, s85, v8
	v_cmp_le_u32_e64 s[18:19], s6, v8
	v_add_u32_e32 v20, s86, v20
	s_waitcnt lgkmcnt(0)
	v_cmp_neq_f64_e32 vcc, 0, v[4:5]
	s_or_b64 s[10:11], s[18:19], vcc
	s_and_b64 s[10:11], exec, s[10:11]
	s_or_b64 s[90:91], s[10:11], s[90:91]
	s_andn2_b64 s[8:9], s[8:9], exec
	s_and_b64 s[10:11], vcc, exec
	s_or_b64 s[8:9], s[8:9], s[10:11]
	s_barrier
	s_andn2_b64 exec, exec, s[90:91]
	s_cbranch_execz .LBB75_382
.LBB75_377:                             ;   Parent Loop BB75_6 Depth=1
                                        ; =>  This Inner Loop Header: Depth=2
	v_cmp_gt_u32_e32 vcc, s60, v8
	s_waitcnt vmcnt(0)
	v_pk_mov_b32 v[4:5], 0, 0
	s_and_saveexec_b64 s[16:17], vcc
	s_cbranch_execz .LBB75_379
; %bb.378:                              ;   in Loop: Header=BB75_377 Depth=2
	v_lshlrev_b64 v[4:5], 3, v[20:21]
	v_mov_b32_e32 v2, s84
	v_add_co_u32_e64 v4, s[18:19], s33, v4
	v_addc_co_u32_e64 v5, s[18:19], v2, v5, s[18:19]
	global_load_dwordx2 v[4:5], v[4:5], off
.LBB75_379:                             ;   in Loop: Header=BB75_377 Depth=2
	s_or_b64 exec, exec, s[16:17]
	s_and_saveexec_b64 s[18:19], vcc
	s_cbranch_execz .LBB75_376
; %bb.380:                              ;   in Loop: Header=BB75_377 Depth=2
	s_waitcnt vmcnt(0)
	v_ashrrev_i32_e32 v2, 31, v5
	v_or_b32_e32 v6, 0x80000000, v2
	v_xor_b32_e32 v6, v6, v5
	v_xor_b32_e32 v2, v2, v4
	v_cmp_o_f64_e32 vcc, v[4:5], v[4:5]
	v_cndmask_b32_e32 v6, -1, v6, vcc
	v_cndmask_b32_e32 v2, -1, v2, vcc
	v_and_b32_e32 v7, v6, v29
	v_and_b32_e32 v6, v2, v28
	v_cmp_eq_u64_e32 vcc, v[6:7], v[26:27]
	s_and_b64 exec, exec, vcc
	s_cbranch_execz .LBB75_376
; %bb.381:                              ;   in Loop: Header=BB75_377 Depth=2
	v_mov_b32_e32 v2, v21
	ds_write_b128 v21, v[2:5] offset:3072
	s_branch .LBB75_376
.LBB75_382:                             ;   in Loop: Header=BB75_6 Depth=1
	s_or_b64 exec, exec, s[90:91]
	s_and_b64 s[8:9], s[8:9], exec
.LBB75_383:                             ;   in Loop: Header=BB75_6 Depth=1
	s_or_b64 exec, exec, s[62:63]
	s_mov_b64 s[90:91], 0
	s_mov_b64 s[18:19], -1
	s_mov_b64 s[16:17], 0
.LBB75_384:                             ;   in Loop: Header=BB75_6 Depth=1
	s_orn2_b64 s[8:9], s[8:9], exec
.LBB75_385:                             ;   in Loop: Header=BB75_6 Depth=1
	s_or_b64 exec, exec, s[88:89]
	s_mov_b64 vcc, 0
                                        ; implicit-def: $vgpr2
                                        ; implicit-def: $vgpr4
	s_and_saveexec_b64 s[88:89], s[8:9]
	s_cbranch_execz .LBB75_397
; %bb.386:                              ;   in Loop: Header=BB75_6 Depth=1
	v_readlane_b32 s8, v59, 61
	v_readlane_b32 s9, v59, 62
	s_xor_b64 s[10:11], s[8:9], -1
	v_mov_b32_e32 v2, 1
	s_waitcnt vmcnt(0)
	v_mov_b32_e32 v4, 1
	s_and_saveexec_b64 s[8:9], s[10:11]
	s_cbranch_execz .LBB75_396
; %bb.387:                              ;   in Loop: Header=BB75_6 Depth=1
	v_cmp_ge_u32_e32 vcc, s5, v9
                                        ; implicit-def: $sgpr10
	s_and_saveexec_b64 s[62:63], vcc
	s_xor_b64 s[62:63], exec, s[62:63]
	s_cbranch_execz .LBB75_393
; %bb.388:                              ;   in Loop: Header=BB75_6 Depth=1
	ds_read_b32 v2, v21 offset:4096
	s_waitcnt lgkmcnt(0)
	v_cmp_ne_u32_e32 vcc, 0, v2
	s_cbranch_vccnz .LBB75_392
; %bb.389:                              ;   in Loop: Header=BB75_6 Depth=1
	s_mov_b64 vcc, exec
	v_readlane_b32 s10, v59, 24
	v_readlane_b32 s11, v59, 25
	s_and_b64 s[10:11], vcc, s[10:11]
	s_mov_b64 exec, s[10:11]
	s_cbranch_execz .LBB75_391
; %bb.390:                              ;   in Loop: Header=BB75_6 Depth=1
	v_mov_b32_e32 v2, s5
	ds_write_b32 v21, v2 offset:4100
.LBB75_391:                             ;   in Loop: Header=BB75_6 Depth=1
	s_or_b64 exec, exec, vcc
	s_waitcnt lgkmcnt(0)
	s_barrier
.LBB75_392:                             ;   in Loop: Header=BB75_6 Depth=1
	v_and_b32_e32 v27, s25, v27
	v_and_b32_e32 v26, s24, v26
	v_or_b32_e32 v29, s23, v29
	v_or_b32_e32 v28, s22, v28
	s_mov_b32 s10, 5
.LBB75_393:                             ;   in Loop: Header=BB75_6 Depth=1
	s_or_saveexec_b64 s[22:23], s[62:63]
	v_mov_b32_e32 v2, s10
	s_xor_b64 exec, exec, s[22:23]
; %bb.394:                              ;   in Loop: Header=BB75_6 Depth=1
	v_subrev_u32_e32 v9, s5, v9
	v_mov_b32_e32 v2, 5
; %bb.395:                              ;   in Loop: Header=BB75_6 Depth=1
	s_or_b64 exec, exec, s[22:23]
	v_mov_b32_e32 v4, v9
.LBB75_396:                             ;   in Loop: Header=BB75_6 Depth=1
	s_or_b64 exec, exec, s[8:9]
	s_mov_b64 vcc, exec
.LBB75_397:                             ;   in Loop: Header=BB75_6 Depth=1
	s_or_b64 exec, exec, s[88:89]
	s_orn2_b64 s[8:9], vcc, exec
	s_waitcnt vmcnt(0)
	v_mov_b32_e32 v9, v4
.LBB75_398:                             ;   in Loop: Header=BB75_6 Depth=1
	s_or_b64 exec, exec, s[58:59]
	s_andn2_b64 s[10:11], s[50:51], exec
	s_and_b64 s[18:19], s[18:19], exec
	s_or_b64 s[50:51], s[10:11], s[18:19]
	s_andn2_b64 s[10:11], s[52:53], exec
	s_and_b64 s[18:19], s[90:91], exec
	s_or_b64 s[52:53], s[10:11], s[18:19]
	;; [unrolled: 3-line block ×3, first 2 shown]
	s_and_b64 s[8:9], s[8:9], exec
	v_mov_b32_e32 v8, v9
.LBB75_399:                             ;   in Loop: Header=BB75_6 Depth=1
	s_or_b64 exec, exec, s[56:57]
	s_and_b64 s[50:51], s[50:51], exec
	s_and_b64 s[18:19], s[52:53], exec
	;; [unrolled: 1-line block ×3, first 2 shown]
	s_orn2_b64 s[8:9], s[8:9], exec
.LBB75_400:                             ;   in Loop: Header=BB75_6 Depth=1
	s_or_b64 exec, exec, s[48:49]
	s_andn2_b64 s[10:11], s[40:41], exec
	s_and_b64 s[22:23], s[50:51], exec
	s_or_b64 s[40:41], s[10:11], s[22:23]
	s_andn2_b64 s[10:11], s[42:43], exec
	s_and_b64 s[18:19], s[18:19], exec
	s_or_b64 s[42:43], s[10:11], s[18:19]
	;; [unrolled: 3-line block ×3, first 2 shown]
	s_and_b64 s[8:9], s[8:9], exec
	v_mov_b32_e32 v30, v8
.LBB75_401:                             ;   in Loop: Header=BB75_6 Depth=1
	s_or_b64 exec, exec, s[46:47]
	s_and_b64 s[46:47], s[40:41], exec
	s_and_b64 s[40:41], s[42:43], exec
	;; [unrolled: 1-line block ×3, first 2 shown]
	s_orn2_b64 s[42:43], s[8:9], exec
.LBB75_402:                             ;   in Loop: Header=BB75_6 Depth=1
	s_or_b64 exec, exec, s[34:35]
	s_mov_b64 s[8:9], s[28:29]
	s_mov_b64 s[18:19], s[20:21]
	s_and_saveexec_b64 s[22:23], s[42:43]
; %bb.403:                              ;   in Loop: Header=BB75_6 Depth=1
	v_cmp_ne_u32_e64 s[18:19], 5, v2
	v_cmp_eq_u32_e32 vcc, 5, v2
	s_andn2_b64 s[8:9], s[20:21], exec
	s_and_b64 s[10:11], s[18:19], exec
	s_or_b64 s[18:19], s[8:9], s[10:11]
	s_andn2_b64 s[8:9], s[28:29], exec
	s_and_b64 s[10:11], vcc, exec
	s_andn2_b64 s[46:47], s[46:47], exec
	s_andn2_b64 s[40:41], s[40:41], exec
	;; [unrolled: 1-line block ×3, first 2 shown]
	s_or_b64 s[8:9], s[8:9], s[10:11]
; %bb.404:                              ;   in Loop: Header=BB75_6 Depth=1
	s_or_b64 exec, exec, s[22:23]
	s_andn2_b64 s[10:11], s[36:37], exec
	s_and_b64 s[22:23], s[46:47], exec
	s_or_b64 s[36:37], s[10:11], s[22:23]
	s_andn2_b64 s[10:11], s[38:39], exec
	s_and_b64 s[22:23], s[40:41], exec
	s_or_b64 s[38:39], s[10:11], s[22:23]
	;; [unrolled: 3-line block ×5, first 2 shown]
	s_waitcnt vmcnt(0)
	v_pk_mov_b32 v[12:13], v[26:27], v[26:27] op_sel:[0,1]
	v_pk_mov_b32 v[14:15], v[28:29], v[28:29] op_sel:[0,1]
	;; [unrolled: 1-line block ×3, first 2 shown]
.LBB75_405:                             ;   in Loop: Header=BB75_6 Depth=1
	s_or_b64 exec, exec, s[30:31]
	s_mov_b64 s[34:35], s[26:27]
	s_mov_b64 s[30:31], s[26:27]
	s_and_saveexec_b64 s[8:9], s[28:29]
.LBB75_406:                             ;   in Loop: Header=BB75_6 Depth=1
	v_mov_b32_e32 v2, 0
	s_andn2_b64 s[26:27], s[26:27], exec
	s_andn2_b64 s[36:37], s[36:37], exec
	;; [unrolled: 1-line block ×5, first 2 shown]
	s_or_b64 s[20:21], s[20:21], exec
.LBB75_407:                             ;   in Loop: Header=BB75_6 Depth=1
	s_or_b64 exec, exec, s[8:9]
	s_andn2_b64 s[8:9], s[72:73], exec
	s_and_b64 s[10:11], s[26:27], exec
	s_or_b64 s[72:73], s[8:9], s[10:11]
	s_andn2_b64 s[8:9], s[94:95], exec
	s_and_b64 s[10:11], s[36:37], exec
	s_or_b64 s[94:95], s[8:9], s[10:11]
	;; [unrolled: 3-line block ×4, first 2 shown]
	s_andn2_b64 s[8:9], s[76:77], exec
	s_and_b64 s[10:11], s[30:31], exec
	s_mov_b64 s[16:17], -1
	s_or_b64 s[76:77], s[8:9], s[10:11]
                                        ; implicit-def: $vgpr28_vgpr29
                                        ; implicit-def: $vgpr26_vgpr27
                                        ; implicit-def: $vgpr47
                                        ; implicit-def: $vgpr6_vgpr7
	s_and_saveexec_b64 s[8:9], s[20:21]
	s_xor_b64 s[8:9], exec, s[8:9]
	s_cbranch_execz .LBB75_5
; %bb.408:                              ;   in Loop: Header=BB75_6 Depth=1
	v_cmp_eq_u32_e32 vcc, 0, v2
	s_mov_b64 s[18:19], -1
	s_and_saveexec_b64 s[20:21], vcc
	s_cbranch_execz .LBB75_4
; %bb.409:                              ;   in Loop: Header=BB75_6 Depth=1
	s_xor_b32 s4, s4, 1
	s_add_i32 s5, s81, -2
	s_cmp_eq_u32 s81, 0
	s_cselect_b64 s[10:11], -1, 0
	s_xor_b64 s[18:19], exec, -1
	s_orn2_b64 s[16:17], s[10:11], exec
	s_mov_b32 s81, s5
	s_branch .LBB75_4
.LBB75_410:
	s_or_b64 exec, exec, s[74:75]
	s_xor_b64 s[8:9], s[70:71], -1
	s_xor_b64 s[18:19], s[68:69], -1
	;; [unrolled: 1-line block ×5, first 2 shown]
	s_mov_b64 s[12:13], 0
	s_and_saveexec_b64 s[6:7], s[4:5]
	s_xor_b64 s[10:11], exec, s[6:7]
	s_cbranch_execnz .LBB75_415
; %bb.411:
	s_andn2_saveexec_b64 s[0:1], s[10:11]
	s_cbranch_execnz .LBB75_434
.LBB75_412:
	s_or_b64 exec, exec, s[0:1]
	s_and_saveexec_b64 s[0:1], s[12:13]
.LBB75_413:
	; divergent unreachable
.LBB75_414:
	s_endpgm
.LBB75_415:
	s_mov_b64 s[14:15], 0
	s_and_saveexec_b64 s[4:5], s[16:17]
	s_xor_b64 s[12:13], exec, s[4:5]
	s_cbranch_execz .LBB75_432
; %bb.416:
	s_mov_b64 s[16:17], 0
	s_and_saveexec_b64 s[4:5], s[18:19]
	s_xor_b64 s[14:15], exec, s[4:5]
	s_cbranch_execz .LBB75_430
; %bb.417:
	;; [unrolled: 5-line block ×3, first 2 shown]
	s_and_saveexec_b64 s[4:5], s[2:3]
	s_xor_b64 s[2:3], exec, s[4:5]
	s_cbranch_execz .LBB75_420
; %bb.419:
	s_waitcnt vmcnt(0)
	v_lshrrev_b32_e32 v1, 31, v13
	v_add_co_u32_e32 v1, vcc, -1, v1
	v_addc_co_u32_e64 v2, s[4:5], 0, -1, vcc
	v_or_b32_e32 v2, 0x80000000, v2
	v_xor_b32_e32 v11, v2, v13
	v_xor_b32_e32 v10, v1, v12
.LBB75_420:
	s_or_b64 exec, exec, s[2:3]
	s_mov_b64 s[2:3], exec
	v_readlane_b32 s4, v59, 24
	v_readlane_b32 s5, v59, 25
	v_readlane_b32 s30, v59, 27
	s_and_b64 s[4:5], s[2:3], s[4:5]
	v_readlane_b32 s31, v59, 28
	v_readlane_b32 s20, v59, 60
	s_mov_b64 exec, s[4:5]
	s_cbranch_execz .LBB75_422
; %bb.421:
	v_mov_b32_e32 v1, 0
	ds_write_b32 v1, v1 offset:4108
.LBB75_422:
	s_or_b64 exec, exec, s[2:3]
	v_pk_mov_b32 v[6:7], 0, 0
	s_waitcnt lgkmcnt(0)
	s_barrier
	s_mov_b64 s[2:3], exec
	v_readlane_b32 s4, v59, 40
	v_readlane_b32 s5, v59, 41
	s_and_b64 s[4:5], s[2:3], s[4:5]
	s_mov_b64 exec, s[4:5]
	s_cbranch_execz .LBB75_424
; %bb.423:
	global_load_dwordx2 v[6:7], v[18:19], off
.LBB75_424:
	s_or_b64 exec, exec, s[2:3]
	v_readlane_b32 s8, v59, 16
	v_readlane_b32 s9, v59, 17
	;; [unrolled: 1-line block ×3, first 2 shown]
	s_mul_i32 s2, s7, s9
	v_readlane_b32 s9, v59, 19
	s_mul_i32 s3, s9, s8
	s_add_i32 s40, s60, 63
	v_readlane_b32 s6, v59, 26
	s_sub_i32 s3, s7, s3
	s_andn2_b32 s40, s40, 63
	s_sub_i32 s2, s6, s2
	s_add_i32 s4, s9, 1
	s_sub_i32 s5, s3, s8
	s_cmp_ge_u32 s3, s8
	s_cselect_b32 s4, s4, s9
	s_cselect_b32 s3, s5, s3
	s_add_i32 s5, s4, 1
	s_cmp_ge_u32 s3, s8
	s_cselect_b32 s3, s5, s4
	v_readlane_b32 s24, v59, 6
	s_mul_i32 s4, s3, s8
	v_readlane_b32 s25, v59, 7
	v_readlane_b32 s26, v59, 8
	s_sub_i32 s4, s7, s4
	s_mul_i32 s2, s2, s26
	s_mul_i32 s4, s4, s25
	v_readlane_b32 s8, v59, 20
	s_add_i32 s2, s4, s2
	s_mul_i32 s3, s3, s24
	v_readlane_b32 s9, v59, 21
	v_readlane_b32 s18, v59, 22
	s_add_i32 s2, s2, s3
	s_mul_i32 s3, s18, s9
	s_sub_i32 s3, s6, s3
	v_readlane_b32 s4, v59, 0
	v_readlane_b32 s6, v59, 2
	;; [unrolled: 1-line block ×4, first 2 shown]
	s_mov_b32 s26, s6
	v_readlane_b32 s7, v59, 23
	s_mov_b64 s[24:25], s[4:5]
	s_mul_i32 s4, s7, s8
	s_sub_i32 s4, s18, s4
	s_add_i32 s5, s7, 1
	s_sub_i32 s6, s4, s8
	s_cmp_ge_u32 s4, s8
	s_cselect_b32 s5, s5, s7
	s_cselect_b32 s4, s6, s4
	s_add_i32 s6, s5, 1
	s_cmp_ge_u32 s4, s8
	s_cselect_b32 s4, s6, s5
	s_mul_i32 s5, s4, s8
	s_sub_i32 s5, s18, s5
	s_mul_i32 s3, s3, s26
	s_mul_i32 s5, s5, s25
	s_add_i32 s3, s5, s3
	s_mul_i32 s4, s4, s24
	s_add_i32 s4, s3, s4
	s_mov_b32 s3, 0
	s_lshl_b64 s[6:7], s[2:3], 3
	v_readlane_b32 s8, v59, 10
	v_readlane_b32 s9, v59, 11
	s_add_u32 s41, s8, s6
	s_mov_b32 s5, s3
	s_addc_u32 s42, s9, s7
	s_lshl_b64 s[2:3], s[4:5], 3
	v_readlane_b32 s4, v59, 4
	v_readlane_b32 s5, v59, 5
	s_add_u32 s43, s4, s2
	s_addc_u32 s44, s5, s3
	v_readlane_b32 s2, v59, 12
	v_readlane_b32 s3, v59, 13
	v_ashrrev_i32_e32 v1, 31, v11
	s_load_dword s45, s[2:3], 0x1c8
	s_load_dword s46, s[2:3], 0x2a8
	v_or_b32_e32 v2, 0x80000000, v1
	v_xor_b32_e32 v2, v2, v11
	v_xor_b32_e32 v1, v1, v10
	v_cmp_o_f64_e32 vcc, v[10:11], v[10:11]
	v_cndmask_b32_e32 v3, -1, v2, vcc
	v_cndmask_b32_e32 v2, -1, v1, vcc
	v_add_u32_e32 v1, s85, v0
	v_cmp_gt_u32_e32 vcc, s40, v0
	s_mov_b64 s[18:19], -1
	s_mov_b64 s[2:3], 0
	s_waitcnt vmcnt(0)
	v_mul_lo_u32 v4, s20, v1
	s_mov_b64 s[4:5], 0
	v_readlane_b32 s27, v59, 9
	s_and_saveexec_b64 s[8:9], vcc
	s_cbranch_execnz .LBB75_435
; %bb.425:
	s_or_b64 exec, exec, s[8:9]
	s_and_saveexec_b64 s[8:9], s[18:19]
	s_cbranch_execnz .LBB75_452
.LBB75_426:
	s_or_b64 exec, exec, s[8:9]
	s_and_saveexec_b64 s[0:1], s[4:5]
	s_xor_b64 s[0:1], exec, s[0:1]
	s_cbranch_execnz .LBB75_476
.LBB75_427:
	s_or_b64 exec, exec, s[0:1]
	s_and_b64 s[18:19], s[2:3], exec
.LBB75_428:
	s_andn2_saveexec_b64 s[0:1], s[16:17]
	s_cbranch_execnz .LBB75_479
.LBB75_429:
	s_or_b64 exec, exec, s[0:1]
	s_and_b64 s[16:17], s[18:19], exec
.LBB75_430:
	s_andn2_saveexec_b64 s[0:1], s[14:15]
	s_cbranch_execnz .LBB75_478
.LBB75_431:
	s_or_b64 exec, exec, s[0:1]
	s_and_b64 s[14:15], s[16:17], exec
.LBB75_432:
	s_andn2_saveexec_b64 s[0:1], s[12:13]
	s_cbranch_execnz .LBB75_477
.LBB75_433:
	s_or_b64 exec, exec, s[0:1]
	s_and_b64 s[12:13], s[14:15], exec
	s_andn2_saveexec_b64 s[0:1], s[10:11]
	s_cbranch_execz .LBB75_412
.LBB75_434:
	s_or_b64 s[12:13], s[12:13], exec
	s_trap 2
	s_or_b64 exec, exec, s[0:1]
	s_and_saveexec_b64 s[0:1], s[12:13]
	s_cbranch_execnz .LBB75_413
	s_branch .LBB75_414
.LBB75_435:
	v_mul_lo_u32 v8, s20, v1
	s_mov_b64 s[18:19], 0
	v_mov_b32_e32 v9, 0
	v_mov_b32_e32 v12, v0
                                        ; implicit-def: $sgpr20_sgpr21
                                        ; implicit-def: $vgpr5
	s_branch .LBB75_437
.LBB75_436:                             ;   in Loop: Header=BB75_437 Depth=1
	s_or_b64 exec, exec, s[22:23]
	s_xor_b64 s[6:7], s[26:27], -1
	s_and_b64 s[4:5], exec, s[4:5]
	s_or_b64 s[18:19], s[4:5], s[18:19]
	s_andn2_b64 s[4:5], s[20:21], exec
	s_and_b64 s[6:7], s[6:7], exec
	s_or_b64 s[20:21], s[4:5], s[6:7]
	s_waitcnt vmcnt(0)
	v_pk_mov_b32 v[6:7], v[10:11], v[10:11] op_sel:[0,1]
	v_mov_b32_e32 v12, v1
	s_andn2_b64 exec, exec, s[18:19]
	s_cbranch_execz .LBB75_451
.LBB75_437:                             ; =>This Inner Loop Header: Depth=1
	v_add_u32_e32 v1, s85, v12
	v_cmp_gt_u32_e32 vcc, s60, v1
	v_pk_mov_b32 v[10:11], 0, 0
	s_and_saveexec_b64 s[4:5], vcc
	s_cbranch_execz .LBB75_439
; %bb.438:                              ;   in Loop: Header=BB75_437 Depth=1
	v_lshlrev_b64 v[10:11], 3, v[8:9]
	v_mov_b32_e32 v13, s84
	v_add_co_u32_e32 v10, vcc, s33, v10
	v_addc_co_u32_e32 v11, vcc, v13, v11, vcc
	global_load_dwordx2 v[10:11], v[10:11], off
.LBB75_439:                             ;   in Loop: Header=BB75_437 Depth=1
	s_or_b64 exec, exec, s[4:5]
	v_cmp_gt_u32_e32 vcc, s60, v12
	s_mov_b64 s[22:23], 0
	s_and_saveexec_b64 s[4:5], vcc
	s_cbranch_execz .LBB75_441
; %bb.440:                              ;   in Loop: Header=BB75_437 Depth=1
	v_ashrrev_i32_e32 v13, 31, v7
	v_or_b32_e32 v14, 0x80000000, v13
	v_xor_b32_e32 v14, v14, v7
	v_xor_b32_e32 v13, v13, v6
	v_cmp_o_f64_e32 vcc, v[6:7], v[6:7]
	v_cndmask_b32_e32 v15, -1, v14, vcc
	v_cndmask_b32_e32 v14, -1, v13, vcc
	v_cmp_gt_u64_e32 vcc, v[14:15], v[2:3]
	v_cndmask_b32_e64 v13, 0, 1, vcc
	v_cmp_lt_u64_e32 vcc, v[14:15], v[2:3]
	v_cndmask_b32_e64 v14, 0, 1, vcc
	v_cndmask_b32_e64 v13, v14, v13, s[30:31]
	v_and_b32_e32 v13, 1, v13
	v_cmp_eq_u32_e32 vcc, 1, v13
	s_and_b64 s[22:23], vcc, exec
.LBB75_441:                             ;   in Loop: Header=BB75_437 Depth=1
	s_or_b64 exec, exec, s[4:5]
	v_cndmask_b32_e64 v13, 0, 1, s[22:23]
	v_cmp_ne_u32_e32 vcc, 0, v13
	s_cmp_lg_u64 vcc, 0
	s_cselect_b64 s[4:5], -1, 0
	s_and_b64 s[4:5], s[0:1], s[4:5]
	s_and_saveexec_b64 s[24:25], s[4:5]
	s_cbranch_execz .LBB75_445
; %bb.442:                              ;   in Loop: Header=BB75_437 Depth=1
	s_mov_b64 s[28:29], exec
	s_waitcnt lgkmcnt(0)
	v_mbcnt_lo_u32_b32 v5, s28, 0
	v_mbcnt_hi_u32_b32 v5, s29, v5
	s_bcnt1_i32_b64 s6, vcc
	v_cmp_eq_u32_e64 s[4:5], 0, v5
                                        ; implicit-def: $vgpr13
	s_and_saveexec_b64 s[26:27], s[4:5]
	s_cbranch_execz .LBB75_444
; %bb.443:                              ;   in Loop: Header=BB75_437 Depth=1
	s_bcnt1_i32_b64 s4, s[28:29]
	s_mul_i32 s4, s6, s4
	v_mov_b32_e32 v13, s4
	ds_add_rtn_u32 v13, v9, v13 offset:4108
.LBB75_444:                             ;   in Loop: Header=BB75_437 Depth=1
	s_or_b64 exec, exec, s[26:27]
	s_waitcnt lgkmcnt(0)
	v_readfirstlane_b32 s4, v13
	v_mov_b32_e32 v13, s4
	v_mad_u32_u24 v5, s6, v5, v13
.LBB75_445:                             ;   in Loop: Header=BB75_437 Depth=1
	s_or_b64 exec, exec, s[24:25]
	s_waitcnt lgkmcnt(0)
	ds_bpermute_b32 v5, v23, v5
	s_mov_b64 s[4:5], -1
	s_mov_b64 s[28:29], -1
                                        ; implicit-def: $sgpr26_sgpr27
	s_and_saveexec_b64 s[24:25], s[22:23]
	s_cbranch_execz .LBB75_449
; %bb.446:                              ;   in Loop: Header=BB75_437 Depth=1
	v_and_b32_e32 v14, vcc_lo, v16
	v_and_b32_e32 v13, vcc_hi, v17
	v_bcnt_u32_b32 v14, v14, 0
	v_bcnt_u32_b32 v13, v13, v14
	s_waitcnt lgkmcnt(0)
	v_add_u32_e32 v13, v5, v13
	v_cmp_gt_u32_e32 vcc, s61, v13
	s_mov_b64 s[22:23], 0
	s_and_saveexec_b64 s[26:27], vcc
	s_cbranch_execz .LBB75_448
; %bb.447:                              ;   in Loop: Header=BB75_437 Depth=1
	v_mul_lo_u32 v14, v13, s45
	v_mov_b32_e32 v15, v9
	v_lshlrev_b64 v[14:15], 3, v[14:15]
	v_mul_lo_u32 v20, v13, s46
	v_mov_b32_e32 v13, s42
	v_add_co_u32_e32 v14, vcc, s41, v14
	v_addc_co_u32_e32 v15, vcc, v13, v15, vcc
	v_mov_b32_e32 v21, v9
	global_store_dwordx2 v[14:15], v[6:7], off
	v_lshlrev_b64 v[6:7], 3, v[20:21]
	v_mov_b32_e32 v14, s44
	v_add_co_u32_e32 v6, vcc, s43, v6
	s_mov_b64 s[22:23], exec
	v_mov_b32_e32 v13, v9
	v_addc_co_u32_e32 v7, vcc, v14, v7, vcc
	global_store_dwordx2 v[6:7], v[12:13], off
.LBB75_448:                             ;   in Loop: Header=BB75_437 Depth=1
	s_or_b64 exec, exec, s[26:27]
	s_mov_b64 s[26:27], -1
	s_orn2_b64 s[28:29], s[22:23], exec
.LBB75_449:                             ;   in Loop: Header=BB75_437 Depth=1
	s_or_b64 exec, exec, s[24:25]
	s_and_saveexec_b64 s[22:23], s[28:29]
	s_cbranch_execz .LBB75_436
; %bb.450:                              ;   in Loop: Header=BB75_437 Depth=1
	v_cmp_le_u32_e32 vcc, s40, v1
	v_add_u32_e32 v8, s86, v8
	s_andn2_b64 s[26:27], s[26:27], exec
	s_orn2_b64 s[4:5], vcc, exec
	s_branch .LBB75_436
.LBB75_451:
	s_or_b64 exec, exec, s[18:19]
	s_mov_b64 s[4:5], exec
	s_orn2_b64 s[18:19], s[20:21], exec
	s_or_b64 exec, exec, s[8:9]
	s_and_saveexec_b64 s[8:9], s[18:19]
	s_cbranch_execz .LBB75_426
.LBB75_452:
	v_pk_mov_b32 v[6:7], 0, 0
	s_waitcnt lgkmcnt(0)
	s_barrier
	s_mov_b64 s[2:3], exec
	v_readlane_b32 s6, v59, 40
	v_readlane_b32 s7, v59, 41
	s_and_b64 s[6:7], s[2:3], s[6:7]
	s_mov_b64 exec, s[6:7]
	s_cbranch_execz .LBB75_454
; %bb.453:
	global_load_dwordx2 v[6:7], v[18:19], off
.LBB75_454:
	s_or_b64 exec, exec, s[2:3]
	s_mov_b64 s[6:7], 0
	v_mov_b32_e32 v5, 0
                                        ; implicit-def: $sgpr18_sgpr19
                                        ; implicit-def: $sgpr20_sgpr21
                                        ; implicit-def: $sgpr22_sgpr23
                                        ; implicit-def: $vgpr12
	s_branch .LBB75_457
.LBB75_455:                             ;   in Loop: Header=BB75_457 Depth=1
	s_or_b64 exec, exec, s[28:29]
	s_andn2_b64 s[22:23], s[22:23], exec
	s_and_b64 s[26:27], s[34:35], exec
	s_andn2_b64 s[20:21], s[20:21], exec
	s_and_b64 s[2:3], s[2:3], exec
	s_or_b64 s[22:23], s[22:23], s[26:27]
	s_or_b64 s[20:21], s[20:21], s[2:3]
	v_mov_b32_e32 v0, v13
	v_pk_mov_b32 v[6:7], v[10:11], v[10:11] op_sel:[0,1]
.LBB75_456:                             ;   in Loop: Header=BB75_457 Depth=1
	s_or_b64 exec, exec, s[24:25]
	s_xor_b64 s[2:3], s[22:23], -1
	s_and_b64 s[24:25], exec, s[20:21]
	s_or_b64 s[6:7], s[24:25], s[6:7]
	s_andn2_b64 s[18:19], s[18:19], exec
	s_and_b64 s[2:3], s[2:3], exec
	s_or_b64 s[18:19], s[18:19], s[2:3]
	s_andn2_b64 exec, exec, s[6:7]
	s_cbranch_execz .LBB75_474
.LBB75_457:                             ; =>This Inner Loop Header: Depth=1
	v_cmp_gt_u32_e32 vcc, s40, v0
	s_or_b64 s[22:23], s[22:23], exec
	s_or_b64 s[20:21], s[20:21], exec
	s_and_saveexec_b64 s[24:25], vcc
	s_cbranch_execz .LBB75_456
; %bb.458:                              ;   in Loop: Header=BB75_457 Depth=1
	v_add_u32_e32 v13, s85, v0
	v_cmp_gt_u32_e32 vcc, s60, v13
	v_pk_mov_b32 v[8:9], 0, 0
	s_and_saveexec_b64 s[2:3], vcc
	s_cbranch_execz .LBB75_460
; %bb.459:                              ;   in Loop: Header=BB75_457 Depth=1
	v_lshlrev_b64 v[8:9], 3, v[4:5]
	v_mov_b32_e32 v1, s84
	v_add_co_u32_e32 v8, vcc, s33, v8
	v_addc_co_u32_e32 v9, vcc, v1, v9, vcc
	global_load_dwordx2 v[8:9], v[8:9], off
.LBB75_460:                             ;   in Loop: Header=BB75_457 Depth=1
	s_or_b64 exec, exec, s[2:3]
	v_cmp_gt_u32_e32 vcc, s60, v0
	s_mov_b64 s[28:29], 0
	s_and_saveexec_b64 s[2:3], vcc
	s_cbranch_execz .LBB75_462
; %bb.461:                              ;   in Loop: Header=BB75_457 Depth=1
	s_waitcnt vmcnt(0)
	v_ashrrev_i32_e32 v1, 31, v7
	v_or_b32_e32 v10, 0x80000000, v1
	v_xor_b32_e32 v10, v10, v7
	v_xor_b32_e32 v1, v1, v6
	v_cmp_o_f64_e32 vcc, v[6:7], v[6:7]
	v_cndmask_b32_e32 v11, -1, v10, vcc
	v_cndmask_b32_e32 v10, -1, v1, vcc
	v_cmp_eq_u64_e32 vcc, v[10:11], v[2:3]
	s_and_b64 s[28:29], vcc, exec
.LBB75_462:                             ;   in Loop: Header=BB75_457 Depth=1
	s_or_b64 exec, exec, s[2:3]
	v_cndmask_b32_e64 v1, 0, 1, s[28:29]
	v_cmp_ne_u32_e32 vcc, 0, v1
	s_cmp_lg_u64 vcc, 0
	s_cselect_b64 s[2:3], -1, 0
	s_and_b64 s[2:3], s[0:1], s[2:3]
	s_and_saveexec_b64 s[26:27], s[2:3]
	s_cbranch_execz .LBB75_466
; %bb.463:                              ;   in Loop: Header=BB75_457 Depth=1
	s_mov_b64 s[34:35], exec
	v_mbcnt_lo_u32_b32 v1, s34, 0
	v_mbcnt_hi_u32_b32 v1, s35, v1
	s_bcnt1_i32_b64 s36, vcc
	v_cmp_eq_u32_e64 s[2:3], 0, v1
                                        ; implicit-def: $vgpr10
	s_and_saveexec_b64 s[30:31], s[2:3]
	s_cbranch_execz .LBB75_465
; %bb.464:                              ;   in Loop: Header=BB75_457 Depth=1
	s_bcnt1_i32_b64 s2, s[34:35]
	s_mul_i32 s2, s36, s2
	v_mov_b32_e32 v10, s2
	ds_add_rtn_u32 v10, v5, v10 offset:4108
.LBB75_465:                             ;   in Loop: Header=BB75_457 Depth=1
	s_or_b64 exec, exec, s[30:31]
	s_waitcnt lgkmcnt(0)
	v_readfirstlane_b32 s2, v10
	v_mov_b32_e32 v10, s2
	v_mad_u32_u24 v12, s36, v1, v10
.LBB75_466:                             ;   in Loop: Header=BB75_457 Depth=1
	s_or_b64 exec, exec, s[26:27]
	ds_bpermute_b32 v12, v23, v12
	s_cmp_eq_u64 vcc, 0
	s_cselect_b64 s[26:27], -1, 0
	s_mov_b64 s[30:31], -1
	s_mov_b64 s[34:35], -1
	s_waitcnt lgkmcnt(0)
	v_cmp_gt_u32_e64 s[2:3], s61, v12
	s_or_b64 s[26:27], s[26:27], s[2:3]
	s_waitcnt vmcnt(0)
	v_cndmask_b32_e64 v11, v7, v9, s[26:27]
	s_and_b64 s[36:37], s[28:29], s[26:27]
	v_cndmask_b32_e64 v10, v6, v8, s[26:27]
	s_mov_b64 s[2:3], -1
	s_and_saveexec_b64 s[28:29], s[36:37]
	s_cbranch_execz .LBB75_472
; %bb.467:                              ;   in Loop: Header=BB75_457 Depth=1
	v_and_b32_e32 v10, vcc_lo, v16
	v_and_b32_e32 v1, vcc_hi, v17
	v_bcnt_u32_b32 v10, v10, 0
	v_bcnt_u32_b32 v1, v1, v10
	v_sub_u32_e32 v10, s61, v12
	v_cmp_le_u32_e64 s[30:31], v10, v1
	v_cmp_gt_u32_e32 vcc, v10, v1
	s_mov_b64 s[36:37], -1
	s_and_saveexec_b64 s[34:35], vcc
	s_cbranch_execz .LBB75_471
; %bb.468:                              ;   in Loop: Header=BB75_457 Depth=1
	v_add_u32_e32 v1, v12, v1
	v_cmp_gt_u32_e32 vcc, s61, v1
	s_mov_b64 s[38:39], s[30:31]
	s_and_saveexec_b64 s[36:37], vcc
	s_cbranch_execz .LBB75_470
; %bb.469:                              ;   in Loop: Header=BB75_457 Depth=1
	v_mul_lo_u32 v10, v1, s45
	v_mov_b32_e32 v11, v5
	v_lshlrev_b64 v[10:11], 3, v[10:11]
	v_mul_lo_u32 v14, v1, s46
	v_mov_b32_e32 v1, s42
	v_add_co_u32_e32 v10, vcc, s41, v10
	v_addc_co_u32_e32 v11, vcc, v1, v11, vcc
	v_mov_b32_e32 v15, v5
	global_store_dwordx2 v[10:11], v[6:7], off
	v_lshlrev_b64 v[6:7], 3, v[14:15]
	v_mov_b32_e32 v10, s44
	v_add_co_u32_e32 v6, vcc, s43, v6
	v_mov_b32_e32 v1, v5
	v_addc_co_u32_e32 v7, vcc, v10, v7, vcc
	s_or_b64 s[38:39], s[30:31], exec
	global_store_dwordx2 v[6:7], v[0:1], off
.LBB75_470:                             ;   in Loop: Header=BB75_457 Depth=1
	s_or_b64 exec, exec, s[36:37]
	s_andn2_b64 s[30:31], s[30:31], exec
	s_and_b64 s[38:39], s[38:39], exec
	s_xor_b64 s[36:37], exec, -1
	s_or_b64 s[30:31], s[30:31], s[38:39]
.LBB75_471:                             ;   in Loop: Header=BB75_457 Depth=1
	s_or_b64 exec, exec, s[34:35]
	s_orn2_b64 s[34:35], s[36:37], exec
	s_or_b64 s[26:27], s[26:27], exec
	s_orn2_b64 s[30:31], s[30:31], exec
	v_pk_mov_b32 v[10:11], v[8:9], v[8:9] op_sel:[0,1]
.LBB75_472:                             ;   in Loop: Header=BB75_457 Depth=1
	s_or_b64 exec, exec, s[28:29]
	s_and_saveexec_b64 s[28:29], s[30:31]
	s_cbranch_execz .LBB75_455
; %bb.473:                              ;   in Loop: Header=BB75_457 Depth=1
	s_xor_b64 s[2:3], s[26:27], -1
	v_add_u32_e32 v4, s86, v4
	s_or_b64 s[34:35], s[34:35], exec
	s_orn2_b64 s[2:3], s[2:3], exec
	s_branch .LBB75_455
.LBB75_474:
	s_or_b64 exec, exec, s[6:7]
	s_mov_b64 s[0:1], 0
	s_and_saveexec_b64 s[2:3], s[18:19]
	s_xor_b64 s[2:3], exec, s[2:3]
	s_cbranch_execnz .LBB75_480
.LBB75_475:
	s_or_b64 exec, exec, s[2:3]
	s_and_b64 s[2:3], s[0:1], exec
	s_andn2_b64 s[4:5], s[4:5], exec
	s_or_b64 exec, exec, s[8:9]
	s_and_saveexec_b64 s[0:1], s[4:5]
	s_xor_b64 s[0:1], exec, s[0:1]
	s_cbranch_execz .LBB75_427
.LBB75_476:
	s_or_b64 s[2:3], s[2:3], exec
	s_trap 2
	s_branch .LBB75_427
.LBB75_477:
	s_or_b64 s[14:15], s[14:15], exec
	s_trap 2
	s_branch .LBB75_433
.LBB75_478:
	s_or_b64 s[16:17], s[16:17], exec
	s_trap 2
	s_branch .LBB75_431
.LBB75_479:
	s_trap 2
	s_or_b64 s[18:19], s[18:19], exec
	s_branch .LBB75_429
.LBB75_480:
	s_mov_b64 s[0:1], exec
	s_trap 2
	s_branch .LBB75_475
	.section	.rodata,"a",@progbits
	.p2align	6, 0x0
	.amdhsa_kernel _ZN2at6native6sbtopk10gatherTopKIdjLi3ELb0EEEvNS_4cuda6detail10TensorInfoIKT_T0_EES8_S8_bS8_S8_NS5_IS6_S8_EES8_NS5_IlS8_EES8_PS6_
		.amdhsa_group_segment_fixed_size 4112
		.amdhsa_private_segment_fixed_size 0
		.amdhsa_kernarg_size 952
		.amdhsa_user_sgpr_count 6
		.amdhsa_user_sgpr_private_segment_buffer 1
		.amdhsa_user_sgpr_dispatch_ptr 0
		.amdhsa_user_sgpr_queue_ptr 0
		.amdhsa_user_sgpr_kernarg_segment_ptr 1
		.amdhsa_user_sgpr_dispatch_id 0
		.amdhsa_user_sgpr_flat_scratch_init 0
		.amdhsa_user_sgpr_kernarg_preload_length 0
		.amdhsa_user_sgpr_kernarg_preload_offset 0
		.amdhsa_user_sgpr_private_segment_size 0
		.amdhsa_uses_dynamic_stack 0
		.amdhsa_system_sgpr_private_segment_wavefront_offset 0
		.amdhsa_system_sgpr_workgroup_id_x 1
		.amdhsa_system_sgpr_workgroup_id_y 1
		.amdhsa_system_sgpr_workgroup_id_z 1
		.amdhsa_system_sgpr_workgroup_info 0
		.amdhsa_system_vgpr_workitem_id 0
		.amdhsa_next_free_vgpr 60
		.amdhsa_next_free_sgpr 96
		.amdhsa_accum_offset 60
		.amdhsa_reserve_vcc 1
		.amdhsa_reserve_flat_scratch 0
		.amdhsa_float_round_mode_32 0
		.amdhsa_float_round_mode_16_64 0
		.amdhsa_float_denorm_mode_32 3
		.amdhsa_float_denorm_mode_16_64 3
		.amdhsa_dx10_clamp 1
		.amdhsa_ieee_mode 1
		.amdhsa_fp16_overflow 0
		.amdhsa_tg_split 0
		.amdhsa_exception_fp_ieee_invalid_op 0
		.amdhsa_exception_fp_denorm_src 0
		.amdhsa_exception_fp_ieee_div_zero 0
		.amdhsa_exception_fp_ieee_overflow 0
		.amdhsa_exception_fp_ieee_underflow 0
		.amdhsa_exception_fp_ieee_inexact 0
		.amdhsa_exception_int_div_zero 0
	.end_amdhsa_kernel
	.section	.text._ZN2at6native6sbtopk10gatherTopKIdjLi3ELb0EEEvNS_4cuda6detail10TensorInfoIKT_T0_EES8_S8_bS8_S8_NS5_IS6_S8_EES8_NS5_IlS8_EES8_PS6_,"axG",@progbits,_ZN2at6native6sbtopk10gatherTopKIdjLi3ELb0EEEvNS_4cuda6detail10TensorInfoIKT_T0_EES8_S8_bS8_S8_NS5_IS6_S8_EES8_NS5_IlS8_EES8_PS6_,comdat
.Lfunc_end75:
	.size	_ZN2at6native6sbtopk10gatherTopKIdjLi3ELb0EEEvNS_4cuda6detail10TensorInfoIKT_T0_EES8_S8_bS8_S8_NS5_IS6_S8_EES8_NS5_IlS8_EES8_PS6_, .Lfunc_end75-_ZN2at6native6sbtopk10gatherTopKIdjLi3ELb0EEEvNS_4cuda6detail10TensorInfoIKT_T0_EES8_S8_bS8_S8_NS5_IS6_S8_EES8_NS5_IlS8_EES8_PS6_
                                        ; -- End function
	.section	.AMDGPU.csdata,"",@progbits
; Kernel info:
; codeLenInByte = 17948
; NumSgprs: 100
; NumVgprs: 60
; NumAgprs: 0
; TotalNumVgprs: 60
; ScratchSize: 0
; MemoryBound: 0
; FloatMode: 240
; IeeeMode: 1
; LDSByteSize: 4112 bytes/workgroup (compile time only)
; SGPRBlocks: 12
; VGPRBlocks: 7
; NumSGPRsForWavesPerEU: 100
; NumVGPRsForWavesPerEU: 60
; AccumOffset: 60
; Occupancy: 8
; WaveLimiterHint : 1
; COMPUTE_PGM_RSRC2:SCRATCH_EN: 0
; COMPUTE_PGM_RSRC2:USER_SGPR: 6
; COMPUTE_PGM_RSRC2:TRAP_HANDLER: 0
; COMPUTE_PGM_RSRC2:TGID_X_EN: 1
; COMPUTE_PGM_RSRC2:TGID_Y_EN: 1
; COMPUTE_PGM_RSRC2:TGID_Z_EN: 1
; COMPUTE_PGM_RSRC2:TIDIG_COMP_CNT: 0
; COMPUTE_PGM_RSRC3_GFX90A:ACCUM_OFFSET: 14
; COMPUTE_PGM_RSRC3_GFX90A:TG_SPLIT: 0
	.section	.text._ZN2at6native6mbtopk23computeBlockDigitCountsIdjmLin1EEEvNS_4cuda6detail10TensorInfoIKT_T0_EEjPjjS8_iijT1_PSB_Ps,"axG",@progbits,_ZN2at6native6mbtopk23computeBlockDigitCountsIdjmLin1EEEvNS_4cuda6detail10TensorInfoIKT_T0_EEjPjjS8_iijT1_PSB_Ps,comdat
	.protected	_ZN2at6native6mbtopk23computeBlockDigitCountsIdjmLin1EEEvNS_4cuda6detail10TensorInfoIKT_T0_EEjPjjS8_iijT1_PSB_Ps ; -- Begin function _ZN2at6native6mbtopk23computeBlockDigitCountsIdjmLin1EEEvNS_4cuda6detail10TensorInfoIKT_T0_EEjPjjS8_iijT1_PSB_Ps
	.globl	_ZN2at6native6mbtopk23computeBlockDigitCountsIdjmLin1EEEvNS_4cuda6detail10TensorInfoIKT_T0_EEjPjjS8_iijT1_PSB_Ps
	.p2align	8
	.type	_ZN2at6native6mbtopk23computeBlockDigitCountsIdjmLin1EEEvNS_4cuda6detail10TensorInfoIKT_T0_EEjPjjS8_iijT1_PSB_Ps,@function
_ZN2at6native6mbtopk23computeBlockDigitCountsIdjmLin1EEEvNS_4cuda6detail10TensorInfoIKT_T0_EEjPjjS8_iijT1_PSB_Ps: ; @_ZN2at6native6mbtopk23computeBlockDigitCountsIdjmLin1EEEvNS_4cuda6detail10TensorInfoIKT_T0_EEjPjjS8_iijT1_PSB_Ps
; %bb.0:
	s_load_dword s17, s[4:5], 0xf8
	s_load_dwordx4 s[12:15], s[4:5], 0xe8
	s_load_dwordx2 s[0:1], s[4:5], 0x118
	s_waitcnt lgkmcnt(0)
	v_cvt_f32_u32_e32 v1, s17
	s_sub_i32 s2, 0, s17
	s_mul_i32 s1, s1, s8
	s_add_i32 s1, s1, s7
	v_rcp_iflag_f32_e32 v1, v1
	s_mul_i32 s16, s1, s0
	s_add_i32 s16, s16, s6
	v_mul_f32_e32 v1, 0x4f7ffffe, v1
	v_cvt_u32_f32_e32 v1, v1
	v_readfirstlane_b32 s0, v1
	s_mul_i32 s2, s2, s0
	s_mul_hi_u32 s1, s0, s2
	s_add_i32 s0, s0, s1
	s_mul_hi_u32 s0, s16, s0
	s_mul_i32 s1, s0, s17
	s_sub_i32 s1, s16, s1
	s_add_i32 s2, s0, 1
	s_sub_i32 s3, s1, s17
	s_cmp_ge_u32 s1, s17
	s_cselect_b32 s0, s2, s0
	s_cselect_b32 s1, s3, s1
	s_add_i32 s2, s0, 1
	s_cmp_ge_u32 s1, s17
	s_cselect_b32 s0, s2, s0
	s_cmp_ge_u32 s0, s12
	s_mov_b32 s1, 0
	s_cbranch_scc1 .LBB76_26
; %bb.1:
	s_load_dwordx4 s[8:11], s[4:5], 0x100
	s_load_dword s18, s[4:5], 0xd0
	s_load_dwordx2 s[2:3], s[4:5], 0x110
	s_lshl_b64 s[6:7], s[0:1], 3
	s_mov_b32 s19, s0
	s_waitcnt lgkmcnt(0)
	s_add_u32 s6, s10, s6
	s_addc_u32 s7, s11, s7
	s_load_dwordx2 s[6:7], s[6:7], 0x0
	s_cmp_lt_i32 s18, 2
	s_cbranch_scc1 .LBB76_4
; %bb.2:
	s_add_i32 s20, s18, -1
	s_mov_b32 s21, 0
	s_add_i32 s12, s18, 1
	s_lshl_b64 s[10:11], s[20:21], 2
	s_add_u32 s1, s10, s4
	s_addc_u32 s11, s11, s5
	s_add_u32 s10, s1, 8
	s_addc_u32 s11, s11, 0
	s_mov_b32 s19, s0
	s_mov_b32 s1, s21
.LBB76_3:                               ; =>This Inner Loop Header: Depth=1
	s_load_dword s18, s[10:11], 0x0
	s_load_dword s21, s[10:11], 0x64
	s_mov_b32 s20, s19
	s_waitcnt lgkmcnt(0)
	v_cvt_f32_u32_e32 v1, s18
	s_sub_i32 s19, 0, s18
	v_rcp_iflag_f32_e32 v1, v1
	v_mul_f32_e32 v1, 0x4f7ffffe, v1
	v_cvt_u32_f32_e32 v1, v1
	v_readfirstlane_b32 s22, v1
	s_mul_i32 s19, s19, s22
	s_mul_hi_u32 s19, s22, s19
	s_add_i32 s22, s22, s19
	s_mul_hi_u32 s19, s20, s22
	s_mul_i32 s22, s19, s18
	s_sub_i32 s22, s20, s22
	s_add_i32 s23, s19, 1
	s_sub_i32 s24, s22, s18
	s_cmp_ge_u32 s22, s18
	s_cselect_b32 s19, s23, s19
	s_cselect_b32 s22, s24, s22
	s_add_i32 s23, s19, 1
	s_cmp_ge_u32 s22, s18
	s_cselect_b32 s19, s23, s19
	s_mul_i32 s18, s19, s18
	s_sub_i32 s18, s20, s18
	s_mul_i32 s18, s21, s18
	s_add_i32 s12, s12, -1
	s_add_i32 s1, s18, s1
	s_add_u32 s10, s10, -4
	s_addc_u32 s11, s11, -1
	s_cmp_gt_u32 s12, 2
	s_cbranch_scc1 .LBB76_3
.LBB76_4:
	s_movk_i32 s10, 0x100
	v_cmp_gt_u32_e32 vcc, s10, v0
	v_lshlrev_b32_e32 v1, 2, v0
	s_and_saveexec_b64 s[10:11], vcc
	s_cbranch_execz .LBB76_6
; %bb.5:
	v_mov_b32_e32 v2, 0
	ds_write_b32 v1, v2
.LBB76_6:
	s_or_b64 exec, exec, s[10:11]
	s_load_dword s12, s[4:5], 0xd8
	s_mul_i32 s0, s0, s17
	s_sub_i32 s0, s16, s0
	s_add_i32 s10, s0, 1
	s_mul_i32 s0, s15, s0
	s_lshl_b32 s0, s0, 8
	s_waitcnt lgkmcnt(0)
	s_sub_i32 s11, s12, s0
	s_add_u32 s11, s11, 0xff
	s_addc_u32 s18, 0, 0
	v_mov_b32_e32 v2, s11
	v_alignbit_b32 v2, s18, v2, 8
	s_cmp_lt_u32 s10, s17
	v_readfirstlane_b32 s10, v2
	s_cselect_b32 s18, s15, s10
	s_cmp_lt_i32 s18, 1
	s_mov_b32 s11, 0
	s_barrier
	s_cbranch_scc1 .LBB76_22
; %bb.7:
	s_load_dword s10, s[4:5], 0x6c
	s_load_dwordx2 s[20:21], s[4:5], 0x0
	v_add_u32_e32 v6, s0, v0
	s_waitcnt lgkmcnt(0)
	s_mul_i32 s4, s10, s19
	s_add_i32 s10, s4, s1
	s_lshl_b64 s[4:5], s[10:11], 3
	s_add_u32 s15, s20, s4
	s_addc_u32 s17, s21, s5
	s_and_b32 s10, s14, 0xff
	s_cmp_eq_u32 s18, 1
	s_cbranch_scc1 .LBB76_17
; %bb.8:
	v_add_u32_e32 v2, 0x100, v6
	s_and_b32 s11, s18, 0x7ffffffe
	v_mul_lo_u32 v7, s13, v2
	s_lshl_b32 s14, s13, 9
	v_mul_lo_u32 v8, s13, v6
	s_mov_b32 s19, 0
	v_mov_b32_e32 v3, 0
	v_mov_b32_e32 v9, 1
	;; [unrolled: 1-line block ×4, first 2 shown]
	s_mov_b32 s20, 0
	s_branch .LBB76_10
.LBB76_9:                               ;   in Loop: Header=BB76_10 Depth=1
	s_or_b64 exec, exec, s[4:5]
	s_add_i32 s20, s20, 2
	s_add_i32 s19, s19, s14
	s_cmp_eq_u32 s11, s20
	v_add_u32_e32 v11, 0x200, v11
	s_cbranch_scc1 .LBB76_16
.LBB76_10:                              ; =>This Inner Loop Header: Depth=1
	v_cmp_gt_u32_e64 s[0:1], s12, v11
	s_and_saveexec_b64 s[4:5], s[0:1]
	s_cbranch_execz .LBB76_13
; %bb.11:                               ;   in Loop: Header=BB76_10 Depth=1
	v_add_u32_e32 v2, s19, v8
	v_lshlrev_b64 v[4:5], 3, v[2:3]
	v_mov_b32_e32 v2, s17
	v_add_co_u32_e64 v4, s[0:1], s15, v4
	v_addc_co_u32_e64 v5, s[0:1], v2, v5, s[0:1]
	global_load_dwordx2 v[4:5], v[4:5], off
	s_waitcnt vmcnt(0)
	v_ashrrev_i32_e32 v2, 31, v5
	v_or_b32_e32 v12, 0x80000000, v2
	v_xor_b32_e32 v2, v2, v4
	v_xor_b32_e32 v12, v12, v5
	v_cmp_o_f64_e64 s[0:1], v[4:5], v[4:5]
	v_cndmask_b32_e64 v5, -1, v12, s[0:1]
	v_cndmask_b32_e64 v4, -1, v2, s[0:1]
	v_xor_b32_e32 v2, s7, v5
	v_xor_b32_e32 v12, s6, v4
	v_and_b32_e32 v13, s9, v2
	v_and_b32_e32 v12, s8, v12
	v_cmp_eq_u64_e64 s[0:1], 0, v[12:13]
	s_and_b64 exec, exec, s[0:1]
	s_cbranch_execz .LBB76_13
; %bb.12:                               ;   in Loop: Header=BB76_10 Depth=1
	v_lshrrev_b64 v[4:5], s10, v[4:5]
	v_lshlrev_b32_sdwa v2, v10, v4 dst_sel:DWORD dst_unused:UNUSED_PAD src0_sel:DWORD src1_sel:BYTE_0
	ds_add_u32 v2, v9
.LBB76_13:                              ;   in Loop: Header=BB76_10 Depth=1
	s_or_b64 exec, exec, s[4:5]
	v_add_u32_e32 v2, 0x100, v11
	v_cmp_gt_u32_e64 s[0:1], s12, v2
	s_and_saveexec_b64 s[4:5], s[0:1]
	s_cbranch_execz .LBB76_9
; %bb.14:                               ;   in Loop: Header=BB76_10 Depth=1
	v_add_u32_e32 v2, s19, v7
	v_lshlrev_b64 v[4:5], 3, v[2:3]
	v_mov_b32_e32 v2, s17
	v_add_co_u32_e64 v4, s[0:1], s15, v4
	v_addc_co_u32_e64 v5, s[0:1], v2, v5, s[0:1]
	global_load_dwordx2 v[4:5], v[4:5], off
	s_waitcnt vmcnt(0)
	v_ashrrev_i32_e32 v2, 31, v5
	v_or_b32_e32 v12, 0x80000000, v2
	v_xor_b32_e32 v2, v2, v4
	v_xor_b32_e32 v12, v12, v5
	v_cmp_o_f64_e64 s[0:1], v[4:5], v[4:5]
	v_cndmask_b32_e64 v5, -1, v12, s[0:1]
	v_cndmask_b32_e64 v4, -1, v2, s[0:1]
	v_xor_b32_e32 v2, s7, v5
	v_xor_b32_e32 v12, s6, v4
	v_and_b32_e32 v13, s9, v2
	v_and_b32_e32 v12, s8, v12
	v_cmp_eq_u64_e64 s[0:1], 0, v[12:13]
	s_and_b64 exec, exec, s[0:1]
	s_cbranch_execz .LBB76_9
; %bb.15:                               ;   in Loop: Header=BB76_10 Depth=1
	v_lshrrev_b64 v[4:5], s10, v[4:5]
	v_lshlrev_b32_sdwa v2, v10, v4 dst_sel:DWORD dst_unused:UNUSED_PAD src0_sel:DWORD src1_sel:BYTE_0
	ds_add_u32 v2, v9
	s_branch .LBB76_9
.LBB76_16:
	s_lshl_b32 s11, s11, 8
.LBB76_17:
	s_bitcmp0_b32 s18, 0
	s_cbranch_scc1 .LBB76_22
; %bb.18:
	v_add_u32_e32 v2, s11, v6
	v_cmp_gt_u32_e64 s[0:1], s12, v2
	s_and_saveexec_b64 s[4:5], s[0:1]
	s_cbranch_execz .LBB76_21
; %bb.19:
	v_mul_lo_u32 v2, v2, s13
	v_mov_b32_e32 v3, 0
	v_lshlrev_b64 v[2:3], 3, v[2:3]
	v_mov_b32_e32 v4, s17
	v_add_co_u32_e64 v2, s[0:1], s15, v2
	v_addc_co_u32_e64 v3, s[0:1], v4, v3, s[0:1]
	global_load_dwordx2 v[2:3], v[2:3], off
	s_waitcnt vmcnt(0)
	v_ashrrev_i32_e32 v4, 31, v3
	v_or_b32_e32 v5, 0x80000000, v4
	v_xor_b32_e32 v4, v4, v2
	v_xor_b32_e32 v5, v5, v3
	v_cmp_o_f64_e64 s[0:1], v[2:3], v[2:3]
	v_cndmask_b32_e64 v3, -1, v5, s[0:1]
	v_cndmask_b32_e64 v2, -1, v4, s[0:1]
	v_xor_b32_e32 v4, s7, v3
	v_xor_b32_e32 v6, s6, v2
	v_and_b32_e32 v5, s9, v4
	v_and_b32_e32 v4, s8, v6
	v_cmp_eq_u64_e64 s[0:1], 0, v[4:5]
	s_and_b64 exec, exec, s[0:1]
	s_cbranch_execz .LBB76_21
; %bb.20:
	v_lshrrev_b64 v[2:3], s10, v[2:3]
	v_mov_b32_e32 v3, 2
	v_lshlrev_b32_sdwa v2, v3, v2 dst_sel:DWORD dst_unused:UNUSED_PAD src0_sel:DWORD src1_sel:BYTE_0
	v_mov_b32_e32 v3, 1
	ds_add_u32 v2, v3
.LBB76_21:
	s_or_b64 exec, exec, s[4:5]
.LBB76_22:
	v_mov_b32_e32 v2, 0
	s_waitcnt lgkmcnt(0)
	s_barrier
	s_and_saveexec_b64 s[0:1], vcc
	s_cbranch_execz .LBB76_24
; %bb.23:
	ds_read_b32 v2, v1
.LBB76_24:
	s_or_b64 exec, exec, s[0:1]
	s_and_saveexec_b64 s[0:1], vcc
	s_cbranch_execz .LBB76_26
; %bb.25:
	v_lshl_or_b32 v0, s16, 8, v0
	v_mov_b32_e32 v1, 0
	v_lshlrev_b64 v[0:1], 1, v[0:1]
	v_mov_b32_e32 v3, s3
	v_add_co_u32_e32 v0, vcc, s2, v0
	v_addc_co_u32_e32 v1, vcc, v3, v1, vcc
	s_waitcnt lgkmcnt(0)
	global_store_short v[0:1], v2, off
.LBB76_26:
	s_endpgm
	.section	.rodata,"a",@progbits
	.p2align	6, 0x0
	.amdhsa_kernel _ZN2at6native6mbtopk23computeBlockDigitCountsIdjmLin1EEEvNS_4cuda6detail10TensorInfoIKT_T0_EEjPjjS8_iijT1_PSB_Ps
		.amdhsa_group_segment_fixed_size 1024
		.amdhsa_private_segment_fixed_size 0
		.amdhsa_kernarg_size 536
		.amdhsa_user_sgpr_count 6
		.amdhsa_user_sgpr_private_segment_buffer 1
		.amdhsa_user_sgpr_dispatch_ptr 0
		.amdhsa_user_sgpr_queue_ptr 0
		.amdhsa_user_sgpr_kernarg_segment_ptr 1
		.amdhsa_user_sgpr_dispatch_id 0
		.amdhsa_user_sgpr_flat_scratch_init 0
		.amdhsa_user_sgpr_kernarg_preload_length 0
		.amdhsa_user_sgpr_kernarg_preload_offset 0
		.amdhsa_user_sgpr_private_segment_size 0
		.amdhsa_uses_dynamic_stack 0
		.amdhsa_system_sgpr_private_segment_wavefront_offset 0
		.amdhsa_system_sgpr_workgroup_id_x 1
		.amdhsa_system_sgpr_workgroup_id_y 1
		.amdhsa_system_sgpr_workgroup_id_z 1
		.amdhsa_system_sgpr_workgroup_info 0
		.amdhsa_system_vgpr_workitem_id 0
		.amdhsa_next_free_vgpr 14
		.amdhsa_next_free_sgpr 25
		.amdhsa_accum_offset 16
		.amdhsa_reserve_vcc 1
		.amdhsa_reserve_flat_scratch 0
		.amdhsa_float_round_mode_32 0
		.amdhsa_float_round_mode_16_64 0
		.amdhsa_float_denorm_mode_32 3
		.amdhsa_float_denorm_mode_16_64 3
		.amdhsa_dx10_clamp 1
		.amdhsa_ieee_mode 1
		.amdhsa_fp16_overflow 0
		.amdhsa_tg_split 0
		.amdhsa_exception_fp_ieee_invalid_op 0
		.amdhsa_exception_fp_denorm_src 0
		.amdhsa_exception_fp_ieee_div_zero 0
		.amdhsa_exception_fp_ieee_overflow 0
		.amdhsa_exception_fp_ieee_underflow 0
		.amdhsa_exception_fp_ieee_inexact 0
		.amdhsa_exception_int_div_zero 0
	.end_amdhsa_kernel
	.section	.text._ZN2at6native6mbtopk23computeBlockDigitCountsIdjmLin1EEEvNS_4cuda6detail10TensorInfoIKT_T0_EEjPjjS8_iijT1_PSB_Ps,"axG",@progbits,_ZN2at6native6mbtopk23computeBlockDigitCountsIdjmLin1EEEvNS_4cuda6detail10TensorInfoIKT_T0_EEjPjjS8_iijT1_PSB_Ps,comdat
.Lfunc_end76:
	.size	_ZN2at6native6mbtopk23computeBlockDigitCountsIdjmLin1EEEvNS_4cuda6detail10TensorInfoIKT_T0_EEjPjjS8_iijT1_PSB_Ps, .Lfunc_end76-_ZN2at6native6mbtopk23computeBlockDigitCountsIdjmLin1EEEvNS_4cuda6detail10TensorInfoIKT_T0_EEjPjjS8_iijT1_PSB_Ps
                                        ; -- End function
	.section	.AMDGPU.csdata,"",@progbits
; Kernel info:
; codeLenInByte = 1280
; NumSgprs: 29
; NumVgprs: 14
; NumAgprs: 0
; TotalNumVgprs: 14
; ScratchSize: 0
; MemoryBound: 0
; FloatMode: 240
; IeeeMode: 1
; LDSByteSize: 1024 bytes/workgroup (compile time only)
; SGPRBlocks: 3
; VGPRBlocks: 1
; NumSGPRsForWavesPerEU: 29
; NumVGPRsForWavesPerEU: 14
; AccumOffset: 16
; Occupancy: 8
; WaveLimiterHint : 1
; COMPUTE_PGM_RSRC2:SCRATCH_EN: 0
; COMPUTE_PGM_RSRC2:USER_SGPR: 6
; COMPUTE_PGM_RSRC2:TRAP_HANDLER: 0
; COMPUTE_PGM_RSRC2:TGID_X_EN: 1
; COMPUTE_PGM_RSRC2:TGID_Y_EN: 1
; COMPUTE_PGM_RSRC2:TGID_Z_EN: 1
; COMPUTE_PGM_RSRC2:TIDIG_COMP_CNT: 0
; COMPUTE_PGM_RSRC3_GFX90A:ACCUM_OFFSET: 3
; COMPUTE_PGM_RSRC3_GFX90A:TG_SPLIT: 0
	.section	.text._ZN2at6native6mbtopk10gatherTopKIdjLin1EEEvNS_4cuda6detail10TensorInfoIKT_T0_EES8_S8_bjS8_NS5_IS6_S8_EES8_NS5_IlS8_EES8_jjPS6_PjSD_j,"axG",@progbits,_ZN2at6native6mbtopk10gatherTopKIdjLin1EEEvNS_4cuda6detail10TensorInfoIKT_T0_EES8_S8_bjS8_NS5_IS6_S8_EES8_NS5_IlS8_EES8_jjPS6_PjSD_j,comdat
	.protected	_ZN2at6native6mbtopk10gatherTopKIdjLin1EEEvNS_4cuda6detail10TensorInfoIKT_T0_EES8_S8_bjS8_NS5_IS6_S8_EES8_NS5_IlS8_EES8_jjPS6_PjSD_j ; -- Begin function _ZN2at6native6mbtopk10gatherTopKIdjLin1EEEvNS_4cuda6detail10TensorInfoIKT_T0_EES8_S8_bjS8_NS5_IS6_S8_EES8_NS5_IlS8_EES8_jjPS6_PjSD_j
	.globl	_ZN2at6native6mbtopk10gatherTopKIdjLin1EEEvNS_4cuda6detail10TensorInfoIKT_T0_EES8_S8_bjS8_NS5_IS6_S8_EES8_NS5_IlS8_EES8_jjPS6_PjSD_j
	.p2align	8
	.type	_ZN2at6native6mbtopk10gatherTopKIdjLin1EEEvNS_4cuda6detail10TensorInfoIKT_T0_EES8_S8_bjS8_NS5_IS6_S8_EES8_NS5_IlS8_EES8_jjPS6_PjSD_j,@function
_ZN2at6native6mbtopk10gatherTopKIdjLin1EEEvNS_4cuda6detail10TensorInfoIKT_T0_EES8_S8_bjS8_NS5_IS6_S8_EES8_NS5_IlS8_EES8_jjPS6_PjSD_j: ; @_ZN2at6native6mbtopk10gatherTopKIdjLin1EEEvNS_4cuda6detail10TensorInfoIKT_T0_EES8_S8_bjS8_NS5_IS6_S8_EES8_NS5_IlS8_EES8_jjPS6_PjSD_j
; %bb.0:
	s_load_dwordx2 s[0:1], s[4:5], 0x2d8
	s_load_dword s2, s[4:5], 0x2d0
	s_waitcnt lgkmcnt(0)
	s_mul_i32 s1, s1, s8
	s_add_i32 s1, s1, s7
	s_mul_i32 s12, s1, s0
	s_add_i32 s12, s12, s6
	s_cmp_ge_u32 s12, s2
	s_cbranch_scc1 .LBB77_49
; %bb.1:
	s_load_dwordx4 s[8:11], s[4:5], 0x2a8
	s_load_dword s0, s[4:5], 0xd0
	s_mov_b32 s7, 0
	s_waitcnt lgkmcnt(0)
	v_cvt_f32_u32_e32 v1, s10
	s_sub_i32 s1, 0, s10
	v_rcp_iflag_f32_e32 v1, v1
	v_mul_f32_e32 v1, 0x4f7ffffe, v1
	v_cvt_u32_f32_e32 v1, v1
	v_readfirstlane_b32 s2, v1
	s_mul_i32 s1, s1, s2
	s_mul_hi_u32 s1, s2, s1
	s_add_i32 s2, s2, s1
	s_mul_hi_u32 s1, s12, s2
	s_mul_i32 s2, s1, s10
	s_sub_i32 s2, s12, s2
	s_add_i32 s3, s1, 1
	s_sub_i32 s6, s2, s10
	s_cmp_ge_u32 s2, s10
	s_cselect_b32 s1, s3, s1
	s_cselect_b32 s2, s6, s2
	s_add_i32 s3, s1, 1
	s_cmp_ge_u32 s2, s10
	s_cselect_b32 s20, s3, s1
	s_cmp_lt_i32 s0, 2
	s_mov_b32 s6, s20
	s_cbranch_scc1 .LBB77_4
; %bb.2:
	s_add_i32 s6, s0, -1
	s_add_i32 s2, s0, 1
	s_lshl_b64 s[0:1], s[6:7], 2
	s_add_u32 s0, s0, s4
	s_addc_u32 s1, s1, s5
	s_add_u32 s0, s0, 8
	s_addc_u32 s1, s1, 0
	s_mov_b32 s6, s20
.LBB77_3:                               ; =>This Inner Loop Header: Depth=1
	s_load_dword s3, s[0:1], 0x0
	s_load_dword s13, s[0:1], 0x64
	s_mov_b32 s11, s6
	s_waitcnt lgkmcnt(0)
	v_cvt_f32_u32_e32 v1, s3
	s_sub_i32 s6, 0, s3
	v_rcp_iflag_f32_e32 v1, v1
	v_mul_f32_e32 v1, 0x4f7ffffe, v1
	v_cvt_u32_f32_e32 v1, v1
	v_readfirstlane_b32 s14, v1
	s_mul_i32 s6, s6, s14
	s_mul_hi_u32 s6, s14, s6
	s_add_i32 s14, s14, s6
	s_mul_hi_u32 s6, s11, s14
	s_mul_i32 s14, s6, s3
	s_sub_i32 s14, s11, s14
	s_add_i32 s15, s6, 1
	s_sub_i32 s16, s14, s3
	s_cmp_ge_u32 s14, s3
	s_cselect_b32 s6, s15, s6
	s_cselect_b32 s14, s16, s14
	s_add_i32 s15, s6, 1
	s_cmp_ge_u32 s14, s3
	s_cselect_b32 s6, s15, s6
	s_mul_i32 s3, s6, s3
	s_sub_i32 s3, s11, s3
	s_mul_i32 s3, s13, s3
	s_add_i32 s2, s2, -1
	s_add_i32 s7, s3, s7
	s_add_u32 s0, s0, -4
	s_addc_u32 s1, s1, -1
	s_cmp_gt_u32 s2, 2
	s_cbranch_scc1 .LBB77_3
.LBB77_4:
	s_load_dword s2, s[4:5], 0x1c0
	s_add_u32 s0, s4, 0xf0
	s_addc_u32 s1, s5, 0
	s_mov_b32 s23, 0
	s_mov_b32 s22, s20
	s_waitcnt lgkmcnt(0)
	s_cmp_lt_i32 s2, 2
	s_cbranch_scc1 .LBB77_7
; %bb.5:
	s_add_i32 s22, s2, -1
	s_add_i32 s11, s2, 1
	s_lshl_b64 s[2:3], s[22:23], 2
	s_add_u32 s2, s2, s0
	s_addc_u32 s3, s3, s1
	s_add_u32 s2, s2, 8
	s_addc_u32 s3, s3, 0
	s_mov_b32 s22, s20
.LBB77_6:                               ; =>This Inner Loop Header: Depth=1
	s_load_dword s13, s[2:3], 0x0
	s_load_dword s15, s[2:3], 0x64
	s_mov_b32 s14, s22
	s_waitcnt lgkmcnt(0)
	v_cvt_f32_u32_e32 v1, s13
	s_sub_i32 s16, 0, s13
	v_rcp_iflag_f32_e32 v1, v1
	v_mul_f32_e32 v1, 0x4f7ffffe, v1
	v_cvt_u32_f32_e32 v1, v1
	v_readfirstlane_b32 s17, v1
	s_mul_i32 s16, s16, s17
	s_mul_hi_u32 s16, s17, s16
	s_add_i32 s17, s17, s16
	s_mul_hi_u32 s16, s22, s17
	s_mul_i32 s17, s16, s13
	s_sub_i32 s17, s22, s17
	s_add_i32 s18, s16, 1
	s_sub_i32 s19, s17, s13
	s_cmp_ge_u32 s17, s13
	s_cselect_b32 s16, s18, s16
	s_cselect_b32 s17, s19, s17
	s_add_i32 s18, s16, 1
	s_cmp_ge_u32 s17, s13
	s_cselect_b32 s22, s18, s16
	s_mul_i32 s13, s22, s13
	s_sub_i32 s13, s14, s13
	s_mul_i32 s13, s15, s13
	s_add_i32 s11, s11, -1
	s_add_i32 s23, s13, s23
	s_add_u32 s2, s2, -4
	s_addc_u32 s3, s3, -1
	s_cmp_gt_u32 s11, 2
	s_cbranch_scc1 .LBB77_6
.LBB77_7:
	s_load_dword s33, s[4:5], 0x6c
	s_load_dword s13, s[4:5], 0x2a0
	s_add_u32 s2, s4, 0x1d0
	s_addc_u32 s3, s5, 0
	s_mov_b32 s25, 0
	s_mov_b32 s24, s20
	s_waitcnt lgkmcnt(0)
	s_cmp_lt_i32 s13, 2
	s_cbranch_scc1 .LBB77_10
; %bb.8:
	s_add_i32 s24, s13, -1
	s_add_i32 s11, s13, 1
	s_lshl_b64 s[14:15], s[24:25], 2
	s_add_u32 s2, s14, s2
	s_addc_u32 s3, s15, s3
	s_add_u32 s2, s2, 8
	s_addc_u32 s3, s3, 0
	s_mov_b32 s24, s20
.LBB77_9:                               ; =>This Inner Loop Header: Depth=1
	s_load_dword s13, s[2:3], 0x0
	s_load_dword s15, s[2:3], 0x64
	s_mov_b32 s14, s24
	s_waitcnt lgkmcnt(0)
	v_cvt_f32_u32_e32 v1, s13
	s_sub_i32 s16, 0, s13
	v_rcp_iflag_f32_e32 v1, v1
	v_mul_f32_e32 v1, 0x4f7ffffe, v1
	v_cvt_u32_f32_e32 v1, v1
	v_readfirstlane_b32 s17, v1
	s_mul_i32 s16, s16, s17
	s_mul_hi_u32 s16, s17, s16
	s_add_i32 s17, s17, s16
	s_mul_hi_u32 s16, s24, s17
	s_mul_i32 s17, s16, s13
	s_sub_i32 s17, s24, s17
	s_add_i32 s18, s16, 1
	s_sub_i32 s19, s17, s13
	s_cmp_ge_u32 s17, s13
	s_cselect_b32 s16, s18, s16
	s_cselect_b32 s17, s19, s17
	s_add_i32 s18, s16, 1
	s_cmp_ge_u32 s17, s13
	s_cselect_b32 s24, s18, s16
	s_mul_i32 s13, s24, s13
	s_sub_i32 s13, s14, s13
	s_mul_i32 s13, s15, s13
	s_add_i32 s11, s11, -1
	s_add_i32 s25, s13, s25
	s_add_u32 s2, s2, -4
	s_addc_u32 s3, s3, -1
	s_cmp_gt_u32 s11, 2
	s_cbranch_scc1 .LBB77_9
.LBB77_10:
	s_mul_i32 s16, s20, s10
	s_sub_i32 s11, s12, s16
	s_load_dwordx4 s[12:15], s[4:5], 0x2b8
	s_load_dwordx2 s[34:35], s[4:5], 0x0
	s_load_dwordx2 s[30:31], s[4:5], 0xf0
	;; [unrolled: 1-line block ×3, first 2 shown]
	s_mov_b32 s21, 0
	s_load_dword s42, s[0:1], 0x6c
	s_lshl_b64 s[0:1], s[20:21], 3
	s_waitcnt lgkmcnt(0)
	s_add_u32 s0, s12, s0
	s_addc_u32 s1, s13, s1
	s_load_dwordx2 s[28:29], s[0:1], 0x0
	v_cmp_ne_u32_e64 s[0:1], 0, v0
	v_cmp_eq_u32_e64 s[2:3], 0, v0
	s_and_saveexec_b64 s[12:13], s[2:3]
	s_cbranch_execz .LBB77_26
; %bb.11:
	s_load_dwordx2 s[36:37], s[4:5], 0x2c8
	s_mov_b32 s17, s21
	s_lshl_b64 s[38:39], s[16:17], 2
	s_add_u32 s16, s14, s38
	s_addc_u32 s17, s15, s39
	s_waitcnt lgkmcnt(0)
	s_add_u32 s18, s36, s38
	s_addc_u32 s19, s37, s39
	s_mov_b32 s20, 0
	s_mov_b32 s43, 0
	s_cmp_lt_u32 s10, 4
	s_cbranch_scc1 .LBB77_23
; %bb.12:
	s_mov_b32 s44, 0
.LBB77_13:                              ; =>This Inner Loop Header: Depth=1
	s_add_u32 s16, s14, s38
	s_addc_u32 s17, s15, s39
	s_load_dwordx4 s[16:19], s[16:17], 0x0
	s_add_u32 s40, s36, s38
	s_addc_u32 s41, s37, s39
	s_cmp_ge_u32 s44, s11
	s_cbranch_scc0 .LBB77_20
; %bb.14:                               ;   in Loop: Header=BB77_13 Depth=1
	s_add_i32 s45, s44, 1
	s_cmp_ge_u32 s45, s11
	s_cbranch_scc0 .LBB77_21
.LBB77_15:                              ;   in Loop: Header=BB77_13 Depth=1
	s_add_i32 s45, s45, 1
	s_cmp_ge_u32 s45, s11
	s_cbranch_scc0 .LBB77_22
.LBB77_16:                              ;   in Loop: Header=BB77_13 Depth=1
	s_add_i32 s45, s45, 1
	s_cmp_ge_u32 s45, s11
	s_cbranch_scc1 .LBB77_18
.LBB77_17:                              ;   in Loop: Header=BB77_13 Depth=1
	s_load_dword s40, s[40:41], 0xc
	s_waitcnt lgkmcnt(0)
	s_add_i32 s21, s21, s19
	s_add_i32 s20, s40, s20
.LBB77_18:                              ;   in Loop: Header=BB77_13 Depth=1
	s_waitcnt lgkmcnt(0)
	s_add_i32 s16, s16, s43
	s_add_i32 s16, s16, s17
	;; [unrolled: 1-line block ×4, first 2 shown]
	s_add_u32 s14, s14, 16
	s_addc_u32 s15, s15, 0
	s_add_u32 s36, s36, 16
	s_addc_u32 s37, s37, 0
	s_add_i32 s41, s45, 4
	s_add_u32 s18, s36, s38
	s_addc_u32 s19, s37, s39
	s_add_u32 s16, s14, s38
	s_addc_u32 s17, s15, s39
	s_add_i32 s40, s45, 1
	s_cmp_ge_u32 s41, s10
	s_cbranch_scc1 .LBB77_24
; %bb.19:                               ;   in Loop: Header=BB77_13 Depth=1
	s_mov_b32 s44, s40
	s_branch .LBB77_13
.LBB77_20:                              ;   in Loop: Header=BB77_13 Depth=1
	s_load_dword s45, s[40:41], 0x0
	s_waitcnt lgkmcnt(0)
	s_add_i32 s21, s16, s21
	s_add_i32 s20, s45, s20
	;; [unrolled: 1-line block ×3, first 2 shown]
	s_cmp_ge_u32 s45, s11
	s_cbranch_scc1 .LBB77_15
.LBB77_21:                              ;   in Loop: Header=BB77_13 Depth=1
	s_load_dword s46, s[40:41], 0x4
	s_waitcnt lgkmcnt(0)
	s_add_i32 s21, s21, s17
	s_add_i32 s20, s46, s20
	;; [unrolled: 1-line block ×3, first 2 shown]
	s_cmp_ge_u32 s45, s11
	s_cbranch_scc1 .LBB77_16
.LBB77_22:                              ;   in Loop: Header=BB77_13 Depth=1
	s_load_dword s46, s[40:41], 0x8
	s_waitcnt lgkmcnt(0)
	s_add_i32 s21, s21, s18
	s_add_i32 s20, s46, s20
	;; [unrolled: 1-line block ×3, first 2 shown]
	s_cmp_ge_u32 s45, s11
	s_cbranch_scc0 .LBB77_17
	s_branch .LBB77_18
.LBB77_23:
	s_mov_b32 s14, 0
	s_cmp_ge_u32 s14, s10
	s_cbranch_scc0 .LBB77_47
	s_branch .LBB77_25
.LBB77_24:
	s_add_i32 s14, s44, 4
	s_cmp_ge_u32 s14, s10
	s_cbranch_scc0 .LBB77_47
.LBB77_25:
	v_mov_b32_e32 v2, s20
	v_mov_b32_e32 v3, s43
	;; [unrolled: 1-line block ×4, first 2 shown]
	ds_write_b96 v1, v[2:4] offset:1056
.LBB77_26:
	s_or_b64 exec, exec, s[12:13]
	s_load_dword s16, s[4:5], 0x23c
	s_load_dwordx4 s[12:15], s[4:5], 0xd8
	s_waitcnt lgkmcnt(0)
	s_mul_i32 s15, s9, s11
	s_lshl_b32 s15, s15, 8
	s_add_i32 s17, s11, 1
	s_mov_b32 s11, 0
	s_sub_i32 s18, s12, s15
	s_add_u32 s18, s18, 0xff
	s_addc_u32 s19, 0, 0
	v_mov_b32_e32 v1, s18
	v_alignbit_b32 v1, s19, v1, 8
	s_cmp_lt_u32 s17, s10
	v_readfirstlane_b32 s10, v1
	s_cselect_b32 s9, s9, s10
	s_cmp_eq_u32 s9, 0
	s_barrier
	s_cbranch_scc1 .LBB77_49
; %bb.27:
	s_mul_i32 s10, s42, s22
	s_mul_i32 s6, s33, s6
	s_add_i32 s18, s10, s23
	s_add_i32 s10, s6, s7
	s_mul_i32 s6, s16, s24
	s_add_i32 s6, s6, s25
	s_lshl_b64 s[16:17], s[10:11], 3
	s_add_u32 s16, s34, s16
	s_mov_b32 s19, s11
	s_addc_u32 s17, s35, s17
	s_lshl_b64 s[18:19], s[18:19], 3
	v_mov_b32_e32 v1, 0
	s_add_u32 s18, s30, s18
	s_mov_b32 s7, s11
	ds_read_b96 v[2:4], v1 offset:1056
	s_addc_u32 s19, s31, s19
	s_lshl_b64 s[6:7], s[6:7], 3
	s_add_u32 s20, s26, s6
	s_addc_u32 s21, s27, s7
	s_ashr_i32 s6, s29, 31
	s_or_b32 s7, s6, 0x80000000
	v_cmp_o_f64_e64 s[10:11], s[28:29], s[28:29]
	s_xor_b64 s[6:7], s[6:7], s[28:29]
	s_waitcnt lgkmcnt(0)
	v_add_u32_e32 v5, v2, v3
	v_lshrrev_b32_e32 v2, 5, v0
	s_and_b64 s[10:11], s[10:11], exec
	v_add_lshl_u32 v8, v2, v0, 2
	v_lshlrev_b32_e32 v2, 2, v0
	v_lshrrev_b32_e32 v3, 3, v0
	s_cselect_b32 s11, s7, -1
	s_cselect_b32 s10, s6, -1
	s_bitcmp1_b32 s14, 0
	s_load_dword s14, s[4:5], 0xe8
	s_load_dword s22, s[4:5], 0x1c8
	v_add_lshl_u32 v9, v3, v2, 2
	v_add_u32_e32 v2, -1, v0
	v_lshrrev_b32_e32 v3, 5, v2
	v_add_lshl_u32 v10, v3, v2, 2
	v_mbcnt_lo_u32_b32 v3, -1, 0
	v_add_u32_e32 v2, s15, v0
	v_mbcnt_hi_u32_b32 v11, -1, v3
	s_cselect_b64 s[6:7], -1, 0
	v_cmp_gt_u32_e64 s[4:5], 64, v0
	s_waitcnt lgkmcnt(0)
	v_mul_lo_u32 v0, s14, v2
	s_lshl_b32 s23, s14, 8
	v_and_b32_e32 v12, 15, v11
	v_bfe_i32 v13, v11, 4, 1
	v_add_u32_e32 v14, -1, v11
	v_and_b32_e32 v15, 64, v11
                                        ; implicit-def: $vgpr6_vgpr7
	s_branch .LBB77_30
.LBB77_28:                              ;   in Loop: Header=BB77_30 Depth=1
	s_or_b64 exec, exec, s[14:15]
	v_add_u32_e32 v5, v18, v5
.LBB77_29:                              ;   in Loop: Header=BB77_30 Depth=1
	s_add_i32 s9, s9, -1
	v_add_u32_e32 v4, v17, v4
	v_add_u32_e32 v0, s23, v0
	s_cmp_lg_u32 s9, 0
	v_add_u32_e32 v2, 0x100, v2
	s_cbranch_scc0 .LBB77_49
.LBB77_30:                              ; =>This Inner Loop Header: Depth=1
	v_cmp_gt_u32_e32 vcc, s12, v2
	v_mov_b32_e32 v3, 0
	v_mov_b32_e32 v16, 0
	s_and_saveexec_b64 s[14:15], vcc
	s_cbranch_execz .LBB77_32
; %bb.31:                               ;   in Loop: Header=BB77_30 Depth=1
	v_lshlrev_b64 v[6:7], 3, v[0:1]
	v_mov_b32_e32 v3, s17
	v_add_co_u32_e32 v6, vcc, s16, v6
	v_addc_co_u32_e32 v7, vcc, v3, v7, vcc
	global_load_dwordx2 v[6:7], v[6:7], off
	s_waitcnt vmcnt(0)
	v_ashrrev_i32_e32 v3, 31, v7
	v_or_b32_e32 v16, 0x80000000, v3
	v_xor_b32_e32 v3, v3, v6
	v_xor_b32_e32 v16, v16, v7
	v_cmp_o_f64_e32 vcc, v[6:7], v[6:7]
	v_cndmask_b32_e32 v17, -1, v16, vcc
	v_cndmask_b32_e32 v16, -1, v3, vcc
	v_cmp_lt_u64_e32 vcc, s[10:11], v[16:17]
	v_cndmask_b32_e64 v3, 0, 1, vcc
	v_cmp_gt_u64_e32 vcc, s[10:11], v[16:17]
	v_cndmask_b32_e64 v18, 0, 1, vcc
	v_cndmask_b32_e64 v3, v18, v3, s[6:7]
	v_cmp_eq_u64_e32 vcc, s[10:11], v[16:17]
	v_and_b32_e32 v3, 1, v3
	v_cndmask_b32_e64 v16, 0, 1, vcc
.LBB77_32:                              ;   in Loop: Header=BB77_30 Depth=1
	s_or_b64 exec, exec, s[14:15]
	ds_write_b32 v8, v3
	s_waitcnt lgkmcnt(0)
	s_barrier
	s_and_saveexec_b64 s[14:15], s[4:5]
	s_cbranch_execz .LBB77_34
; %bb.33:                               ;   in Loop: Header=BB77_30 Depth=1
	ds_read2_b32 v[18:19], v9 offset1:1
	ds_read2_b32 v[20:21], v9 offset0:2 offset1:3
	v_cmp_ne_u32_e32 vcc, 0, v12
	; wave barrier
	s_waitcnt lgkmcnt(1)
	v_add_u32_e32 v17, v19, v18
	s_waitcnt lgkmcnt(0)
	v_add3_u32 v17, v17, v20, v21
	s_nop 1
	v_mov_b32_dpp v19, v17 row_shr:1 row_mask:0xf bank_mask:0xf
	v_cndmask_b32_e32 v19, 0, v19, vcc
	v_add_u32_e32 v17, v19, v17
	v_cmp_lt_u32_e32 vcc, 1, v12
	s_nop 0
	v_mov_b32_dpp v19, v17 row_shr:2 row_mask:0xf bank_mask:0xf
	v_cndmask_b32_e32 v19, 0, v19, vcc
	v_add_u32_e32 v17, v17, v19
	v_cmp_lt_u32_e32 vcc, 3, v12
	;; [unrolled: 5-line block ×4, first 2 shown]
	s_nop 0
	v_mov_b32_dpp v19, v17 row_bcast:15 row_mask:0xf bank_mask:0xf
	v_and_b32_e32 v19, v13, v19
	v_add_u32_e32 v17, v17, v19
	s_nop 1
	v_mov_b32_dpp v19, v17 row_bcast:31 row_mask:0xf bank_mask:0xf
	v_cndmask_b32_e32 v19, 0, v19, vcc
	v_cmp_lt_i32_e32 vcc, v14, v15
	v_add_u32_e32 v17, v17, v19
	v_cndmask_b32_e32 v19, v14, v11, vcc
	v_lshlrev_b32_e32 v19, 2, v19
	ds_bpermute_b32 v17, v19, v17
	s_waitcnt lgkmcnt(0)
	v_add_u32_e32 v17, v17, v18
	v_cndmask_b32_e64 v17, v17, v3, s[2:3]
	ds_write_b32 v9, v17
	; wave barrier
	ds_read2_b32 v[18:19], v9 offset0:1 offset1:2
	ds_read_b32 v20, v9 offset:12
	s_waitcnt lgkmcnt(1)
	v_add_u32_e32 v17, v18, v17
	v_add_u32_e32 v18, v19, v17
	ds_write2_b32 v9, v17, v18 offset0:1 offset1:2
	s_waitcnt lgkmcnt(1)
	v_add_u32_e32 v17, v20, v18
	ds_write_b32 v9, v17 offset:12
.LBB77_34:                              ;   in Loop: Header=BB77_30 Depth=1
	s_or_b64 exec, exec, s[14:15]
	v_mov_b32_e32 v18, 0
	s_waitcnt lgkmcnt(0)
	s_barrier
	s_and_saveexec_b64 s[14:15], s[0:1]
	s_cbranch_execz .LBB77_36
; %bb.35:                               ;   in Loop: Header=BB77_30 Depth=1
	ds_read_b32 v18, v10
.LBB77_36:                              ;   in Loop: Header=BB77_30 Depth=1
	s_or_b64 exec, exec, s[14:15]
	ds_read_b32 v17, v1 offset:1048
	v_cmp_ne_u32_e32 vcc, 0, v3
	s_waitcnt lgkmcnt(0)
	s_barrier
	s_and_saveexec_b64 s[14:15], vcc
	s_cbranch_execz .LBB77_38
; %bb.37:                               ;   in Loop: Header=BB77_30 Depth=1
	v_add_u32_e32 v20, v18, v4
	v_mul_lo_u32 v18, v20, s22
	v_mov_b32_e32 v19, v1
	v_lshlrev_b64 v[18:19], 3, v[18:19]
	v_mov_b32_e32 v3, s19
	v_add_co_u32_e32 v18, vcc, s18, v18
	v_addc_co_u32_e32 v19, vcc, v3, v19, vcc
	global_store_dwordx2 v[18:19], v[6:7], off
	v_mul_lo_u32 v18, v20, s8
	v_mov_b32_e32 v19, v1
	v_lshlrev_b64 v[18:19], 3, v[18:19]
	v_mov_b32_e32 v20, s21
	v_add_co_u32_e32 v18, vcc, s20, v18
	v_mov_b32_e32 v3, v1
	v_addc_co_u32_e32 v19, vcc, v20, v19, vcc
	global_store_dwordx2 v[18:19], v[2:3], off
.LBB77_38:                              ;   in Loop: Header=BB77_30 Depth=1
	s_or_b64 exec, exec, s[14:15]
	v_cmp_le_u32_e32 vcc, s13, v5
	s_cbranch_vccnz .LBB77_29
; %bb.39:                               ;   in Loop: Header=BB77_30 Depth=1
	ds_write_b32 v8, v16
	s_waitcnt lgkmcnt(0)
	s_barrier
	s_and_saveexec_b64 s[14:15], s[4:5]
	s_cbranch_execz .LBB77_41
; %bb.40:                               ;   in Loop: Header=BB77_30 Depth=1
	ds_read2_b32 v[18:19], v9 offset1:1
	ds_read2_b32 v[20:21], v9 offset0:2 offset1:3
	v_cmp_ne_u32_e32 vcc, 0, v12
	; wave barrier
	s_waitcnt lgkmcnt(1)
	v_add_u32_e32 v3, v19, v18
	s_waitcnt lgkmcnt(0)
	v_add3_u32 v3, v3, v20, v21
	s_nop 1
	v_mov_b32_dpp v19, v3 row_shr:1 row_mask:0xf bank_mask:0xf
	v_cndmask_b32_e32 v19, 0, v19, vcc
	v_add_u32_e32 v3, v19, v3
	v_cmp_lt_u32_e32 vcc, 1, v12
	s_nop 0
	v_mov_b32_dpp v19, v3 row_shr:2 row_mask:0xf bank_mask:0xf
	v_cndmask_b32_e32 v19, 0, v19, vcc
	v_add_u32_e32 v3, v3, v19
	v_cmp_lt_u32_e32 vcc, 3, v12
	;; [unrolled: 5-line block ×4, first 2 shown]
	s_nop 0
	v_mov_b32_dpp v19, v3 row_bcast:15 row_mask:0xf bank_mask:0xf
	v_and_b32_e32 v19, v13, v19
	v_add_u32_e32 v3, v3, v19
	s_nop 1
	v_mov_b32_dpp v19, v3 row_bcast:31 row_mask:0xf bank_mask:0xf
	v_cndmask_b32_e32 v19, 0, v19, vcc
	v_cmp_lt_i32_e32 vcc, v14, v15
	v_add_u32_e32 v3, v3, v19
	v_cndmask_b32_e32 v19, v14, v11, vcc
	v_lshlrev_b32_e32 v19, 2, v19
	ds_bpermute_b32 v3, v19, v3
	s_waitcnt lgkmcnt(0)
	v_add_u32_e32 v3, v3, v18
	v_cndmask_b32_e64 v3, v3, v16, s[2:3]
	ds_write_b32 v9, v3
	; wave barrier
	ds_read2_b32 v[18:19], v9 offset0:1 offset1:2
	ds_read_b32 v20, v9 offset:12
	s_waitcnt lgkmcnt(1)
	v_add_u32_e32 v3, v18, v3
	v_add_u32_e32 v18, v19, v3
	ds_write2_b32 v9, v3, v18 offset0:1 offset1:2
	s_waitcnt lgkmcnt(1)
	v_add_u32_e32 v3, v20, v18
	ds_write_b32 v9, v3 offset:12
.LBB77_41:                              ;   in Loop: Header=BB77_30 Depth=1
	s_or_b64 exec, exec, s[14:15]
	v_mov_b32_e32 v3, 0
	s_waitcnt lgkmcnt(0)
	s_barrier
	s_and_saveexec_b64 s[14:15], s[0:1]
	s_cbranch_execz .LBB77_43
; %bb.42:                               ;   in Loop: Header=BB77_30 Depth=1
	ds_read_b32 v3, v10
.LBB77_43:                              ;   in Loop: Header=BB77_30 Depth=1
	s_or_b64 exec, exec, s[14:15]
	ds_read_b32 v18, v1 offset:1048
	v_cmp_ne_u32_e32 vcc, 0, v16
	s_waitcnt lgkmcnt(0)
	s_barrier
	s_and_saveexec_b64 s[14:15], vcc
	s_cbranch_execz .LBB77_28
; %bb.44:                               ;   in Loop: Header=BB77_30 Depth=1
	v_add_u32_e32 v16, v3, v5
	v_cmp_gt_u32_e32 vcc, s13, v16
	s_and_b64 exec, exec, vcc
	s_cbranch_execz .LBB77_28
; %bb.45:                               ;   in Loop: Header=BB77_30 Depth=1
	v_mul_lo_u32 v20, v16, s22
	v_mov_b32_e32 v21, v1
	v_lshlrev_b64 v[20:21], 3, v[20:21]
	v_mov_b32_e32 v3, s19
	v_add_co_u32_e32 v20, vcc, s18, v20
	v_addc_co_u32_e32 v21, vcc, v3, v21, vcc
	global_store_dwordx2 v[20:21], v[6:7], off
	v_mul_lo_u32 v20, v16, s8
	v_mov_b32_e32 v21, v1
	v_lshlrev_b64 v[20:21], 3, v[20:21]
	v_mov_b32_e32 v16, s21
	v_add_co_u32_e32 v20, vcc, s20, v20
	v_mov_b32_e32 v3, v1
	v_addc_co_u32_e32 v21, vcc, v16, v21, vcc
	global_store_dwordx2 v[20:21], v[2:3], off
	s_branch .LBB77_28
.LBB77_46:                              ;   in Loop: Header=BB77_47 Depth=1
	s_add_u32 s16, s16, 4
	s_addc_u32 s17, s17, 0
	s_waitcnt lgkmcnt(0)
	s_add_i32 s43, s15, s43
	s_add_u32 s18, s18, 4
	s_addc_u32 s19, s19, 0
	s_add_i32 s14, s14, 1
	s_cmp_lt_u32 s14, s10
	s_cbranch_scc0 .LBB77_25
.LBB77_47:                              ; =>This Inner Loop Header: Depth=1
	s_load_dword s15, s[16:17], 0x0
	s_cmp_ge_u32 s14, s11
	s_cbranch_scc1 .LBB77_46
; %bb.48:                               ;   in Loop: Header=BB77_47 Depth=1
	s_load_dword s36, s[18:19], 0x0
	s_waitcnt lgkmcnt(0)
	s_add_i32 s21, s15, s21
	s_add_i32 s20, s36, s20
	s_branch .LBB77_46
.LBB77_49:
	s_endpgm
	.section	.rodata,"a",@progbits
	.p2align	6, 0x0
	.amdhsa_kernel _ZN2at6native6mbtopk10gatherTopKIdjLin1EEEvNS_4cuda6detail10TensorInfoIKT_T0_EES8_S8_bjS8_NS5_IS6_S8_EES8_NS5_IlS8_EES8_jjPS6_PjSD_j
		.amdhsa_group_segment_fixed_size 1068
		.amdhsa_private_segment_fixed_size 0
		.amdhsa_kernarg_size 984
		.amdhsa_user_sgpr_count 6
		.amdhsa_user_sgpr_private_segment_buffer 1
		.amdhsa_user_sgpr_dispatch_ptr 0
		.amdhsa_user_sgpr_queue_ptr 0
		.amdhsa_user_sgpr_kernarg_segment_ptr 1
		.amdhsa_user_sgpr_dispatch_id 0
		.amdhsa_user_sgpr_flat_scratch_init 0
		.amdhsa_user_sgpr_kernarg_preload_length 0
		.amdhsa_user_sgpr_kernarg_preload_offset 0
		.amdhsa_user_sgpr_private_segment_size 0
		.amdhsa_uses_dynamic_stack 0
		.amdhsa_system_sgpr_private_segment_wavefront_offset 0
		.amdhsa_system_sgpr_workgroup_id_x 1
		.amdhsa_system_sgpr_workgroup_id_y 1
		.amdhsa_system_sgpr_workgroup_id_z 1
		.amdhsa_system_sgpr_workgroup_info 0
		.amdhsa_system_vgpr_workitem_id 0
		.amdhsa_next_free_vgpr 22
		.amdhsa_next_free_sgpr 47
		.amdhsa_accum_offset 24
		.amdhsa_reserve_vcc 1
		.amdhsa_reserve_flat_scratch 0
		.amdhsa_float_round_mode_32 0
		.amdhsa_float_round_mode_16_64 0
		.amdhsa_float_denorm_mode_32 3
		.amdhsa_float_denorm_mode_16_64 3
		.amdhsa_dx10_clamp 1
		.amdhsa_ieee_mode 1
		.amdhsa_fp16_overflow 0
		.amdhsa_tg_split 0
		.amdhsa_exception_fp_ieee_invalid_op 0
		.amdhsa_exception_fp_denorm_src 0
		.amdhsa_exception_fp_ieee_div_zero 0
		.amdhsa_exception_fp_ieee_overflow 0
		.amdhsa_exception_fp_ieee_underflow 0
		.amdhsa_exception_fp_ieee_inexact 0
		.amdhsa_exception_int_div_zero 0
	.end_amdhsa_kernel
	.section	.text._ZN2at6native6mbtopk10gatherTopKIdjLin1EEEvNS_4cuda6detail10TensorInfoIKT_T0_EES8_S8_bjS8_NS5_IS6_S8_EES8_NS5_IlS8_EES8_jjPS6_PjSD_j,"axG",@progbits,_ZN2at6native6mbtopk10gatherTopKIdjLin1EEEvNS_4cuda6detail10TensorInfoIKT_T0_EES8_S8_bjS8_NS5_IS6_S8_EES8_NS5_IlS8_EES8_jjPS6_PjSD_j,comdat
.Lfunc_end77:
	.size	_ZN2at6native6mbtopk10gatherTopKIdjLin1EEEvNS_4cuda6detail10TensorInfoIKT_T0_EES8_S8_bjS8_NS5_IS6_S8_EES8_NS5_IlS8_EES8_jjPS6_PjSD_j, .Lfunc_end77-_ZN2at6native6mbtopk10gatherTopKIdjLin1EEEvNS_4cuda6detail10TensorInfoIKT_T0_EES8_S8_bjS8_NS5_IS6_S8_EES8_NS5_IlS8_EES8_jjPS6_PjSD_j
                                        ; -- End function
	.section	.AMDGPU.csdata,"",@progbits
; Kernel info:
; codeLenInByte = 2780
; NumSgprs: 51
; NumVgprs: 22
; NumAgprs: 0
; TotalNumVgprs: 22
; ScratchSize: 0
; MemoryBound: 0
; FloatMode: 240
; IeeeMode: 1
; LDSByteSize: 1068 bytes/workgroup (compile time only)
; SGPRBlocks: 6
; VGPRBlocks: 2
; NumSGPRsForWavesPerEU: 51
; NumVGPRsForWavesPerEU: 22
; AccumOffset: 24
; Occupancy: 8
; WaveLimiterHint : 1
; COMPUTE_PGM_RSRC2:SCRATCH_EN: 0
; COMPUTE_PGM_RSRC2:USER_SGPR: 6
; COMPUTE_PGM_RSRC2:TRAP_HANDLER: 0
; COMPUTE_PGM_RSRC2:TGID_X_EN: 1
; COMPUTE_PGM_RSRC2:TGID_Y_EN: 1
; COMPUTE_PGM_RSRC2:TGID_Z_EN: 1
; COMPUTE_PGM_RSRC2:TIDIG_COMP_CNT: 0
; COMPUTE_PGM_RSRC3_GFX90A:ACCUM_OFFSET: 5
; COMPUTE_PGM_RSRC3_GFX90A:TG_SPLIT: 0
	.section	.text._ZN2at6native6sbtopk10gatherTopKIdjLin1ELb0EEEvNS_4cuda6detail10TensorInfoIKT_T0_EES8_S8_bS8_S8_NS5_IS6_S8_EES8_NS5_IlS8_EES8_PS6_,"axG",@progbits,_ZN2at6native6sbtopk10gatherTopKIdjLin1ELb0EEEvNS_4cuda6detail10TensorInfoIKT_T0_EES8_S8_bS8_S8_NS5_IS6_S8_EES8_NS5_IlS8_EES8_PS6_,comdat
	.protected	_ZN2at6native6sbtopk10gatherTopKIdjLin1ELb0EEEvNS_4cuda6detail10TensorInfoIKT_T0_EES8_S8_bS8_S8_NS5_IS6_S8_EES8_NS5_IlS8_EES8_PS6_ ; -- Begin function _ZN2at6native6sbtopk10gatherTopKIdjLin1ELb0EEEvNS_4cuda6detail10TensorInfoIKT_T0_EES8_S8_bS8_S8_NS5_IS6_S8_EES8_NS5_IlS8_EES8_PS6_
	.globl	_ZN2at6native6sbtopk10gatherTopKIdjLin1ELb0EEEvNS_4cuda6detail10TensorInfoIKT_T0_EES8_S8_bS8_S8_NS5_IS6_S8_EES8_NS5_IlS8_EES8_PS6_
	.p2align	8
	.type	_ZN2at6native6sbtopk10gatherTopKIdjLin1ELb0EEEvNS_4cuda6detail10TensorInfoIKT_T0_EES8_S8_bS8_S8_NS5_IS6_S8_EES8_NS5_IlS8_EES8_PS6_,@function
_ZN2at6native6sbtopk10gatherTopKIdjLin1ELb0EEEvNS_4cuda6detail10TensorInfoIKT_T0_EES8_S8_bS8_S8_NS5_IS6_S8_EES8_NS5_IlS8_EES8_PS6_: ; @_ZN2at6native6sbtopk10gatherTopKIdjLin1ELb0EEEvNS_4cuda6detail10TensorInfoIKT_T0_EES8_S8_bS8_S8_NS5_IS6_S8_EES8_NS5_IlS8_EES8_PS6_
; %bb.0:
	s_load_dwordx2 s[10:11], s[4:5], 0x2b8
	s_load_dwordx4 s[60:63], s[4:5], 0xd8
	s_mov_b64 s[20:21], s[4:5]
	s_add_u32 s2, s20, 0x2b8
	s_addc_u32 s3, s21, 0
	s_waitcnt lgkmcnt(0)
	s_mul_i32 s0, s11, s8
	s_add_i32 s0, s0, s7
	s_mul_i32 s0, s0, s10
	s_add_i32 s79, s0, s6
	s_cmp_ge_u32 s79, s63
	s_cbranch_scc1 .LBB78_423
; %bb.1:
	s_load_dword s5, s[20:21], 0xd0
	s_load_dword s22, s[20:21], 0xe8
	s_mov_b32 s1, 0
	s_mov_b32 s0, s79
	s_waitcnt lgkmcnt(0)
	s_cmp_lt_i32 s5, 2
	s_cbranch_scc1 .LBB78_4
; %bb.2:
	s_add_i32 s0, s5, -1
	s_add_i32 s4, s5, 1
	s_lshl_b64 s[8:9], s[0:1], 2
	s_add_u32 s0, s8, s20
	s_addc_u32 s5, s9, s21
	s_add_u32 s8, s0, 8
	s_addc_u32 s9, s5, 0
	s_mov_b32 s0, s79
.LBB78_3:                               ; =>This Inner Loop Header: Depth=1
	s_load_dword s5, s[8:9], 0x0
	s_load_dword s11, s[8:9], 0x64
	s_mov_b32 s7, s0
	s_waitcnt lgkmcnt(0)
	v_cvt_f32_u32_e32 v1, s5
	s_sub_i32 s0, 0, s5
	v_rcp_iflag_f32_e32 v1, v1
	v_mul_f32_e32 v1, 0x4f7ffffe, v1
	v_cvt_u32_f32_e32 v1, v1
	v_readfirstlane_b32 s12, v1
	s_mul_i32 s0, s0, s12
	s_mul_hi_u32 s0, s12, s0
	s_add_i32 s12, s12, s0
	s_mul_hi_u32 s0, s7, s12
	s_mul_i32 s12, s0, s5
	s_sub_i32 s12, s7, s12
	s_add_i32 s13, s0, 1
	s_sub_i32 s14, s12, s5
	s_cmp_ge_u32 s12, s5
	s_cselect_b32 s0, s13, s0
	s_cselect_b32 s12, s14, s12
	s_add_i32 s13, s0, 1
	s_cmp_ge_u32 s12, s5
	s_cselect_b32 s0, s13, s0
	s_mul_i32 s5, s0, s5
	s_sub_i32 s5, s7, s5
	s_mul_i32 s5, s11, s5
	s_add_i32 s4, s4, -1
	s_add_i32 s1, s5, s1
	s_add_u32 s8, s8, -4
	s_addc_u32 s9, s9, -1
	s_cmp_gt_u32 s4, 2
	s_cbranch_scc1 .LBB78_3
.LBB78_4:
	s_load_dword s5, s[20:21], 0x1c0
	s_add_u32 s8, s20, 0xf0
	s_addc_u32 s9, s21, 0
	s_mov_b32 s65, 0
	s_mov_b32 s7, s79
	s_waitcnt lgkmcnt(0)
	s_cmp_lt_i32 s5, 2
	s_cbranch_scc1 .LBB78_7
; %bb.5:
	s_add_i32 s64, s5, -1
	s_add_i32 s4, s5, 1
	s_lshl_b64 s[12:13], s[64:65], 2
	s_add_u32 s5, s12, s8
	s_addc_u32 s7, s13, s9
	s_add_u32 s12, s5, 8
	s_addc_u32 s13, s7, 0
	s_mov_b32 s7, s79
.LBB78_6:                               ; =>This Inner Loop Header: Depth=1
	s_load_dword s5, s[12:13], 0x0
	s_load_dword s14, s[12:13], 0x64
	s_mov_b32 s11, s7
	s_waitcnt lgkmcnt(0)
	v_cvt_f32_u32_e32 v1, s5
	s_sub_i32 s7, 0, s5
	v_rcp_iflag_f32_e32 v1, v1
	v_mul_f32_e32 v1, 0x4f7ffffe, v1
	v_cvt_u32_f32_e32 v1, v1
	v_readfirstlane_b32 s15, v1
	s_mul_i32 s7, s7, s15
	s_mul_hi_u32 s7, s15, s7
	s_add_i32 s15, s15, s7
	s_mul_hi_u32 s7, s11, s15
	s_mul_i32 s15, s7, s5
	s_sub_i32 s15, s11, s15
	s_add_i32 s16, s7, 1
	s_sub_i32 s17, s15, s5
	s_cmp_ge_u32 s15, s5
	s_cselect_b32 s7, s16, s7
	s_cselect_b32 s15, s17, s15
	s_add_i32 s16, s7, 1
	s_cmp_ge_u32 s15, s5
	s_cselect_b32 s7, s16, s7
	s_mul_i32 s5, s7, s5
	s_sub_i32 s5, s11, s5
	s_mul_i32 s5, s14, s5
	s_add_i32 s4, s4, -1
	s_add_i32 s65, s5, s65
	s_add_u32 s12, s12, -4
	s_addc_u32 s13, s13, -1
	s_cmp_gt_u32 s4, 2
	s_cbranch_scc1 .LBB78_6
.LBB78_7:
	s_load_dword s4, s[20:21], 0x6c
	s_load_dword s13, s[20:21], 0x2a0
	s_add_u32 s11, s20, 0x1d0
	s_addc_u32 s12, s21, 0
	s_mov_b32 s67, 0
	s_waitcnt lgkmcnt(0)
	s_cmp_lt_i32 s13, 2
	s_cbranch_scc1 .LBB78_10
; %bb.8:
	s_add_i32 s66, s13, -1
	s_add_i32 s5, s13, 1
	s_lshl_b64 s[14:15], s[66:67], 2
	s_add_u32 s11, s14, s11
	s_addc_u32 s13, s15, s12
	s_add_u32 s12, s11, 8
	s_addc_u32 s13, s13, 0
.LBB78_9:                               ; =>This Inner Loop Header: Depth=1
	s_load_dword s11, s[12:13], 0x0
	s_load_dword s15, s[12:13], 0x64
	s_mov_b32 s14, s79
	s_waitcnt lgkmcnt(0)
	v_cvt_f32_u32_e32 v1, s11
	s_sub_i32 s16, 0, s11
	v_rcp_iflag_f32_e32 v1, v1
	v_mul_f32_e32 v1, 0x4f7ffffe, v1
	v_cvt_u32_f32_e32 v1, v1
	v_readfirstlane_b32 s17, v1
	s_mul_i32 s16, s16, s17
	s_mul_hi_u32 s16, s17, s16
	s_add_i32 s17, s17, s16
	s_mul_hi_u32 s16, s79, s17
	s_mul_i32 s17, s16, s11
	s_sub_i32 s17, s79, s17
	s_add_i32 s18, s16, 1
	s_sub_i32 s19, s17, s11
	s_cmp_ge_u32 s17, s11
	s_cselect_b32 s16, s18, s16
	s_cselect_b32 s17, s19, s17
	s_add_i32 s18, s16, 1
	s_cmp_ge_u32 s17, s11
	s_cselect_b32 s79, s18, s16
	s_mul_i32 s11, s79, s11
	s_sub_i32 s11, s14, s11
	s_mul_i32 s11, s15, s11
	s_add_i32 s5, s5, -1
	s_add_i32 s67, s11, s67
	s_add_u32 s12, s12, -4
	s_addc_u32 s13, s13, -1
	s_cmp_gt_u32 s5, 2
	s_cbranch_scc1 .LBB78_9
.LBB78_10:
	s_load_dword s5, s[8:9], 0x6c
	s_nop 0
	s_load_dwordx2 s[8:9], s[20:21], 0x0
	s_load_dwordx2 s[12:13], s[20:21], 0xf0
                                        ; implicit-def: $vgpr59 : SGPR spill to VGPR lane
	s_mov_b32 s16, 0
	v_cmp_eq_u32_e64 s[14:15], 0, v0
	s_waitcnt lgkmcnt(0)
	v_writelane_b32 v59, s5, 0
	v_writelane_b32 v59, s12, 1
	;; [unrolled: 1-line block ×3, first 2 shown]
	s_load_dwordx2 s[12:13], s[20:21], 0x1d0
	s_waitcnt lgkmcnt(0)
	v_writelane_b32 v59, s12, 3
	v_writelane_b32 v59, s13, 4
	s_mov_b64 s[12:13], exec
	v_writelane_b32 v59, s14, 5
	v_writelane_b32 v59, s15, 6
	s_and_b64 s[14:15], s[12:13], s[14:15]
	s_mov_b64 exec, s[14:15]
	s_cbranch_execz .LBB78_12
; %bb.11:
	v_mov_b32_e32 v2, 0
	v_mov_b32_e32 v3, s60
	;; [unrolled: 1-line block ×3, first 2 shown]
	ds_write_b96 v2, v[2:4] offset:4096
.LBB78_12:
	s_or_b64 exec, exec, s[12:13]
	v_writelane_b32 v59, s20, 7
	s_load_dword s5, s[20:21], 0x23c
	s_mul_i32 s0, s4, s0
	s_add_i32 s0, s0, s1
	s_mov_b32 s1, s16
	s_lshl_b64 s[0:1], s[0:1], 3
	v_writelane_b32 v59, s21, 8
	s_add_u32 s33, s8, s0
	s_waitcnt lgkmcnt(0)
	v_writelane_b32 v59, s5, 9
	s_mov_b32 s4, 0
	s_addc_u32 s64, s9, s1
	v_writelane_b32 v59, s4, 10
	s_barrier
	s_load_dword s0, s[2:3], 0xc
	s_bitcmp1_b32 s62, 0
	v_writelane_b32 v59, s5, 11
	s_cselect_b64 s[4:5], -1, 0
	v_writelane_b32 v59, s4, 12
	v_writelane_b32 v59, s5, 13
	s_xor_b64 s[4:5], s[4:5], -1
	v_mbcnt_lo_u32_b32 v1, -1, 0
	v_writelane_b32 v59, s4, 14
	v_mbcnt_hi_u32_b32 v1, -1, v1
	v_writelane_b32 v59, s5, 15
	s_waitcnt lgkmcnt(0)
	s_and_b32 s66, s0, 0xffff
	s_bfe_u32 s5, s0, 0xa0006
	v_cmp_gt_u32_e32 vcc, 64, v0
	v_cmp_gt_i32_e64 s[0:1], 4, v1
	s_lshl_b32 s12, s66, 2
	s_and_b64 s[0:1], vcc, s[0:1]
	v_writelane_b32 v59, s0, 16
	s_cmpk_gt_u32 s60, 0x180
	v_writelane_b32 v59, s1, 17
	s_cselect_b64 s[0:1], -1, 0
	v_writelane_b32 v59, s0, 18
	s_cmp_gt_u32 s66, 63
	v_writelane_b32 v59, s1, 19
	s_cselect_b64 s[0:1], -1, 0
	v_writelane_b32 v59, s0, 20
	v_writelane_b32 v59, s1, 21
	s_add_i32 s0, s66, -1
	s_add_i32 s4, s0, s60
	s_cmp_lt_u32 s6, s10
	v_writelane_b32 v59, s0, 22
	s_cselect_b32 s0, 12, 18
	s_add_u32 s0, s2, s0
	s_addc_u32 s1, s3, 0
	v_writelane_b32 v59, s0, 23
	s_add_i32 s2, s5, -2
	v_writelane_b32 v59, s1, 24
	s_lshr_b32 s0, s2, 1
	s_add_i32 s3, s0, 1
	s_cmpk_gt_u32 s66, 0x7f
	v_mov_b32_e32 v21, 0
	s_cselect_b64 s[0:1], -1, 0
	v_writelane_b32 v59, s0, 25
	v_mul_lo_u32 v22, v0, s22
	v_mov_b32_e32 v23, v21
	v_writelane_b32 v59, s1, 26
	v_cmp_gt_u32_e64 s[8:9], s60, v0
	v_lshlrev_b64 v[2:3], 3, v[22:23]
	v_writelane_b32 v59, s8, 27
	v_mov_b32_e32 v4, s64
	v_add_co_u32_e32 v18, vcc, s33, v2
	v_lshrrev_b32_e32 v2, 4, v0
	v_writelane_b32 v59, s9, 28
	v_addc_co_u32_e32 v19, vcc, v4, v3, vcc
	v_and_b32_e32 v35, 60, v2
	v_cmp_gt_u32_e64 s[8:9], 2, v0
	v_lshlrev_b64 v[2:3], v1, -1
	v_writelane_b32 v59, s8, 29
	v_not_b32_e32 v16, v2
	v_cvt_f32_u32_e32 v2, s12
	v_writelane_b32 v59, s9, 30
	s_and_b32 s6, s5, 0x3fe
	s_and_b32 s8, s3, 7
	s_cmp_gt_u32 s2, 13
	s_cselect_b64 s[10:11], -1, 0
	v_writelane_b32 v59, s10, 31
	v_rcp_iflag_f32_e32 v2, v2
	v_writelane_b32 v59, s11, 32
	s_and_b32 s2, s3, -8
	v_writelane_b32 v59, s2, 33
	s_cmp_lg_u32 s8, 0
	v_writelane_b32 v59, s8, 34
	s_cselect_b64 s[2:3], -1, 0
	v_writelane_b32 v59, s2, 35
	v_mul_f32_e32 v2, 0x4f7ffffe, v2
	v_writelane_b32 v59, s3, 36
	v_cvt_u32_f32_e32 v2, v2
	v_writelane_b32 v59, s5, 37
	s_cmp_lg_u32 s6, s5
	v_writelane_b32 v59, s6, 38
	s_cselect_b64 s[2:3], -1, 0
	v_writelane_b32 v59, s2, 39
	v_writelane_b32 v59, s3, 40
	s_sub_i32 s2, 0, s12
	v_readfirstlane_b32 s3, v2
	s_mul_i32 s2, s2, s3
	s_mul_hi_u32 s2, s3, s2
	v_cvt_f32_u32_e32 v2, s66
	s_add_i32 s2, s3, s2
	v_writelane_b32 v59, s2, 41
	s_mul_hi_u32 s2, s60, s2
	s_mul_i32 s2, s2, s12
	s_sub_i32 s2, s60, s2
	v_rcp_iflag_f32_e32 v5, v2
	s_sub_i32 s3, s2, s12
	s_cmp_ge_u32 s2, s12
	s_cselect_b32 s2, s3, s2
	s_sub_i32 s3, s2, s12
	v_mul_f32_e32 v5, 0x4f7ffffe, v5
	s_cmp_ge_u32 s2, s12
	v_cvt_u32_f32_e32 v5, v5
	s_cselect_b32 s2, s3, s2
	v_lshlrev_b32_e32 v34, 2, v0
	s_sub_i32 s13, s60, s2
	v_cmp_gt_u32_e64 s[8:9], s13, v34
	v_writelane_b32 v59, s8, 42
	v_add_u32_e32 v38, s13, v0
	s_sub_i32 s3, 0, s66
	v_readfirstlane_b32 s5, v5
	v_writelane_b32 v59, s9, 43
	v_cmp_gt_u32_e64 s[8:9], s60, v38
	s_mul_i32 s3, s3, s5
	v_writelane_b32 v59, s8, 44
	s_mul_hi_u32 s3, s5, s3
	v_writelane_b32 v59, s9, 45
	s_add_i32 s3, s5, s3
	v_writelane_b32 v59, s3, 46
	s_mul_hi_u32 s3, s4, s3
	s_mul_i32 s3, s3, s66
	s_sub_i32 s3, s4, s3
	s_sub_i32 s5, s3, s66
	s_cmp_ge_u32 s3, s66
	v_mul_lo_u32 v20, v38, s22
	s_cselect_b32 s3, s5, s3
	v_not_b32_e32 v17, v3
	v_lshlrev_b64 v[2:3], 3, v[20:21]
	s_sub_i32 s5, s3, s66
	v_add_co_u32_e32 v24, vcc, s33, v2
	s_cmp_ge_u32 s3, s66
	v_mul_lo_u32 v2, s22, v34
	s_cselect_b32 s3, s5, s3
	v_add_u32_e32 v39, s22, v2
	v_or_b32_e32 v2, 2, v34
	s_sub_i32 s6, s4, s3
	v_mul_lo_u32 v40, s22, v2
	v_or_b32_e32 v2, 3, v34
	s_add_i32 s3, s66, s60
	v_cmp_gt_u32_e64 s[4:5], s6, v0
	v_mul_lo_u32 v41, s22, v2
	v_add_u32_e32 v2, s3, v0
	v_lshlrev_b32_e32 v36, 3, v0
	v_lshlrev_b32_e32 v4, 2, v1
	v_mov_b32_e32 v6, s64
	v_writelane_b32 v59, s4, 47
	s_mul_i32 s78, s22, s66
	v_subrev_u32_e32 v2, s2, v2
	v_pk_mov_b32 v[26:27], 0, 0
	v_cmp_eq_u32_e64 s[0:1], 0, v1
	v_add_u32_e32 v37, 0xc00, v36
	v_and_b32_e32 v23, 0x100, v4
	v_addc_co_u32_e32 v25, vcc, v6, v3, vcc
	v_writelane_b32 v59, s5, 48
	s_lshl_b32 s72, s78, 2
	v_lshlrev_b32_e32 v42, 2, v22
	v_mul_lo_u32 v43, s22, v2
	v_lshlrev_b32_e32 v44, 5, v0
	s_lshl_b32 s73, s66, 5
	s_lshl_b32 s10, s66, 3
	v_or_b32_e32 v45, 0xc00, v4
	s_mov_b32 s11, 62
	s_mov_b64 s[90:91], 0
	v_pk_mov_b32 v[6:7], 0, 0
	v_mov_b32_e32 v47, s61
	v_mov_b32_e32 v3, 0x3ff00000
	;; [unrolled: 1-line block ×3, first 2 shown]
	v_pk_mov_b32 v[28:29], v[26:27], v[26:27] op_sel:[0,1]
	s_mov_b32 s62, 0
	v_writelane_b32 v59, s22, 49
                                        ; implicit-def: $sgpr92_sgpr93
                                        ; implicit-def: $sgpr94_sgpr95
                                        ; implicit-def: $sgpr70_sgpr71
                                        ; implicit-def: $sgpr2_sgpr3
                                        ; implicit-def: $sgpr68_sgpr69
                                        ; implicit-def: $sgpr84_sgpr85
                                        ; implicit-def: $sgpr86_sgpr87
                                        ; implicit-def: $sgpr88_sgpr89
                                        ; implicit-def: $sgpr80_sgpr81
                                        ; implicit-def: $sgpr82_sgpr83
	s_branch .LBB78_15
.LBB78_13:                              ;   in Loop: Header=BB78_15 Depth=1
	s_or_b64 exec, exec, s[20:21]
	s_andn2_b64 s[4:5], s[82:83], exec
	s_and_b64 s[14:15], s[18:19], exec
	s_or_b64 s[82:83], s[4:5], s[14:15]
	s_andn2_b64 s[80:81], s[80:81], exec
	s_andn2_b64 s[88:89], s[88:89], exec
	;; [unrolled: 1-line block ×4, first 2 shown]
	s_orn2_b64 s[16:17], s[16:17], exec
	v_pk_mov_b32 v[28:29], v[14:15], v[14:15] op_sel:[0,1]
	s_waitcnt vmcnt(0)
	v_pk_mov_b32 v[26:27], v[12:13], v[12:13] op_sel:[0,1]
	v_mov_b32_e32 v47, v30
	v_pk_mov_b32 v[6:7], v[10:11], v[10:11] op_sel:[0,1]
.LBB78_14:                              ;   in Loop: Header=BB78_15 Depth=1
	s_or_b64 exec, exec, s[8:9]
	s_and_b64 s[4:5], exec, s[16:17]
	s_or_b64 s[90:91], s[4:5], s[90:91]
	s_andn2_b64 s[4:5], s[68:69], exec
	s_and_b64 s[8:9], s[82:83], exec
	s_or_b64 s[68:69], s[4:5], s[8:9]
	s_andn2_b64 s[2:3], s[2:3], exec
	s_and_b64 s[4:5], s[80:81], exec
	;; [unrolled: 3-line block ×5, first 2 shown]
	s_or_b64 s[92:93], s[4:5], s[8:9]
	s_andn2_b64 exec, exec, s[90:91]
	s_cbranch_execz .LBB78_419
.LBB78_15:                              ; =>This Loop Header: Depth=1
                                        ;     Child Loop BB78_23 Depth 2
                                        ;     Child Loop BB78_41 Depth 2
	;; [unrolled: 1-line block ×25, first 2 shown]
	s_waitcnt vmcnt(0)
	ds_read_b64 v[4:5], v21 offset:4096
	s_waitcnt lgkmcnt(0)
	v_readfirstlane_b32 s4, v4
	s_cmp_lg_u32 s4, 0
	s_cbranch_scc1 .LBB78_48
; %bb.16:                               ;   in Loop: Header=BB78_15 Depth=1
	v_readlane_b32 s4, v59, 18
	v_readlane_b32 s5, v59, 19
	s_and_b64 vcc, exec, s[4:5]
	s_cbranch_vccz .LBB78_31
; %bb.17:                               ;   in Loop: Header=BB78_15 Depth=1
	s_movk_i32 s4, 0x181
	v_cmp_gt_u32_e32 vcc, s4, v5
	s_mov_b64 s[8:9], 0
	s_mov_b64 s[16:17], 0
	s_cbranch_vccz .LBB78_32
; %bb.18:                               ;   in Loop: Header=BB78_15 Depth=1
	v_pk_mov_b32 v[4:5], 0, 0
	s_mov_b64 s[16:17], exec
	v_readlane_b32 s4, v59, 27
	v_readlane_b32 s5, v59, 28
	s_and_b64 s[4:5], s[16:17], s[4:5]
	s_mov_b64 exec, s[4:5]
	s_cbranch_execz .LBB78_20
; %bb.19:                               ;   in Loop: Header=BB78_15 Depth=1
	global_load_dwordx2 v[4:5], v[18:19], off
.LBB78_20:                              ;   in Loop: Header=BB78_15 Depth=1
	s_or_b64 exec, exec, s[16:17]
	s_mov_b64 s[16:17], exec
	v_readlane_b32 s4, v59, 27
	v_readlane_b32 s5, v59, 28
	s_and_b64 s[4:5], s[16:17], s[4:5]
	s_mov_b64 exec, s[4:5]
	s_cbranch_execz .LBB78_33
; %bb.21:                               ;   in Loop: Header=BB78_15 Depth=1
	v_readlane_b32 s4, v59, 23
	v_readlane_b32 s5, v59, 24
	s_mov_b64 s[22:23], 0
	v_mov_b32_e32 v11, v0
	s_nop 2
	global_load_ushort v2, v21, s[4:5]
	v_readlane_b32 s4, v59, 49
	s_waitcnt vmcnt(0)
	v_add_u32_e32 v8, v0, v2
	v_mul_lo_u32 v10, s4, v2
	v_mul_lo_u32 v20, s4, v8
	s_branch .LBB78_23
.LBB78_22:                              ;   in Loop: Header=BB78_23 Depth=2
	s_or_b64 exec, exec, s[20:21]
	v_add_u32_e32 v20, v20, v10
	s_waitcnt vmcnt(0)
	v_pk_mov_b32 v[4:5], v[8:9], v[8:9] op_sel:[0,1]
	s_andn2_b64 exec, exec, s[22:23]
	s_cbranch_execz .LBB78_33
.LBB78_23:                              ;   Parent Loop BB78_15 Depth=1
                                        ; =>  This Inner Loop Header: Depth=2
	v_add_u32_e32 v11, v11, v2
	v_cmp_gt_u32_e64 s[18:19], s60, v11
	v_cmp_le_u32_e32 vcc, s60, v11
	v_pk_mov_b32 v[8:9], 0, 0
	s_and_saveexec_b64 s[20:21], s[18:19]
	s_cbranch_execz .LBB78_25
; %bb.24:                               ;   in Loop: Header=BB78_23 Depth=2
	v_lshlrev_b64 v[8:9], 3, v[20:21]
	s_waitcnt lgkmcnt(0)
	v_mov_b32_e32 v12, s64
	v_add_co_u32_e64 v8, s[18:19], s33, v8
	v_addc_co_u32_e64 v9, s[18:19], v12, v9, s[18:19]
	global_load_dwordx2 v[8:9], v[8:9], off
.LBB78_25:                              ;   in Loop: Header=BB78_23 Depth=2
	s_or_b64 exec, exec, s[20:21]
	s_waitcnt lgkmcnt(0)
	v_ashrrev_i32_e32 v12, 31, v5
	v_or_b32_e32 v13, 0x80000000, v12
	v_xor_b32_e32 v13, v13, v5
	v_xor_b32_e32 v12, v12, v4
	v_cmp_o_f64_e64 s[18:19], v[4:5], v[4:5]
	v_cndmask_b32_e64 v13, -1, v13, s[18:19]
	v_cndmask_b32_e64 v12, -1, v12, s[18:19]
	v_and_b32_e32 v13, v13, v29
	v_and_b32_e32 v12, v12, v28
	v_cmp_eq_u64_e64 s[18:19], v[12:13], v[26:27]
	s_cmp_lg_u64 s[18:19], 0
	s_cselect_b64 s[4:5], -1, 0
	s_and_b64 s[4:5], s[0:1], s[4:5]
	v_mov_b32_e32 v12, 0
	s_and_saveexec_b64 s[24:25], s[4:5]
	s_cbranch_execz .LBB78_29
; %bb.26:                               ;   in Loop: Header=BB78_23 Depth=2
	s_mov_b64 s[28:29], exec
	v_mbcnt_lo_u32_b32 v12, s28, 0
	v_mbcnt_hi_u32_b32 v12, s29, v12
	s_bcnt1_i32_b64 s4, s[18:19]
	v_cmp_eq_u32_e64 s[20:21], 0, v12
                                        ; implicit-def: $vgpr13
	s_and_saveexec_b64 s[26:27], s[20:21]
	s_cbranch_execz .LBB78_28
; %bb.27:                               ;   in Loop: Header=BB78_23 Depth=2
	s_bcnt1_i32_b64 s5, s[28:29]
	s_mul_i32 s5, s4, s5
	v_mov_b32_e32 v13, s5
	ds_add_rtn_u32 v13, v21, v13 offset:4104
.LBB78_28:                              ;   in Loop: Header=BB78_23 Depth=2
	s_or_b64 exec, exec, s[26:27]
	s_waitcnt lgkmcnt(0)
	v_readfirstlane_b32 s5, v13
	v_mov_b32_e32 v13, s5
	v_mad_u32_u24 v12, s4, v12, v13
.LBB78_29:                              ;   in Loop: Header=BB78_23 Depth=2
	s_or_b64 exec, exec, s[24:25]
	ds_bpermute_b32 v12, v23, v12
	s_and_b64 s[4:5], exec, vcc
	s_or_b64 s[22:23], s[4:5], s[22:23]
	s_and_saveexec_b64 s[20:21], s[18:19]
	s_cbranch_execz .LBB78_22
; %bb.30:                               ;   in Loop: Header=BB78_23 Depth=2
	v_and_b32_e32 v14, s18, v16
	v_and_b32_e32 v13, s19, v17
	v_bcnt_u32_b32 v14, v14, 0
	v_bcnt_u32_b32 v13, v13, v14
	v_lshlrev_b32_e32 v13, 3, v13
	s_waitcnt lgkmcnt(0)
	v_lshl_add_u32 v12, v12, 3, v13
	ds_write_b64 v12, v[4:5]
	s_branch .LBB78_22
.LBB78_31:                              ;   in Loop: Header=BB78_15 Depth=1
	s_mov_b64 s[16:17], 0
                                        ; implicit-def: $sgpr4
	s_cbranch_execnz .LBB78_36
	s_branch .LBB78_46
.LBB78_32:                              ;   in Loop: Header=BB78_15 Depth=1
	s_mov_b32 s4, 0
	s_and_b64 vcc, exec, s[8:9]
	s_cbranch_vccnz .LBB78_36
	s_branch .LBB78_46
.LBB78_33:                              ;   in Loop: Header=BB78_15 Depth=1
	s_or_b64 exec, exec, s[16:17]
	s_waitcnt lgkmcnt(0)
	s_barrier
	s_mov_b64 s[16:17], exec
	v_readlane_b32 s4, v59, 5
	v_readlane_b32 s5, v59, 6
	s_and_b64 s[4:5], s[16:17], s[4:5]
	s_mov_b64 exec, s[4:5]
	s_cbranch_execz .LBB78_35
; %bb.34:                               ;   in Loop: Header=BB78_15 Depth=1
	ds_read_b32 v2, v21 offset:4104
	s_waitcnt lgkmcnt(0)
	ds_write_b32 v21, v2 offset:4096
.LBB78_35:                              ;   in Loop: Header=BB78_15 Depth=1
	s_or_b64 exec, exec, s[16:17]
	s_waitcnt lgkmcnt(0)
	s_barrier
	s_mov_b64 s[16:17], -1
	s_mov_b32 s4, 0
	s_and_b64 vcc, exec, s[8:9]
	s_cbranch_vccz .LBB78_46
.LBB78_36:                              ;   in Loop: Header=BB78_15 Depth=1
	s_waitcnt vmcnt(0)
	v_pk_mov_b32 v[4:5], 0, 0
	s_mov_b64 s[8:9], exec
	v_readlane_b32 s4, v59, 27
	v_readlane_b32 s5, v59, 28
	s_and_b64 s[4:5], s[8:9], s[4:5]
	s_mov_b64 exec, s[4:5]
	s_cbranch_execz .LBB78_38
; %bb.37:                               ;   in Loop: Header=BB78_15 Depth=1
	global_load_dwordx2 v[4:5], v[18:19], off
.LBB78_38:                              ;   in Loop: Header=BB78_15 Depth=1
	s_or_b64 exec, exec, s[8:9]
	s_mov_b64 s[8:9], exec
	v_readlane_b32 s4, v59, 27
	v_readlane_b32 s5, v59, 28
	s_and_b64 s[4:5], s[8:9], s[4:5]
	s_mov_b64 exec, s[4:5]
	s_cbranch_execz .LBB78_43
; %bb.39:                               ;   in Loop: Header=BB78_15 Depth=1
	v_readlane_b32 s4, v59, 23
	v_readlane_b32 s5, v59, 24
	s_mov_b64 s[16:17], 0
	v_mov_b32_e32 v10, v36
	v_mov_b32_e32 v13, v0
	s_nop 1
	global_load_ushort v2, v21, s[4:5]
	v_readlane_b32 s4, v59, 49
	s_waitcnt vmcnt(0)
	v_add_u32_e32 v8, v0, v2
	v_lshlrev_b32_e32 v11, 3, v2
	v_mul_lo_u32 v12, s4, v2
	v_mul_lo_u32 v20, s4, v8
	s_branch .LBB78_41
.LBB78_40:                              ;   in Loop: Header=BB78_41 Depth=2
	s_or_b64 exec, exec, s[20:21]
	s_and_b64 s[4:5], exec, vcc
	s_or_b64 s[16:17], s[4:5], s[16:17]
	ds_write_b64 v10, v[4:5]
	v_add_u32_e32 v10, v10, v11
	v_add_u32_e32 v20, v20, v12
	s_waitcnt vmcnt(0)
	v_pk_mov_b32 v[4:5], v[8:9], v[8:9] op_sel:[0,1]
	s_andn2_b64 exec, exec, s[16:17]
	s_cbranch_execz .LBB78_43
.LBB78_41:                              ;   Parent Loop BB78_15 Depth=1
                                        ; =>  This Inner Loop Header: Depth=2
	v_add_u32_e32 v13, v13, v2
	v_cmp_gt_u32_e64 s[18:19], s60, v13
	v_cmp_le_u32_e32 vcc, s60, v13
	v_pk_mov_b32 v[8:9], 0, 0
	s_and_saveexec_b64 s[20:21], s[18:19]
	s_cbranch_execz .LBB78_40
; %bb.42:                               ;   in Loop: Header=BB78_41 Depth=2
	v_lshlrev_b64 v[8:9], 3, v[20:21]
	v_mov_b32_e32 v14, s64
	v_add_co_u32_e64 v8, s[18:19], s33, v8
	v_addc_co_u32_e64 v9, s[18:19], v14, v9, s[18:19]
	global_load_dwordx2 v[8:9], v[8:9], off
	s_branch .LBB78_40
.LBB78_43:                              ;   in Loop: Header=BB78_15 Depth=1
	s_or_b64 exec, exec, s[8:9]
	s_waitcnt lgkmcnt(0)
	s_barrier
	s_mov_b64 s[8:9], exec
	v_readlane_b32 s4, v59, 5
	v_readlane_b32 s5, v59, 6
	s_and_b64 s[4:5], s[8:9], s[4:5]
	s_mov_b64 exec, s[4:5]
	s_cbranch_execz .LBB78_45
; %bb.44:                               ;   in Loop: Header=BB78_15 Depth=1
	v_mov_b32_e32 v2, s60
	ds_write_b32 v21, v2 offset:4096
.LBB78_45:                              ;   in Loop: Header=BB78_15 Depth=1
	s_or_b64 exec, exec, s[8:9]
	s_mov_b64 s[16:17], -1
	s_waitcnt lgkmcnt(0)
	s_barrier
                                        ; implicit-def: $sgpr4
.LBB78_46:                              ;   in Loop: Header=BB78_15 Depth=1
	s_and_b64 vcc, exec, s[16:17]
	s_cbranch_vccz .LBB78_48
; %bb.47:                               ;   in Loop: Header=BB78_15 Depth=1
	ds_read_b32 v2, v21 offset:4096
	s_waitcnt lgkmcnt(0)
	v_readfirstlane_b32 s4, v2
.LBB78_48:                              ;   in Loop: Header=BB78_15 Depth=1
	s_cmp_lt_i32 s4, 1
	s_cbranch_scc0 .LBB78_60
; %bb.49:                               ;   in Loop: Header=BB78_15 Depth=1
	v_mov_b32_e32 v8, 0
	s_mov_b32 s5, 0
	v_mov_b32_e32 v9, 0
	v_mov_b32_e32 v10, v8
	;; [unrolled: 1-line block ×3, first 2 shown]
	s_mov_b64 s[16:17], exec
	v_readlane_b32 s8, v59, 42
	v_readlane_b32 s9, v59, 43
	s_and_b64 s[8:9], s[16:17], s[8:9]
	s_mov_b64 exec, s[8:9]
	s_cbranch_execz .LBB78_53
; %bb.50:                               ;   in Loop: Header=BB78_15 Depth=1
	s_and_b32 s8, s11, 0xfe
	s_mov_b64 s[48:49], 0
	s_mov_b32 s9, 0
	s_mov_b32 s50, 0
	;; [unrolled: 1-line block ×4, first 2 shown]
	v_mov_b32_e32 v2, v34
.LBB78_51:                              ;   Parent Loop BB78_15 Depth=1
                                        ; =>  This Inner Loop Header: Depth=2
	v_add_u32_e32 v20, s5, v42
	v_lshlrev_b64 v[12:13], 3, v[20:21]
	s_waitcnt vmcnt(0)
	v_mov_b32_e32 v4, s64
	v_add_u32_e32 v20, s5, v39
	v_add_co_u32_e64 v12, s[18:19], s33, v12
	v_lshlrev_b64 v[14:15], 3, v[20:21]
	v_addc_co_u32_e64 v13, s[18:19], v4, v13, s[18:19]
	v_add_u32_e32 v20, s5, v40
	v_add_co_u32_e64 v14, s[18:19], s33, v14
	v_lshlrev_b64 v[30:31], 3, v[20:21]
	v_addc_co_u32_e64 v15, s[18:19], v4, v15, s[18:19]
	v_add_u32_e32 v20, s5, v41
	v_add_co_u32_e64 v30, s[18:19], s33, v30
	global_load_dwordx2 v[12:13], v[12:13], off
	v_lshlrev_b64 v[32:33], 3, v[20:21]
	global_load_dwordx2 v[14:15], v[14:15], off
	v_addc_co_u32_e64 v31, s[18:19], v4, v31, s[18:19]
	global_load_dwordx2 v[30:31], v[30:31], off
	v_add_co_u32_e64 v32, s[18:19], s33, v32
	v_addc_co_u32_e64 v33, s[18:19], v4, v33, s[18:19]
	global_load_dwordx2 v[32:33], v[32:33], off
	v_mov_b32_e32 v11, v21
	v_mov_b32_e32 v9, v21
	;; [unrolled: 1-line block ×3, first 2 shown]
	v_add_u32_e32 v2, s12, v2
	v_cmp_le_u32_e32 vcc, s13, v2
	s_add_i32 s5, s5, s72
	s_waitcnt vmcnt(3)
	v_ashrrev_i32_e32 v4, 31, v13
	v_or_b32_e32 v8, 0x80000000, v4
	s_waitcnt vmcnt(2)
	v_ashrrev_i32_e32 v10, 31, v15
	v_xor_b32_e32 v4, v4, v12
	v_cmp_o_f64_e64 s[18:19], v[12:13], v[12:13]
	v_xor_b32_e32 v8, v8, v13
	v_or_b32_e32 v20, 0x80000000, v10
	s_waitcnt vmcnt(1)
	v_ashrrev_i32_e32 v48, 31, v31
	v_xor_b32_e32 v10, v10, v14
	v_cndmask_b32_e64 v12, -1, v4, s[18:19]
	v_cmp_o_f64_e64 s[20:21], v[14:15], v[14:15]
	v_cndmask_b32_e64 v13, -1, v8, s[18:19]
	v_xor_b32_e32 v4, v20, v15
	v_or_b32_e32 v8, 0x80000000, v48
	s_waitcnt vmcnt(0)
	v_ashrrev_i32_e32 v49, 31, v33
	v_xor_b32_e32 v20, v48, v30
	v_cndmask_b32_e64 v14, -1, v10, s[20:21]
	v_and_b32_e32 v48, v12, v28
	v_cmp_o_f64_e64 s[18:19], v[30:31], v[30:31]
	v_cndmask_b32_e64 v15, -1, v4, s[20:21]
	v_xor_b32_e32 v4, v8, v31
	v_or_b32_e32 v8, 0x80000000, v49
	v_xor_b32_e32 v10, v49, v32
	v_and_b32_e32 v49, v13, v29
	v_lshrrev_b64 v[12:13], s8, v[12:13]
	v_cndmask_b32_e64 v30, -1, v20, s[18:19]
	v_and_b32_e32 v20, 3, v12
	v_cmp_o_f64_e64 s[20:21], v[32:33], v[32:33]
	v_cndmask_b32_e64 v31, -1, v4, s[18:19]
	v_cmp_eq_u64_e64 s[18:19], v[48:49], v[26:27]
	v_lshrrev_b64 v[12:13], s8, v[14:15]
	v_cmp_eq_u64_e64 s[22:23], 0, v[20:21]
	v_and_b32_e32 v50, v14, v28
	v_xor_b32_e32 v4, v8, v33
	v_cndmask_b32_e64 v14, -1, v10, s[20:21]
	v_and_b32_e32 v10, 3, v12
	v_cmp_eq_u64_e64 s[24:25], 1, v[20:21]
	s_and_b64 s[14:15], s[18:19], s[22:23]
	v_and_b32_e32 v51, v15, v29
	v_cndmask_b32_e64 v15, -1, v4, s[20:21]
	v_lshrrev_b64 v[12:13], s8, v[30:31]
	v_cmp_eq_u64_e64 s[26:27], 2, v[20:21]
	v_cmp_eq_u64_e64 s[34:35], 0, v[10:11]
	;; [unrolled: 1-line block ×5, first 2 shown]
	v_cndmask_b32_e64 v10, 0, 1, s[14:15]
	s_and_b64 s[14:15], s[18:19], s[24:25]
	v_cmp_eq_u64_e64 s[28:29], 3, v[20:21]
	v_and_b32_e32 v8, 3, v12
	v_lshrrev_b64 v[12:13], s8, v[14:15]
	v_cndmask_b32_e64 v11, 0, 1, s[14:15]
	s_and_b64 s[14:15], s[18:19], s[26:27]
	v_cmp_eq_u64_e64 s[20:21], v[50:51], v[26:27]
	v_cndmask_b32_e64 v13, 0, 1, s[14:15]
	s_and_b64 s[14:15], s[18:19], s[28:29]
	v_and_b32_e32 v32, v30, v28
	v_and_b32_e32 v30, v14, v28
	v_cndmask_b32_e64 v14, 0, 1, s[14:15]
	s_and_b64 s[14:15], s[20:21], s[34:35]
	v_cmp_eq_u64_e64 s[22:23], 0, v[8:9]
	v_cmp_eq_u64_e64 s[24:25], 1, v[8:9]
	;; [unrolled: 1-line block ×4, first 2 shown]
	v_cndmask_b32_e64 v8, 0, 1, s[14:15]
	s_and_b64 s[14:15], s[20:21], s[36:37]
	v_and_b32_e32 v33, v31, v29
	v_cndmask_b32_e64 v9, 0, 1, s[14:15]
	s_and_b64 s[14:15], s[20:21], s[38:39]
	v_cmp_eq_u64_e64 s[30:31], v[32:33], v[26:27]
	v_cmp_ne_u32_e64 s[42:43], 0, v10
	v_cndmask_b32_e64 v10, 0, 1, s[14:15]
	s_and_b64 s[14:15], s[20:21], s[40:41]
	v_and_b32_e32 v4, 3, v12
	v_cmp_ne_u32_e64 s[34:35], 0, v11
	v_cndmask_b32_e64 v11, 0, 1, s[14:15]
	s_and_b64 s[14:15], s[30:31], s[22:23]
	v_cmp_eq_u64_e64 s[20:21], 0, v[4:5]
	v_cmp_eq_u64_e64 s[40:41], 1, v[4:5]
	;; [unrolled: 1-line block ×4, first 2 shown]
	v_cndmask_b32_e64 v4, 0, 1, s[14:15]
	s_and_b64 s[14:15], s[30:31], s[24:25]
	v_and_b32_e32 v31, v15, v29
	v_cndmask_b32_e64 v5, 0, 1, s[14:15]
	s_and_b64 s[14:15], s[30:31], s[26:27]
	v_cmp_eq_u64_e64 s[18:19], v[30:31], v[26:27]
	s_bcnt1_i32_b64 s53, s[42:43]
	v_cmp_ne_u32_e64 s[42:43], 0, v8
	v_cndmask_b32_e64 v8, 0, 1, s[14:15]
	s_and_b64 s[14:15], s[30:31], s[28:29]
	v_cmp_ne_u32_e64 s[22:23], 0, v9
	v_cndmask_b32_e64 v9, 0, 1, s[14:15]
	s_and_b64 s[14:15], s[18:19], s[20:21]
	;; [unrolled: 3-line block ×3, first 2 shown]
	v_cmp_ne_u32_e64 s[36:37], 0, v13
	v_cmp_ne_u32_e64 s[38:39], 0, v14
	;; [unrolled: 1-line block ×3, first 2 shown]
	v_cndmask_b32_e64 v5, 0, 1, s[14:15]
	s_and_b64 s[14:15], s[18:19], s[44:45]
	s_bcnt1_i32_b64 s34, s[34:35]
	s_bcnt1_i32_b64 s35, s[36:37]
	v_cmp_ne_u32_e64 s[24:25], 0, v10
	s_bcnt1_i32_b64 s36, s[38:39]
	v_cmp_ne_u32_e64 s[26:27], 0, v11
	;; [unrolled: 2-line block ×3, first 2 shown]
	v_cndmask_b32_e64 v8, 0, 1, s[14:15]
	s_and_b64 s[14:15], s[18:19], s[46:47]
	s_bcnt1_i32_b64 s30, s[42:43]
	s_add_i32 s31, s52, s53
	s_add_i32 s34, s51, s34
	s_bcnt1_i32_b64 s38, s[24:25]
	s_add_i32 s35, s50, s35
	s_bcnt1_i32_b64 s26, s[26:27]
	v_cmp_ne_u32_e64 s[24:25], 0, v9
	v_cndmask_b32_e64 v9, 0, 1, s[14:15]
	s_add_i32 s9, s9, s36
	s_bcnt1_i32_b64 s14, s[28:29]
	v_cmp_ne_u32_e64 s[18:19], 0, v4
	s_add_i32 s15, s31, s30
	s_bcnt1_i32_b64 s27, s[20:21]
	v_cmp_ne_u32_e64 s[20:21], 0, v5
	;; [unrolled: 3-line block ×4, first 2 shown]
	s_add_i32 s9, s9, s26
	s_bcnt1_i32_b64 s18, s[18:19]
	s_add_i32 s14, s15, s14
	s_bcnt1_i32_b64 s15, s[20:21]
	;; [unrolled: 2-line block ×4, first 2 shown]
	s_add_i32 s9, s9, s31
	s_add_i32 s52, s14, s18
	;; [unrolled: 1-line block ×5, first 2 shown]
	s_or_b64 s[48:49], vcc, s[48:49]
	v_mov_b32_e32 v8, s52
	v_mov_b32_e32 v9, s51
	;; [unrolled: 1-line block ×4, first 2 shown]
	s_andn2_b64 exec, exec, s[48:49]
	s_cbranch_execnz .LBB78_51
; %bb.52:                               ;   in Loop: Header=BB78_15 Depth=1
	s_or_b64 exec, exec, s[48:49]
.LBB78_53:                              ;   in Loop: Header=BB78_15 Depth=1
	s_or_b64 exec, exec, s[16:17]
	v_pk_mov_b32 v[12:13], 0, 0
	s_mov_b64 s[8:9], exec
	v_readlane_b32 s14, v59, 44
	v_readlane_b32 s15, v59, 45
	s_and_b64 s[14:15], s[8:9], s[14:15]
	s_mov_b64 exec, s[14:15]
	s_cbranch_execz .LBB78_55
; %bb.54:                               ;   in Loop: Header=BB78_15 Depth=1
	global_load_dwordx2 v[12:13], v[24:25], off
.LBB78_55:                              ;   in Loop: Header=BB78_15 Depth=1
	s_or_b64 exec, exec, s[8:9]
	s_mov_b64 s[8:9], 0
	s_mov_b64 s[16:17], 0
	s_mov_b64 s[20:21], exec
	v_readlane_b32 s14, v59, 44
	v_readlane_b32 s15, v59, 45
	s_and_b64 s[14:15], s[20:21], s[14:15]
	s_mov_b64 exec, s[14:15]
	s_cbranch_execz .LBB78_62
; %bb.56:                               ;   in Loop: Header=BB78_15 Depth=1
	s_and_b32 s5, s11, 0xfe
	s_waitcnt vmcnt(0)
	v_mov_b32_e32 v4, v43
	v_mov_b32_e32 v2, v38
	s_branch .LBB78_58
.LBB78_57:                              ;   in Loop: Header=BB78_58 Depth=2
	s_or_b64 exec, exec, s[22:23]
	v_ashrrev_i32_e32 v5, 31, v13
	v_or_b32_e32 v20, 0x80000000, v5
	s_and_b64 s[14:15], exec, vcc
	v_xor_b32_e32 v20, v20, v13
	v_xor_b32_e32 v5, v5, v12
	v_cmp_o_f64_e32 vcc, v[12:13], v[12:13]
	v_cndmask_b32_e32 v13, -1, v20, vcc
	v_cndmask_b32_e32 v12, -1, v5, vcc
	v_and_b32_e32 v31, v13, v29
	v_and_b32_e32 v30, v12, v28
	v_lshrrev_b64 v[12:13], s5, v[12:13]
	v_and_b32_e32 v20, 3, v12
	s_or_b64 s[16:17], s[14:15], s[16:17]
	v_cmp_eq_u64_e32 vcc, v[30:31], v[26:27]
	v_cmp_eq_u64_e64 s[18:19], 0, v[20:21]
	s_and_b64 s[14:15], vcc, s[18:19]
	v_cndmask_b32_e64 v5, 0, 1, s[14:15]
	v_cmp_ne_u32_e64 s[18:19], 0, v5
	s_bcnt1_i32_b64 s14, s[18:19]
	v_cmp_eq_u64_e64 s[18:19], 1, v[20:21]
	v_add_u32_e32 v8, s14, v8
	s_and_b64 s[14:15], vcc, s[18:19]
	v_cndmask_b32_e64 v5, 0, 1, s[14:15]
	v_cmp_ne_u32_e64 s[18:19], 0, v5
	s_bcnt1_i32_b64 s14, s[18:19]
	v_cmp_eq_u64_e64 s[18:19], 2, v[20:21]
	v_add_u32_e32 v9, s14, v9
	;; [unrolled: 6-line block ×3, first 2 shown]
	s_and_b64 s[14:15], vcc, s[18:19]
	v_cndmask_b32_e64 v5, 0, 1, s[14:15]
	v_cmp_ne_u32_e32 vcc, 0, v5
	s_bcnt1_i32_b64 s14, vcc
	v_add_u32_e32 v11, s14, v11
	v_add_u32_e32 v4, s78, v4
	s_waitcnt vmcnt(0)
	v_pk_mov_b32 v[12:13], v[14:15], v[14:15] op_sel:[0,1]
	s_andn2_b64 exec, exec, s[16:17]
	s_cbranch_execz .LBB78_61
.LBB78_58:                              ;   Parent Loop BB78_15 Depth=1
                                        ; =>  This Inner Loop Header: Depth=2
	v_add_u32_e32 v2, s66, v2
	v_cmp_gt_u32_e64 s[18:19], s60, v2
	v_cmp_le_u32_e32 vcc, s60, v2
	v_pk_mov_b32 v[14:15], 0, 0
	s_and_saveexec_b64 s[22:23], s[18:19]
	s_cbranch_execz .LBB78_57
; %bb.59:                               ;   in Loop: Header=BB78_58 Depth=2
	v_mov_b32_e32 v5, v21
	v_lshlrev_b64 v[14:15], 3, v[4:5]
	v_mov_b32_e32 v5, s64
	v_add_co_u32_e64 v14, s[18:19], s33, v14
	v_addc_co_u32_e64 v15, s[18:19], v5, v15, s[18:19]
	global_load_dwordx2 v[14:15], v[14:15], off
	s_branch .LBB78_57
.LBB78_60:                              ;   in Loop: Header=BB78_15 Depth=1
	s_mov_b64 s[16:17], 0
                                        ; implicit-def: $vgpr11
	s_cbranch_execnz .LBB78_63
	s_branch .LBB78_72
.LBB78_61:                              ;   in Loop: Header=BB78_15 Depth=1
	s_or_b64 exec, exec, s[16:17]
	s_mov_b64 s[16:17], exec
.LBB78_62:                              ;   in Loop: Header=BB78_15 Depth=1
	s_or_b64 exec, exec, s[20:21]
	s_and_b64 vcc, exec, s[8:9]
	s_cbranch_vccz .LBB78_72
.LBB78_63:                              ;   in Loop: Header=BB78_15 Depth=1
	v_readlane_b32 s5, v59, 41
	s_mul_hi_u32 s5, s4, s5
	s_mul_i32 s5, s5, s12
	s_sub_i32 s5, s4, s5
	s_sub_i32 s8, s5, s12
	s_cmp_ge_u32 s5, s12
	s_cselect_b32 s5, s8, s5
	s_sub_i32 s8, s5, s12
	s_cmp_ge_u32 s5, s12
	s_cselect_b32 s5, s8, s5
	s_sub_i32 s5, s4, s5
	v_cmp_gt_u32_e32 vcc, s5, v34
	s_mov_b32 s63, 0
	v_mov_b32_e32 v8, 0
	v_mov_b32_e32 v9, 0
	;; [unrolled: 1-line block ×4, first 2 shown]
	s_and_saveexec_b64 s[8:9], vcc
	s_cbranch_execz .LBB78_67
; %bb.64:                               ;   in Loop: Header=BB78_15 Depth=1
	s_and_b32 s74, s11, 0xfe
	s_mov_b64 s[76:77], 0
	v_mov_b32_e32 v2, v44
	s_mov_b32 s75, 0
	s_mov_b32 s14, 0
	;; [unrolled: 1-line block ×3, first 2 shown]
	v_mov_b32_e32 v48, v34
.LBB78_65:                              ;   Parent Loop BB78_15 Depth=1
                                        ; =>  This Inner Loop Header: Depth=2
	s_waitcnt vmcnt(0)
	ds_read_b128 v[12:15], v2
	ds_read_b128 v[8:11], v2 offset:16
	v_mov_b32_e32 v5, v21
	v_mov_b32_e32 v31, v21
	v_mov_b32_e32 v33, v21
	s_waitcnt lgkmcnt(1)
	v_ashrrev_i32_e32 v4, 31, v13
	v_ashrrev_i32_e32 v20, 31, v15
	s_waitcnt lgkmcnt(0)
	v_ashrrev_i32_e32 v30, 31, v9
	v_ashrrev_i32_e32 v32, 31, v11
	v_xor_b32_e32 v49, v20, v14
	v_cmp_o_f64_e64 s[18:19], v[14:15], v[14:15]
	v_xor_b32_e32 v14, v30, v8
	v_cmp_o_f64_e64 s[20:21], v[8:9], v[8:9]
	v_or_b32_e32 v8, 0x80000000, v4
	v_xor_b32_e32 v50, v32, v10
	v_cmp_o_f64_e64 s[22:23], v[10:11], v[10:11]
	v_xor_b32_e32 v4, v4, v12
	v_or_b32_e32 v10, 0x80000000, v20
	v_or_b32_e32 v20, 0x80000000, v30
	v_cmp_o_f64_e64 s[24:25], v[12:13], v[12:13]
	v_xor_b32_e32 v13, v8, v13
	v_or_b32_e32 v30, 0x80000000, v32
	v_xor_b32_e32 v15, v10, v15
	v_xor_b32_e32 v20, v20, v9
	v_cndmask_b32_e64 v8, -1, v4, s[24:25]
	v_cndmask_b32_e64 v9, -1, v13, s[24:25]
	v_xor_b32_e32 v30, v30, v11
	v_cndmask_b32_e64 v10, -1, v49, s[18:19]
	v_cndmask_b32_e64 v12, -1, v14, s[20:21]
	;; [unrolled: 1-line block ×4, first 2 shown]
	v_and_b32_e32 v50, v8, v28
	v_and_b32_e32 v51, v9, v29
	v_lshrrev_b64 v[8:9], s74, v[8:9]
	v_cndmask_b32_e64 v13, -1, v20, s[20:21]
	v_and_b32_e32 v52, v10, v28
	v_and_b32_e32 v53, v11, v29
	v_lshrrev_b64 v[10:11], s74, v[10:11]
	v_and_b32_e32 v20, 3, v8
	v_cndmask_b32_e64 v15, -1, v30, s[22:23]
	v_and_b32_e32 v54, v12, v28
	v_and_b32_e32 v55, v13, v29
	v_lshrrev_b64 v[12:13], s74, v[12:13]
	v_cmp_eq_u64_e64 s[18:19], v[50:51], v[26:27]
	v_and_b32_e32 v4, 3, v10
	v_cmp_eq_u64_e64 s[26:27], 0, v[20:21]
	v_and_b32_e32 v56, v14, v28
	v_and_b32_e32 v57, v15, v29
	v_lshrrev_b64 v[14:15], s74, v[14:15]
	v_cmp_eq_u64_e64 s[20:21], v[52:53], v[26:27]
	v_and_b32_e32 v30, 3, v12
	v_cmp_eq_u64_e64 s[28:29], 0, v[4:5]
	s_and_b64 s[26:27], s[18:19], s[26:27]
	v_cmp_eq_u64_e64 s[22:23], v[54:55], v[26:27]
	v_and_b32_e32 v32, 3, v14
	v_cmp_eq_u64_e64 s[30:31], 0, v[30:31]
	v_cmp_eq_u64_e64 s[38:39], 1, v[4:5]
	v_cmp_eq_u64_e64 s[46:47], 2, v[4:5]
	v_cmp_eq_u64_e64 s[54:55], 3, v[4:5]
	v_cndmask_b32_e64 v4, 0, 1, s[26:27]
	s_and_b64 s[26:27], s[20:21], s[28:29]
	v_cmp_eq_u64_e64 s[24:25], v[56:57], v[26:27]
	v_cmp_eq_u64_e64 s[34:35], 0, v[32:33]
	v_cndmask_b32_e64 v5, 0, 1, s[26:27]
	s_and_b64 s[26:27], s[22:23], s[30:31]
	v_cmp_eq_u64_e64 s[36:37], 1, v[20:21]
	v_cndmask_b32_e64 v8, 0, 1, s[26:27]
	s_and_b64 s[26:27], s[24:25], s[34:35]
	v_cndmask_b32_e64 v9, 0, 1, s[26:27]
	s_and_b64 s[26:27], s[18:19], s[36:37]
	v_cmp_eq_u64_e64 s[40:41], 1, v[30:31]
	v_cndmask_b32_e64 v10, 0, 1, s[26:27]
	s_and_b64 s[26:27], s[20:21], s[38:39]
	v_cmp_eq_u64_e64 s[42:43], 1, v[32:33]
	;; [unrolled: 3-line block ×3, first 2 shown]
	v_cmp_eq_u64_e64 s[52:53], 3, v[20:21]
	v_cndmask_b32_e64 v12, 0, 1, s[26:27]
	s_and_b64 s[26:27], s[24:25], s[42:43]
	v_cndmask_b32_e64 v13, 0, 1, s[26:27]
	s_and_b64 s[26:27], s[18:19], s[44:45]
	s_and_b64 s[18:19], s[18:19], s[52:53]
	v_cmp_eq_u64_e64 s[48:49], 2, v[30:31]
	v_cmp_eq_u64_e64 s[56:57], 3, v[30:31]
	v_cndmask_b32_e64 v14, 0, 1, s[26:27]
	s_and_b64 s[26:27], s[20:21], s[46:47]
	v_cndmask_b32_e64 v31, 0, 1, s[18:19]
	s_and_b64 s[18:19], s[20:21], s[54:55]
	v_cmp_eq_u64_e64 s[50:51], 2, v[32:33]
	v_cmp_eq_u64_e64 s[58:59], 3, v[32:33]
	v_cndmask_b32_e64 v15, 0, 1, s[26:27]
	s_and_b64 s[26:27], s[22:23], s[48:49]
	v_cndmask_b32_e64 v32, 0, 1, s[18:19]
	s_and_b64 s[18:19], s[22:23], s[56:57]
	;; [unrolled: 2-line block ×4, first 2 shown]
	v_cndmask_b32_e64 v30, 0, 1, s[26:27]
	v_cndmask_b32_e64 v49, 0, 1, s[18:19]
	v_cmp_ne_u32_e64 s[18:19], 0, v4
	v_cmp_ne_u32_e64 s[20:21], 0, v5
	;; [unrolled: 1-line block ×11, first 2 shown]
	s_bcnt1_i32_b64 s18, s[18:19]
	s_bcnt1_i32_b64 s19, s[20:21]
	;; [unrolled: 1-line block ×8, first 2 shown]
	v_cmp_ne_u32_e64 s[34:35], 0, v13
	v_cmp_ne_u32_e64 s[40:41], 0, v20
	;; [unrolled: 1-line block ×3, first 2 shown]
	s_bcnt1_i32_b64 s23, s[28:29]
	s_bcnt1_i32_b64 s27, s[38:39]
	;; [unrolled: 1-line block ×3, first 2 shown]
	s_add_i32 s15, s15, s18
	s_add_i32 s14, s14, s22
	;; [unrolled: 1-line block ×4, first 2 shown]
	v_cmp_ne_u32_e64 s[42:43], 0, v30
	v_cmp_ne_u32_e64 s[50:51], 0, v49
	s_bcnt1_i32_b64 s25, s[34:35]
	s_bcnt1_i32_b64 s28, s[40:41]
	;; [unrolled: 1-line block ×3, first 2 shown]
	s_add_i32 s15, s15, s19
	s_add_i32 s14, s14, s23
	;; [unrolled: 1-line block ×4, first 2 shown]
	v_add_u32_e32 v48, s12, v48
	s_bcnt1_i32_b64 s29, s[42:43]
	s_bcnt1_i32_b64 s35, s[50:51]
	s_add_i32 s15, s15, s20
	s_add_i32 s14, s14, s24
	s_add_i32 s18, s18, s28
	s_add_i32 s19, s19, s34
	v_cmp_le_u32_e32 vcc, s5, v48
	s_add_i32 s15, s15, s21
	s_add_i32 s14, s14, s25
	;; [unrolled: 1-line block ×4, first 2 shown]
	v_add_u32_e32 v2, s73, v2
	s_or_b64 s[76:77], vcc, s[76:77]
	v_mov_b32_e32 v8, s15
	v_mov_b32_e32 v9, s14
	;; [unrolled: 1-line block ×4, first 2 shown]
	s_andn2_b64 exec, exec, s[76:77]
	s_cbranch_execnz .LBB78_65
; %bb.66:                               ;   in Loop: Header=BB78_15 Depth=1
	s_or_b64 exec, exec, s[76:77]
.LBB78_67:                              ;   in Loop: Header=BB78_15 Depth=1
	s_or_b64 exec, exec, s[8:9]
	v_add_u32_e32 v2, s5, v0
	v_cmp_gt_u32_e32 vcc, s4, v2
	s_and_saveexec_b64 s[8:9], vcc
	s_cbranch_execz .LBB78_71
; %bb.68:                               ;   in Loop: Header=BB78_15 Depth=1
	s_and_b32 s5, s11, 0xfe
	s_waitcnt vmcnt(0)
	v_lshlrev_b32_e32 v4, 3, v2
	s_mov_b64 s[28:29], 0
.LBB78_69:                              ;   Parent Loop BB78_15 Depth=1
                                        ; =>  This Inner Loop Header: Depth=2
	ds_read_b64 v[12:13], v4
	v_add_u32_e32 v2, s66, v2
	v_cmp_le_u32_e32 vcc, s4, v2
	v_add_u32_e32 v4, s10, v4
	s_waitcnt lgkmcnt(0)
	v_ashrrev_i32_e32 v5, 31, v13
	v_or_b32_e32 v14, 0x80000000, v5
	v_xor_b32_e32 v5, v5, v12
	v_cmp_o_f64_e64 s[18:19], v[12:13], v[12:13]
	v_xor_b32_e32 v13, v14, v13
	v_cndmask_b32_e64 v12, -1, v5, s[18:19]
	v_cndmask_b32_e64 v13, -1, v13, s[18:19]
	v_and_b32_e32 v14, v12, v28
	v_and_b32_e32 v15, v13, v29
	v_lshrrev_b64 v[12:13], s5, v[12:13]
	v_and_b32_e32 v20, 3, v12
	v_cmp_eq_u64_e64 s[18:19], v[14:15], v[26:27]
	v_cmp_eq_u64_e64 s[20:21], 0, v[20:21]
	;; [unrolled: 1-line block ×3, first 2 shown]
	s_and_b64 s[14:15], s[18:19], s[20:21]
	v_cmp_eq_u64_e64 s[24:25], 2, v[20:21]
	v_cndmask_b32_e64 v5, 0, 1, s[14:15]
	s_and_b64 s[14:15], s[18:19], s[22:23]
	v_cmp_eq_u64_e64 s[26:27], 3, v[20:21]
	v_cndmask_b32_e64 v12, 0, 1, s[14:15]
	s_and_b64 s[14:15], s[18:19], s[24:25]
	v_cndmask_b32_e64 v13, 0, 1, s[14:15]
	s_and_b64 s[14:15], s[18:19], s[26:27]
	v_cndmask_b32_e64 v14, 0, 1, s[14:15]
	v_cmp_ne_u32_e64 s[18:19], 0, v5
	v_cmp_ne_u32_e64 s[20:21], 0, v12
	;; [unrolled: 1-line block ×4, first 2 shown]
	s_bcnt1_i32_b64 s14, s[18:19]
	s_bcnt1_i32_b64 s15, s[20:21]
	;; [unrolled: 1-line block ×4, first 2 shown]
	v_add_u32_e32 v8, s14, v8
	v_add_u32_e32 v9, s15, v9
	;; [unrolled: 1-line block ×3, first 2 shown]
	s_or_b64 s[28:29], vcc, s[28:29]
	v_add_u32_e32 v11, s19, v11
	s_andn2_b64 exec, exec, s[28:29]
	s_cbranch_execnz .LBB78_69
; %bb.70:                               ;   in Loop: Header=BB78_15 Depth=1
	s_or_b64 exec, exec, s[28:29]
	s_or_b64 s[16:17], s[16:17], exec
.LBB78_71:                              ;   in Loop: Header=BB78_15 Depth=1
	s_or_b64 exec, exec, s[8:9]
.LBB78_72:                              ;   in Loop: Header=BB78_15 Depth=1
	s_and_saveexec_b64 s[8:9], s[16:17]
	s_or_b64 exec, exec, s[8:9]
	s_lshl_b32 s4, s62, 6
	s_and_saveexec_b64 s[8:9], s[0:1]
	s_cbranch_execz .LBB78_74
; %bb.73:                               ;   in Loop: Header=BB78_15 Depth=1
	v_or_b32_e32 v2, s4, v35
	v_lshlrev_b32_e32 v2, 2, v2
	ds_write_b128 v2, v[8:11] offset:3072
.LBB78_74:                              ;   in Loop: Header=BB78_15 Depth=1
	s_or_b64 exec, exec, s[8:9]
	s_waitcnt lgkmcnt(0)
	s_barrier
	s_mov_b64 s[8:9], exec
	v_readlane_b32 s14, v59, 16
	v_readlane_b32 s15, v59, 17
	s_and_b64 s[14:15], s[8:9], s[14:15]
	s_mov_b64 exec, s[14:15]
	s_cbranch_execz .LBB78_88
; %bb.75:                               ;   in Loop: Header=BB78_15 Depth=1
	v_readlane_b32 s14, v59, 20
	v_readlane_b32 s15, v59, 21
	v_add_u32_e32 v2, s4, v1
	s_andn2_b64 vcc, exec, s[14:15]
	s_waitcnt vmcnt(0)
	v_mov_b32_e32 v4, 0
	s_cbranch_vccnz .LBB78_87
; %bb.76:                               ;   in Loop: Header=BB78_15 Depth=1
	v_readlane_b32 s14, v59, 25
	v_readlane_b32 s15, v59, 26
	s_mov_b32 s5, 0
	s_and_b64 vcc, exec, s[14:15]
	v_mov_b32_e32 v4, 0
	s_cbranch_vccz .LBB78_80
; %bb.77:                               ;   in Loop: Header=BB78_15 Depth=1
	v_readlane_b32 s14, v59, 31
	v_readlane_b32 s16, v59, 10
	;; [unrolled: 1-line block ×3, first 2 shown]
	v_lshl_add_u32 v8, v2, 2, v46
	v_readlane_b32 s17, v59, 11
	s_andn2_b64 vcc, exec, s[14:15]
	s_cbranch_vccnz .LBB78_81
; %bb.78:                               ;   in Loop: Header=BB78_15 Depth=1
	v_writelane_b32 v59, s16, 10
	v_writelane_b32 v59, s17, 11
	s_mov_b32 s17, 1
	s_mov_b32 s16, 0
	v_mov_b32_e32 v4, 0
	v_readlane_b32 s5, v59, 33
	v_mov_b32_e32 v5, 0
.LBB78_79:                              ;   Parent Loop BB78_15 Depth=1
                                        ; =>  This Inner Loop Header: Depth=2
	v_lshl_add_u32 v9, s16, 4, v8
	v_lshl_add_u32 v20, s17, 4, v8
	ds_read2_b32 v[10:11], v9 offset1:8
	ds_read2_b32 v[12:13], v20 offset1:8
	ds_read2_b32 v[14:15], v9 offset0:16 offset1:24
	ds_read2_b32 v[30:31], v20 offset0:16 offset1:24
	;; [unrolled: 1-line block ×6, first 2 shown]
	s_waitcnt lgkmcnt(7)
	v_add3_u32 v4, v10, v4, v11
	s_waitcnt lgkmcnt(6)
	v_add3_u32 v5, v12, v5, v13
	;; [unrolled: 2-line block ×3, first 2 shown]
	v_add3_u32 v4, v14, v4, v15
	s_add_i32 s17, s17, 16
	s_add_i32 s16, s16, 16
	s_add_i32 s5, s5, -8
	s_waitcnt lgkmcnt(3)
	v_add3_u32 v4, v32, v4, v33
	s_waitcnt lgkmcnt(2)
	v_add3_u32 v5, v48, v5, v49
	s_cmp_lg_u32 s5, 0
	s_waitcnt lgkmcnt(0)
	v_add3_u32 v5, v52, v5, v53
	v_add3_u32 v4, v50, v4, v51
	s_cbranch_scc1 .LBB78_79
	s_branch .LBB78_82
.LBB78_80:                              ;   in Loop: Header=BB78_15 Depth=1
	s_cbranch_execnz .LBB78_85
	s_branch .LBB78_87
.LBB78_81:                              ;   in Loop: Header=BB78_15 Depth=1
	s_mov_b32 s14, s16
	s_mov_b32 s17, s16
	v_writelane_b32 v59, s14, 10
	v_pk_mov_b32 v[4:5], s[16:17], s[16:17] op_sel:[0,1]
	s_mov_b32 s17, 1
	v_writelane_b32 v59, s15, 11
.LBB78_82:                              ;   in Loop: Header=BB78_15 Depth=1
	v_readlane_b32 s14, v59, 35
	v_readlane_b32 s15, v59, 36
	s_andn2_b64 vcc, exec, s[14:15]
	v_readlane_b32 s5, v59, 34
	s_cbranch_vccnz .LBB78_84
.LBB78_83:                              ;   Parent Loop BB78_15 Depth=1
                                        ; =>  This Inner Loop Header: Depth=2
	v_lshl_add_u32 v9, s16, 4, v8
	v_lshl_add_u32 v10, s17, 4, v8
	ds_read_b32 v10, v10
	ds_read_b32 v9, v9
	s_add_i32 s17, s17, 2
	s_add_i32 s16, s16, 2
	s_add_i32 s5, s5, -1
	s_cmp_lg_u32 s5, 0
	s_waitcnt lgkmcnt(1)
	v_add_u32_e32 v5, v10, v5
	s_waitcnt lgkmcnt(0)
	v_add_u32_e32 v4, v9, v4
	s_cbranch_scc1 .LBB78_83
.LBB78_84:                              ;   in Loop: Header=BB78_15 Depth=1
	v_readlane_b32 s16, v59, 39
	v_add_u32_e32 v4, v4, v5
	v_readlane_b32 s5, v59, 38
	v_readlane_b32 s17, v59, 40
	s_and_b64 vcc, exec, s[16:17]
	s_cbranch_vccz .LBB78_87
.LBB78_85:                              ;   in Loop: Header=BB78_15 Depth=1
	s_lshl_b32 s14, s62, 8
	s_lshl_b32 s15, s5, 4
	s_add_i32 s14, s14, s15
	v_add_u32_e32 v5, s14, v45
	v_readlane_b32 s14, v59, 37
	s_sub_i32 s5, s14, s5
.LBB78_86:                              ;   Parent Loop BB78_15 Depth=1
                                        ; =>  This Inner Loop Header: Depth=2
	ds_read_b32 v8, v5
	s_add_i32 s5, s5, -1
	v_add_u32_e32 v5, 16, v5
	s_cmp_eq_u32 s5, 0
	s_waitcnt lgkmcnt(0)
	v_add_u32_e32 v4, v8, v4
	s_cbranch_scc0 .LBB78_86
.LBB78_87:                              ;   in Loop: Header=BB78_15 Depth=1
	v_lshlrev_b32_e32 v2, 2, v2
	ds_write_b32 v2, v4 offset:3072
.LBB78_88:                              ;   in Loop: Header=BB78_15 Depth=1
	s_or_b64 exec, exec, s[8:9]
	s_lshl_b32 s4, s4, 2
	v_mov_b32_e32 v2, s4
	s_waitcnt lgkmcnt(0)
	s_barrier
	ds_read_b128 v[8:11], v2 offset:3072
	s_and_b32 s5, s11, 0xfe
	v_readlane_b32 s8, v59, 14
	s_lshl_b64 s[22:23], 3, s5
	v_readlane_b32 s9, v59, 15
	s_waitcnt lgkmcnt(0)
	v_readfirstlane_b32 s63, v8
	v_readfirstlane_b32 s4, v9
	;; [unrolled: 1-line block ×4, first 2 shown]
	s_not_b64 s[24:25], s[22:23]
	s_andn2_b64 vcc, exec, s[8:9]
	v_cmp_eq_u32_e64 s[18:19], 1, v47
	s_cbranch_vccnz .LBB78_101
; %bb.89:                               ;   in Loop: Header=BB78_15 Depth=1
	s_cmp_eq_u32 s63, 1
	s_cselect_b64 s[8:9], -1, 0
	s_and_b64 s[8:9], s[8:9], s[18:19]
	s_mov_b64 s[40:41], -1
	s_waitcnt vmcnt(0)
	v_pk_mov_b32 v[12:13], v[26:27], v[26:27] op_sel:[0,1]
	v_pk_mov_b32 v[14:15], v[28:29], v[28:29] op_sel:[0,1]
	;; [unrolled: 1-line block ×3, first 2 shown]
                                        ; implicit-def: $sgpr26_sgpr27
                                        ; implicit-def: $sgpr34_sgpr35
                                        ; implicit-def: $sgpr30_sgpr31
	s_and_saveexec_b64 s[16:17], s[8:9]
	s_cbranch_execz .LBB78_117
; %bb.90:                               ;   in Loop: Header=BB78_15 Depth=1
	ds_read_b32 v2, v21 offset:4096
	s_waitcnt lgkmcnt(0)
	s_barrier
	v_readfirstlane_b32 s14, v2
	s_mov_b64 s[20:21], exec
	v_readlane_b32 s26, v59, 29
	v_readlane_b32 s27, v59, 30
	s_and_b64 s[26:27], s[20:21], s[26:27]
	s_mov_b64 exec, s[26:27]
	s_cbranch_execz .LBB78_92
; %bb.91:                               ;   in Loop: Header=BB78_15 Depth=1
	v_mov_b32_e32 v20, v21
	ds_write_b64 v37, v[20:21]
.LBB78_92:                              ;   in Loop: Header=BB78_15 Depth=1
	s_or_b64 exec, exec, s[20:21]
	v_and_b32_e32 v13, s25, v27
	v_and_b32_e32 v12, s24, v26
	v_or_b32_e32 v15, s23, v29
	v_or_b32_e32 v14, s22, v28
	s_cmp_eq_u32 s14, 0
	s_waitcnt lgkmcnt(0)
	s_barrier
	s_cbranch_scc1 .LBB78_103
; %bb.93:                               ;   in Loop: Header=BB78_15 Depth=1
	v_readlane_b32 s15, v59, 22
	s_add_i32 s15, s14, s15
	v_readlane_b32 s20, v59, 46
	s_mul_hi_u32 s20, s15, s20
	s_mul_i32 s20, s20, s66
	s_sub_i32 s20, s15, s20
	s_sub_i32 s21, s20, s66
	s_cmp_ge_u32 s20, s66
	s_cselect_b32 s20, s21, s20
	s_sub_i32 s21, s20, s66
	s_cmp_ge_u32 s20, s66
	s_cselect_b32 s20, s21, s20
	s_sub_i32 s15, s15, s20
	v_cmp_gt_u32_e32 vcc, s15, v0
	s_mov_b64 s[20:21], 0
                                        ; implicit-def: $vgpr10_vgpr11
	s_and_saveexec_b64 s[26:27], vcc
	s_cbranch_execz .LBB78_105
; %bb.94:                               ;   in Loop: Header=BB78_15 Depth=1
	s_mov_b64 s[30:31], 0
	v_mov_b32_e32 v20, v36
	v_mov_b32_e32 v30, v0
                                        ; implicit-def: $sgpr28_sgpr29
	s_branch .LBB78_96
.LBB78_95:                              ;   in Loop: Header=BB78_96 Depth=2
	s_or_b64 exec, exec, s[20:21]
	s_waitcnt lgkmcnt(0)
	s_barrier
	ds_read_b128 v[8:11], v21 offset:3072
	v_add_u32_e32 v30, s66, v30
	v_cmp_le_u32_e64 s[20:21], s15, v30
	v_add_u32_e32 v20, s10, v20
	s_waitcnt lgkmcnt(0)
	v_cmp_neq_f64_e32 vcc, 0, v[8:9]
	s_or_b64 s[20:21], s[20:21], vcc
	s_and_b64 s[20:21], exec, s[20:21]
	s_or_b64 s[30:31], s[20:21], s[30:31]
	s_andn2_b64 s[20:21], s[28:29], exec
	s_and_b64 s[28:29], vcc, exec
	s_or_b64 s[28:29], s[20:21], s[28:29]
	s_barrier
	s_andn2_b64 exec, exec, s[30:31]
	s_cbranch_execz .LBB78_104
.LBB78_96:                              ;   Parent Loop BB78_15 Depth=1
                                        ; =>  This Inner Loop Header: Depth=2
	v_cmp_gt_u32_e32 vcc, s14, v30
	v_pk_mov_b32 v[4:5], 0, 0
	s_and_saveexec_b64 s[20:21], vcc
	s_cbranch_execz .LBB78_98
; %bb.97:                               ;   in Loop: Header=BB78_96 Depth=2
	ds_read_b64 v[4:5], v20
.LBB78_98:                              ;   in Loop: Header=BB78_96 Depth=2
	s_or_b64 exec, exec, s[20:21]
	s_and_saveexec_b64 s[20:21], vcc
	s_cbranch_execz .LBB78_95
; %bb.99:                               ;   in Loop: Header=BB78_96 Depth=2
	s_waitcnt lgkmcnt(0)
	v_ashrrev_i32_e32 v2, 31, v5
	v_or_b32_e32 v8, 0x80000000, v2
	v_xor_b32_e32 v8, v8, v5
	v_xor_b32_e32 v2, v2, v4
	v_cmp_o_f64_e32 vcc, v[4:5], v[4:5]
	v_cndmask_b32_e32 v8, -1, v8, vcc
	v_cndmask_b32_e32 v2, -1, v2, vcc
	v_and_b32_e32 v9, v8, v15
	v_and_b32_e32 v8, v2, v14
	v_cmp_eq_u64_e32 vcc, v[8:9], v[12:13]
	s_and_b64 exec, exec, vcc
	s_cbranch_execz .LBB78_95
; %bb.100:                              ;   in Loop: Header=BB78_96 Depth=2
	v_mov_b32_e32 v2, v21
	ds_write_b128 v21, v[2:5] offset:3072
	s_branch .LBB78_95
.LBB78_101:                             ;   in Loop: Header=BB78_15 Depth=1
	s_mov_b64 s[28:29], 0
	s_mov_b64 s[20:21], 0
                                        ; implicit-def: $sgpr30_sgpr31
                                        ; implicit-def: $sgpr34_sgpr35
                                        ; implicit-def: $sgpr26_sgpr27
                                        ; implicit-def: $vgpr2
                                        ; implicit-def: $vgpr30
                                        ; implicit-def: $vgpr12_vgpr13
                                        ; implicit-def: $vgpr14_vgpr15
                                        ; implicit-def: $vgpr10_vgpr11
	s_cbranch_execnz .LBB78_253
.LBB78_102:                             ;   in Loop: Header=BB78_15 Depth=1
	s_mov_b64 s[36:37], s[26:27]
	s_mov_b64 s[38:39], s[26:27]
	s_and_saveexec_b64 s[8:9], s[28:29]
	s_cbranch_execnz .LBB78_415
	s_branch .LBB78_416
.LBB78_103:                             ;   in Loop: Header=BB78_15 Depth=1
	s_mov_b64 s[26:27], -1
	s_mov_b64 s[20:21], 0
                                        ; implicit-def: $sgpr30_sgpr31
                                        ; implicit-def: $vgpr10_vgpr11
	s_mov_b64 s[34:35], s[26:27]
	s_cbranch_execnz .LBB78_106
	s_branch .LBB78_116
.LBB78_104:                             ;   in Loop: Header=BB78_15 Depth=1
	s_or_b64 exec, exec, s[30:31]
	s_and_b64 s[20:21], s[28:29], exec
.LBB78_105:                             ;   in Loop: Header=BB78_15 Depth=1
	s_or_b64 exec, exec, s[26:27]
	s_mov_b64 s[30:31], -1
	s_mov_b64 s[26:27], 0
	s_mov_b64 s[34:35], s[26:27]
	s_branch .LBB78_116
.LBB78_106:                             ;   in Loop: Header=BB78_15 Depth=1
	s_mov_b64 s[20:21], 0
                                        ; implicit-def: $vgpr10_vgpr11
	s_mov_b64 s[26:27], exec
	v_readlane_b32 s14, v59, 47
	v_readlane_b32 s15, v59, 48
	s_and_b64 s[14:15], s[26:27], s[14:15]
	s_mov_b64 exec, s[14:15]
	s_cbranch_execz .LBB78_115
; %bb.107:                              ;   in Loop: Header=BB78_15 Depth=1
	s_mov_b64 s[30:31], 0
	v_mov_b32_e32 v20, v22
	v_mov_b32_e32 v30, v0
                                        ; implicit-def: $sgpr28_sgpr29
	s_branch .LBB78_109
.LBB78_108:                             ;   in Loop: Header=BB78_109 Depth=2
	s_or_b64 exec, exec, s[20:21]
	s_waitcnt lgkmcnt(0)
	s_barrier
	ds_read_b128 v[8:11], v21 offset:3072
	v_add_u32_e32 v30, s66, v30
	v_cmp_le_u32_e64 s[20:21], s6, v30
	v_add_u32_e32 v20, s78, v20
	s_waitcnt lgkmcnt(0)
	v_cmp_neq_f64_e32 vcc, 0, v[8:9]
	s_or_b64 s[14:15], s[20:21], vcc
	s_and_b64 s[14:15], exec, s[14:15]
	s_or_b64 s[30:31], s[14:15], s[30:31]
	s_andn2_b64 s[14:15], s[28:29], exec
	s_and_b64 s[20:21], vcc, exec
	s_or_b64 s[28:29], s[14:15], s[20:21]
	s_barrier
	s_andn2_b64 exec, exec, s[30:31]
	s_cbranch_execz .LBB78_114
.LBB78_109:                             ;   Parent Loop BB78_15 Depth=1
                                        ; =>  This Inner Loop Header: Depth=2
	v_cmp_gt_u32_e32 vcc, s60, v30
	s_waitcnt vmcnt(0)
	v_pk_mov_b32 v[4:5], 0, 0
	s_and_saveexec_b64 s[34:35], vcc
	s_cbranch_execz .LBB78_111
; %bb.110:                              ;   in Loop: Header=BB78_109 Depth=2
	v_lshlrev_b64 v[4:5], 3, v[20:21]
	v_mov_b32_e32 v2, s64
	v_add_co_u32_e64 v4, s[20:21], s33, v4
	v_addc_co_u32_e64 v5, s[20:21], v2, v5, s[20:21]
	global_load_dwordx2 v[4:5], v[4:5], off
.LBB78_111:                             ;   in Loop: Header=BB78_109 Depth=2
	s_or_b64 exec, exec, s[34:35]
	s_and_saveexec_b64 s[20:21], vcc
	s_cbranch_execz .LBB78_108
; %bb.112:                              ;   in Loop: Header=BB78_109 Depth=2
	s_waitcnt vmcnt(0)
	v_ashrrev_i32_e32 v2, 31, v5
	v_or_b32_e32 v8, 0x80000000, v2
	v_xor_b32_e32 v8, v8, v5
	v_xor_b32_e32 v2, v2, v4
	v_cmp_o_f64_e32 vcc, v[4:5], v[4:5]
	v_cndmask_b32_e32 v8, -1, v8, vcc
	v_cndmask_b32_e32 v2, -1, v2, vcc
	v_and_b32_e32 v9, v8, v15
	v_and_b32_e32 v8, v2, v14
	v_cmp_eq_u64_e32 vcc, v[8:9], v[12:13]
	s_and_b64 exec, exec, vcc
	s_cbranch_execz .LBB78_108
; %bb.113:                              ;   in Loop: Header=BB78_109 Depth=2
	v_mov_b32_e32 v2, v21
	ds_write_b128 v21, v[2:5] offset:3072
	s_branch .LBB78_108
.LBB78_114:                             ;   in Loop: Header=BB78_15 Depth=1
	s_or_b64 exec, exec, s[30:31]
	s_and_b64 s[20:21], s[28:29], exec
.LBB78_115:                             ;   in Loop: Header=BB78_15 Depth=1
	s_or_b64 exec, exec, s[26:27]
	s_mov_b64 s[34:35], -1
	s_mov_b64 s[26:27], 0
	s_mov_b64 s[30:31], 0
.LBB78_116:                             ;   in Loop: Header=BB78_15 Depth=1
	s_orn2_b64 s[40:41], s[20:21], exec
.LBB78_117:                             ;   in Loop: Header=BB78_15 Depth=1
	s_or_b64 exec, exec, s[16:17]
	s_mov_b64 s[36:37], 0
	s_mov_b64 s[28:29], 0
	;; [unrolled: 1-line block ×3, first 2 shown]
                                        ; implicit-def: $vgpr2
                                        ; implicit-def: $vgpr30
	s_and_saveexec_b64 s[38:39], s[40:41]
	s_cbranch_execz .LBB78_252
; %bb.118:                              ;   in Loop: Header=BB78_15 Depth=1
	s_xor_b64 s[14:15], s[8:9], -1
	v_mov_b32_e32 v30, 1
	v_mov_b32_e32 v2, 1
	s_and_saveexec_b64 s[8:9], s[14:15]
	s_cbranch_execz .LBB78_128
; %bb.119:                              ;   in Loop: Header=BB78_15 Depth=1
	v_cmp_ge_u32_e32 vcc, s63, v47
                                        ; implicit-def: $sgpr14
                                        ; implicit-def: $sgpr16_sgpr17
	s_and_saveexec_b64 s[20:21], vcc
	s_xor_b64 s[20:21], exec, s[20:21]
	s_cbranch_execz .LBB78_125
; %bb.120:                              ;   in Loop: Header=BB78_15 Depth=1
	ds_read_b32 v2, v21 offset:4096
	s_waitcnt lgkmcnt(0)
	v_cmp_ne_u32_e32 vcc, 0, v2
	s_cbranch_vccnz .LBB78_124
; %bb.121:                              ;   in Loop: Header=BB78_15 Depth=1
	s_mov_b64 s[16:17], exec
	v_readlane_b32 s14, v59, 5
	v_readlane_b32 s15, v59, 6
	s_and_b64 s[14:15], s[16:17], s[14:15]
	s_mov_b64 exec, s[14:15]
	s_cbranch_execz .LBB78_123
; %bb.122:                              ;   in Loop: Header=BB78_15 Depth=1
	v_mov_b32_e32 v2, s63
	ds_write_b32 v21, v2 offset:4100
.LBB78_123:                             ;   in Loop: Header=BB78_15 Depth=1
	s_or_b64 exec, exec, s[16:17]
	s_waitcnt lgkmcnt(0)
	s_barrier
.LBB78_124:                             ;   in Loop: Header=BB78_15 Depth=1
	v_and_b32_e32 v13, s25, v13
	v_and_b32_e32 v12, s24, v12
	v_or_b32_e32 v15, s23, v15
	v_or_b32_e32 v14, s22, v14
	s_mov_b64 s[16:17], 0
	s_mov_b32 s14, 8
.LBB78_125:                             ;   in Loop: Header=BB78_15 Depth=1
	s_or_saveexec_b64 s[20:21], s[20:21]
	v_mov_b32_e32 v2, s14
	v_mov_b32_e32 v30, v47
	s_xor_b64 exec, exec, s[20:21]
; %bb.126:                              ;   in Loop: Header=BB78_15 Depth=1
	v_subrev_u32_e32 v30, s63, v47
	v_mov_b32_e32 v2, 0
	s_or_b64 s[16:17], s[16:17], exec
; %bb.127:                              ;   in Loop: Header=BB78_15 Depth=1
	s_or_b64 exec, exec, s[20:21]
	s_and_b64 s[20:21], s[16:17], exec
.LBB78_128:                             ;   in Loop: Header=BB78_15 Depth=1
	s_or_b64 exec, exec, s[8:9]
	s_mov_b64 s[42:43], -1
                                        ; implicit-def: $sgpr8_sgpr9
                                        ; implicit-def: $sgpr16_sgpr17
                                        ; implicit-def: $sgpr40_sgpr41
	s_and_saveexec_b64 s[14:15], s[20:21]
	s_xor_b64 s[28:29], exec, s[14:15]
	s_cbranch_execz .LBB78_249
; %bb.129:                              ;   in Loop: Header=BB78_15 Depth=1
	s_cmp_eq_u32 s4, 1
	s_cselect_b64 s[8:9], -1, 0
	v_cmp_eq_u32_e32 vcc, 1, v30
	s_and_b64 s[8:9], s[8:9], vcc
	s_mov_b64 s[48:49], -1
                                        ; implicit-def: $sgpr40_sgpr41
                                        ; implicit-def: $sgpr44_sgpr45
                                        ; implicit-def: $sgpr42_sgpr43
	s_and_saveexec_b64 s[16:17], s[8:9]
	s_cbranch_execz .LBB78_155
; %bb.130:                              ;   in Loop: Header=BB78_15 Depth=1
	ds_read_b32 v2, v21 offset:4096
	s_waitcnt lgkmcnt(0)
	s_barrier
	v_readfirstlane_b32 s14, v2
	s_mov_b64 s[20:21], exec
	v_readlane_b32 s40, v59, 29
	v_readlane_b32 s41, v59, 30
	s_and_b64 s[40:41], s[20:21], s[40:41]
	s_mov_b64 exec, s[40:41]
	s_cbranch_execz .LBB78_132
; %bb.131:                              ;   in Loop: Header=BB78_15 Depth=1
	v_mov_b32_e32 v20, v21
	ds_write_b64 v37, v[20:21]
.LBB78_132:                             ;   in Loop: Header=BB78_15 Depth=1
	s_or_b64 exec, exec, s[20:21]
	s_lshl_b64 s[20:21], 1, s5
	v_and_b32_e32 v2, s25, v13
	s_waitcnt vmcnt(0)
	v_and_b32_e32 v4, s24, v12
	v_or_b32_e32 v13, s21, v2
	v_or_b32_e32 v12, s20, v4
	;; [unrolled: 1-line block ×4, first 2 shown]
	s_cmp_eq_u32 s14, 0
	s_waitcnt lgkmcnt(0)
	s_barrier
	s_cbranch_scc1 .LBB78_141
; %bb.133:                              ;   in Loop: Header=BB78_15 Depth=1
	v_readlane_b32 s15, v59, 22
	s_add_i32 s15, s14, s15
	v_readlane_b32 s20, v59, 46
	s_mul_hi_u32 s20, s15, s20
	s_mul_i32 s20, s20, s66
	s_sub_i32 s20, s15, s20
	s_sub_i32 s21, s20, s66
	s_cmp_ge_u32 s20, s66
	s_cselect_b32 s20, s21, s20
	s_sub_i32 s21, s20, s66
	s_cmp_ge_u32 s20, s66
	s_cselect_b32 s20, s21, s20
	s_sub_i32 s15, s15, s20
	v_cmp_gt_u32_e32 vcc, s15, v0
	s_mov_b64 s[20:21], 0
                                        ; implicit-def: $vgpr10_vgpr11
	s_and_saveexec_b64 s[40:41], vcc
	s_cbranch_execz .LBB78_143
; %bb.134:                              ;   in Loop: Header=BB78_15 Depth=1
	s_mov_b64 s[44:45], 0
	v_mov_b32_e32 v20, v36
	v_mov_b32_e32 v31, v0
                                        ; implicit-def: $sgpr42_sgpr43
	s_branch .LBB78_136
.LBB78_135:                             ;   in Loop: Header=BB78_136 Depth=2
	s_or_b64 exec, exec, s[20:21]
	s_waitcnt lgkmcnt(0)
	s_barrier
	ds_read_b128 v[8:11], v21 offset:3072
	v_add_u32_e32 v31, s66, v31
	v_cmp_le_u32_e64 s[20:21], s15, v31
	v_add_u32_e32 v20, s10, v20
	s_waitcnt lgkmcnt(0)
	v_cmp_neq_f64_e32 vcc, 0, v[8:9]
	s_or_b64 s[20:21], s[20:21], vcc
	s_and_b64 s[20:21], exec, s[20:21]
	s_or_b64 s[44:45], s[20:21], s[44:45]
	s_andn2_b64 s[20:21], s[42:43], exec
	s_and_b64 s[42:43], vcc, exec
	s_or_b64 s[42:43], s[20:21], s[42:43]
	s_barrier
	s_andn2_b64 exec, exec, s[44:45]
	s_cbranch_execz .LBB78_142
.LBB78_136:                             ;   Parent Loop BB78_15 Depth=1
                                        ; =>  This Inner Loop Header: Depth=2
	v_cmp_gt_u32_e32 vcc, s14, v31
	v_pk_mov_b32 v[4:5], 0, 0
	s_and_saveexec_b64 s[20:21], vcc
	s_cbranch_execz .LBB78_138
; %bb.137:                              ;   in Loop: Header=BB78_136 Depth=2
	ds_read_b64 v[4:5], v20
.LBB78_138:                             ;   in Loop: Header=BB78_136 Depth=2
	s_or_b64 exec, exec, s[20:21]
	s_and_saveexec_b64 s[20:21], vcc
	s_cbranch_execz .LBB78_135
; %bb.139:                              ;   in Loop: Header=BB78_136 Depth=2
	s_waitcnt lgkmcnt(0)
	v_ashrrev_i32_e32 v2, 31, v5
	v_or_b32_e32 v8, 0x80000000, v2
	v_xor_b32_e32 v8, v8, v5
	v_xor_b32_e32 v2, v2, v4
	v_cmp_o_f64_e32 vcc, v[4:5], v[4:5]
	v_cndmask_b32_e32 v8, -1, v8, vcc
	v_cndmask_b32_e32 v2, -1, v2, vcc
	v_and_b32_e32 v9, v8, v15
	v_and_b32_e32 v8, v2, v14
	v_cmp_eq_u64_e32 vcc, v[8:9], v[12:13]
	s_and_b64 exec, exec, vcc
	s_cbranch_execz .LBB78_135
; %bb.140:                              ;   in Loop: Header=BB78_136 Depth=2
	v_mov_b32_e32 v2, v21
	ds_write_b128 v21, v[2:5] offset:3072
	s_branch .LBB78_135
.LBB78_141:                             ;   in Loop: Header=BB78_15 Depth=1
	s_mov_b64 s[40:41], -1
	s_mov_b64 s[20:21], 0
                                        ; implicit-def: $sgpr42_sgpr43
                                        ; implicit-def: $vgpr10_vgpr11
	s_mov_b64 s[44:45], s[40:41]
	s_cbranch_execnz .LBB78_144
	s_branch .LBB78_154
.LBB78_142:                             ;   in Loop: Header=BB78_15 Depth=1
	s_or_b64 exec, exec, s[44:45]
	s_and_b64 s[20:21], s[42:43], exec
.LBB78_143:                             ;   in Loop: Header=BB78_15 Depth=1
	s_or_b64 exec, exec, s[40:41]
	s_mov_b64 s[42:43], -1
	s_mov_b64 s[40:41], 0
	s_mov_b64 s[44:45], s[40:41]
	s_branch .LBB78_154
.LBB78_144:                             ;   in Loop: Header=BB78_15 Depth=1
	s_mov_b64 s[20:21], 0
                                        ; implicit-def: $vgpr10_vgpr11
	s_mov_b64 s[40:41], exec
	v_readlane_b32 s14, v59, 47
	v_readlane_b32 s15, v59, 48
	s_and_b64 s[14:15], s[40:41], s[14:15]
	s_mov_b64 exec, s[14:15]
	s_cbranch_execz .LBB78_153
; %bb.145:                              ;   in Loop: Header=BB78_15 Depth=1
	s_mov_b64 s[44:45], 0
	v_mov_b32_e32 v20, v22
	v_mov_b32_e32 v31, v0
                                        ; implicit-def: $sgpr42_sgpr43
	s_branch .LBB78_147
.LBB78_146:                             ;   in Loop: Header=BB78_147 Depth=2
	s_or_b64 exec, exec, s[20:21]
	s_waitcnt lgkmcnt(0)
	s_barrier
	ds_read_b128 v[8:11], v21 offset:3072
	v_add_u32_e32 v31, s66, v31
	v_cmp_le_u32_e64 s[20:21], s6, v31
	v_add_u32_e32 v20, s78, v20
	s_waitcnt lgkmcnt(0)
	v_cmp_neq_f64_e32 vcc, 0, v[8:9]
	s_or_b64 s[14:15], s[20:21], vcc
	s_and_b64 s[14:15], exec, s[14:15]
	s_or_b64 s[44:45], s[14:15], s[44:45]
	s_andn2_b64 s[14:15], s[42:43], exec
	s_and_b64 s[20:21], vcc, exec
	s_or_b64 s[42:43], s[14:15], s[20:21]
	s_barrier
	s_andn2_b64 exec, exec, s[44:45]
	s_cbranch_execz .LBB78_152
.LBB78_147:                             ;   Parent Loop BB78_15 Depth=1
                                        ; =>  This Inner Loop Header: Depth=2
	v_cmp_gt_u32_e32 vcc, s60, v31
	s_waitcnt vmcnt(0)
	v_pk_mov_b32 v[4:5], 0, 0
	s_and_saveexec_b64 s[46:47], vcc
	s_cbranch_execz .LBB78_149
; %bb.148:                              ;   in Loop: Header=BB78_147 Depth=2
	v_lshlrev_b64 v[4:5], 3, v[20:21]
	v_mov_b32_e32 v2, s64
	v_add_co_u32_e64 v4, s[20:21], s33, v4
	v_addc_co_u32_e64 v5, s[20:21], v2, v5, s[20:21]
	global_load_dwordx2 v[4:5], v[4:5], off
.LBB78_149:                             ;   in Loop: Header=BB78_147 Depth=2
	s_or_b64 exec, exec, s[46:47]
	s_and_saveexec_b64 s[20:21], vcc
	s_cbranch_execz .LBB78_146
; %bb.150:                              ;   in Loop: Header=BB78_147 Depth=2
	s_waitcnt vmcnt(0)
	v_ashrrev_i32_e32 v2, 31, v5
	v_or_b32_e32 v8, 0x80000000, v2
	v_xor_b32_e32 v8, v8, v5
	v_xor_b32_e32 v2, v2, v4
	v_cmp_o_f64_e32 vcc, v[4:5], v[4:5]
	v_cndmask_b32_e32 v8, -1, v8, vcc
	v_cndmask_b32_e32 v2, -1, v2, vcc
	v_and_b32_e32 v9, v8, v15
	v_and_b32_e32 v8, v2, v14
	v_cmp_eq_u64_e32 vcc, v[8:9], v[12:13]
	s_and_b64 exec, exec, vcc
	s_cbranch_execz .LBB78_146
; %bb.151:                              ;   in Loop: Header=BB78_147 Depth=2
	v_mov_b32_e32 v2, v21
	ds_write_b128 v21, v[2:5] offset:3072
	s_branch .LBB78_146
.LBB78_152:                             ;   in Loop: Header=BB78_15 Depth=1
	s_or_b64 exec, exec, s[44:45]
	s_and_b64 s[20:21], s[42:43], exec
.LBB78_153:                             ;   in Loop: Header=BB78_15 Depth=1
	s_or_b64 exec, exec, s[40:41]
	s_mov_b64 s[44:45], -1
	s_mov_b64 s[40:41], 0
	s_mov_b64 s[42:43], 0
.LBB78_154:                             ;   in Loop: Header=BB78_15 Depth=1
	s_orn2_b64 s[48:49], s[20:21], exec
.LBB78_155:                             ;   in Loop: Header=BB78_15 Depth=1
	s_or_b64 exec, exec, s[16:17]
	s_mov_b64 s[20:21], 0
                                        ; implicit-def: $vgpr2
	s_and_saveexec_b64 s[46:47], s[48:49]
	s_cbranch_execz .LBB78_248
; %bb.156:                              ;   in Loop: Header=BB78_15 Depth=1
	s_xor_b64 s[14:15], s[8:9], -1
	v_mov_b32_e32 v31, 1
	v_mov_b32_e32 v2, 1
	s_and_saveexec_b64 s[8:9], s[14:15]
	s_cbranch_execz .LBB78_166
; %bb.157:                              ;   in Loop: Header=BB78_15 Depth=1
	v_cmp_ge_u32_e32 vcc, s4, v30
                                        ; implicit-def: $sgpr14
                                        ; implicit-def: $sgpr16_sgpr17
	s_and_saveexec_b64 s[20:21], vcc
	s_xor_b64 s[20:21], exec, s[20:21]
	s_cbranch_execz .LBB78_163
; %bb.158:                              ;   in Loop: Header=BB78_15 Depth=1
	ds_read_b32 v2, v21 offset:4096
	s_waitcnt lgkmcnt(0)
	v_cmp_ne_u32_e32 vcc, 0, v2
	s_cbranch_vccnz .LBB78_162
; %bb.159:                              ;   in Loop: Header=BB78_15 Depth=1
	s_mov_b64 s[16:17], exec
	v_readlane_b32 s14, v59, 5
	v_readlane_b32 s15, v59, 6
	s_and_b64 s[14:15], s[16:17], s[14:15]
	s_mov_b64 exec, s[14:15]
	s_cbranch_execz .LBB78_161
; %bb.160:                              ;   in Loop: Header=BB78_15 Depth=1
	v_mov_b32_e32 v2, s4
	ds_write_b32 v21, v2 offset:4100
.LBB78_161:                             ;   in Loop: Header=BB78_15 Depth=1
	s_or_b64 exec, exec, s[16:17]
	s_waitcnt lgkmcnt(0)
	s_barrier
.LBB78_162:                             ;   in Loop: Header=BB78_15 Depth=1
	s_lshl_b64 s[14:15], 1, s5
	v_and_b32_e32 v2, s25, v13
	s_waitcnt vmcnt(0)
	v_and_b32_e32 v4, s24, v12
	v_or_b32_e32 v13, s15, v2
	v_or_b32_e32 v12, s14, v4
	;; [unrolled: 1-line block ×4, first 2 shown]
	s_mov_b64 s[16:17], 0
	s_mov_b32 s14, 8
.LBB78_163:                             ;   in Loop: Header=BB78_15 Depth=1
	s_or_saveexec_b64 s[20:21], s[20:21]
	v_mov_b32_e32 v2, s14
	s_xor_b64 exec, exec, s[20:21]
; %bb.164:                              ;   in Loop: Header=BB78_15 Depth=1
	v_subrev_u32_e32 v30, s4, v30
	v_mov_b32_e32 v2, 0
	s_or_b64 s[16:17], s[16:17], exec
; %bb.165:                              ;   in Loop: Header=BB78_15 Depth=1
	s_or_b64 exec, exec, s[20:21]
	s_and_b64 s[20:21], s[16:17], exec
	v_mov_b32_e32 v31, v30
.LBB78_166:                             ;   in Loop: Header=BB78_15 Depth=1
	s_or_b64 exec, exec, s[8:9]
	s_mov_b64 s[8:9], -1
                                        ; implicit-def: $sgpr16_sgpr17
                                        ; implicit-def: $sgpr50_sgpr51
                                        ; implicit-def: $sgpr56_sgpr57
	s_and_saveexec_b64 s[48:49], s[20:21]
	s_cbranch_execz .LBB78_247
; %bb.167:                              ;   in Loop: Header=BB78_15 Depth=1
	s_cmp_eq_u32 s74, 1
	s_cselect_b64 s[8:9], -1, 0
	v_cmp_eq_u32_e32 vcc, 1, v31
	s_and_b64 s[8:9], s[8:9], vcc
	s_mov_b64 s[56:57], -1
                                        ; implicit-def: $sgpr50_sgpr51
                                        ; implicit-def: $sgpr54_sgpr55
                                        ; implicit-def: $sgpr52_sgpr53
	s_and_saveexec_b64 s[16:17], s[8:9]
	s_cbranch_execz .LBB78_193
; %bb.168:                              ;   in Loop: Header=BB78_15 Depth=1
	ds_read_b32 v2, v21 offset:4096
	s_waitcnt lgkmcnt(0)
	s_barrier
	v_readfirstlane_b32 s14, v2
	s_mov_b64 s[20:21], exec
	v_readlane_b32 s50, v59, 29
	v_readlane_b32 s51, v59, 30
	s_and_b64 s[50:51], s[20:21], s[50:51]
	s_mov_b64 exec, s[50:51]
	s_cbranch_execz .LBB78_170
; %bb.169:                              ;   in Loop: Header=BB78_15 Depth=1
	v_mov_b32_e32 v20, v21
	ds_write_b64 v37, v[20:21]
.LBB78_170:                             ;   in Loop: Header=BB78_15 Depth=1
	s_or_b64 exec, exec, s[20:21]
	s_lshl_b64 s[20:21], 2, s5
	v_and_b32_e32 v2, s25, v13
	s_waitcnt vmcnt(0)
	v_and_b32_e32 v4, s24, v12
	v_or_b32_e32 v13, s21, v2
	v_or_b32_e32 v12, s20, v4
	;; [unrolled: 1-line block ×4, first 2 shown]
	s_cmp_eq_u32 s14, 0
	s_waitcnt lgkmcnt(0)
	s_barrier
	s_cbranch_scc1 .LBB78_179
; %bb.171:                              ;   in Loop: Header=BB78_15 Depth=1
	v_readlane_b32 s15, v59, 22
	s_add_i32 s15, s14, s15
	v_readlane_b32 s20, v59, 46
	s_mul_hi_u32 s20, s15, s20
	s_mul_i32 s20, s20, s66
	s_sub_i32 s20, s15, s20
	s_sub_i32 s21, s20, s66
	s_cmp_ge_u32 s20, s66
	s_cselect_b32 s20, s21, s20
	s_sub_i32 s21, s20, s66
	s_cmp_ge_u32 s20, s66
	s_cselect_b32 s20, s21, s20
	s_sub_i32 s15, s15, s20
	v_cmp_gt_u32_e32 vcc, s15, v0
	s_mov_b64 s[20:21], 0
                                        ; implicit-def: $vgpr10_vgpr11
	s_and_saveexec_b64 s[50:51], vcc
	s_cbranch_execz .LBB78_181
; %bb.172:                              ;   in Loop: Header=BB78_15 Depth=1
	s_mov_b64 s[54:55], 0
	v_mov_b32_e32 v20, v36
	v_mov_b32_e32 v30, v0
                                        ; implicit-def: $sgpr52_sgpr53
	s_branch .LBB78_174
.LBB78_173:                             ;   in Loop: Header=BB78_174 Depth=2
	s_or_b64 exec, exec, s[20:21]
	s_waitcnt lgkmcnt(0)
	s_barrier
	ds_read_b128 v[8:11], v21 offset:3072
	v_add_u32_e32 v30, s66, v30
	v_cmp_le_u32_e64 s[20:21], s15, v30
	v_add_u32_e32 v20, s10, v20
	s_waitcnt lgkmcnt(0)
	v_cmp_neq_f64_e32 vcc, 0, v[8:9]
	s_or_b64 s[20:21], s[20:21], vcc
	s_and_b64 s[20:21], exec, s[20:21]
	s_or_b64 s[54:55], s[20:21], s[54:55]
	s_andn2_b64 s[20:21], s[52:53], exec
	s_and_b64 s[52:53], vcc, exec
	s_or_b64 s[52:53], s[20:21], s[52:53]
	s_barrier
	s_andn2_b64 exec, exec, s[54:55]
	s_cbranch_execz .LBB78_180
.LBB78_174:                             ;   Parent Loop BB78_15 Depth=1
                                        ; =>  This Inner Loop Header: Depth=2
	v_cmp_gt_u32_e32 vcc, s14, v30
	v_pk_mov_b32 v[4:5], 0, 0
	s_and_saveexec_b64 s[20:21], vcc
	s_cbranch_execz .LBB78_176
; %bb.175:                              ;   in Loop: Header=BB78_174 Depth=2
	ds_read_b64 v[4:5], v20
.LBB78_176:                             ;   in Loop: Header=BB78_174 Depth=2
	s_or_b64 exec, exec, s[20:21]
	s_and_saveexec_b64 s[20:21], vcc
	s_cbranch_execz .LBB78_173
; %bb.177:                              ;   in Loop: Header=BB78_174 Depth=2
	s_waitcnt lgkmcnt(0)
	v_ashrrev_i32_e32 v2, 31, v5
	v_or_b32_e32 v8, 0x80000000, v2
	v_xor_b32_e32 v8, v8, v5
	v_xor_b32_e32 v2, v2, v4
	v_cmp_o_f64_e32 vcc, v[4:5], v[4:5]
	v_cndmask_b32_e32 v8, -1, v8, vcc
	v_cndmask_b32_e32 v2, -1, v2, vcc
	v_and_b32_e32 v9, v8, v15
	v_and_b32_e32 v8, v2, v14
	v_cmp_eq_u64_e32 vcc, v[8:9], v[12:13]
	s_and_b64 exec, exec, vcc
	s_cbranch_execz .LBB78_173
; %bb.178:                              ;   in Loop: Header=BB78_174 Depth=2
	v_mov_b32_e32 v2, v21
	ds_write_b128 v21, v[2:5] offset:3072
	s_branch .LBB78_173
.LBB78_179:                             ;   in Loop: Header=BB78_15 Depth=1
	s_mov_b64 s[50:51], -1
	s_mov_b64 s[20:21], 0
                                        ; implicit-def: $sgpr52_sgpr53
                                        ; implicit-def: $vgpr10_vgpr11
	s_mov_b64 s[54:55], s[50:51]
	s_cbranch_execnz .LBB78_182
	s_branch .LBB78_192
.LBB78_180:                             ;   in Loop: Header=BB78_15 Depth=1
	s_or_b64 exec, exec, s[54:55]
	s_and_b64 s[20:21], s[52:53], exec
.LBB78_181:                             ;   in Loop: Header=BB78_15 Depth=1
	s_or_b64 exec, exec, s[50:51]
	s_mov_b64 s[52:53], -1
	s_mov_b64 s[50:51], 0
	s_mov_b64 s[54:55], s[50:51]
	s_branch .LBB78_192
.LBB78_182:                             ;   in Loop: Header=BB78_15 Depth=1
	s_mov_b64 s[20:21], 0
                                        ; implicit-def: $vgpr10_vgpr11
	s_mov_b64 s[50:51], exec
	v_readlane_b32 s14, v59, 47
	v_readlane_b32 s15, v59, 48
	s_and_b64 s[14:15], s[50:51], s[14:15]
	s_mov_b64 exec, s[14:15]
	s_cbranch_execz .LBB78_191
; %bb.183:                              ;   in Loop: Header=BB78_15 Depth=1
	s_mov_b64 s[54:55], 0
	v_mov_b32_e32 v20, v22
	v_mov_b32_e32 v30, v0
                                        ; implicit-def: $sgpr52_sgpr53
	s_branch .LBB78_185
.LBB78_184:                             ;   in Loop: Header=BB78_185 Depth=2
	s_or_b64 exec, exec, s[20:21]
	s_waitcnt lgkmcnt(0)
	s_barrier
	ds_read_b128 v[8:11], v21 offset:3072
	v_add_u32_e32 v30, s66, v30
	v_cmp_le_u32_e64 s[20:21], s6, v30
	v_add_u32_e32 v20, s78, v20
	s_waitcnt lgkmcnt(0)
	v_cmp_neq_f64_e32 vcc, 0, v[8:9]
	s_or_b64 s[14:15], s[20:21], vcc
	s_and_b64 s[14:15], exec, s[14:15]
	s_or_b64 s[54:55], s[14:15], s[54:55]
	s_andn2_b64 s[14:15], s[52:53], exec
	s_and_b64 s[20:21], vcc, exec
	s_or_b64 s[52:53], s[14:15], s[20:21]
	s_barrier
	s_andn2_b64 exec, exec, s[54:55]
	s_cbranch_execz .LBB78_190
.LBB78_185:                             ;   Parent Loop BB78_15 Depth=1
                                        ; =>  This Inner Loop Header: Depth=2
	v_cmp_gt_u32_e32 vcc, s60, v30
	s_waitcnt vmcnt(0)
	v_pk_mov_b32 v[4:5], 0, 0
	s_and_saveexec_b64 s[56:57], vcc
	s_cbranch_execz .LBB78_187
; %bb.186:                              ;   in Loop: Header=BB78_185 Depth=2
	v_lshlrev_b64 v[4:5], 3, v[20:21]
	v_mov_b32_e32 v2, s64
	v_add_co_u32_e64 v4, s[20:21], s33, v4
	v_addc_co_u32_e64 v5, s[20:21], v2, v5, s[20:21]
	global_load_dwordx2 v[4:5], v[4:5], off
.LBB78_187:                             ;   in Loop: Header=BB78_185 Depth=2
	s_or_b64 exec, exec, s[56:57]
	s_and_saveexec_b64 s[20:21], vcc
	s_cbranch_execz .LBB78_184
; %bb.188:                              ;   in Loop: Header=BB78_185 Depth=2
	s_waitcnt vmcnt(0)
	v_ashrrev_i32_e32 v2, 31, v5
	v_or_b32_e32 v8, 0x80000000, v2
	v_xor_b32_e32 v8, v8, v5
	v_xor_b32_e32 v2, v2, v4
	v_cmp_o_f64_e32 vcc, v[4:5], v[4:5]
	v_cndmask_b32_e32 v8, -1, v8, vcc
	v_cndmask_b32_e32 v2, -1, v2, vcc
	v_and_b32_e32 v9, v8, v15
	v_and_b32_e32 v8, v2, v14
	v_cmp_eq_u64_e32 vcc, v[8:9], v[12:13]
	s_and_b64 exec, exec, vcc
	s_cbranch_execz .LBB78_184
; %bb.189:                              ;   in Loop: Header=BB78_185 Depth=2
	v_mov_b32_e32 v2, v21
	ds_write_b128 v21, v[2:5] offset:3072
	s_branch .LBB78_184
.LBB78_190:                             ;   in Loop: Header=BB78_15 Depth=1
	s_or_b64 exec, exec, s[54:55]
	s_and_b64 s[20:21], s[52:53], exec
.LBB78_191:                             ;   in Loop: Header=BB78_15 Depth=1
	s_or_b64 exec, exec, s[50:51]
	s_mov_b64 s[54:55], -1
	s_mov_b64 s[50:51], 0
	s_mov_b64 s[52:53], 0
.LBB78_192:                             ;   in Loop: Header=BB78_15 Depth=1
	s_orn2_b64 s[56:57], s[20:21], exec
.LBB78_193:                             ;   in Loop: Header=BB78_15 Depth=1
	s_or_b64 exec, exec, s[16:17]
	s_mov_b64 s[20:21], 0
                                        ; implicit-def: $vgpr2
	s_and_saveexec_b64 s[16:17], s[56:57]
	s_cbranch_execz .LBB78_246
; %bb.194:                              ;   in Loop: Header=BB78_15 Depth=1
	s_xor_b64 s[14:15], s[8:9], -1
	s_mov_b64 s[76:77], 0
	v_mov_b32_e32 v30, 1
	v_mov_b32_e32 v2, 1
	s_and_saveexec_b64 s[8:9], s[14:15]
	s_cbranch_execz .LBB78_204
; %bb.195:                              ;   in Loop: Header=BB78_15 Depth=1
	v_cmp_ge_u32_e32 vcc, s74, v31
                                        ; implicit-def: $sgpr14
                                        ; implicit-def: $sgpr20_sgpr21
	s_and_saveexec_b64 s[56:57], vcc
	s_xor_b64 s[56:57], exec, s[56:57]
	s_cbranch_execz .LBB78_201
; %bb.196:                              ;   in Loop: Header=BB78_15 Depth=1
	ds_read_b32 v2, v21 offset:4096
	s_waitcnt lgkmcnt(0)
	v_cmp_ne_u32_e32 vcc, 0, v2
	s_cbranch_vccnz .LBB78_200
; %bb.197:                              ;   in Loop: Header=BB78_15 Depth=1
	s_mov_b64 s[20:21], exec
	v_readlane_b32 s14, v59, 5
	v_readlane_b32 s15, v59, 6
	s_and_b64 s[14:15], s[20:21], s[14:15]
	s_mov_b64 exec, s[14:15]
	s_cbranch_execz .LBB78_199
; %bb.198:                              ;   in Loop: Header=BB78_15 Depth=1
	v_mov_b32_e32 v2, s74
	ds_write_b32 v21, v2 offset:4100
.LBB78_199:                             ;   in Loop: Header=BB78_15 Depth=1
	s_or_b64 exec, exec, s[20:21]
	s_waitcnt lgkmcnt(0)
	s_barrier
.LBB78_200:                             ;   in Loop: Header=BB78_15 Depth=1
	s_lshl_b64 s[14:15], 2, s5
	v_and_b32_e32 v2, s25, v13
	s_waitcnt vmcnt(0)
	v_and_b32_e32 v4, s24, v12
	v_or_b32_e32 v13, s15, v2
	v_or_b32_e32 v12, s14, v4
	;; [unrolled: 1-line block ×4, first 2 shown]
	s_mov_b64 s[20:21], 0
	s_mov_b32 s14, 8
.LBB78_201:                             ;   in Loop: Header=BB78_15 Depth=1
	s_or_saveexec_b64 s[56:57], s[56:57]
	v_mov_b32_e32 v2, s14
	s_xor_b64 exec, exec, s[56:57]
; %bb.202:                              ;   in Loop: Header=BB78_15 Depth=1
	v_subrev_u32_e32 v31, s74, v31
	v_mov_b32_e32 v2, 0
	s_or_b64 s[20:21], s[20:21], exec
; %bb.203:                              ;   in Loop: Header=BB78_15 Depth=1
	s_or_b64 exec, exec, s[56:57]
	s_and_b64 s[76:77], s[20:21], exec
	v_mov_b32_e32 v30, v31
.LBB78_204:                             ;   in Loop: Header=BB78_15 Depth=1
	s_or_b64 exec, exec, s[8:9]
	s_mov_b64 s[58:59], -1
                                        ; implicit-def: $sgpr20_sgpr21
                                        ; implicit-def: $sgpr8_sgpr9
                                        ; implicit-def: $sgpr14_sgpr15
                                        ; kill: killed $sgpr14_sgpr15
	s_and_saveexec_b64 s[56:57], s[76:77]
	s_cbranch_execz .LBB78_245
; %bb.205:                              ;   in Loop: Header=BB78_15 Depth=1
	s_cmp_eq_u32 s75, 1
	s_cselect_b64 s[8:9], -1, 0
	v_cmp_eq_u32_e32 vcc, 1, v30
	s_mov_b64 s[76:77], -1
	s_and_b64 s[14:15], s[8:9], vcc
                                        ; implicit-def: $sgpr20_sgpr21
                                        ; implicit-def: $sgpr8_sgpr9
                                        ; implicit-def: $sgpr58_sgpr59
                                        ; kill: killed $sgpr58_sgpr59
	s_mov_b64 s[58:59], exec
	v_writelane_b32 v59, s14, 56
	v_writelane_b32 v59, s15, 57
	;; [unrolled: 1-line block ×3, first 2 shown]
	s_and_b64 s[14:15], s[58:59], s[14:15]
	v_writelane_b32 v59, s59, 59
                                        ; implicit-def: $vgpr58 : SGPR spill to VGPR lane
	s_mov_b64 exec, s[14:15]
	s_cbranch_execz .LBB78_232
; %bb.206:                              ;   in Loop: Header=BB78_15 Depth=1
	ds_read_b32 v2, v21 offset:4096
	s_waitcnt lgkmcnt(0)
	s_barrier
	v_readfirstlane_b32 s14, v2
	s_mov_b64 s[8:9], exec
	v_readlane_b32 s20, v59, 29
	v_readlane_b32 s21, v59, 30
	s_and_b64 s[20:21], s[8:9], s[20:21]
	s_mov_b64 exec, s[20:21]
	s_cbranch_execz .LBB78_208
; %bb.207:                              ;   in Loop: Header=BB78_15 Depth=1
	v_mov_b32_e32 v20, v21
	ds_write_b64 v37, v[20:21]
.LBB78_208:                             ;   in Loop: Header=BB78_15 Depth=1
	s_or_b64 exec, exec, s[8:9]
	v_or_b32_e32 v13, s23, v13
	v_or_b32_e32 v12, s22, v12
	;; [unrolled: 1-line block ×4, first 2 shown]
	s_cmp_eq_u32 s14, 0
	s_waitcnt lgkmcnt(0)
	s_barrier
	s_cbranch_scc1 .LBB78_217
; %bb.209:                              ;   in Loop: Header=BB78_15 Depth=1
	v_readlane_b32 s8, v59, 22
	s_add_i32 s8, s14, s8
	v_readlane_b32 s9, v59, 46
	s_mul_hi_u32 s9, s8, s9
	s_mul_i32 s9, s9, s66
	s_sub_i32 s9, s8, s9
	s_sub_i32 s15, s9, s66
	s_cmp_ge_u32 s9, s66
	s_cselect_b32 s9, s15, s9
	s_sub_i32 s15, s9, s66
	s_cmp_ge_u32 s9, s66
	s_cselect_b32 s9, s15, s9
	s_sub_i32 s15, s8, s9
	s_mov_b64 s[76:77], 0
	v_cmp_gt_u32_e32 vcc, s15, v0
                                        ; implicit-def: $vgpr10_vgpr11
	s_mov_b64 s[8:9], exec
	v_writelane_b32 v59, s8, 62
	v_writelane_b32 v59, s9, 63
	s_and_b64 s[8:9], s[8:9], vcc
	s_mov_b64 exec, s[8:9]
	s_cbranch_execz .LBB78_219
; %bb.210:                              ;   in Loop: Header=BB78_15 Depth=1
	s_mov_b64 s[8:9], 0
	v_mov_b32_e32 v20, v36
	v_mov_b32_e32 v31, v0
                                        ; implicit-def: $sgpr76_sgpr77
	s_branch .LBB78_212
.LBB78_211:                             ;   in Loop: Header=BB78_212 Depth=2
	s_or_b64 exec, exec, s[20:21]
	s_waitcnt lgkmcnt(0)
	s_barrier
	ds_read_b128 v[8:11], v21 offset:3072
	v_add_u32_e32 v31, s66, v31
	v_cmp_le_u32_e64 s[20:21], s15, v31
	v_add_u32_e32 v20, s10, v20
	s_waitcnt lgkmcnt(0)
	v_cmp_neq_f64_e32 vcc, 0, v[8:9]
	s_or_b64 s[20:21], s[20:21], vcc
	s_and_b64 s[20:21], exec, s[20:21]
	s_or_b64 s[8:9], s[20:21], s[8:9]
	s_andn2_b64 s[20:21], s[76:77], exec
	s_and_b64 s[58:59], vcc, exec
	s_or_b64 s[76:77], s[20:21], s[58:59]
	s_barrier
	s_andn2_b64 exec, exec, s[8:9]
	s_cbranch_execz .LBB78_218
.LBB78_212:                             ;   Parent Loop BB78_15 Depth=1
                                        ; =>  This Inner Loop Header: Depth=2
	v_cmp_gt_u32_e32 vcc, s14, v31
	s_waitcnt vmcnt(0)
	v_pk_mov_b32 v[4:5], 0, 0
	s_and_saveexec_b64 s[20:21], vcc
	s_cbranch_execz .LBB78_214
; %bb.213:                              ;   in Loop: Header=BB78_212 Depth=2
	ds_read_b64 v[4:5], v20
.LBB78_214:                             ;   in Loop: Header=BB78_212 Depth=2
	s_or_b64 exec, exec, s[20:21]
	s_and_saveexec_b64 s[20:21], vcc
	s_cbranch_execz .LBB78_211
; %bb.215:                              ;   in Loop: Header=BB78_212 Depth=2
	s_waitcnt lgkmcnt(0)
	v_ashrrev_i32_e32 v2, 31, v5
	v_or_b32_e32 v8, 0x80000000, v2
	v_xor_b32_e32 v8, v8, v5
	v_xor_b32_e32 v2, v2, v4
	v_cmp_o_f64_e32 vcc, v[4:5], v[4:5]
	v_cndmask_b32_e32 v8, -1, v8, vcc
	v_cndmask_b32_e32 v2, -1, v2, vcc
	v_and_b32_e32 v9, v8, v15
	v_and_b32_e32 v8, v2, v14
	v_cmp_eq_u64_e32 vcc, v[8:9], v[12:13]
	s_and_b64 exec, exec, vcc
	s_cbranch_execz .LBB78_211
; %bb.216:                              ;   in Loop: Header=BB78_212 Depth=2
	v_mov_b32_e32 v2, v21
	ds_write_b128 v21, v[2:5] offset:3072
	s_branch .LBB78_211
.LBB78_217:                             ;   in Loop: Header=BB78_15 Depth=1
	s_mov_b64 s[20:21], -1
	s_mov_b64 s[76:77], 0
                                        ; implicit-def: $sgpr14_sgpr15
                                        ; implicit-def: $vgpr10_vgpr11
	s_branch .LBB78_220
.LBB78_218:                             ;   in Loop: Header=BB78_15 Depth=1
	s_or_b64 exec, exec, s[8:9]
	s_and_b64 s[76:77], s[76:77], exec
.LBB78_219:                             ;   in Loop: Header=BB78_15 Depth=1
	v_readlane_b32 s8, v59, 62
	v_readlane_b32 s9, v59, 63
	s_or_b64 exec, exec, s[8:9]
	s_mov_b64 s[14:15], -1
	s_mov_b64 s[20:21], 0
.LBB78_220:                             ;   in Loop: Header=BB78_15 Depth=1
	s_and_b64 vcc, exec, s[20:21]
	s_mov_b64 s[8:9], s[20:21]
	s_cbranch_vccz .LBB78_231
; %bb.221:                              ;   in Loop: Header=BB78_15 Depth=1
	s_mov_b64 s[76:77], 0
                                        ; implicit-def: $vgpr10_vgpr11
	s_mov_b64 s[14:15], exec
	v_readlane_b32 s8, v59, 47
	v_readlane_b32 s9, v59, 48
	v_writelane_b32 v58, s14, 0
	s_and_b64 s[8:9], s[14:15], s[8:9]
	v_writelane_b32 v58, s15, 1
	s_mov_b64 exec, s[8:9]
	s_cbranch_execz .LBB78_230
; %bb.222:                              ;   in Loop: Header=BB78_15 Depth=1
	s_mov_b64 s[8:9], 0
	v_mov_b32_e32 v20, v22
	v_mov_b32_e32 v31, v0
                                        ; implicit-def: $sgpr76_sgpr77
	s_branch .LBB78_224
.LBB78_223:                             ;   in Loop: Header=BB78_224 Depth=2
	s_or_b64 exec, exec, s[20:21]
	s_waitcnt lgkmcnt(0)
	s_barrier
	ds_read_b128 v[8:11], v21 offset:3072
	v_add_u32_e32 v31, s66, v31
	v_cmp_le_u32_e64 s[20:21], s6, v31
	v_add_u32_e32 v20, s78, v20
	s_waitcnt lgkmcnt(0)
	v_cmp_neq_f64_e32 vcc, 0, v[8:9]
	s_or_b64 s[14:15], s[20:21], vcc
	s_and_b64 s[14:15], exec, s[14:15]
	s_or_b64 s[8:9], s[14:15], s[8:9]
	s_andn2_b64 s[14:15], s[76:77], exec
	s_and_b64 s[20:21], vcc, exec
	s_or_b64 s[76:77], s[14:15], s[20:21]
	s_barrier
	s_andn2_b64 exec, exec, s[8:9]
	s_cbranch_execz .LBB78_229
.LBB78_224:                             ;   Parent Loop BB78_15 Depth=1
                                        ; =>  This Inner Loop Header: Depth=2
	v_cmp_gt_u32_e32 vcc, s60, v31
	s_waitcnt vmcnt(0)
	v_pk_mov_b32 v[4:5], 0, 0
	s_and_saveexec_b64 s[58:59], vcc
	s_cbranch_execz .LBB78_226
; %bb.225:                              ;   in Loop: Header=BB78_224 Depth=2
	v_lshlrev_b64 v[4:5], 3, v[20:21]
	v_mov_b32_e32 v2, s64
	v_add_co_u32_e64 v4, s[20:21], s33, v4
	v_addc_co_u32_e64 v5, s[20:21], v2, v5, s[20:21]
	global_load_dwordx2 v[4:5], v[4:5], off
.LBB78_226:                             ;   in Loop: Header=BB78_224 Depth=2
	s_or_b64 exec, exec, s[58:59]
	s_and_saveexec_b64 s[20:21], vcc
	s_cbranch_execz .LBB78_223
; %bb.227:                              ;   in Loop: Header=BB78_224 Depth=2
	s_waitcnt vmcnt(0)
	v_ashrrev_i32_e32 v2, 31, v5
	v_or_b32_e32 v8, 0x80000000, v2
	v_xor_b32_e32 v8, v8, v5
	v_xor_b32_e32 v2, v2, v4
	v_cmp_o_f64_e32 vcc, v[4:5], v[4:5]
	v_cndmask_b32_e32 v8, -1, v8, vcc
	v_cndmask_b32_e32 v2, -1, v2, vcc
	v_and_b32_e32 v9, v8, v15
	v_and_b32_e32 v8, v2, v14
	v_cmp_eq_u64_e32 vcc, v[8:9], v[12:13]
	s_and_b64 exec, exec, vcc
	s_cbranch_execz .LBB78_223
; %bb.228:                              ;   in Loop: Header=BB78_224 Depth=2
	v_mov_b32_e32 v2, v21
	ds_write_b128 v21, v[2:5] offset:3072
	s_branch .LBB78_223
.LBB78_229:                             ;   in Loop: Header=BB78_15 Depth=1
	s_or_b64 exec, exec, s[8:9]
	s_and_b64 s[76:77], s[76:77], exec
.LBB78_230:                             ;   in Loop: Header=BB78_15 Depth=1
	v_readlane_b32 s8, v58, 0
	v_readlane_b32 s9, v58, 1
	s_or_b64 exec, exec, s[8:9]
	s_mov_b64 s[8:9], -1
	s_mov_b64 s[20:21], 0
	s_mov_b64 s[14:15], 0
.LBB78_231:                             ;   in Loop: Header=BB78_15 Depth=1
	v_writelane_b32 v59, s14, 60
	s_orn2_b64 s[76:77], s[76:77], exec
	v_writelane_b32 v59, s15, 61
.LBB78_232:                             ;   in Loop: Header=BB78_15 Depth=1
	v_readlane_b32 s14, v59, 58
	v_readlane_b32 s15, v59, 59
	s_or_b64 exec, exec, s[14:15]
	s_mov_b64 vcc, 0
                                        ; implicit-def: $vgpr2
                                        ; implicit-def: $vgpr4
	s_and_saveexec_b64 s[58:59], s[76:77]
	s_cbranch_execz .LBB78_244
; %bb.233:                              ;   in Loop: Header=BB78_15 Depth=1
	v_readlane_b32 s14, v59, 56
	v_readlane_b32 s15, v59, 57
	s_xor_b64 s[14:15], s[14:15], -1
	v_mov_b32_e32 v2, 1
	s_waitcnt vmcnt(0)
	v_mov_b32_e32 v4, 1
	s_and_saveexec_b64 s[76:77], s[14:15]
	s_cbranch_execz .LBB78_243
; %bb.234:                              ;   in Loop: Header=BB78_15 Depth=1
	v_cmp_ge_u32_e32 vcc, s75, v30
                                        ; implicit-def: $sgpr14
                                        ; kill: killed $sgpr14
	s_and_saveexec_b64 s[14:15], vcc
	s_xor_b64 s[14:15], exec, s[14:15]
	s_cbranch_execz .LBB78_240
; %bb.235:                              ;   in Loop: Header=BB78_15 Depth=1
	ds_read_b32 v2, v21 offset:4096
	s_waitcnt lgkmcnt(0)
	v_cmp_ne_u32_e32 vcc, 0, v2
	s_cbranch_vccnz .LBB78_239
; %bb.236:                              ;   in Loop: Header=BB78_15 Depth=1
	v_writelane_b32 v58, s14, 2
	v_writelane_b32 v58, s15, 3
	s_mov_b64 vcc, exec
	v_readlane_b32 s14, v59, 5
	v_readlane_b32 s15, v59, 6
	s_and_b64 s[14:15], vcc, s[14:15]
	s_mov_b64 exec, s[14:15]
	s_cbranch_execz .LBB78_238
; %bb.237:                              ;   in Loop: Header=BB78_15 Depth=1
	v_mov_b32_e32 v2, s75
	ds_write_b32 v21, v2 offset:4100
.LBB78_238:                             ;   in Loop: Header=BB78_15 Depth=1
	s_or_b64 exec, exec, vcc
	v_readlane_b32 s14, v58, 2
	v_readlane_b32 s15, v58, 3
	s_waitcnt lgkmcnt(0)
	s_barrier
.LBB78_239:                             ;   in Loop: Header=BB78_15 Depth=1
	v_or_b32_e32 v13, s23, v13
	v_or_b32_e32 v12, s22, v12
	;; [unrolled: 1-line block ×4, first 2 shown]
	s_mov_b32 vcc_lo, 8
	v_writelane_b32 v58, vcc_lo, 4
.LBB78_240:                             ;   in Loop: Header=BB78_15 Depth=1
	s_or_saveexec_b64 vcc, s[14:15]
	v_readlane_b32 s14, v58, 4
	v_mov_b32_e32 v2, s14
	s_xor_b64 exec, exec, vcc
; %bb.241:                              ;   in Loop: Header=BB78_15 Depth=1
	v_subrev_u32_e32 v30, s75, v30
	v_mov_b32_e32 v2, 8
; %bb.242:                              ;   in Loop: Header=BB78_15 Depth=1
	s_or_b64 exec, exec, vcc
	v_mov_b32_e32 v4, v30
.LBB78_243:                             ;   in Loop: Header=BB78_15 Depth=1
	s_or_b64 exec, exec, s[76:77]
	s_mov_b64 vcc, exec
.LBB78_244:                             ;   in Loop: Header=BB78_15 Depth=1
	s_or_b64 exec, exec, s[58:59]
	s_orn2_b64 s[58:59], vcc, exec
	s_waitcnt vmcnt(0)
	v_mov_b32_e32 v30, v4
.LBB78_245:                             ;   in Loop: Header=BB78_15 Depth=1
	s_or_b64 exec, exec, s[56:57]
	s_andn2_b64 s[14:15], s[50:51], exec
	s_and_b64 s[20:21], s[20:21], exec
	s_or_b64 s[50:51], s[14:15], s[20:21]
	s_andn2_b64 s[14:15], s[54:55], exec
	s_and_b64 s[8:9], s[8:9], exec
	s_or_b64 s[54:55], s[14:15], s[8:9]
	v_readlane_b32 s14, v59, 60
	v_readlane_b32 s15, v59, 61
	s_andn2_b64 s[8:9], s[52:53], exec
	s_and_b64 s[14:15], s[14:15], exec
	s_or_b64 s[52:53], s[8:9], s[14:15]
	s_and_b64 s[20:21], s[58:59], exec
	v_mov_b32_e32 v31, v30
.LBB78_246:                             ;   in Loop: Header=BB78_15 Depth=1
	s_or_b64 exec, exec, s[16:17]
	s_and_b64 s[56:57], s[50:51], exec
	s_and_b64 s[50:51], s[54:55], exec
	;; [unrolled: 1-line block ×3, first 2 shown]
	s_orn2_b64 s[8:9], s[20:21], exec
.LBB78_247:                             ;   in Loop: Header=BB78_15 Depth=1
	s_or_b64 exec, exec, s[48:49]
	s_andn2_b64 s[14:15], s[40:41], exec
	s_and_b64 s[20:21], s[56:57], exec
	s_or_b64 s[40:41], s[14:15], s[20:21]
	s_andn2_b64 s[14:15], s[44:45], exec
	s_and_b64 s[20:21], s[50:51], exec
	s_or_b64 s[44:45], s[14:15], s[20:21]
	;; [unrolled: 3-line block ×3, first 2 shown]
	s_and_b64 s[20:21], s[8:9], exec
	v_mov_b32_e32 v30, v31
.LBB78_248:                             ;   in Loop: Header=BB78_15 Depth=1
	s_or_b64 exec, exec, s[46:47]
	s_and_b64 s[40:41], s[40:41], exec
	s_and_b64 s[16:17], s[44:45], exec
	;; [unrolled: 1-line block ×3, first 2 shown]
	s_orn2_b64 s[42:43], s[20:21], exec
.LBB78_249:                             ;   in Loop: Header=BB78_15 Depth=1
	s_or_b64 exec, exec, s[28:29]
	s_mov_b64 s[28:29], 0
	s_mov_b64 s[20:21], 0
	s_and_saveexec_b64 s[14:15], s[42:43]
	s_xor_b64 s[42:43], exec, s[14:15]
; %bb.250:                              ;   in Loop: Header=BB78_15 Depth=1
	v_cmp_eq_u32_e32 vcc, 8, v2
	v_cmp_ne_u32_e64 s[20:21], 8, v2
	s_andn2_b64 s[40:41], s[40:41], exec
	s_andn2_b64 s[16:17], s[16:17], exec
	s_andn2_b64 s[8:9], s[8:9], exec
	s_and_b64 s[20:21], s[20:21], exec
	s_and_b64 s[28:29], vcc, exec
; %bb.251:                              ;   in Loop: Header=BB78_15 Depth=1
	s_or_b64 exec, exec, s[42:43]
	s_andn2_b64 s[14:15], s[26:27], exec
	s_and_b64 s[26:27], s[40:41], exec
	s_or_b64 s[26:27], s[14:15], s[26:27]
	s_andn2_b64 s[14:15], s[34:35], exec
	s_and_b64 s[16:17], s[16:17], exec
	s_or_b64 s[34:35], s[14:15], s[16:17]
	;; [unrolled: 3-line block ×3, first 2 shown]
	s_and_b64 s[20:21], s[20:21], exec
	s_and_b64 s[28:29], s[28:29], exec
.LBB78_252:                             ;   in Loop: Header=BB78_15 Depth=1
	s_or_b64 exec, exec, s[38:39]
	s_and_b64 vcc, exec, s[36:37]
	s_cbranch_vccz .LBB78_102
.LBB78_253:                             ;   in Loop: Header=BB78_15 Depth=1
	s_cmp_eq_u32 s75, 1
	s_cselect_b64 s[8:9], -1, 0
	s_and_b64 s[8:9], s[8:9], s[18:19]
	s_mov_b64 s[18:19], -1
                                        ; implicit-def: $sgpr36_sgpr37
                                        ; implicit-def: $sgpr38_sgpr39
                                        ; implicit-def: $sgpr26_sgpr27
	s_and_saveexec_b64 s[16:17], s[8:9]
	s_cbranch_execz .LBB78_279
; %bb.254:                              ;   in Loop: Header=BB78_15 Depth=1
	ds_read_b32 v2, v21 offset:4096
	s_waitcnt lgkmcnt(0)
	s_barrier
	v_readfirstlane_b32 s14, v2
	s_mov_b64 s[18:19], exec
	v_readlane_b32 s26, v59, 29
	v_readlane_b32 s27, v59, 30
	s_and_b64 s[26:27], s[18:19], s[26:27]
	s_mov_b64 exec, s[26:27]
	s_cbranch_execz .LBB78_256
; %bb.255:                              ;   in Loop: Header=BB78_15 Depth=1
	v_mov_b32_e32 v20, v21
	ds_write_b64 v37, v[20:21]
.LBB78_256:                             ;   in Loop: Header=BB78_15 Depth=1
	s_or_b64 exec, exec, s[18:19]
	v_or_b32_e32 v27, s23, v27
	v_or_b32_e32 v26, s22, v26
	v_or_b32_e32 v29, s23, v29
	v_or_b32_e32 v28, s22, v28
	s_cmp_eq_u32 s14, 0
	s_waitcnt lgkmcnt(0)
	s_barrier
	s_cbranch_scc1 .LBB78_265
; %bb.257:                              ;   in Loop: Header=BB78_15 Depth=1
	v_readlane_b32 s15, v59, 22
	s_add_i32 s15, s14, s15
	v_readlane_b32 s18, v59, 46
	s_mul_hi_u32 s18, s15, s18
	s_mul_i32 s18, s18, s66
	s_sub_i32 s18, s15, s18
	s_sub_i32 s19, s18, s66
	s_cmp_ge_u32 s18, s66
	s_cselect_b32 s18, s19, s18
	s_sub_i32 s19, s18, s66
	s_cmp_ge_u32 s18, s66
	s_cselect_b32 s18, s19, s18
	s_sub_i32 s15, s15, s18
	v_cmp_gt_u32_e32 vcc, s15, v0
	s_mov_b64 s[18:19], 0
                                        ; implicit-def: $vgpr6_vgpr7
	s_and_saveexec_b64 s[26:27], vcc
	s_cbranch_execz .LBB78_267
; %bb.258:                              ;   in Loop: Header=BB78_15 Depth=1
	s_mov_b64 s[34:35], 0
	v_mov_b32_e32 v8, v36
	v_mov_b32_e32 v9, v0
                                        ; implicit-def: $sgpr30_sgpr31
	s_branch .LBB78_260
.LBB78_259:                             ;   in Loop: Header=BB78_260 Depth=2
	s_or_b64 exec, exec, s[18:19]
	s_waitcnt lgkmcnt(0)
	s_barrier
	ds_read_b128 v[4:7], v21 offset:3072
	v_add_u32_e32 v9, s66, v9
	v_cmp_le_u32_e64 s[18:19], s15, v9
	v_add_u32_e32 v8, s10, v8
	s_waitcnt lgkmcnt(0)
	v_cmp_neq_f64_e32 vcc, 0, v[4:5]
	s_or_b64 s[18:19], s[18:19], vcc
	s_and_b64 s[18:19], exec, s[18:19]
	s_or_b64 s[34:35], s[18:19], s[34:35]
	s_andn2_b64 s[18:19], s[30:31], exec
	s_and_b64 s[30:31], vcc, exec
	s_or_b64 s[30:31], s[18:19], s[30:31]
	s_barrier
	s_andn2_b64 exec, exec, s[34:35]
	s_cbranch_execz .LBB78_266
.LBB78_260:                             ;   Parent Loop BB78_15 Depth=1
                                        ; =>  This Inner Loop Header: Depth=2
	v_cmp_gt_u32_e32 vcc, s14, v9
	s_waitcnt vmcnt(0)
	v_pk_mov_b32 v[4:5], 0, 0
	s_and_saveexec_b64 s[18:19], vcc
	s_cbranch_execz .LBB78_262
; %bb.261:                              ;   in Loop: Header=BB78_260 Depth=2
	ds_read_b64 v[4:5], v8
.LBB78_262:                             ;   in Loop: Header=BB78_260 Depth=2
	s_or_b64 exec, exec, s[18:19]
	s_and_saveexec_b64 s[18:19], vcc
	s_cbranch_execz .LBB78_259
; %bb.263:                              ;   in Loop: Header=BB78_260 Depth=2
	s_waitcnt lgkmcnt(0)
	v_ashrrev_i32_e32 v2, 31, v5
	v_or_b32_e32 v6, 0x80000000, v2
	v_xor_b32_e32 v6, v6, v5
	v_xor_b32_e32 v2, v2, v4
	v_cmp_o_f64_e32 vcc, v[4:5], v[4:5]
	v_cndmask_b32_e32 v6, -1, v6, vcc
	v_cndmask_b32_e32 v2, -1, v2, vcc
	v_and_b32_e32 v7, v6, v29
	v_and_b32_e32 v6, v2, v28
	v_cmp_eq_u64_e32 vcc, v[6:7], v[26:27]
	s_and_b64 exec, exec, vcc
	s_cbranch_execz .LBB78_259
; %bb.264:                              ;   in Loop: Header=BB78_260 Depth=2
	v_mov_b32_e32 v2, v21
	ds_write_b128 v21, v[2:5] offset:3072
	s_branch .LBB78_259
.LBB78_265:                             ;   in Loop: Header=BB78_15 Depth=1
	s_mov_b64 s[36:37], -1
	s_mov_b64 s[18:19], 0
                                        ; implicit-def: $sgpr38_sgpr39
                                        ; implicit-def: $vgpr6_vgpr7
	s_mov_b64 s[26:27], s[36:37]
	s_cbranch_execnz .LBB78_268
	s_branch .LBB78_278
.LBB78_266:                             ;   in Loop: Header=BB78_15 Depth=1
	s_or_b64 exec, exec, s[34:35]
	s_and_b64 s[18:19], s[30:31], exec
.LBB78_267:                             ;   in Loop: Header=BB78_15 Depth=1
	s_or_b64 exec, exec, s[26:27]
	s_mov_b64 s[36:37], 0
	s_mov_b64 s[38:39], -1
	s_mov_b64 s[26:27], s[36:37]
	s_branch .LBB78_278
.LBB78_268:                             ;   in Loop: Header=BB78_15 Depth=1
	s_mov_b64 s[18:19], 0
                                        ; implicit-def: $vgpr6_vgpr7
	s_mov_b64 s[26:27], exec
	v_readlane_b32 s14, v59, 47
	v_readlane_b32 s15, v59, 48
	s_and_b64 s[14:15], s[26:27], s[14:15]
	s_mov_b64 exec, s[14:15]
	s_cbranch_execz .LBB78_277
; %bb.269:                              ;   in Loop: Header=BB78_15 Depth=1
	s_mov_b64 s[34:35], 0
	v_mov_b32_e32 v20, v22
	v_mov_b32_e32 v8, v0
                                        ; implicit-def: $sgpr30_sgpr31
	s_branch .LBB78_271
.LBB78_270:                             ;   in Loop: Header=BB78_271 Depth=2
	s_or_b64 exec, exec, s[18:19]
	s_waitcnt lgkmcnt(0)
	s_barrier
	s_waitcnt vmcnt(0)
	ds_read_b128 v[4:7], v21 offset:3072
	v_add_u32_e32 v8, s66, v8
	v_cmp_le_u32_e64 s[18:19], s6, v8
	v_add_u32_e32 v20, s78, v20
	s_waitcnt lgkmcnt(0)
	v_cmp_neq_f64_e32 vcc, 0, v[4:5]
	s_or_b64 s[14:15], s[18:19], vcc
	s_and_b64 s[14:15], exec, s[14:15]
	s_or_b64 s[34:35], s[14:15], s[34:35]
	s_andn2_b64 s[14:15], s[30:31], exec
	s_and_b64 s[18:19], vcc, exec
	s_or_b64 s[30:31], s[14:15], s[18:19]
	s_barrier
	s_andn2_b64 exec, exec, s[34:35]
	s_cbranch_execz .LBB78_276
.LBB78_271:                             ;   Parent Loop BB78_15 Depth=1
                                        ; =>  This Inner Loop Header: Depth=2
	v_cmp_gt_u32_e32 vcc, s60, v8
	s_waitcnt vmcnt(0)
	v_pk_mov_b32 v[4:5], 0, 0
	s_and_saveexec_b64 s[36:37], vcc
	s_cbranch_execz .LBB78_273
; %bb.272:                              ;   in Loop: Header=BB78_271 Depth=2
	v_lshlrev_b64 v[4:5], 3, v[20:21]
	v_mov_b32_e32 v2, s64
	v_add_co_u32_e64 v4, s[18:19], s33, v4
	v_addc_co_u32_e64 v5, s[18:19], v2, v5, s[18:19]
	global_load_dwordx2 v[4:5], v[4:5], off
.LBB78_273:                             ;   in Loop: Header=BB78_271 Depth=2
	s_or_b64 exec, exec, s[36:37]
	s_and_saveexec_b64 s[18:19], vcc
	s_cbranch_execz .LBB78_270
; %bb.274:                              ;   in Loop: Header=BB78_271 Depth=2
	s_waitcnt vmcnt(0)
	v_ashrrev_i32_e32 v2, 31, v5
	v_or_b32_e32 v6, 0x80000000, v2
	v_xor_b32_e32 v6, v6, v5
	v_xor_b32_e32 v2, v2, v4
	v_cmp_o_f64_e32 vcc, v[4:5], v[4:5]
	v_cndmask_b32_e32 v6, -1, v6, vcc
	v_cndmask_b32_e32 v2, -1, v2, vcc
	v_and_b32_e32 v7, v6, v29
	v_and_b32_e32 v6, v2, v28
	v_cmp_eq_u64_e32 vcc, v[6:7], v[26:27]
	s_and_b64 exec, exec, vcc
	s_cbranch_execz .LBB78_270
; %bb.275:                              ;   in Loop: Header=BB78_271 Depth=2
	v_mov_b32_e32 v2, v21
	ds_write_b128 v21, v[2:5] offset:3072
	s_branch .LBB78_270
.LBB78_276:                             ;   in Loop: Header=BB78_15 Depth=1
	s_or_b64 exec, exec, s[34:35]
	s_and_b64 s[18:19], s[30:31], exec
.LBB78_277:                             ;   in Loop: Header=BB78_15 Depth=1
	s_or_b64 exec, exec, s[26:27]
	s_mov_b64 s[38:39], 0
	s_mov_b64 s[36:37], -1
	s_mov_b64 s[26:27], 0
.LBB78_278:                             ;   in Loop: Header=BB78_15 Depth=1
	s_orn2_b64 s[18:19], s[18:19], exec
.LBB78_279:                             ;   in Loop: Header=BB78_15 Depth=1
	s_or_b64 exec, exec, s[16:17]
                                        ; implicit-def: $vgpr2
                                        ; implicit-def: $vgpr30
                                        ; implicit-def: $vgpr12_vgpr13
                                        ; implicit-def: $vgpr14_vgpr15
                                        ; implicit-def: $vgpr10_vgpr11
	s_and_saveexec_b64 s[30:31], s[18:19]
	s_cbranch_execz .LBB78_414
; %bb.280:                              ;   in Loop: Header=BB78_15 Depth=1
	s_xor_b64 s[14:15], s[8:9], -1
	s_mov_b64 s[18:19], 0
	v_mov_b32_e32 v30, 1
	v_mov_b32_e32 v2, 1
	s_and_saveexec_b64 s[8:9], s[14:15]
	s_cbranch_execz .LBB78_290
; %bb.281:                              ;   in Loop: Header=BB78_15 Depth=1
	v_cmp_ge_u32_e32 vcc, s75, v47
                                        ; implicit-def: $sgpr14
                                        ; implicit-def: $sgpr16_sgpr17
	s_and_saveexec_b64 s[18:19], vcc
	s_xor_b64 s[18:19], exec, s[18:19]
	s_cbranch_execz .LBB78_287
; %bb.282:                              ;   in Loop: Header=BB78_15 Depth=1
	ds_read_b32 v2, v21 offset:4096
	s_waitcnt lgkmcnt(0)
	v_cmp_ne_u32_e32 vcc, 0, v2
	s_cbranch_vccnz .LBB78_286
; %bb.283:                              ;   in Loop: Header=BB78_15 Depth=1
	s_mov_b64 s[16:17], exec
	v_readlane_b32 s14, v59, 5
	v_readlane_b32 s15, v59, 6
	s_and_b64 s[14:15], s[16:17], s[14:15]
	s_mov_b64 exec, s[14:15]
	s_cbranch_execz .LBB78_285
; %bb.284:                              ;   in Loop: Header=BB78_15 Depth=1
	v_mov_b32_e32 v2, s75
	ds_write_b32 v21, v2 offset:4100
.LBB78_285:                             ;   in Loop: Header=BB78_15 Depth=1
	s_or_b64 exec, exec, s[16:17]
	s_waitcnt lgkmcnt(0)
	s_barrier
.LBB78_286:                             ;   in Loop: Header=BB78_15 Depth=1
	v_or_b32_e32 v27, s23, v27
	v_or_b32_e32 v26, s22, v26
	;; [unrolled: 1-line block ×4, first 2 shown]
	s_mov_b64 s[16:17], 0
	s_mov_b32 s14, 5
.LBB78_287:                             ;   in Loop: Header=BB78_15 Depth=1
	s_or_saveexec_b64 s[18:19], s[18:19]
	v_mov_b32_e32 v2, s14
	s_xor_b64 exec, exec, s[18:19]
; %bb.288:                              ;   in Loop: Header=BB78_15 Depth=1
	v_subrev_u32_e32 v47, s75, v47
	v_mov_b32_e32 v2, 0
	s_or_b64 s[16:17], s[16:17], exec
; %bb.289:                              ;   in Loop: Header=BB78_15 Depth=1
	s_or_b64 exec, exec, s[18:19]
	s_and_b64 s[18:19], s[16:17], exec
	v_mov_b32_e32 v30, v47
.LBB78_290:                             ;   in Loop: Header=BB78_15 Depth=1
	s_or_b64 exec, exec, s[8:9]
	s_mov_b64 s[42:43], -1
                                        ; implicit-def: $sgpr8_sgpr9
                                        ; implicit-def: $sgpr16_sgpr17
                                        ; implicit-def: $sgpr40_sgpr41
	s_and_saveexec_b64 s[14:15], s[18:19]
	s_xor_b64 s[34:35], exec, s[14:15]
	s_cbranch_execz .LBB78_411
; %bb.291:                              ;   in Loop: Header=BB78_15 Depth=1
	s_cmp_eq_u32 s74, 1
	s_cselect_b64 s[8:9], -1, 0
	v_cmp_eq_u32_e32 vcc, 1, v30
	s_and_b64 s[8:9], s[8:9], vcc
	s_mov_b64 s[48:49], -1
                                        ; implicit-def: $sgpr40_sgpr41
                                        ; implicit-def: $sgpr42_sgpr43
                                        ; implicit-def: $sgpr44_sgpr45
	s_and_saveexec_b64 s[16:17], s[8:9]
	s_cbranch_execz .LBB78_317
; %bb.292:                              ;   in Loop: Header=BB78_15 Depth=1
	ds_read_b32 v2, v21 offset:4096
	s_waitcnt lgkmcnt(0)
	s_barrier
	v_readfirstlane_b32 s14, v2
	s_mov_b64 s[18:19], exec
	v_readlane_b32 s40, v59, 29
	v_readlane_b32 s41, v59, 30
	s_and_b64 s[40:41], s[18:19], s[40:41]
	s_mov_b64 exec, s[40:41]
	s_cbranch_execz .LBB78_294
; %bb.293:                              ;   in Loop: Header=BB78_15 Depth=1
	v_mov_b32_e32 v20, v21
	ds_write_b64 v37, v[20:21]
.LBB78_294:                             ;   in Loop: Header=BB78_15 Depth=1
	s_or_b64 exec, exec, s[18:19]
	s_lshl_b64 s[18:19], 2, s5
	v_and_b32_e32 v2, s25, v27
	s_waitcnt vmcnt(0)
	v_and_b32_e32 v4, s24, v26
	v_or_b32_e32 v27, s19, v2
	v_or_b32_e32 v26, s18, v4
	;; [unrolled: 1-line block ×4, first 2 shown]
	s_cmp_eq_u32 s14, 0
	s_waitcnt lgkmcnt(0)
	s_barrier
	s_cbranch_scc1 .LBB78_303
; %bb.295:                              ;   in Loop: Header=BB78_15 Depth=1
	v_readlane_b32 s15, v59, 22
	s_add_i32 s15, s14, s15
	v_readlane_b32 s18, v59, 46
	s_mul_hi_u32 s18, s15, s18
	s_mul_i32 s18, s18, s66
	s_sub_i32 s18, s15, s18
	s_sub_i32 s19, s18, s66
	s_cmp_ge_u32 s18, s66
	s_cselect_b32 s18, s19, s18
	s_sub_i32 s19, s18, s66
	s_cmp_ge_u32 s18, s66
	s_cselect_b32 s18, s19, s18
	s_sub_i32 s15, s15, s18
	v_cmp_gt_u32_e32 vcc, s15, v0
	s_mov_b64 s[18:19], 0
                                        ; implicit-def: $vgpr6_vgpr7
	s_and_saveexec_b64 s[40:41], vcc
	s_cbranch_execz .LBB78_305
; %bb.296:                              ;   in Loop: Header=BB78_15 Depth=1
	s_mov_b64 s[44:45], 0
	v_mov_b32_e32 v8, v36
	v_mov_b32_e32 v9, v0
                                        ; implicit-def: $sgpr42_sgpr43
	s_branch .LBB78_298
.LBB78_297:                             ;   in Loop: Header=BB78_298 Depth=2
	s_or_b64 exec, exec, s[18:19]
	s_waitcnt lgkmcnt(0)
	s_barrier
	ds_read_b128 v[4:7], v21 offset:3072
	v_add_u32_e32 v9, s66, v9
	v_cmp_le_u32_e64 s[18:19], s15, v9
	v_add_u32_e32 v8, s10, v8
	s_waitcnt lgkmcnt(0)
	v_cmp_neq_f64_e32 vcc, 0, v[4:5]
	s_or_b64 s[18:19], s[18:19], vcc
	s_and_b64 s[18:19], exec, s[18:19]
	s_or_b64 s[44:45], s[18:19], s[44:45]
	s_andn2_b64 s[18:19], s[42:43], exec
	s_and_b64 s[42:43], vcc, exec
	s_or_b64 s[42:43], s[18:19], s[42:43]
	s_barrier
	s_andn2_b64 exec, exec, s[44:45]
	s_cbranch_execz .LBB78_304
.LBB78_298:                             ;   Parent Loop BB78_15 Depth=1
                                        ; =>  This Inner Loop Header: Depth=2
	v_cmp_gt_u32_e32 vcc, s14, v9
	v_pk_mov_b32 v[4:5], 0, 0
	s_and_saveexec_b64 s[18:19], vcc
	s_cbranch_execz .LBB78_300
; %bb.299:                              ;   in Loop: Header=BB78_298 Depth=2
	ds_read_b64 v[4:5], v8
.LBB78_300:                             ;   in Loop: Header=BB78_298 Depth=2
	s_or_b64 exec, exec, s[18:19]
	s_and_saveexec_b64 s[18:19], vcc
	s_cbranch_execz .LBB78_297
; %bb.301:                              ;   in Loop: Header=BB78_298 Depth=2
	s_waitcnt lgkmcnt(0)
	v_ashrrev_i32_e32 v2, 31, v5
	v_or_b32_e32 v6, 0x80000000, v2
	v_xor_b32_e32 v6, v6, v5
	v_xor_b32_e32 v2, v2, v4
	v_cmp_o_f64_e32 vcc, v[4:5], v[4:5]
	v_cndmask_b32_e32 v6, -1, v6, vcc
	v_cndmask_b32_e32 v2, -1, v2, vcc
	v_and_b32_e32 v7, v6, v29
	v_and_b32_e32 v6, v2, v28
	v_cmp_eq_u64_e32 vcc, v[6:7], v[26:27]
	s_and_b64 exec, exec, vcc
	s_cbranch_execz .LBB78_297
; %bb.302:                              ;   in Loop: Header=BB78_298 Depth=2
	v_mov_b32_e32 v2, v21
	ds_write_b128 v21, v[2:5] offset:3072
	s_branch .LBB78_297
.LBB78_303:                             ;   in Loop: Header=BB78_15 Depth=1
	s_mov_b64 s[40:41], -1
	s_mov_b64 s[18:19], 0
                                        ; implicit-def: $sgpr42_sgpr43
                                        ; implicit-def: $vgpr6_vgpr7
	s_mov_b64 s[44:45], s[40:41]
	s_cbranch_execnz .LBB78_306
	s_branch .LBB78_316
.LBB78_304:                             ;   in Loop: Header=BB78_15 Depth=1
	s_or_b64 exec, exec, s[44:45]
	s_and_b64 s[18:19], s[42:43], exec
.LBB78_305:                             ;   in Loop: Header=BB78_15 Depth=1
	s_or_b64 exec, exec, s[40:41]
	s_mov_b64 s[40:41], 0
	s_mov_b64 s[42:43], -1
	s_mov_b64 s[44:45], s[40:41]
	s_branch .LBB78_316
.LBB78_306:                             ;   in Loop: Header=BB78_15 Depth=1
	s_mov_b64 s[18:19], 0
                                        ; implicit-def: $vgpr6_vgpr7
	s_mov_b64 s[40:41], exec
	v_readlane_b32 s14, v59, 47
	v_readlane_b32 s15, v59, 48
	s_and_b64 s[14:15], s[40:41], s[14:15]
	s_mov_b64 exec, s[14:15]
	s_cbranch_execz .LBB78_315
; %bb.307:                              ;   in Loop: Header=BB78_15 Depth=1
	s_mov_b64 s[44:45], 0
	v_mov_b32_e32 v20, v22
	v_mov_b32_e32 v8, v0
                                        ; implicit-def: $sgpr42_sgpr43
	s_branch .LBB78_309
.LBB78_308:                             ;   in Loop: Header=BB78_309 Depth=2
	s_or_b64 exec, exec, s[18:19]
	s_waitcnt lgkmcnt(0)
	s_barrier
	s_waitcnt vmcnt(0)
	ds_read_b128 v[4:7], v21 offset:3072
	v_add_u32_e32 v8, s66, v8
	v_cmp_le_u32_e64 s[18:19], s6, v8
	v_add_u32_e32 v20, s78, v20
	s_waitcnt lgkmcnt(0)
	v_cmp_neq_f64_e32 vcc, 0, v[4:5]
	s_or_b64 s[14:15], s[18:19], vcc
	s_and_b64 s[14:15], exec, s[14:15]
	s_or_b64 s[44:45], s[14:15], s[44:45]
	s_andn2_b64 s[14:15], s[42:43], exec
	s_and_b64 s[18:19], vcc, exec
	s_or_b64 s[42:43], s[14:15], s[18:19]
	s_barrier
	s_andn2_b64 exec, exec, s[44:45]
	s_cbranch_execz .LBB78_314
.LBB78_309:                             ;   Parent Loop BB78_15 Depth=1
                                        ; =>  This Inner Loop Header: Depth=2
	v_cmp_gt_u32_e32 vcc, s60, v8
	v_pk_mov_b32 v[4:5], 0, 0
	s_and_saveexec_b64 s[46:47], vcc
	s_cbranch_execz .LBB78_311
; %bb.310:                              ;   in Loop: Header=BB78_309 Depth=2
	v_lshlrev_b64 v[4:5], 3, v[20:21]
	v_mov_b32_e32 v2, s64
	v_add_co_u32_e64 v4, s[18:19], s33, v4
	v_addc_co_u32_e64 v5, s[18:19], v2, v5, s[18:19]
	global_load_dwordx2 v[4:5], v[4:5], off
.LBB78_311:                             ;   in Loop: Header=BB78_309 Depth=2
	s_or_b64 exec, exec, s[46:47]
	s_and_saveexec_b64 s[18:19], vcc
	s_cbranch_execz .LBB78_308
; %bb.312:                              ;   in Loop: Header=BB78_309 Depth=2
	s_waitcnt vmcnt(0)
	v_ashrrev_i32_e32 v2, 31, v5
	v_or_b32_e32 v6, 0x80000000, v2
	v_xor_b32_e32 v6, v6, v5
	v_xor_b32_e32 v2, v2, v4
	v_cmp_o_f64_e32 vcc, v[4:5], v[4:5]
	v_cndmask_b32_e32 v6, -1, v6, vcc
	v_cndmask_b32_e32 v2, -1, v2, vcc
	v_and_b32_e32 v7, v6, v29
	v_and_b32_e32 v6, v2, v28
	v_cmp_eq_u64_e32 vcc, v[6:7], v[26:27]
	s_and_b64 exec, exec, vcc
	s_cbranch_execz .LBB78_308
; %bb.313:                              ;   in Loop: Header=BB78_309 Depth=2
	v_mov_b32_e32 v2, v21
	ds_write_b128 v21, v[2:5] offset:3072
	s_branch .LBB78_308
.LBB78_314:                             ;   in Loop: Header=BB78_15 Depth=1
	s_or_b64 exec, exec, s[44:45]
	s_and_b64 s[18:19], s[42:43], exec
.LBB78_315:                             ;   in Loop: Header=BB78_15 Depth=1
	s_or_b64 exec, exec, s[40:41]
	s_mov_b64 s[42:43], 0
	s_mov_b64 s[40:41], -1
	s_mov_b64 s[44:45], 0
.LBB78_316:                             ;   in Loop: Header=BB78_15 Depth=1
	s_orn2_b64 s[48:49], s[18:19], exec
.LBB78_317:                             ;   in Loop: Header=BB78_15 Depth=1
	s_or_b64 exec, exec, s[16:17]
	s_mov_b64 s[18:19], 0
                                        ; implicit-def: $vgpr2
	s_and_saveexec_b64 s[46:47], s[48:49]
	s_cbranch_execz .LBB78_410
; %bb.318:                              ;   in Loop: Header=BB78_15 Depth=1
	s_xor_b64 s[14:15], s[8:9], -1
	v_mov_b32_e32 v8, 1
	v_mov_b32_e32 v2, 1
	s_and_saveexec_b64 s[8:9], s[14:15]
	s_cbranch_execz .LBB78_328
; %bb.319:                              ;   in Loop: Header=BB78_15 Depth=1
	v_cmp_ge_u32_e32 vcc, s74, v30
                                        ; implicit-def: $sgpr14
                                        ; implicit-def: $sgpr16_sgpr17
	s_and_saveexec_b64 s[18:19], vcc
	s_xor_b64 s[18:19], exec, s[18:19]
	s_cbranch_execz .LBB78_325
; %bb.320:                              ;   in Loop: Header=BB78_15 Depth=1
	ds_read_b32 v2, v21 offset:4096
	s_waitcnt lgkmcnt(0)
	v_cmp_ne_u32_e32 vcc, 0, v2
	s_cbranch_vccnz .LBB78_324
; %bb.321:                              ;   in Loop: Header=BB78_15 Depth=1
	s_mov_b64 s[16:17], exec
	v_readlane_b32 s14, v59, 5
	v_readlane_b32 s15, v59, 6
	s_and_b64 s[14:15], s[16:17], s[14:15]
	s_mov_b64 exec, s[14:15]
	s_cbranch_execz .LBB78_323
; %bb.322:                              ;   in Loop: Header=BB78_15 Depth=1
	v_mov_b32_e32 v2, s74
	ds_write_b32 v21, v2 offset:4100
.LBB78_323:                             ;   in Loop: Header=BB78_15 Depth=1
	s_or_b64 exec, exec, s[16:17]
	s_waitcnt lgkmcnt(0)
	s_barrier
.LBB78_324:                             ;   in Loop: Header=BB78_15 Depth=1
	s_lshl_b64 s[14:15], 2, s5
	v_and_b32_e32 v2, s25, v27
	s_waitcnt vmcnt(0)
	v_and_b32_e32 v4, s24, v26
	v_or_b32_e32 v27, s15, v2
	v_or_b32_e32 v26, s14, v4
	;; [unrolled: 1-line block ×4, first 2 shown]
	s_mov_b64 s[16:17], 0
	s_mov_b32 s14, 5
.LBB78_325:                             ;   in Loop: Header=BB78_15 Depth=1
	s_or_saveexec_b64 s[18:19], s[18:19]
	v_mov_b32_e32 v2, s14
	s_xor_b64 exec, exec, s[18:19]
; %bb.326:                              ;   in Loop: Header=BB78_15 Depth=1
	v_subrev_u32_e32 v30, s74, v30
	v_mov_b32_e32 v2, 0
	s_or_b64 s[16:17], s[16:17], exec
; %bb.327:                              ;   in Loop: Header=BB78_15 Depth=1
	s_or_b64 exec, exec, s[18:19]
	s_and_b64 s[18:19], s[16:17], exec
	v_mov_b32_e32 v8, v30
.LBB78_328:                             ;   in Loop: Header=BB78_15 Depth=1
	s_or_b64 exec, exec, s[8:9]
	s_mov_b64 s[8:9], -1
                                        ; implicit-def: $sgpr16_sgpr17
                                        ; implicit-def: $sgpr50_sgpr51
                                        ; implicit-def: $sgpr56_sgpr57
	s_and_saveexec_b64 s[48:49], s[18:19]
	s_cbranch_execz .LBB78_409
; %bb.329:                              ;   in Loop: Header=BB78_15 Depth=1
	s_cmp_eq_u32 s4, 1
	s_cselect_b64 s[8:9], -1, 0
	v_cmp_eq_u32_e32 vcc, 1, v8
	s_and_b64 s[8:9], s[8:9], vcc
	s_mov_b64 s[56:57], -1
                                        ; implicit-def: $sgpr50_sgpr51
                                        ; implicit-def: $sgpr52_sgpr53
                                        ; implicit-def: $sgpr54_sgpr55
	s_and_saveexec_b64 s[16:17], s[8:9]
	s_cbranch_execz .LBB78_355
; %bb.330:                              ;   in Loop: Header=BB78_15 Depth=1
	ds_read_b32 v2, v21 offset:4096
	s_waitcnt lgkmcnt(0)
	s_barrier
	v_readfirstlane_b32 s14, v2
	s_mov_b64 s[18:19], exec
	v_readlane_b32 s50, v59, 29
	v_readlane_b32 s51, v59, 30
	s_and_b64 s[50:51], s[18:19], s[50:51]
	s_mov_b64 exec, s[50:51]
	s_cbranch_execz .LBB78_332
; %bb.331:                              ;   in Loop: Header=BB78_15 Depth=1
	v_mov_b32_e32 v20, v21
	ds_write_b64 v37, v[20:21]
.LBB78_332:                             ;   in Loop: Header=BB78_15 Depth=1
	s_or_b64 exec, exec, s[18:19]
	s_lshl_b64 s[18:19], 1, s5
	v_and_b32_e32 v2, s25, v27
	s_waitcnt vmcnt(0)
	v_and_b32_e32 v4, s24, v26
	v_or_b32_e32 v27, s19, v2
	v_or_b32_e32 v26, s18, v4
	;; [unrolled: 1-line block ×4, first 2 shown]
	s_cmp_eq_u32 s14, 0
	s_waitcnt lgkmcnt(0)
	s_barrier
	s_cbranch_scc1 .LBB78_341
; %bb.333:                              ;   in Loop: Header=BB78_15 Depth=1
	v_readlane_b32 s15, v59, 22
	s_add_i32 s15, s14, s15
	v_readlane_b32 s18, v59, 46
	s_mul_hi_u32 s18, s15, s18
	s_mul_i32 s18, s18, s66
	s_sub_i32 s18, s15, s18
	s_sub_i32 s19, s18, s66
	s_cmp_ge_u32 s18, s66
	s_cselect_b32 s18, s19, s18
	s_sub_i32 s19, s18, s66
	s_cmp_ge_u32 s18, s66
	s_cselect_b32 s18, s19, s18
	s_sub_i32 s15, s15, s18
	v_cmp_gt_u32_e32 vcc, s15, v0
	s_mov_b64 s[18:19], 0
                                        ; implicit-def: $vgpr6_vgpr7
	s_and_saveexec_b64 s[50:51], vcc
	s_cbranch_execz .LBB78_343
; %bb.334:                              ;   in Loop: Header=BB78_15 Depth=1
	s_mov_b64 s[54:55], 0
	v_mov_b32_e32 v9, v36
	v_mov_b32_e32 v10, v0
                                        ; implicit-def: $sgpr52_sgpr53
	s_branch .LBB78_336
.LBB78_335:                             ;   in Loop: Header=BB78_336 Depth=2
	s_or_b64 exec, exec, s[18:19]
	s_waitcnt lgkmcnt(0)
	s_barrier
	ds_read_b128 v[4:7], v21 offset:3072
	v_add_u32_e32 v10, s66, v10
	v_cmp_le_u32_e64 s[18:19], s15, v10
	v_add_u32_e32 v9, s10, v9
	s_waitcnt lgkmcnt(0)
	v_cmp_neq_f64_e32 vcc, 0, v[4:5]
	s_or_b64 s[18:19], s[18:19], vcc
	s_and_b64 s[18:19], exec, s[18:19]
	s_or_b64 s[54:55], s[18:19], s[54:55]
	s_andn2_b64 s[18:19], s[52:53], exec
	s_and_b64 s[52:53], vcc, exec
	s_or_b64 s[52:53], s[18:19], s[52:53]
	s_barrier
	s_andn2_b64 exec, exec, s[54:55]
	s_cbranch_execz .LBB78_342
.LBB78_336:                             ;   Parent Loop BB78_15 Depth=1
                                        ; =>  This Inner Loop Header: Depth=2
	v_cmp_gt_u32_e32 vcc, s14, v10
	v_pk_mov_b32 v[4:5], 0, 0
	s_and_saveexec_b64 s[18:19], vcc
	s_cbranch_execz .LBB78_338
; %bb.337:                              ;   in Loop: Header=BB78_336 Depth=2
	ds_read_b64 v[4:5], v9
.LBB78_338:                             ;   in Loop: Header=BB78_336 Depth=2
	s_or_b64 exec, exec, s[18:19]
	s_and_saveexec_b64 s[18:19], vcc
	s_cbranch_execz .LBB78_335
; %bb.339:                              ;   in Loop: Header=BB78_336 Depth=2
	s_waitcnt lgkmcnt(0)
	v_ashrrev_i32_e32 v2, 31, v5
	v_or_b32_e32 v6, 0x80000000, v2
	v_xor_b32_e32 v6, v6, v5
	v_xor_b32_e32 v2, v2, v4
	v_cmp_o_f64_e32 vcc, v[4:5], v[4:5]
	v_cndmask_b32_e32 v6, -1, v6, vcc
	v_cndmask_b32_e32 v2, -1, v2, vcc
	v_and_b32_e32 v7, v6, v29
	v_and_b32_e32 v6, v2, v28
	v_cmp_eq_u64_e32 vcc, v[6:7], v[26:27]
	s_and_b64 exec, exec, vcc
	s_cbranch_execz .LBB78_335
; %bb.340:                              ;   in Loop: Header=BB78_336 Depth=2
	v_mov_b32_e32 v2, v21
	ds_write_b128 v21, v[2:5] offset:3072
	s_branch .LBB78_335
.LBB78_341:                             ;   in Loop: Header=BB78_15 Depth=1
	s_mov_b64 s[50:51], -1
	s_mov_b64 s[18:19], 0
                                        ; implicit-def: $sgpr52_sgpr53
                                        ; implicit-def: $vgpr6_vgpr7
	s_mov_b64 s[54:55], s[50:51]
	s_cbranch_execnz .LBB78_344
	s_branch .LBB78_354
.LBB78_342:                             ;   in Loop: Header=BB78_15 Depth=1
	s_or_b64 exec, exec, s[54:55]
	s_and_b64 s[18:19], s[52:53], exec
.LBB78_343:                             ;   in Loop: Header=BB78_15 Depth=1
	s_or_b64 exec, exec, s[50:51]
	s_mov_b64 s[50:51], 0
	s_mov_b64 s[52:53], -1
	s_mov_b64 s[54:55], s[50:51]
	s_branch .LBB78_354
.LBB78_344:                             ;   in Loop: Header=BB78_15 Depth=1
	s_mov_b64 s[18:19], 0
                                        ; implicit-def: $vgpr6_vgpr7
	s_mov_b64 s[50:51], exec
	v_readlane_b32 s14, v59, 47
	v_readlane_b32 s15, v59, 48
	s_and_b64 s[14:15], s[50:51], s[14:15]
	s_mov_b64 exec, s[14:15]
	s_cbranch_execz .LBB78_353
; %bb.345:                              ;   in Loop: Header=BB78_15 Depth=1
	s_mov_b64 s[54:55], 0
	v_mov_b32_e32 v20, v22
	v_mov_b32_e32 v9, v0
                                        ; implicit-def: $sgpr52_sgpr53
	s_branch .LBB78_347
.LBB78_346:                             ;   in Loop: Header=BB78_347 Depth=2
	s_or_b64 exec, exec, s[18:19]
	s_waitcnt lgkmcnt(0)
	s_barrier
	s_waitcnt vmcnt(0)
	ds_read_b128 v[4:7], v21 offset:3072
	v_add_u32_e32 v9, s66, v9
	v_cmp_le_u32_e64 s[18:19], s6, v9
	v_add_u32_e32 v20, s78, v20
	s_waitcnt lgkmcnt(0)
	v_cmp_neq_f64_e32 vcc, 0, v[4:5]
	s_or_b64 s[14:15], s[18:19], vcc
	s_and_b64 s[14:15], exec, s[14:15]
	s_or_b64 s[54:55], s[14:15], s[54:55]
	s_andn2_b64 s[14:15], s[52:53], exec
	s_and_b64 s[18:19], vcc, exec
	s_or_b64 s[52:53], s[14:15], s[18:19]
	s_barrier
	s_andn2_b64 exec, exec, s[54:55]
	s_cbranch_execz .LBB78_352
.LBB78_347:                             ;   Parent Loop BB78_15 Depth=1
                                        ; =>  This Inner Loop Header: Depth=2
	v_cmp_gt_u32_e32 vcc, s60, v9
	v_pk_mov_b32 v[4:5], 0, 0
	s_and_saveexec_b64 s[56:57], vcc
	s_cbranch_execz .LBB78_349
; %bb.348:                              ;   in Loop: Header=BB78_347 Depth=2
	v_lshlrev_b64 v[4:5], 3, v[20:21]
	v_mov_b32_e32 v2, s64
	v_add_co_u32_e64 v4, s[18:19], s33, v4
	v_addc_co_u32_e64 v5, s[18:19], v2, v5, s[18:19]
	global_load_dwordx2 v[4:5], v[4:5], off
.LBB78_349:                             ;   in Loop: Header=BB78_347 Depth=2
	s_or_b64 exec, exec, s[56:57]
	s_and_saveexec_b64 s[18:19], vcc
	s_cbranch_execz .LBB78_346
; %bb.350:                              ;   in Loop: Header=BB78_347 Depth=2
	s_waitcnt vmcnt(0)
	v_ashrrev_i32_e32 v2, 31, v5
	v_or_b32_e32 v6, 0x80000000, v2
	v_xor_b32_e32 v6, v6, v5
	v_xor_b32_e32 v2, v2, v4
	v_cmp_o_f64_e32 vcc, v[4:5], v[4:5]
	v_cndmask_b32_e32 v6, -1, v6, vcc
	v_cndmask_b32_e32 v2, -1, v2, vcc
	v_and_b32_e32 v7, v6, v29
	v_and_b32_e32 v6, v2, v28
	v_cmp_eq_u64_e32 vcc, v[6:7], v[26:27]
	s_and_b64 exec, exec, vcc
	s_cbranch_execz .LBB78_346
; %bb.351:                              ;   in Loop: Header=BB78_347 Depth=2
	v_mov_b32_e32 v2, v21
	ds_write_b128 v21, v[2:5] offset:3072
	s_branch .LBB78_346
.LBB78_352:                             ;   in Loop: Header=BB78_15 Depth=1
	s_or_b64 exec, exec, s[54:55]
	s_and_b64 s[18:19], s[52:53], exec
.LBB78_353:                             ;   in Loop: Header=BB78_15 Depth=1
	s_or_b64 exec, exec, s[50:51]
	s_mov_b64 s[52:53], 0
	s_mov_b64 s[50:51], -1
	s_mov_b64 s[54:55], 0
.LBB78_354:                             ;   in Loop: Header=BB78_15 Depth=1
	s_orn2_b64 s[56:57], s[18:19], exec
.LBB78_355:                             ;   in Loop: Header=BB78_15 Depth=1
	s_or_b64 exec, exec, s[16:17]
	s_mov_b64 s[18:19], 0
                                        ; implicit-def: $vgpr2
	s_and_saveexec_b64 s[16:17], s[56:57]
	s_cbranch_execz .LBB78_408
; %bb.356:                              ;   in Loop: Header=BB78_15 Depth=1
	s_xor_b64 s[14:15], s[8:9], -1
	s_mov_b64 s[76:77], 0
	v_mov_b32_e32 v9, 1
	v_mov_b32_e32 v2, 1
	s_and_saveexec_b64 s[8:9], s[14:15]
	s_cbranch_execz .LBB78_366
; %bb.357:                              ;   in Loop: Header=BB78_15 Depth=1
	v_cmp_ge_u32_e32 vcc, s4, v8
                                        ; implicit-def: $sgpr14
                                        ; implicit-def: $sgpr18_sgpr19
	s_and_saveexec_b64 s[56:57], vcc
	s_xor_b64 s[56:57], exec, s[56:57]
	s_cbranch_execz .LBB78_363
; %bb.358:                              ;   in Loop: Header=BB78_15 Depth=1
	ds_read_b32 v2, v21 offset:4096
	s_waitcnt lgkmcnt(0)
	v_cmp_ne_u32_e32 vcc, 0, v2
	s_cbranch_vccnz .LBB78_362
; %bb.359:                              ;   in Loop: Header=BB78_15 Depth=1
	s_mov_b64 s[18:19], exec
	v_readlane_b32 s14, v59, 5
	v_readlane_b32 s15, v59, 6
	s_and_b64 s[14:15], s[18:19], s[14:15]
	s_mov_b64 exec, s[14:15]
	s_cbranch_execz .LBB78_361
; %bb.360:                              ;   in Loop: Header=BB78_15 Depth=1
	v_mov_b32_e32 v2, s4
	ds_write_b32 v21, v2 offset:4100
.LBB78_361:                             ;   in Loop: Header=BB78_15 Depth=1
	s_or_b64 exec, exec, s[18:19]
	s_waitcnt lgkmcnt(0)
	s_barrier
.LBB78_362:                             ;   in Loop: Header=BB78_15 Depth=1
	s_lshl_b64 s[14:15], 1, s5
	v_and_b32_e32 v2, s25, v27
	s_waitcnt vmcnt(0)
	v_and_b32_e32 v4, s24, v26
	v_or_b32_e32 v27, s15, v2
	v_or_b32_e32 v26, s14, v4
	v_or_b32_e32 v29, s23, v29
	v_or_b32_e32 v28, s22, v28
	s_mov_b64 s[18:19], 0
	s_mov_b32 s14, 5
.LBB78_363:                             ;   in Loop: Header=BB78_15 Depth=1
	s_or_saveexec_b64 s[56:57], s[56:57]
	v_mov_b32_e32 v2, s14
	s_xor_b64 exec, exec, s[56:57]
; %bb.364:                              ;   in Loop: Header=BB78_15 Depth=1
	v_subrev_u32_e32 v8, s4, v8
	v_mov_b32_e32 v2, 0
	s_or_b64 s[18:19], s[18:19], exec
; %bb.365:                              ;   in Loop: Header=BB78_15 Depth=1
	s_or_b64 exec, exec, s[56:57]
	s_and_b64 s[76:77], s[18:19], exec
	v_mov_b32_e32 v9, v8
.LBB78_366:                             ;   in Loop: Header=BB78_15 Depth=1
	s_or_b64 exec, exec, s[8:9]
	s_mov_b64 s[58:59], -1
                                        ; implicit-def: $sgpr18_sgpr19
                                        ; implicit-def: $sgpr74_sgpr75
                                        ; implicit-def: $sgpr8_sgpr9
	s_and_saveexec_b64 s[56:57], s[76:77]
	s_cbranch_execz .LBB78_407
; %bb.367:                              ;   in Loop: Header=BB78_15 Depth=1
	s_cmp_eq_u32 s63, 1
	s_cselect_b64 s[4:5], -1, 0
	v_cmp_eq_u32_e32 vcc, 1, v9
	s_and_b64 s[74:75], s[4:5], vcc
	s_mov_b64 s[76:77], -1
                                        ; implicit-def: $sgpr18_sgpr19
                                        ; implicit-def: $sgpr14_sgpr15
                                        ; implicit-def: $sgpr8_sgpr9
	s_mov_b64 s[4:5], exec
	v_writelane_b32 v59, s4, 50
	v_writelane_b32 v59, s5, 51
	s_and_b64 s[4:5], s[4:5], s[74:75]
	s_mov_b64 exec, s[4:5]
	s_cbranch_execz .LBB78_394
; %bb.368:                              ;   in Loop: Header=BB78_15 Depth=1
	ds_read_b32 v2, v21 offset:4096
	s_waitcnt lgkmcnt(0)
	s_barrier
	v_readfirstlane_b32 s4, v2
	s_mov_b64 s[8:9], exec
	v_readlane_b32 s14, v59, 29
	v_readlane_b32 s15, v59, 30
	s_and_b64 s[14:15], s[8:9], s[14:15]
	s_mov_b64 exec, s[14:15]
	s_cbranch_execz .LBB78_370
; %bb.369:                              ;   in Loop: Header=BB78_15 Depth=1
	v_mov_b32_e32 v20, v21
	ds_write_b64 v37, v[20:21]
.LBB78_370:                             ;   in Loop: Header=BB78_15 Depth=1
	s_or_b64 exec, exec, s[8:9]
	v_and_b32_e32 v27, s25, v27
	v_and_b32_e32 v26, s24, v26
	v_or_b32_e32 v29, s23, v29
	v_or_b32_e32 v28, s22, v28
	s_cmp_eq_u32 s4, 0
	s_waitcnt lgkmcnt(0)
	s_barrier
	s_cbranch_scc1 .LBB78_379
; %bb.371:                              ;   in Loop: Header=BB78_15 Depth=1
	v_readlane_b32 s5, v59, 22
	s_add_i32 s5, s4, s5
	v_readlane_b32 s8, v59, 46
	s_mul_hi_u32 s8, s5, s8
	s_mul_i32 s8, s8, s66
	s_sub_i32 s8, s5, s8
	s_sub_i32 s9, s8, s66
	s_cmp_ge_u32 s8, s66
	s_cselect_b32 s8, s9, s8
	s_sub_i32 s9, s8, s66
	s_cmp_ge_u32 s8, s66
	s_cselect_b32 s8, s9, s8
	s_sub_i32 s5, s5, s8
	v_cmp_gt_u32_e32 vcc, s5, v0
	s_mov_b64 s[76:77], 0
                                        ; implicit-def: $vgpr6_vgpr7
	s_and_saveexec_b64 s[58:59], vcc
	s_cbranch_execz .LBB78_381
; %bb.372:                              ;   in Loop: Header=BB78_15 Depth=1
	s_mov_b64 s[8:9], 0
	v_mov_b32_e32 v8, v36
	v_mov_b32_e32 v10, v0
                                        ; implicit-def: $sgpr76_sgpr77
	s_branch .LBB78_374
.LBB78_373:                             ;   in Loop: Header=BB78_374 Depth=2
	s_or_b64 exec, exec, s[18:19]
	s_waitcnt lgkmcnt(0)
	s_barrier
	ds_read_b128 v[4:7], v21 offset:3072
	v_add_u32_e32 v10, s66, v10
	v_cmp_le_u32_e64 s[18:19], s5, v10
	v_add_u32_e32 v8, s10, v8
	s_waitcnt lgkmcnt(0)
	v_cmp_neq_f64_e32 vcc, 0, v[4:5]
	s_or_b64 s[14:15], s[18:19], vcc
	s_and_b64 s[14:15], exec, s[14:15]
	s_or_b64 s[8:9], s[14:15], s[8:9]
	s_andn2_b64 s[14:15], s[76:77], exec
	s_and_b64 s[18:19], vcc, exec
	s_or_b64 s[76:77], s[14:15], s[18:19]
	s_barrier
	s_andn2_b64 exec, exec, s[8:9]
	s_cbranch_execz .LBB78_380
.LBB78_374:                             ;   Parent Loop BB78_15 Depth=1
                                        ; =>  This Inner Loop Header: Depth=2
	v_cmp_gt_u32_e32 vcc, s4, v10
	s_waitcnt vmcnt(0)
	v_pk_mov_b32 v[4:5], 0, 0
	s_and_saveexec_b64 s[18:19], vcc
	s_cbranch_execz .LBB78_376
; %bb.375:                              ;   in Loop: Header=BB78_374 Depth=2
	ds_read_b64 v[4:5], v8
.LBB78_376:                             ;   in Loop: Header=BB78_374 Depth=2
	s_or_b64 exec, exec, s[18:19]
	s_and_saveexec_b64 s[18:19], vcc
	s_cbranch_execz .LBB78_373
; %bb.377:                              ;   in Loop: Header=BB78_374 Depth=2
	s_waitcnt lgkmcnt(0)
	v_ashrrev_i32_e32 v2, 31, v5
	v_or_b32_e32 v6, 0x80000000, v2
	v_xor_b32_e32 v6, v6, v5
	v_xor_b32_e32 v2, v2, v4
	v_cmp_o_f64_e32 vcc, v[4:5], v[4:5]
	v_cndmask_b32_e32 v6, -1, v6, vcc
	v_cndmask_b32_e32 v2, -1, v2, vcc
	v_and_b32_e32 v7, v6, v29
	v_and_b32_e32 v6, v2, v28
	v_cmp_eq_u64_e32 vcc, v[6:7], v[26:27]
	s_and_b64 exec, exec, vcc
	s_cbranch_execz .LBB78_373
; %bb.378:                              ;   in Loop: Header=BB78_374 Depth=2
	v_mov_b32_e32 v2, v21
	ds_write_b128 v21, v[2:5] offset:3072
	s_branch .LBB78_373
.LBB78_379:                             ;   in Loop: Header=BB78_15 Depth=1
	s_mov_b64 s[18:19], -1
	s_mov_b64 s[76:77], 0
                                        ; implicit-def: $sgpr14_sgpr15
                                        ; implicit-def: $vgpr6_vgpr7
	s_branch .LBB78_382
.LBB78_380:                             ;   in Loop: Header=BB78_15 Depth=1
	s_or_b64 exec, exec, s[8:9]
	s_and_b64 s[76:77], s[76:77], exec
.LBB78_381:                             ;   in Loop: Header=BB78_15 Depth=1
	s_or_b64 exec, exec, s[58:59]
	s_mov_b64 s[18:19], 0
	s_mov_b64 s[14:15], -1
.LBB78_382:                             ;   in Loop: Header=BB78_15 Depth=1
	s_and_b64 vcc, exec, s[18:19]
	s_mov_b64 s[8:9], s[18:19]
	s_cbranch_vccz .LBB78_393
; %bb.383:                              ;   in Loop: Header=BB78_15 Depth=1
	s_mov_b64 s[76:77], 0
                                        ; implicit-def: $vgpr6_vgpr7
	s_mov_b64 s[8:9], exec
	v_readlane_b32 s4, v59, 47
	v_readlane_b32 s5, v59, 48
	v_writelane_b32 v59, s8, 52
	s_and_b64 s[4:5], s[8:9], s[4:5]
	v_writelane_b32 v59, s9, 53
	s_mov_b64 exec, s[4:5]
	s_cbranch_execz .LBB78_392
; %bb.384:                              ;   in Loop: Header=BB78_15 Depth=1
	s_mov_b64 s[8:9], 0
	v_mov_b32_e32 v20, v22
	v_mov_b32_e32 v8, v0
                                        ; implicit-def: $sgpr76_sgpr77
	s_branch .LBB78_386
.LBB78_385:                             ;   in Loop: Header=BB78_386 Depth=2
	s_or_b64 exec, exec, s[18:19]
	s_waitcnt lgkmcnt(0)
	s_barrier
	s_waitcnt vmcnt(0)
	ds_read_b128 v[4:7], v21 offset:3072
	v_add_u32_e32 v8, s66, v8
	v_cmp_le_u32_e64 s[18:19], s6, v8
	v_add_u32_e32 v20, s78, v20
	s_waitcnt lgkmcnt(0)
	v_cmp_neq_f64_e32 vcc, 0, v[4:5]
	s_or_b64 s[4:5], s[18:19], vcc
	s_and_b64 s[4:5], exec, s[4:5]
	s_or_b64 s[8:9], s[4:5], s[8:9]
	s_andn2_b64 s[4:5], s[76:77], exec
	s_and_b64 s[14:15], vcc, exec
	s_or_b64 s[76:77], s[4:5], s[14:15]
	s_barrier
	s_andn2_b64 exec, exec, s[8:9]
	s_cbranch_execz .LBB78_391
.LBB78_386:                             ;   Parent Loop BB78_15 Depth=1
                                        ; =>  This Inner Loop Header: Depth=2
	v_cmp_gt_u32_e32 vcc, s60, v8
	s_waitcnt vmcnt(0)
	v_pk_mov_b32 v[4:5], 0, 0
	s_and_saveexec_b64 s[58:59], vcc
	s_cbranch_execz .LBB78_388
; %bb.387:                              ;   in Loop: Header=BB78_386 Depth=2
	v_lshlrev_b64 v[4:5], 3, v[20:21]
	v_mov_b32_e32 v2, s64
	v_add_co_u32_e64 v4, s[18:19], s33, v4
	v_addc_co_u32_e64 v5, s[18:19], v2, v5, s[18:19]
	global_load_dwordx2 v[4:5], v[4:5], off
.LBB78_388:                             ;   in Loop: Header=BB78_386 Depth=2
	s_or_b64 exec, exec, s[58:59]
	s_and_saveexec_b64 s[18:19], vcc
	s_cbranch_execz .LBB78_385
; %bb.389:                              ;   in Loop: Header=BB78_386 Depth=2
	s_waitcnt vmcnt(0)
	v_ashrrev_i32_e32 v2, 31, v5
	v_or_b32_e32 v6, 0x80000000, v2
	v_xor_b32_e32 v6, v6, v5
	v_xor_b32_e32 v2, v2, v4
	v_cmp_o_f64_e32 vcc, v[4:5], v[4:5]
	v_cndmask_b32_e32 v6, -1, v6, vcc
	v_cndmask_b32_e32 v2, -1, v2, vcc
	v_and_b32_e32 v7, v6, v29
	v_and_b32_e32 v6, v2, v28
	v_cmp_eq_u64_e32 vcc, v[6:7], v[26:27]
	s_and_b64 exec, exec, vcc
	s_cbranch_execz .LBB78_385
; %bb.390:                              ;   in Loop: Header=BB78_386 Depth=2
	v_mov_b32_e32 v2, v21
	ds_write_b128 v21, v[2:5] offset:3072
	s_branch .LBB78_385
.LBB78_391:                             ;   in Loop: Header=BB78_15 Depth=1
	s_or_b64 exec, exec, s[8:9]
	s_and_b64 s[76:77], s[76:77], exec
.LBB78_392:                             ;   in Loop: Header=BB78_15 Depth=1
	v_readlane_b32 s4, v59, 52
	v_readlane_b32 s5, v59, 53
	s_or_b64 exec, exec, s[4:5]
	s_mov_b64 s[14:15], 0
	s_mov_b64 s[18:19], -1
	s_mov_b64 s[8:9], 0
.LBB78_393:                             ;   in Loop: Header=BB78_15 Depth=1
	s_orn2_b64 s[76:77], s[76:77], exec
.LBB78_394:                             ;   in Loop: Header=BB78_15 Depth=1
	v_readlane_b32 s4, v59, 50
	v_readlane_b32 s5, v59, 51
	s_or_b64 exec, exec, s[4:5]
	s_mov_b64 vcc, 0
                                        ; implicit-def: $vgpr2
                                        ; implicit-def: $vgpr4
	s_and_saveexec_b64 s[58:59], s[76:77]
	s_cbranch_execz .LBB78_406
; %bb.395:                              ;   in Loop: Header=BB78_15 Depth=1
	s_xor_b64 s[4:5], s[74:75], -1
	v_mov_b32_e32 v2, 1
	s_waitcnt vmcnt(0)
	v_mov_b32_e32 v4, 1
	s_and_saveexec_b64 s[76:77], s[4:5]
	s_cbranch_execz .LBB78_405
; %bb.396:                              ;   in Loop: Header=BB78_15 Depth=1
	v_writelane_b32 v59, s14, 54
	v_cmp_ge_u32_e32 vcc, s63, v9
	v_writelane_b32 v59, s15, 55
                                        ; implicit-def: $sgpr4
	s_and_saveexec_b64 s[14:15], vcc
	s_xor_b64 s[14:15], exec, s[14:15]
	s_cbranch_execz .LBB78_402
; %bb.397:                              ;   in Loop: Header=BB78_15 Depth=1
	ds_read_b32 v2, v21 offset:4096
	s_waitcnt lgkmcnt(0)
	v_cmp_ne_u32_e32 vcc, 0, v2
	s_cbranch_vccnz .LBB78_401
; %bb.398:                              ;   in Loop: Header=BB78_15 Depth=1
	s_mov_b64 vcc, exec
	v_readlane_b32 s4, v59, 5
	v_readlane_b32 s5, v59, 6
	s_and_b64 s[4:5], vcc, s[4:5]
	s_mov_b64 exec, s[4:5]
	s_cbranch_execz .LBB78_400
; %bb.399:                              ;   in Loop: Header=BB78_15 Depth=1
	v_mov_b32_e32 v2, s63
	ds_write_b32 v21, v2 offset:4100
.LBB78_400:                             ;   in Loop: Header=BB78_15 Depth=1
	s_or_b64 exec, exec, vcc
	s_waitcnt lgkmcnt(0)
	s_barrier
.LBB78_401:                             ;   in Loop: Header=BB78_15 Depth=1
	v_and_b32_e32 v27, s25, v27
	v_and_b32_e32 v26, s24, v26
	v_or_b32_e32 v29, s23, v29
	v_or_b32_e32 v28, s22, v28
	s_mov_b32 s4, 5
.LBB78_402:                             ;   in Loop: Header=BB78_15 Depth=1
	s_or_saveexec_b64 s[22:23], s[14:15]
	v_mov_b32_e32 v2, s4
	s_xor_b64 exec, exec, s[22:23]
; %bb.403:                              ;   in Loop: Header=BB78_15 Depth=1
	v_subrev_u32_e32 v9, s63, v9
	v_mov_b32_e32 v2, 5
; %bb.404:                              ;   in Loop: Header=BB78_15 Depth=1
	s_or_b64 exec, exec, s[22:23]
	v_readlane_b32 s14, v59, 54
	v_mov_b32_e32 v4, v9
	v_readlane_b32 s15, v59, 55
.LBB78_405:                             ;   in Loop: Header=BB78_15 Depth=1
	s_or_b64 exec, exec, s[76:77]
	s_mov_b64 vcc, exec
.LBB78_406:                             ;   in Loop: Header=BB78_15 Depth=1
	s_mov_b64 s[74:75], s[14:15]
	s_or_b64 exec, exec, s[58:59]
	s_orn2_b64 s[58:59], vcc, exec
	s_waitcnt vmcnt(0)
	v_mov_b32_e32 v9, v4
.LBB78_407:                             ;   in Loop: Header=BB78_15 Depth=1
	s_or_b64 exec, exec, s[56:57]
	s_andn2_b64 s[4:5], s[50:51], exec
	s_and_b64 s[14:15], s[18:19], exec
	s_or_b64 s[50:51], s[4:5], s[14:15]
	s_andn2_b64 s[4:5], s[52:53], exec
	s_and_b64 s[14:15], s[74:75], exec
	s_or_b64 s[52:53], s[4:5], s[14:15]
	;; [unrolled: 3-line block ×3, first 2 shown]
	s_and_b64 s[18:19], s[58:59], exec
	v_mov_b32_e32 v8, v9
.LBB78_408:                             ;   in Loop: Header=BB78_15 Depth=1
	s_or_b64 exec, exec, s[16:17]
	s_and_b64 s[56:57], s[50:51], exec
	s_and_b64 s[50:51], s[52:53], exec
	;; [unrolled: 1-line block ×3, first 2 shown]
	s_orn2_b64 s[8:9], s[18:19], exec
.LBB78_409:                             ;   in Loop: Header=BB78_15 Depth=1
	s_or_b64 exec, exec, s[48:49]
	s_andn2_b64 s[4:5], s[40:41], exec
	s_and_b64 s[14:15], s[56:57], exec
	s_or_b64 s[40:41], s[4:5], s[14:15]
	s_andn2_b64 s[4:5], s[42:43], exec
	s_and_b64 s[14:15], s[50:51], exec
	s_or_b64 s[42:43], s[4:5], s[14:15]
	;; [unrolled: 3-line block ×3, first 2 shown]
	s_and_b64 s[18:19], s[8:9], exec
	v_mov_b32_e32 v30, v8
.LBB78_410:                             ;   in Loop: Header=BB78_15 Depth=1
	s_or_b64 exec, exec, s[46:47]
	s_and_b64 s[40:41], s[40:41], exec
	s_and_b64 s[16:17], s[42:43], exec
	;; [unrolled: 1-line block ×3, first 2 shown]
	s_orn2_b64 s[42:43], s[18:19], exec
.LBB78_411:                             ;   in Loop: Header=BB78_15 Depth=1
	s_or_b64 exec, exec, s[34:35]
	s_mov_b64 s[18:19], s[28:29]
	s_mov_b64 s[22:23], s[20:21]
	s_and_saveexec_b64 s[24:25], s[42:43]
; %bb.412:                              ;   in Loop: Header=BB78_15 Depth=1
	v_cmp_ne_u32_e64 s[18:19], 5, v2
	v_cmp_eq_u32_e32 vcc, 5, v2
	s_andn2_b64 s[4:5], s[20:21], exec
	s_and_b64 s[14:15], s[18:19], exec
	s_or_b64 s[22:23], s[4:5], s[14:15]
	s_andn2_b64 s[4:5], s[28:29], exec
	s_and_b64 s[14:15], vcc, exec
	s_andn2_b64 s[40:41], s[40:41], exec
	s_andn2_b64 s[16:17], s[16:17], exec
	;; [unrolled: 1-line block ×3, first 2 shown]
	s_or_b64 s[18:19], s[4:5], s[14:15]
; %bb.413:                              ;   in Loop: Header=BB78_15 Depth=1
	s_or_b64 exec, exec, s[24:25]
	s_andn2_b64 s[4:5], s[36:37], exec
	s_and_b64 s[14:15], s[40:41], exec
	s_or_b64 s[36:37], s[4:5], s[14:15]
	s_andn2_b64 s[4:5], s[38:39], exec
	s_and_b64 s[14:15], s[16:17], exec
	s_or_b64 s[38:39], s[4:5], s[14:15]
	;; [unrolled: 3-line block ×5, first 2 shown]
	s_waitcnt vmcnt(0)
	v_pk_mov_b32 v[12:13], v[26:27], v[26:27] op_sel:[0,1]
	v_pk_mov_b32 v[14:15], v[28:29], v[28:29] op_sel:[0,1]
	;; [unrolled: 1-line block ×3, first 2 shown]
.LBB78_414:                             ;   in Loop: Header=BB78_15 Depth=1
	s_or_b64 exec, exec, s[30:31]
	s_mov_b64 s[34:35], s[26:27]
	s_mov_b64 s[30:31], s[26:27]
	s_and_saveexec_b64 s[8:9], s[28:29]
.LBB78_415:                             ;   in Loop: Header=BB78_15 Depth=1
	v_mov_b32_e32 v2, 0
	s_andn2_b64 s[26:27], s[26:27], exec
	s_andn2_b64 s[36:37], s[36:37], exec
	;; [unrolled: 1-line block ×5, first 2 shown]
	s_or_b64 s[20:21], s[20:21], exec
.LBB78_416:                             ;   in Loop: Header=BB78_15 Depth=1
	s_or_b64 exec, exec, s[8:9]
	s_andn2_b64 s[4:5], s[82:83], exec
	s_and_b64 s[8:9], s[26:27], exec
	s_or_b64 s[82:83], s[4:5], s[8:9]
	s_andn2_b64 s[4:5], s[80:81], exec
	s_and_b64 s[8:9], s[36:37], exec
	s_or_b64 s[80:81], s[4:5], s[8:9]
	;; [unrolled: 3-line block ×4, first 2 shown]
	s_andn2_b64 s[4:5], s[84:85], exec
	s_and_b64 s[8:9], s[30:31], exec
	s_mov_b64 s[16:17], -1
	s_or_b64 s[84:85], s[4:5], s[8:9]
                                        ; implicit-def: $vgpr28_vgpr29
                                        ; implicit-def: $vgpr26_vgpr27
                                        ; implicit-def: $vgpr47
                                        ; implicit-def: $vgpr6_vgpr7
	s_and_saveexec_b64 s[4:5], s[20:21]
	s_xor_b64 s[8:9], exec, s[4:5]
	s_cbranch_execz .LBB78_14
; %bb.417:                              ;   in Loop: Header=BB78_15 Depth=1
	v_cmp_eq_u32_e32 vcc, 0, v2
	s_mov_b64 s[18:19], -1
	s_and_saveexec_b64 s[20:21], vcc
	s_cbranch_execz .LBB78_13
; %bb.418:                              ;   in Loop: Header=BB78_15 Depth=1
	s_xor_b32 s62, s62, 1
	s_add_i32 s14, s11, -2
	s_cmp_eq_u32 s11, 0
	s_cselect_b64 s[4:5], -1, 0
	s_xor_b64 s[18:19], exec, -1
	s_orn2_b64 s[16:17], s[4:5], exec
	s_mov_b32 s11, s14
	s_branch .LBB78_13
.LBB78_419:
	s_or_b64 exec, exec, s[90:91]
	s_xor_b64 s[8:9], s[2:3], -1
	s_xor_b64 s[18:19], s[70:71], -1
	;; [unrolled: 1-line block ×5, first 2 shown]
	s_mov_b64 s[12:13], 0
	s_and_saveexec_b64 s[10:11], s[4:5]
	s_xor_b64 s[10:11], exec, s[10:11]
	s_cbranch_execnz .LBB78_424
; %bb.420:
	s_andn2_saveexec_b64 s[0:1], s[10:11]
	s_cbranch_execnz .LBB78_443
.LBB78_421:
	s_or_b64 exec, exec, s[0:1]
	s_and_saveexec_b64 s[0:1], s[12:13]
.LBB78_422:
	; divergent unreachable
.LBB78_423:
	s_endpgm
.LBB78_424:
	s_mov_b64 s[14:15], 0
	s_and_saveexec_b64 s[4:5], s[16:17]
	s_xor_b64 s[12:13], exec, s[4:5]
	s_cbranch_execz .LBB78_441
; %bb.425:
	s_mov_b64 s[16:17], 0
	s_and_saveexec_b64 s[4:5], s[18:19]
	s_xor_b64 s[14:15], exec, s[4:5]
	s_cbranch_execz .LBB78_439
; %bb.426:
	;; [unrolled: 5-line block ×3, first 2 shown]
	s_and_saveexec_b64 s[4:5], s[2:3]
	s_xor_b64 s[2:3], exec, s[4:5]
	s_cbranch_execz .LBB78_429
; %bb.428:
	s_waitcnt vmcnt(0)
	v_lshrrev_b32_e32 v1, 31, v13
	v_add_co_u32_e32 v1, vcc, -1, v1
	v_addc_co_u32_e64 v2, s[4:5], 0, -1, vcc
	v_or_b32_e32 v2, 0x80000000, v2
	v_xor_b32_e32 v11, v2, v13
	v_xor_b32_e32 v10, v1, v12
.LBB78_429:
	s_or_b64 exec, exec, s[2:3]
	s_mov_b64 s[2:3], exec
	v_readlane_b32 s4, v59, 5
	v_readlane_b32 s5, v59, 6
	;; [unrolled: 1-line block ×4, first 2 shown]
	s_and_b64 s[4:5], s[2:3], s[4:5]
	v_readlane_b32 s9, v59, 8
	v_readlane_b32 s20, v59, 49
	;; [unrolled: 1-line block ×3, first 2 shown]
	s_mov_b64 exec, s[4:5]
	s_cbranch_execz .LBB78_431
; %bb.430:
	v_mov_b32_e32 v1, 0
	ds_write_b32 v1, v1 offset:4108
.LBB78_431:
	s_or_b64 exec, exec, s[2:3]
	v_pk_mov_b32 v[8:9], 0, 0
	s_waitcnt lgkmcnt(0)
	s_barrier
	s_mov_b64 s[2:3], exec
	v_readlane_b32 s4, v59, 27
	v_readlane_b32 s5, v59, 28
	s_and_b64 s[4:5], s[2:3], s[4:5]
	s_mov_b64 exec, s[4:5]
	s_cbranch_execz .LBB78_433
; %bb.432:
	global_load_dwordx2 v[8:9], v[18:19], off
.LBB78_433:
	s_or_b64 exec, exec, s[2:3]
	v_readlane_b32 s2, v59, 0
	v_readlane_b32 s3, v59, 9
	s_mul_i32 s2, s2, s7
	s_mul_i32 s3, s3, s79
	s_add_i32 s40, s60, 63
	s_add_i32 s2, s2, s65
	;; [unrolled: 1-line block ×3, first 2 shown]
	s_mov_b32 s3, 0
	s_andn2_b32 s40, s40, 63
	v_ashrrev_i32_e32 v1, 31, v11
	s_lshl_b64 s[6:7], s[2:3], 3
	v_readlane_b32 s18, v59, 1
	s_load_dword s45, s[8:9], 0x1c8
	s_load_dword s46, s[8:9], 0x2a8
	v_or_b32_e32 v2, 0x80000000, v1
	v_readlane_b32 s19, v59, 2
	s_add_u32 s41, s18, s6
	s_mov_b32 s5, s3
	v_xor_b32_e32 v2, v2, v11
	v_xor_b32_e32 v1, v1, v10
	v_cmp_o_f64_e32 vcc, v[10:11], v[10:11]
	s_addc_u32 s42, s19, s7
	s_lshl_b64 s[2:3], s[4:5], 3
	v_readlane_b32 s4, v59, 3
	v_cndmask_b32_e32 v3, -1, v2, vcc
	v_cndmask_b32_e32 v2, -1, v1, vcc
	v_readlane_b32 s5, v59, 4
	s_add_u32 s43, s4, s2
	v_add_u32_e32 v1, s66, v0
	s_addc_u32 s44, s5, s3
	v_cmp_gt_u32_e32 vcc, s40, v0
	s_mov_b64 s[18:19], -1
	s_mov_b64 s[2:3], 0
	s_waitcnt vmcnt(0)
	v_mul_lo_u32 v4, s20, v1
	s_mov_b64 s[4:5], 0
	s_and_saveexec_b64 s[8:9], vcc
	s_cbranch_execnz .LBB78_444
; %bb.434:
	s_or_b64 exec, exec, s[8:9]
	s_and_saveexec_b64 s[8:9], s[18:19]
	s_cbranch_execnz .LBB78_461
.LBB78_435:
	s_or_b64 exec, exec, s[8:9]
	s_and_saveexec_b64 s[0:1], s[4:5]
	s_xor_b64 s[0:1], exec, s[0:1]
	s_cbranch_execnz .LBB78_485
.LBB78_436:
	s_or_b64 exec, exec, s[0:1]
	s_and_b64 s[18:19], s[2:3], exec
.LBB78_437:
	s_andn2_saveexec_b64 s[0:1], s[16:17]
	s_cbranch_execnz .LBB78_488
.LBB78_438:
	s_or_b64 exec, exec, s[0:1]
	s_and_b64 s[16:17], s[18:19], exec
.LBB78_439:
	s_andn2_saveexec_b64 s[0:1], s[14:15]
	s_cbranch_execnz .LBB78_487
.LBB78_440:
	s_or_b64 exec, exec, s[0:1]
	s_and_b64 s[14:15], s[16:17], exec
.LBB78_441:
	s_andn2_saveexec_b64 s[0:1], s[12:13]
	s_cbranch_execnz .LBB78_486
.LBB78_442:
	s_or_b64 exec, exec, s[0:1]
	s_and_b64 s[12:13], s[14:15], exec
	s_andn2_saveexec_b64 s[0:1], s[10:11]
	s_cbranch_execz .LBB78_421
.LBB78_443:
	s_or_b64 s[12:13], s[12:13], exec
	s_trap 2
	s_or_b64 exec, exec, s[0:1]
	s_and_saveexec_b64 s[0:1], s[12:13]
	s_cbranch_execnz .LBB78_422
	s_branch .LBB78_423
.LBB78_444:
	v_mul_lo_u32 v6, s20, v1
	s_mov_b64 s[18:19], 0
	v_mov_b32_e32 v7, 0
	v_mov_b32_e32 v12, v0
                                        ; implicit-def: $sgpr20_sgpr21
                                        ; implicit-def: $vgpr5
	s_branch .LBB78_446
.LBB78_445:                             ;   in Loop: Header=BB78_446 Depth=1
	s_or_b64 exec, exec, s[22:23]
	s_xor_b64 s[6:7], s[26:27], -1
	s_and_b64 s[4:5], exec, s[4:5]
	s_or_b64 s[18:19], s[4:5], s[18:19]
	s_andn2_b64 s[4:5], s[20:21], exec
	s_and_b64 s[6:7], s[6:7], exec
	s_or_b64 s[20:21], s[4:5], s[6:7]
	s_waitcnt vmcnt(0)
	v_pk_mov_b32 v[8:9], v[10:11], v[10:11] op_sel:[0,1]
	v_mov_b32_e32 v12, v1
	s_andn2_b64 exec, exec, s[18:19]
	s_cbranch_execz .LBB78_460
.LBB78_446:                             ; =>This Inner Loop Header: Depth=1
	v_add_u32_e32 v1, s66, v12
	v_cmp_gt_u32_e32 vcc, s60, v1
	v_pk_mov_b32 v[10:11], 0, 0
	s_and_saveexec_b64 s[4:5], vcc
	s_cbranch_execz .LBB78_448
; %bb.447:                              ;   in Loop: Header=BB78_446 Depth=1
	v_lshlrev_b64 v[10:11], 3, v[6:7]
	v_mov_b32_e32 v13, s64
	v_add_co_u32_e32 v10, vcc, s33, v10
	v_addc_co_u32_e32 v11, vcc, v13, v11, vcc
	global_load_dwordx2 v[10:11], v[10:11], off
.LBB78_448:                             ;   in Loop: Header=BB78_446 Depth=1
	s_or_b64 exec, exec, s[4:5]
	v_cmp_gt_u32_e32 vcc, s60, v12
	s_mov_b64 s[22:23], 0
	s_and_saveexec_b64 s[4:5], vcc
	s_cbranch_execz .LBB78_450
; %bb.449:                              ;   in Loop: Header=BB78_446 Depth=1
	v_ashrrev_i32_e32 v13, 31, v9
	v_or_b32_e32 v14, 0x80000000, v13
	v_xor_b32_e32 v14, v14, v9
	v_xor_b32_e32 v13, v13, v8
	v_cmp_o_f64_e32 vcc, v[8:9], v[8:9]
	v_cndmask_b32_e32 v15, -1, v14, vcc
	v_cndmask_b32_e32 v14, -1, v13, vcc
	v_cmp_gt_u64_e32 vcc, v[14:15], v[2:3]
	v_cndmask_b32_e64 v13, 0, 1, vcc
	v_cmp_lt_u64_e32 vcc, v[14:15], v[2:3]
	v_cndmask_b32_e64 v14, 0, 1, vcc
	v_cndmask_b32_e64 v13, v14, v13, s[30:31]
	v_and_b32_e32 v13, 1, v13
	v_cmp_eq_u32_e32 vcc, 1, v13
	s_and_b64 s[22:23], vcc, exec
.LBB78_450:                             ;   in Loop: Header=BB78_446 Depth=1
	s_or_b64 exec, exec, s[4:5]
	v_cndmask_b32_e64 v13, 0, 1, s[22:23]
	v_cmp_ne_u32_e32 vcc, 0, v13
	s_cmp_lg_u64 vcc, 0
	s_cselect_b64 s[4:5], -1, 0
	s_and_b64 s[4:5], s[0:1], s[4:5]
	s_and_saveexec_b64 s[24:25], s[4:5]
	s_cbranch_execz .LBB78_454
; %bb.451:                              ;   in Loop: Header=BB78_446 Depth=1
	s_mov_b64 s[28:29], exec
	s_waitcnt lgkmcnt(0)
	v_mbcnt_lo_u32_b32 v5, s28, 0
	v_mbcnt_hi_u32_b32 v5, s29, v5
	s_bcnt1_i32_b64 s6, vcc
	v_cmp_eq_u32_e64 s[4:5], 0, v5
                                        ; implicit-def: $vgpr13
	s_and_saveexec_b64 s[26:27], s[4:5]
	s_cbranch_execz .LBB78_453
; %bb.452:                              ;   in Loop: Header=BB78_446 Depth=1
	s_bcnt1_i32_b64 s4, s[28:29]
	s_mul_i32 s4, s6, s4
	v_mov_b32_e32 v13, s4
	ds_add_rtn_u32 v13, v7, v13 offset:4108
.LBB78_453:                             ;   in Loop: Header=BB78_446 Depth=1
	s_or_b64 exec, exec, s[26:27]
	s_waitcnt lgkmcnt(0)
	v_readfirstlane_b32 s4, v13
	v_mov_b32_e32 v13, s4
	v_mad_u32_u24 v5, s6, v5, v13
.LBB78_454:                             ;   in Loop: Header=BB78_446 Depth=1
	s_or_b64 exec, exec, s[24:25]
	s_waitcnt lgkmcnt(0)
	ds_bpermute_b32 v5, v23, v5
	s_mov_b64 s[4:5], -1
	s_mov_b64 s[28:29], -1
                                        ; implicit-def: $sgpr26_sgpr27
	s_and_saveexec_b64 s[24:25], s[22:23]
	s_cbranch_execz .LBB78_458
; %bb.455:                              ;   in Loop: Header=BB78_446 Depth=1
	v_and_b32_e32 v14, vcc_lo, v16
	v_and_b32_e32 v13, vcc_hi, v17
	v_bcnt_u32_b32 v14, v14, 0
	v_bcnt_u32_b32 v13, v13, v14
	s_waitcnt lgkmcnt(0)
	v_add_u32_e32 v13, v5, v13
	v_cmp_gt_u32_e32 vcc, s61, v13
	s_mov_b64 s[22:23], 0
	s_and_saveexec_b64 s[26:27], vcc
	s_cbranch_execz .LBB78_457
; %bb.456:                              ;   in Loop: Header=BB78_446 Depth=1
	v_mul_lo_u32 v14, v13, s45
	v_mov_b32_e32 v15, v7
	v_lshlrev_b64 v[14:15], 3, v[14:15]
	v_mul_lo_u32 v20, v13, s46
	v_mov_b32_e32 v13, s42
	v_add_co_u32_e32 v14, vcc, s41, v14
	v_addc_co_u32_e32 v15, vcc, v13, v15, vcc
	v_mov_b32_e32 v21, v7
	global_store_dwordx2 v[14:15], v[8:9], off
	v_lshlrev_b64 v[8:9], 3, v[20:21]
	v_mov_b32_e32 v14, s44
	v_add_co_u32_e32 v8, vcc, s43, v8
	s_mov_b64 s[22:23], exec
	v_mov_b32_e32 v13, v7
	v_addc_co_u32_e32 v9, vcc, v14, v9, vcc
	global_store_dwordx2 v[8:9], v[12:13], off
.LBB78_457:                             ;   in Loop: Header=BB78_446 Depth=1
	s_or_b64 exec, exec, s[26:27]
	s_mov_b64 s[26:27], -1
	s_orn2_b64 s[28:29], s[22:23], exec
.LBB78_458:                             ;   in Loop: Header=BB78_446 Depth=1
	s_or_b64 exec, exec, s[24:25]
	s_and_saveexec_b64 s[22:23], s[28:29]
	s_cbranch_execz .LBB78_445
; %bb.459:                              ;   in Loop: Header=BB78_446 Depth=1
	v_cmp_le_u32_e32 vcc, s40, v1
	v_add_u32_e32 v6, s78, v6
	s_andn2_b64 s[26:27], s[26:27], exec
	s_orn2_b64 s[4:5], vcc, exec
	s_branch .LBB78_445
.LBB78_460:
	s_or_b64 exec, exec, s[18:19]
	s_mov_b64 s[4:5], exec
	s_orn2_b64 s[18:19], s[20:21], exec
	s_or_b64 exec, exec, s[8:9]
	s_and_saveexec_b64 s[8:9], s[18:19]
	s_cbranch_execz .LBB78_435
.LBB78_461:
	v_pk_mov_b32 v[6:7], 0, 0
	s_waitcnt lgkmcnt(0)
	s_barrier
	s_mov_b64 s[2:3], exec
	v_readlane_b32 s6, v59, 27
	v_readlane_b32 s7, v59, 28
	s_and_b64 s[6:7], s[2:3], s[6:7]
	s_mov_b64 exec, s[6:7]
	s_cbranch_execz .LBB78_463
; %bb.462:
	global_load_dwordx2 v[6:7], v[18:19], off
.LBB78_463:
	s_or_b64 exec, exec, s[2:3]
	s_mov_b64 s[6:7], 0
	v_mov_b32_e32 v5, 0
                                        ; implicit-def: $sgpr18_sgpr19
                                        ; implicit-def: $sgpr20_sgpr21
                                        ; implicit-def: $sgpr22_sgpr23
                                        ; implicit-def: $vgpr12
	s_branch .LBB78_466
.LBB78_464:                             ;   in Loop: Header=BB78_466 Depth=1
	s_or_b64 exec, exec, s[28:29]
	s_andn2_b64 s[22:23], s[22:23], exec
	s_and_b64 s[26:27], s[34:35], exec
	s_andn2_b64 s[20:21], s[20:21], exec
	s_and_b64 s[2:3], s[2:3], exec
	s_or_b64 s[22:23], s[22:23], s[26:27]
	s_or_b64 s[20:21], s[20:21], s[2:3]
	v_mov_b32_e32 v0, v13
	v_pk_mov_b32 v[6:7], v[10:11], v[10:11] op_sel:[0,1]
.LBB78_465:                             ;   in Loop: Header=BB78_466 Depth=1
	s_or_b64 exec, exec, s[24:25]
	s_xor_b64 s[2:3], s[22:23], -1
	s_and_b64 s[24:25], exec, s[20:21]
	s_or_b64 s[6:7], s[24:25], s[6:7]
	s_andn2_b64 s[18:19], s[18:19], exec
	s_and_b64 s[2:3], s[2:3], exec
	s_or_b64 s[18:19], s[18:19], s[2:3]
	s_andn2_b64 exec, exec, s[6:7]
	s_cbranch_execz .LBB78_483
.LBB78_466:                             ; =>This Inner Loop Header: Depth=1
	v_cmp_gt_u32_e32 vcc, s40, v0
	s_or_b64 s[22:23], s[22:23], exec
	s_or_b64 s[20:21], s[20:21], exec
	s_and_saveexec_b64 s[24:25], vcc
	s_cbranch_execz .LBB78_465
; %bb.467:                              ;   in Loop: Header=BB78_466 Depth=1
	v_add_u32_e32 v13, s66, v0
	v_cmp_gt_u32_e32 vcc, s60, v13
	v_pk_mov_b32 v[8:9], 0, 0
	s_and_saveexec_b64 s[2:3], vcc
	s_cbranch_execz .LBB78_469
; %bb.468:                              ;   in Loop: Header=BB78_466 Depth=1
	v_lshlrev_b64 v[8:9], 3, v[4:5]
	v_mov_b32_e32 v1, s64
	v_add_co_u32_e32 v8, vcc, s33, v8
	v_addc_co_u32_e32 v9, vcc, v1, v9, vcc
	global_load_dwordx2 v[8:9], v[8:9], off
.LBB78_469:                             ;   in Loop: Header=BB78_466 Depth=1
	s_or_b64 exec, exec, s[2:3]
	v_cmp_gt_u32_e32 vcc, s60, v0
	s_mov_b64 s[28:29], 0
	s_and_saveexec_b64 s[2:3], vcc
	s_cbranch_execz .LBB78_471
; %bb.470:                              ;   in Loop: Header=BB78_466 Depth=1
	s_waitcnt vmcnt(0)
	v_ashrrev_i32_e32 v1, 31, v7
	v_or_b32_e32 v10, 0x80000000, v1
	v_xor_b32_e32 v10, v10, v7
	v_xor_b32_e32 v1, v1, v6
	v_cmp_o_f64_e32 vcc, v[6:7], v[6:7]
	v_cndmask_b32_e32 v11, -1, v10, vcc
	v_cndmask_b32_e32 v10, -1, v1, vcc
	v_cmp_eq_u64_e32 vcc, v[10:11], v[2:3]
	s_and_b64 s[28:29], vcc, exec
.LBB78_471:                             ;   in Loop: Header=BB78_466 Depth=1
	s_or_b64 exec, exec, s[2:3]
	v_cndmask_b32_e64 v1, 0, 1, s[28:29]
	v_cmp_ne_u32_e32 vcc, 0, v1
	s_cmp_lg_u64 vcc, 0
	s_cselect_b64 s[2:3], -1, 0
	s_and_b64 s[2:3], s[0:1], s[2:3]
	s_and_saveexec_b64 s[26:27], s[2:3]
	s_cbranch_execz .LBB78_475
; %bb.472:                              ;   in Loop: Header=BB78_466 Depth=1
	s_mov_b64 s[34:35], exec
	v_mbcnt_lo_u32_b32 v1, s34, 0
	v_mbcnt_hi_u32_b32 v1, s35, v1
	s_bcnt1_i32_b64 s36, vcc
	v_cmp_eq_u32_e64 s[2:3], 0, v1
                                        ; implicit-def: $vgpr10
	s_and_saveexec_b64 s[30:31], s[2:3]
	s_cbranch_execz .LBB78_474
; %bb.473:                              ;   in Loop: Header=BB78_466 Depth=1
	s_bcnt1_i32_b64 s2, s[34:35]
	s_mul_i32 s2, s36, s2
	v_mov_b32_e32 v10, s2
	ds_add_rtn_u32 v10, v5, v10 offset:4108
.LBB78_474:                             ;   in Loop: Header=BB78_466 Depth=1
	s_or_b64 exec, exec, s[30:31]
	s_waitcnt lgkmcnt(0)
	v_readfirstlane_b32 s2, v10
	v_mov_b32_e32 v10, s2
	v_mad_u32_u24 v12, s36, v1, v10
.LBB78_475:                             ;   in Loop: Header=BB78_466 Depth=1
	s_or_b64 exec, exec, s[26:27]
	ds_bpermute_b32 v12, v23, v12
	s_cmp_eq_u64 vcc, 0
	s_cselect_b64 s[26:27], -1, 0
	s_mov_b64 s[30:31], -1
	s_mov_b64 s[34:35], -1
	s_waitcnt lgkmcnt(0)
	v_cmp_gt_u32_e64 s[2:3], s61, v12
	s_or_b64 s[26:27], s[26:27], s[2:3]
	s_waitcnt vmcnt(0)
	v_cndmask_b32_e64 v11, v7, v9, s[26:27]
	s_and_b64 s[36:37], s[28:29], s[26:27]
	v_cndmask_b32_e64 v10, v6, v8, s[26:27]
	s_mov_b64 s[2:3], -1
	s_and_saveexec_b64 s[28:29], s[36:37]
	s_cbranch_execz .LBB78_481
; %bb.476:                              ;   in Loop: Header=BB78_466 Depth=1
	v_and_b32_e32 v10, vcc_lo, v16
	v_and_b32_e32 v1, vcc_hi, v17
	v_bcnt_u32_b32 v10, v10, 0
	v_bcnt_u32_b32 v1, v1, v10
	v_sub_u32_e32 v10, s61, v12
	v_cmp_le_u32_e64 s[30:31], v10, v1
	v_cmp_gt_u32_e32 vcc, v10, v1
	s_mov_b64 s[36:37], -1
	s_and_saveexec_b64 s[34:35], vcc
	s_cbranch_execz .LBB78_480
; %bb.477:                              ;   in Loop: Header=BB78_466 Depth=1
	v_add_u32_e32 v1, v12, v1
	v_cmp_gt_u32_e32 vcc, s61, v1
	s_mov_b64 s[38:39], s[30:31]
	s_and_saveexec_b64 s[36:37], vcc
	s_cbranch_execz .LBB78_479
; %bb.478:                              ;   in Loop: Header=BB78_466 Depth=1
	v_mul_lo_u32 v10, v1, s45
	v_mov_b32_e32 v11, v5
	v_lshlrev_b64 v[10:11], 3, v[10:11]
	v_mul_lo_u32 v14, v1, s46
	v_mov_b32_e32 v1, s42
	v_add_co_u32_e32 v10, vcc, s41, v10
	v_addc_co_u32_e32 v11, vcc, v1, v11, vcc
	v_mov_b32_e32 v15, v5
	global_store_dwordx2 v[10:11], v[6:7], off
	v_lshlrev_b64 v[6:7], 3, v[14:15]
	v_mov_b32_e32 v10, s44
	v_add_co_u32_e32 v6, vcc, s43, v6
	v_mov_b32_e32 v1, v5
	v_addc_co_u32_e32 v7, vcc, v10, v7, vcc
	s_or_b64 s[38:39], s[30:31], exec
	global_store_dwordx2 v[6:7], v[0:1], off
.LBB78_479:                             ;   in Loop: Header=BB78_466 Depth=1
	s_or_b64 exec, exec, s[36:37]
	s_andn2_b64 s[30:31], s[30:31], exec
	s_and_b64 s[38:39], s[38:39], exec
	s_xor_b64 s[36:37], exec, -1
	s_or_b64 s[30:31], s[30:31], s[38:39]
.LBB78_480:                             ;   in Loop: Header=BB78_466 Depth=1
	s_or_b64 exec, exec, s[34:35]
	s_orn2_b64 s[34:35], s[36:37], exec
	s_or_b64 s[26:27], s[26:27], exec
	s_orn2_b64 s[30:31], s[30:31], exec
	v_pk_mov_b32 v[10:11], v[8:9], v[8:9] op_sel:[0,1]
.LBB78_481:                             ;   in Loop: Header=BB78_466 Depth=1
	s_or_b64 exec, exec, s[28:29]
	s_and_saveexec_b64 s[28:29], s[30:31]
	s_cbranch_execz .LBB78_464
; %bb.482:                              ;   in Loop: Header=BB78_466 Depth=1
	s_xor_b64 s[2:3], s[26:27], -1
	v_add_u32_e32 v4, s78, v4
	s_or_b64 s[34:35], s[34:35], exec
	s_orn2_b64 s[2:3], s[2:3], exec
	s_branch .LBB78_464
.LBB78_483:
	s_or_b64 exec, exec, s[6:7]
	s_mov_b64 s[0:1], 0
	s_and_saveexec_b64 s[2:3], s[18:19]
	s_xor_b64 s[2:3], exec, s[2:3]
	s_cbranch_execnz .LBB78_489
.LBB78_484:
	s_or_b64 exec, exec, s[2:3]
	s_and_b64 s[2:3], s[0:1], exec
	s_andn2_b64 s[4:5], s[4:5], exec
	s_or_b64 exec, exec, s[8:9]
	s_and_saveexec_b64 s[0:1], s[4:5]
	s_xor_b64 s[0:1], exec, s[0:1]
	s_cbranch_execz .LBB78_436
.LBB78_485:
	s_or_b64 s[2:3], s[2:3], exec
	s_trap 2
	s_branch .LBB78_436
.LBB78_486:
	s_or_b64 s[14:15], s[14:15], exec
	s_trap 2
	s_branch .LBB78_442
.LBB78_487:
	s_or_b64 s[16:17], s[16:17], exec
	s_trap 2
	s_branch .LBB78_440
.LBB78_488:
	s_trap 2
	s_or_b64 s[18:19], s[18:19], exec
	s_branch .LBB78_438
.LBB78_489:
	s_mov_b64 s[0:1], exec
	s_trap 2
	s_branch .LBB78_484
	.section	.rodata,"a",@progbits
	.p2align	6, 0x0
	.amdhsa_kernel _ZN2at6native6sbtopk10gatherTopKIdjLin1ELb0EEEvNS_4cuda6detail10TensorInfoIKT_T0_EES8_S8_bS8_S8_NS5_IS6_S8_EES8_NS5_IlS8_EES8_PS6_
		.amdhsa_group_segment_fixed_size 4112
		.amdhsa_private_segment_fixed_size 0
		.amdhsa_kernarg_size 952
		.amdhsa_user_sgpr_count 6
		.amdhsa_user_sgpr_private_segment_buffer 1
		.amdhsa_user_sgpr_dispatch_ptr 0
		.amdhsa_user_sgpr_queue_ptr 0
		.amdhsa_user_sgpr_kernarg_segment_ptr 1
		.amdhsa_user_sgpr_dispatch_id 0
		.amdhsa_user_sgpr_flat_scratch_init 0
		.amdhsa_user_sgpr_kernarg_preload_length 0
		.amdhsa_user_sgpr_kernarg_preload_offset 0
		.amdhsa_user_sgpr_private_segment_size 0
		.amdhsa_uses_dynamic_stack 0
		.amdhsa_system_sgpr_private_segment_wavefront_offset 0
		.amdhsa_system_sgpr_workgroup_id_x 1
		.amdhsa_system_sgpr_workgroup_id_y 1
		.amdhsa_system_sgpr_workgroup_id_z 1
		.amdhsa_system_sgpr_workgroup_info 0
		.amdhsa_system_vgpr_workitem_id 0
		.amdhsa_next_free_vgpr 60
		.amdhsa_next_free_sgpr 96
		.amdhsa_accum_offset 60
		.amdhsa_reserve_vcc 1
		.amdhsa_reserve_flat_scratch 0
		.amdhsa_float_round_mode_32 0
		.amdhsa_float_round_mode_16_64 0
		.amdhsa_float_denorm_mode_32 3
		.amdhsa_float_denorm_mode_16_64 3
		.amdhsa_dx10_clamp 1
		.amdhsa_ieee_mode 1
		.amdhsa_fp16_overflow 0
		.amdhsa_tg_split 0
		.amdhsa_exception_fp_ieee_invalid_op 0
		.amdhsa_exception_fp_denorm_src 0
		.amdhsa_exception_fp_ieee_div_zero 0
		.amdhsa_exception_fp_ieee_overflow 0
		.amdhsa_exception_fp_ieee_underflow 0
		.amdhsa_exception_fp_ieee_inexact 0
		.amdhsa_exception_int_div_zero 0
	.end_amdhsa_kernel
	.section	.text._ZN2at6native6sbtopk10gatherTopKIdjLin1ELb0EEEvNS_4cuda6detail10TensorInfoIKT_T0_EES8_S8_bS8_S8_NS5_IS6_S8_EES8_NS5_IlS8_EES8_PS6_,"axG",@progbits,_ZN2at6native6sbtopk10gatherTopKIdjLin1ELb0EEEvNS_4cuda6detail10TensorInfoIKT_T0_EES8_S8_bS8_S8_NS5_IS6_S8_EES8_NS5_IlS8_EES8_PS6_,comdat
.Lfunc_end78:
	.size	_ZN2at6native6sbtopk10gatherTopKIdjLin1ELb0EEEvNS_4cuda6detail10TensorInfoIKT_T0_EES8_S8_bS8_S8_NS5_IS6_S8_EES8_NS5_IlS8_EES8_PS6_, .Lfunc_end78-_ZN2at6native6sbtopk10gatherTopKIdjLin1ELb0EEEvNS_4cuda6detail10TensorInfoIKT_T0_EES8_S8_bS8_S8_NS5_IS6_S8_EES8_NS5_IlS8_EES8_PS6_
                                        ; -- End function
	.section	.AMDGPU.csdata,"",@progbits
; Kernel info:
; codeLenInByte = 17944
; NumSgprs: 100
; NumVgprs: 60
; NumAgprs: 0
; TotalNumVgprs: 60
; ScratchSize: 0
; MemoryBound: 0
; FloatMode: 240
; IeeeMode: 1
; LDSByteSize: 4112 bytes/workgroup (compile time only)
; SGPRBlocks: 12
; VGPRBlocks: 7
; NumSGPRsForWavesPerEU: 100
; NumVGPRsForWavesPerEU: 60
; AccumOffset: 60
; Occupancy: 8
; WaveLimiterHint : 1
; COMPUTE_PGM_RSRC2:SCRATCH_EN: 0
; COMPUTE_PGM_RSRC2:USER_SGPR: 6
; COMPUTE_PGM_RSRC2:TRAP_HANDLER: 0
; COMPUTE_PGM_RSRC2:TGID_X_EN: 1
; COMPUTE_PGM_RSRC2:TGID_Y_EN: 1
; COMPUTE_PGM_RSRC2:TGID_Z_EN: 1
; COMPUTE_PGM_RSRC2:TIDIG_COMP_CNT: 0
; COMPUTE_PGM_RSRC3_GFX90A:ACCUM_OFFSET: 14
; COMPUTE_PGM_RSRC3_GFX90A:TG_SPLIT: 0
	.section	.text._ZN2at6native6mbtopk23computeBlockDigitCountsIfjjLi1EEEvNS_4cuda6detail10TensorInfoIKT_T0_EEjPjjS8_iijT1_PSB_Ps,"axG",@progbits,_ZN2at6native6mbtopk23computeBlockDigitCountsIfjjLi1EEEvNS_4cuda6detail10TensorInfoIKT_T0_EEjPjjS8_iijT1_PSB_Ps,comdat
	.protected	_ZN2at6native6mbtopk23computeBlockDigitCountsIfjjLi1EEEvNS_4cuda6detail10TensorInfoIKT_T0_EEjPjjS8_iijT1_PSB_Ps ; -- Begin function _ZN2at6native6mbtopk23computeBlockDigitCountsIfjjLi1EEEvNS_4cuda6detail10TensorInfoIKT_T0_EEjPjjS8_iijT1_PSB_Ps
	.globl	_ZN2at6native6mbtopk23computeBlockDigitCountsIfjjLi1EEEvNS_4cuda6detail10TensorInfoIKT_T0_EEjPjjS8_iijT1_PSB_Ps
	.p2align	8
	.type	_ZN2at6native6mbtopk23computeBlockDigitCountsIfjjLi1EEEvNS_4cuda6detail10TensorInfoIKT_T0_EEjPjjS8_iijT1_PSB_Ps,@function
_ZN2at6native6mbtopk23computeBlockDigitCountsIfjjLi1EEEvNS_4cuda6detail10TensorInfoIKT_T0_EEjPjjS8_iijT1_PSB_Ps: ; @_ZN2at6native6mbtopk23computeBlockDigitCountsIfjjLi1EEEvNS_4cuda6detail10TensorInfoIKT_T0_EEjPjjS8_iijT1_PSB_Ps
; %bb.0:
	s_load_dwordx2 s[10:11], s[4:5], 0xf8
	s_load_dwordx4 s[12:15], s[4:5], 0xe8
	s_load_dwordx2 s[0:1], s[4:5], 0x110
	s_waitcnt lgkmcnt(0)
	v_cvt_f32_u32_e32 v1, s10
	s_sub_i32 s2, 0, s10
	s_mul_i32 s1, s1, s8
	s_add_i32 s1, s1, s7
	v_rcp_iflag_f32_e32 v1, v1
	s_mul_i32 s16, s1, s0
	s_add_i32 s16, s16, s6
	s_mov_b32 s7, 0
	v_mul_f32_e32 v1, 0x4f7ffffe, v1
	v_cvt_u32_f32_e32 v1, v1
	v_readfirstlane_b32 s0, v1
	s_mul_i32 s2, s2, s0
	s_mul_hi_u32 s1, s0, s2
	s_add_i32 s0, s0, s1
	s_mul_hi_u32 s0, s16, s0
	s_mul_i32 s1, s0, s10
	s_sub_i32 s1, s16, s1
	s_add_i32 s2, s0, 1
	s_sub_i32 s3, s1, s10
	s_cmp_ge_u32 s1, s10
	s_cselect_b32 s0, s2, s0
	s_cselect_b32 s1, s3, s1
	s_add_i32 s2, s0, 1
	s_cmp_ge_u32 s1, s10
	s_cselect_b32 s6, s2, s0
	s_cmp_ge_u32 s6, s12
	s_cbranch_scc1 .LBB79_29
; %bb.1:
	s_load_dwordx4 s[0:3], s[4:5], 0x100
	s_lshl_b64 s[8:9], s[6:7], 2
	s_movk_i32 s7, 0x100
	v_cmp_gt_u32_e32 vcc, s7, v0
	v_lshlrev_b32_e32 v1, 2, v0
	s_waitcnt lgkmcnt(0)
	s_add_u32 s0, s0, s8
	s_addc_u32 s1, s1, s9
	s_and_saveexec_b64 s[8:9], vcc
	s_cbranch_execz .LBB79_3
; %bb.2:
	v_mov_b32_e32 v2, 0
	ds_write_b32 v1, v2
.LBB79_3:
	s_or_b64 exec, exec, s[8:9]
	s_load_dword s8, s[4:5], 0xd8
	s_mul_i32 s7, s6, s10
	s_sub_i32 s7, s16, s7
	s_add_i32 s9, s7, 1
	s_mul_i32 s7, s15, s7
	s_lshl_b32 s17, s7, 8
	s_waitcnt lgkmcnt(0)
	s_sub_i32 s7, s8, s17
	s_add_u32 s7, s7, 0xff
	s_addc_u32 s12, 0, 0
	v_mov_b32_e32 v2, s7
	v_alignbit_b32 v2, s12, v2, 8
	s_cmp_lt_u32 s9, s10
	v_readfirstlane_b32 s7, v2
	s_cselect_b32 s15, s15, s7
	s_cmp_lt_i32 s15, 1
	s_mov_b32 s7, 0
	s_barrier
	s_cbranch_scc1 .LBB79_25
; %bb.4:
	s_load_dword s10, s[4:5], 0x6c
	s_load_dwordx2 s[18:19], s[4:5], 0x0
	s_load_dword s9, s[0:1], 0x0
	s_waitcnt lgkmcnt(0)
	s_mul_i32 s6, s10, s6
	s_lshl_b64 s[0:1], s[6:7], 2
	s_add_u32 s6, s18, s0
	s_addc_u32 s10, s19, s1
	s_and_b32 s12, s14, 0xff
	s_cmp_lt_u32 s15, 4
	s_cbranch_scc1 .LBB79_19
; %bb.5:
	v_add_u32_e32 v2, s17, v0
	v_add_u32_e32 v3, 0x200, v2
	v_add_u32_e32 v4, 0x300, v2
	v_mul_lo_u32 v6, s13, v3
	v_add_u32_e32 v3, 0x100, v2
	s_and_b32 s7, s15, 0x7ffffffc
	v_mul_lo_u32 v5, s13, v4
	s_lshl_b32 s14, s13, 10
	v_mul_lo_u32 v7, s13, v3
	v_mul_lo_u32 v8, s13, v2
	s_mov_b32 s18, 0
	v_mov_b32_e32 v3, 0
	v_mov_b32_e32 v9, 1
	v_bfrev_b32_e32 v10, 1
	s_mov_b32 s19, 0
	s_branch .LBB79_7
.LBB79_6:                               ;   in Loop: Header=BB79_7 Depth=1
	s_or_b64 exec, exec, s[4:5]
	s_add_i32 s19, s19, 4
	s_add_i32 s18, s18, s14
	s_cmp_eq_u32 s7, s19
	v_add_u32_e32 v4, 0x400, v4
	s_cbranch_scc1 .LBB79_19
.LBB79_7:                               ; =>This Inner Loop Header: Depth=1
	v_add_u32_e32 v2, 0xfffffd00, v4
	v_cmp_gt_u32_e64 s[0:1], s8, v2
	s_and_saveexec_b64 s[4:5], s[0:1]
	s_cbranch_execz .LBB79_10
; %bb.8:                                ;   in Loop: Header=BB79_7 Depth=1
	v_add_u32_e32 v2, s18, v8
	v_lshlrev_b64 v[12:13], 2, v[2:3]
	v_mov_b32_e32 v2, s10
	v_add_co_u32_e64 v12, s[0:1], s6, v12
	v_addc_co_u32_e64 v13, s[0:1], v2, v13, s[0:1]
	global_load_dword v2, v[12:13], off
	s_waitcnt vmcnt(0)
	v_cmp_lt_i32_e64 s[0:1], -1, v2
	v_cndmask_b32_e64 v11, -1, v10, s[0:1]
	v_xor_b32_e32 v11, v11, v2
	v_cmp_o_f32_e64 s[0:1], v2, v2
	v_cndmask_b32_e64 v2, -1, v11, s[0:1]
	v_xor_b32_e32 v11, s9, v2
	v_and_b32_e32 v11, s11, v11
	v_cmp_eq_u32_e64 s[0:1], 0, v11
	s_and_b64 exec, exec, s[0:1]
	s_cbranch_execz .LBB79_10
; %bb.9:                                ;   in Loop: Header=BB79_7 Depth=1
	v_bfe_u32 v2, v2, s12, 8
	v_lshlrev_b32_e32 v2, 2, v2
	ds_add_u32 v2, v9
.LBB79_10:                              ;   in Loop: Header=BB79_7 Depth=1
	s_or_b64 exec, exec, s[4:5]
	v_add_u32_e32 v2, 0xfffffe00, v4
	v_cmp_gt_u32_e64 s[0:1], s8, v2
	s_and_saveexec_b64 s[4:5], s[0:1]
	s_cbranch_execz .LBB79_13
; %bb.11:                               ;   in Loop: Header=BB79_7 Depth=1
	v_add_u32_e32 v2, s18, v7
	v_lshlrev_b64 v[12:13], 2, v[2:3]
	v_mov_b32_e32 v2, s10
	v_add_co_u32_e64 v12, s[0:1], s6, v12
	v_addc_co_u32_e64 v13, s[0:1], v2, v13, s[0:1]
	global_load_dword v2, v[12:13], off
	s_waitcnt vmcnt(0)
	v_cmp_lt_i32_e64 s[0:1], -1, v2
	v_cndmask_b32_e64 v11, -1, v10, s[0:1]
	v_xor_b32_e32 v11, v11, v2
	v_cmp_o_f32_e64 s[0:1], v2, v2
	v_cndmask_b32_e64 v2, -1, v11, s[0:1]
	v_xor_b32_e32 v11, s9, v2
	v_and_b32_e32 v11, s11, v11
	v_cmp_eq_u32_e64 s[0:1], 0, v11
	s_and_b64 exec, exec, s[0:1]
	s_cbranch_execz .LBB79_13
; %bb.12:                               ;   in Loop: Header=BB79_7 Depth=1
	v_bfe_u32 v2, v2, s12, 8
	v_lshlrev_b32_e32 v2, 2, v2
	ds_add_u32 v2, v9
.LBB79_13:                              ;   in Loop: Header=BB79_7 Depth=1
	s_or_b64 exec, exec, s[4:5]
	v_add_u32_e32 v2, 0xffffff00, v4
	v_cmp_gt_u32_e64 s[0:1], s8, v2
	s_and_saveexec_b64 s[4:5], s[0:1]
	s_cbranch_execz .LBB79_16
; %bb.14:                               ;   in Loop: Header=BB79_7 Depth=1
	v_add_u32_e32 v2, s18, v6
	v_lshlrev_b64 v[12:13], 2, v[2:3]
	v_mov_b32_e32 v2, s10
	v_add_co_u32_e64 v12, s[0:1], s6, v12
	v_addc_co_u32_e64 v13, s[0:1], v2, v13, s[0:1]
	global_load_dword v2, v[12:13], off
	s_waitcnt vmcnt(0)
	v_cmp_lt_i32_e64 s[0:1], -1, v2
	v_cndmask_b32_e64 v11, -1, v10, s[0:1]
	v_xor_b32_e32 v11, v11, v2
	v_cmp_o_f32_e64 s[0:1], v2, v2
	v_cndmask_b32_e64 v2, -1, v11, s[0:1]
	v_xor_b32_e32 v11, s9, v2
	v_and_b32_e32 v11, s11, v11
	v_cmp_eq_u32_e64 s[0:1], 0, v11
	s_and_b64 exec, exec, s[0:1]
	s_cbranch_execz .LBB79_16
; %bb.15:                               ;   in Loop: Header=BB79_7 Depth=1
	v_bfe_u32 v2, v2, s12, 8
	v_lshlrev_b32_e32 v2, 2, v2
	ds_add_u32 v2, v9
.LBB79_16:                              ;   in Loop: Header=BB79_7 Depth=1
	s_or_b64 exec, exec, s[4:5]
	v_cmp_gt_u32_e64 s[0:1], s8, v4
	s_and_saveexec_b64 s[4:5], s[0:1]
	s_cbranch_execz .LBB79_6
; %bb.17:                               ;   in Loop: Header=BB79_7 Depth=1
	v_add_u32_e32 v2, s18, v5
	v_lshlrev_b64 v[12:13], 2, v[2:3]
	v_mov_b32_e32 v2, s10
	v_add_co_u32_e64 v12, s[0:1], s6, v12
	v_addc_co_u32_e64 v13, s[0:1], v2, v13, s[0:1]
	global_load_dword v2, v[12:13], off
	s_waitcnt vmcnt(0)
	v_cmp_lt_i32_e64 s[0:1], -1, v2
	v_cndmask_b32_e64 v11, -1, v10, s[0:1]
	v_xor_b32_e32 v11, v11, v2
	v_cmp_o_f32_e64 s[0:1], v2, v2
	v_cndmask_b32_e64 v2, -1, v11, s[0:1]
	v_xor_b32_e32 v11, s9, v2
	v_and_b32_e32 v11, s11, v11
	v_cmp_eq_u32_e64 s[0:1], 0, v11
	s_and_b64 exec, exec, s[0:1]
	s_cbranch_execz .LBB79_6
; %bb.18:                               ;   in Loop: Header=BB79_7 Depth=1
	v_bfe_u32 v2, v2, s12, 8
	v_lshlrev_b32_e32 v2, 2, v2
	ds_add_u32 v2, v9
	s_branch .LBB79_6
.LBB79_19:
	s_and_b32 s14, s15, 3
	s_cmp_eq_u32 s14, 0
	s_cbranch_scc1 .LBB79_25
; %bb.20:
	s_lshl_b32 s0, s7, 8
	s_add_i32 s0, s0, s17
	v_add_u32_e32 v4, s0, v0
	v_mul_lo_u32 v2, s13, v4
	s_lshl_b32 s7, s13, 8
	v_mov_b32_e32 v3, 0
	v_mov_b32_e32 v5, 1
	v_bfrev_b32_e32 v6, 1
	s_branch .LBB79_22
.LBB79_21:                              ;   in Loop: Header=BB79_22 Depth=1
	s_or_b64 exec, exec, s[4:5]
	s_add_i32 s14, s14, -1
	v_add_u32_e32 v2, s7, v2
	s_cmp_lg_u32 s14, 0
	v_add_u32_e32 v4, 0x100, v4
	s_cbranch_scc0 .LBB79_25
.LBB79_22:                              ; =>This Inner Loop Header: Depth=1
	v_cmp_gt_u32_e64 s[0:1], s8, v4
	s_and_saveexec_b64 s[4:5], s[0:1]
	s_cbranch_execz .LBB79_21
; %bb.23:                               ;   in Loop: Header=BB79_22 Depth=1
	v_lshlrev_b64 v[8:9], 2, v[2:3]
	v_mov_b32_e32 v7, s10
	v_add_co_u32_e64 v8, s[0:1], s6, v8
	v_addc_co_u32_e64 v9, s[0:1], v7, v9, s[0:1]
	global_load_dword v7, v[8:9], off
	s_waitcnt vmcnt(0)
	v_cmp_lt_i32_e64 s[0:1], -1, v7
	v_cndmask_b32_e64 v8, -1, v6, s[0:1]
	v_xor_b32_e32 v8, v8, v7
	v_cmp_o_f32_e64 s[0:1], v7, v7
	v_cndmask_b32_e64 v7, -1, v8, s[0:1]
	v_xor_b32_e32 v8, s9, v7
	v_and_b32_e32 v8, s11, v8
	v_cmp_eq_u32_e64 s[0:1], 0, v8
	s_and_b64 exec, exec, s[0:1]
	s_cbranch_execz .LBB79_21
; %bb.24:                               ;   in Loop: Header=BB79_22 Depth=1
	v_bfe_u32 v7, v7, s12, 8
	v_lshlrev_b32_e32 v7, 2, v7
	ds_add_u32 v7, v5
	s_branch .LBB79_21
.LBB79_25:
	v_mov_b32_e32 v2, 0
	s_waitcnt lgkmcnt(0)
	s_barrier
	s_and_saveexec_b64 s[0:1], vcc
	s_cbranch_execz .LBB79_27
; %bb.26:
	ds_read_b32 v2, v1
.LBB79_27:
	s_or_b64 exec, exec, s[0:1]
	s_and_saveexec_b64 s[0:1], vcc
	s_cbranch_execz .LBB79_29
; %bb.28:
	v_lshl_or_b32 v0, s16, 8, v0
	v_mov_b32_e32 v1, 0
	v_lshlrev_b64 v[0:1], 1, v[0:1]
	v_mov_b32_e32 v3, s3
	v_add_co_u32_e32 v0, vcc, s2, v0
	v_addc_co_u32_e32 v1, vcc, v3, v1, vcc
	s_waitcnt lgkmcnt(0)
	global_store_short v[0:1], v2, off
.LBB79_29:
	s_endpgm
	.section	.rodata,"a",@progbits
	.p2align	6, 0x0
	.amdhsa_kernel _ZN2at6native6mbtopk23computeBlockDigitCountsIfjjLi1EEEvNS_4cuda6detail10TensorInfoIKT_T0_EEjPjjS8_iijT1_PSB_Ps
		.amdhsa_group_segment_fixed_size 1024
		.amdhsa_private_segment_fixed_size 0
		.amdhsa_kernarg_size 528
		.amdhsa_user_sgpr_count 6
		.amdhsa_user_sgpr_private_segment_buffer 1
		.amdhsa_user_sgpr_dispatch_ptr 0
		.amdhsa_user_sgpr_queue_ptr 0
		.amdhsa_user_sgpr_kernarg_segment_ptr 1
		.amdhsa_user_sgpr_dispatch_id 0
		.amdhsa_user_sgpr_flat_scratch_init 0
		.amdhsa_user_sgpr_kernarg_preload_length 0
		.amdhsa_user_sgpr_kernarg_preload_offset 0
		.amdhsa_user_sgpr_private_segment_size 0
		.amdhsa_uses_dynamic_stack 0
		.amdhsa_system_sgpr_private_segment_wavefront_offset 0
		.amdhsa_system_sgpr_workgroup_id_x 1
		.amdhsa_system_sgpr_workgroup_id_y 1
		.amdhsa_system_sgpr_workgroup_id_z 1
		.amdhsa_system_sgpr_workgroup_info 0
		.amdhsa_system_vgpr_workitem_id 0
		.amdhsa_next_free_vgpr 14
		.amdhsa_next_free_sgpr 20
		.amdhsa_accum_offset 16
		.amdhsa_reserve_vcc 1
		.amdhsa_reserve_flat_scratch 0
		.amdhsa_float_round_mode_32 0
		.amdhsa_float_round_mode_16_64 0
		.amdhsa_float_denorm_mode_32 3
		.amdhsa_float_denorm_mode_16_64 3
		.amdhsa_dx10_clamp 1
		.amdhsa_ieee_mode 1
		.amdhsa_fp16_overflow 0
		.amdhsa_tg_split 0
		.amdhsa_exception_fp_ieee_invalid_op 0
		.amdhsa_exception_fp_denorm_src 0
		.amdhsa_exception_fp_ieee_div_zero 0
		.amdhsa_exception_fp_ieee_overflow 0
		.amdhsa_exception_fp_ieee_underflow 0
		.amdhsa_exception_fp_ieee_inexact 0
		.amdhsa_exception_int_div_zero 0
	.end_amdhsa_kernel
	.section	.text._ZN2at6native6mbtopk23computeBlockDigitCountsIfjjLi1EEEvNS_4cuda6detail10TensorInfoIKT_T0_EEjPjjS8_iijT1_PSB_Ps,"axG",@progbits,_ZN2at6native6mbtopk23computeBlockDigitCountsIfjjLi1EEEvNS_4cuda6detail10TensorInfoIKT_T0_EEjPjjS8_iijT1_PSB_Ps,comdat
.Lfunc_end79:
	.size	_ZN2at6native6mbtopk23computeBlockDigitCountsIfjjLi1EEEvNS_4cuda6detail10TensorInfoIKT_T0_EEjPjjS8_iijT1_PSB_Ps, .Lfunc_end79-_ZN2at6native6mbtopk23computeBlockDigitCountsIfjjLi1EEEvNS_4cuda6detail10TensorInfoIKT_T0_EEjPjjS8_iijT1_PSB_Ps
                                        ; -- End function
	.section	.AMDGPU.csdata,"",@progbits
; Kernel info:
; codeLenInByte = 1380
; NumSgprs: 24
; NumVgprs: 14
; NumAgprs: 0
; TotalNumVgprs: 14
; ScratchSize: 0
; MemoryBound: 0
; FloatMode: 240
; IeeeMode: 1
; LDSByteSize: 1024 bytes/workgroup (compile time only)
; SGPRBlocks: 2
; VGPRBlocks: 1
; NumSGPRsForWavesPerEU: 24
; NumVGPRsForWavesPerEU: 14
; AccumOffset: 16
; Occupancy: 8
; WaveLimiterHint : 1
; COMPUTE_PGM_RSRC2:SCRATCH_EN: 0
; COMPUTE_PGM_RSRC2:USER_SGPR: 6
; COMPUTE_PGM_RSRC2:TRAP_HANDLER: 0
; COMPUTE_PGM_RSRC2:TGID_X_EN: 1
; COMPUTE_PGM_RSRC2:TGID_Y_EN: 1
; COMPUTE_PGM_RSRC2:TGID_Z_EN: 1
; COMPUTE_PGM_RSRC2:TIDIG_COMP_CNT: 0
; COMPUTE_PGM_RSRC3_GFX90A:ACCUM_OFFSET: 3
; COMPUTE_PGM_RSRC3_GFX90A:TG_SPLIT: 0
	.section	.text._ZN2at6native6mbtopk29computeBlockwiseWithinKCountsIjfEEvPT_PsPjjibS6_PT0_S6_S4_S6_j,"axG",@progbits,_ZN2at6native6mbtopk29computeBlockwiseWithinKCountsIjfEEvPT_PsPjjibS6_PT0_S6_S4_S6_j,comdat
	.protected	_ZN2at6native6mbtopk29computeBlockwiseWithinKCountsIjfEEvPT_PsPjjibS6_PT0_S6_S4_S6_j ; -- Begin function _ZN2at6native6mbtopk29computeBlockwiseWithinKCountsIjfEEvPT_PsPjjibS6_PT0_S6_S4_S6_j
	.globl	_ZN2at6native6mbtopk29computeBlockwiseWithinKCountsIjfEEvPT_PsPjjibS6_PT0_S6_S4_S6_j
	.p2align	8
	.type	_ZN2at6native6mbtopk29computeBlockwiseWithinKCountsIjfEEvPT_PsPjjibS6_PT0_S6_S4_S6_j,@function
_ZN2at6native6mbtopk29computeBlockwiseWithinKCountsIjfEEvPT_PsPjjibS6_PT0_S6_S4_S6_j: ; @_ZN2at6native6mbtopk29computeBlockwiseWithinKCountsIjfEEvPT_PsPjjibS6_PT0_S6_S4_S6_j
; %bb.0:
	s_load_dwordx4 s[16:19], s[4:5], 0x18
	s_load_dword s2, s[4:5], 0x50
	s_load_dwordx2 s[0:1], s[4:5], 0x58
	s_waitcnt lgkmcnt(0)
	v_cvt_f32_u32_e32 v1, s16
	s_mul_i32 s1, s1, s8
	s_add_i32 s1, s1, s7
	v_rcp_iflag_f32_e32 v1, v1
	s_mul_i32 s0, s1, s0
	s_add_i32 s6, s0, s6
	s_cmp_ge_u32 s6, s2
	v_mul_f32_e32 v1, 0x4f7ffffe, v1
	v_cvt_u32_f32_e32 v1, v1
	v_readfirstlane_b32 s0, v1
	s_cbranch_scc1 .LBB80_49
; %bb.1:
	s_sub_i32 s1, 0, s16
	s_mul_i32 s1, s1, s0
	s_mul_hi_u32 s1, s0, s1
	s_add_i32 s0, s0, s1
	s_mul_hi_u32 s2, s6, s0
	s_mul_i32 s3, s2, s16
	s_sub_i32 s3, s6, s3
	s_add_i32 s8, s2, 1
	s_sub_i32 s9, s3, s16
	s_cmp_ge_u32 s3, s16
	s_load_dwordx4 s[20:23], s[4:5], 0x0
	s_load_dwordx2 s[0:1], s[4:5], 0x10
	s_cselect_b32 s2, s8, s2
	s_cselect_b32 s3, s9, s3
	s_add_i32 s8, s2, 1
	s_mov_b32 s7, 0
	s_cmp_ge_u32 s3, s16
	s_cselect_b32 s26, s8, s2
	s_mov_b32 s27, s7
	s_lshl_b64 s[24:25], s[26:27], 2
	s_waitcnt lgkmcnt(0)
	s_add_u32 s0, s0, s24
	s_addc_u32 s1, s1, s25
	s_load_dword s19, s[0:1], 0x0
	s_movk_i32 s0, 0x100
	v_cmp_gt_u32_e64 s[0:1], s0, v0
	s_and_saveexec_b64 s[2:3], s[0:1]
	s_cbranch_execz .LBB80_17
; %bb.2:
	s_mul_i32 s8, s26, s16
	s_lshl_b32 s8, s8, 8
	s_mov_b32 s9, s7
	s_lshl_b64 s[12:13], s[8:9], 1
	s_add_u32 s8, s22, s12
	s_addc_u32 s9, s23, s13
	v_lshlrev_b32_e32 v4, 1, v0
	v_mov_b32_e32 v3, s9
	v_add_co_u32_e32 v2, vcc, s8, v4
	v_mov_b32_e32 v1, 0
	s_cmp_lt_u32 s16, 4
	v_addc_co_u32_e32 v3, vcc, 0, v3, vcc
	s_cbranch_scc1 .LBB80_7
; %bb.3:
	s_add_i32 s8, s16, -4
	s_mov_b32 s14, 0
	s_cmp_gt_u32 s8, 3
	v_mov_b32_e32 v1, 0
	s_cbranch_scc0 .LBB80_8
; %bb.4:
	s_lshr_b32 s8, s8, 2
	s_add_i32 s8, s8, 1
	s_and_b32 s10, s8, 0x7ffffffe
	s_add_u32 s12, s22, s12
	s_addc_u32 s13, s23, s13
	v_mov_b32_e32 v5, s13
	v_add_co_u32_e32 v4, vcc, s12, v4
	s_mov_b32 s9, 0
	v_addc_co_u32_e32 v5, vcc, 0, v5, vcc
	s_mov_b32 s11, s9
	v_add_co_u32_e32 v4, vcc, 0xe00, v4
	v_mov_b32_e32 v1, 0
	v_addc_co_u32_e32 v5, vcc, 0, v5, vcc
	s_mov_b64 s[12:13], s[10:11]
	v_mov_b32_e32 v6, 0
.LBB80_5:                               ; =>This Inner Loop Header: Depth=1
	global_load_sshort v7, v[4:5], off offset:-3584
	global_load_sshort v8, v[4:5], off offset:-3072
	;; [unrolled: 1-line block ×6, first 2 shown]
	global_load_sshort v13, v[4:5], off
	global_load_sshort v14, v[4:5], off offset:-2048
	s_add_u32 s12, s12, -2
	v_add_co_u32_e32 v4, vcc, 0x1000, v4
	s_addc_u32 s13, s13, -1
	v_addc_co_u32_e32 v5, vcc, 0, v5, vcc
	s_cmp_lg_u64 s[12:13], 0
	s_waitcnt vmcnt(6)
	v_add3_u32 v1, v1, v7, v8
	s_waitcnt vmcnt(3)
	v_add3_u32 v6, v6, v10, v11
	;; [unrolled: 2-line block ×4, first 2 shown]
	s_cbranch_scc1 .LBB80_5
; %bb.6:
	s_lshl_b64 s[12:13], s[10:11], 11
	s_lshl_b32 s14, s10, 2
	v_mov_b32_e32 v4, s13
	v_add_co_u32_e32 v2, vcc, s12, v2
	s_cmp_lg_u64 s[10:11], s[8:9]
	v_addc_co_u32_e32 v3, vcc, v3, v4, vcc
	v_add_u32_e32 v1, v1, v6
	s_cselect_b64 s[8:9], -1, 0
	s_and_b64 vcc, exec, s[8:9]
	s_cbranch_vccnz .LBB80_9
	s_branch .LBB80_10
.LBB80_7:
	s_mov_b32 s14, s7
	s_branch .LBB80_10
.LBB80_8:
	s_cbranch_execz .LBB80_10
.LBB80_9:                               ; =>This Inner Loop Header: Depth=1
	global_load_sshort v4, v[2:3], off
	global_load_sshort v5, v[2:3], off offset:512
	global_load_sshort v6, v[2:3], off offset:1024
	;; [unrolled: 1-line block ×3, first 2 shown]
	s_mov_b32 s8, s14
	v_add_co_u32_e32 v2, vcc, 0x800, v2
	s_add_i32 s14, s14, 4
	s_add_i32 s8, s8, 7
	v_addc_co_u32_e32 v3, vcc, 0, v3, vcc
	s_cmp_ge_u32 s8, s16
	s_waitcnt vmcnt(2)
	v_add3_u32 v1, v1, v4, v5
	s_waitcnt vmcnt(0)
	v_add3_u32 v1, v1, v6, v7
	s_cbranch_scc0 .LBB80_9
.LBB80_10:
	s_cmp_ge_u32 s14, s16
	s_cbranch_scc1 .LBB80_16
; %bb.11:
	s_not_b32 s8, s14
	s_add_i32 s8, s8, s16
	s_cmp_lg_u32 s8, 0
	s_cbranch_scc0 .LBB80_50
; %bb.12:
	s_add_u32 s8, s8, 1
	s_addc_u32 s9, 0, 0
	s_and_b32 s10, s8, -2
	s_mov_b32 s11, s9
	v_add_co_u32_e32 v4, vcc, 0x200, v2
	v_addc_co_u32_e32 v5, vcc, 0, v3, vcc
	v_mov_b32_e32 v6, 0
	s_mov_b64 s[12:13], s[10:11]
.LBB80_13:                              ; =>This Inner Loop Header: Depth=1
	global_load_sshort v7, v[4:5], off
	global_load_sshort v8, v[4:5], off offset:-512
	s_add_u32 s12, s12, -2
	v_add_co_u32_e32 v4, vcc, 0x400, v4
	s_addc_u32 s13, s13, -1
	v_addc_co_u32_e32 v5, vcc, 0, v5, vcc
	s_cmp_lg_u64 s[12:13], 0
	s_waitcnt vmcnt(1)
	v_add_u32_e32 v6, v6, v7
	s_waitcnt vmcnt(0)
	v_add_u32_e32 v1, v1, v8
	s_cbranch_scc1 .LBB80_13
; %bb.14:
	s_lshl_b64 s[12:13], s[10:11], 9
	s_add_i32 s14, s14, s10
	v_mov_b32_e32 v4, s13
	v_add_co_u32_e32 v2, vcc, s12, v2
	s_cmp_lg_u64 s[8:9], s[10:11]
	v_addc_co_u32_e32 v3, vcc, v3, v4, vcc
	v_add_u32_e32 v1, v1, v6
	s_cselect_b64 s[8:9], -1, 0
	s_and_b64 vcc, exec, s[8:9]
	s_cbranch_vccz .LBB80_16
.LBB80_15:                              ; =>This Inner Loop Header: Depth=1
	global_load_sshort v4, v[2:3], off
	v_add_co_u32_e32 v2, vcc, 0x200, v2
	s_add_i32 s14, s14, 1
	v_addc_co_u32_e32 v3, vcc, 0, v3, vcc
	s_cmp_lt_u32 s14, s16
	s_waitcnt vmcnt(0)
	v_add_u32_e32 v1, v1, v4
	s_cbranch_scc1 .LBB80_15
.LBB80_16:
	v_lshlrev_b32_e32 v2, 2, v0
	ds_write_b32 v2, v1 offset:1056
.LBB80_17:
	s_or_b64 exec, exec, s[2:3]
	v_mov_b32_e32 v3, 0
	s_waitcnt lgkmcnt(0)
	s_barrier
	s_and_saveexec_b64 s[2:3], s[0:1]
	s_cbranch_execz .LBB80_19
; %bb.18:
	v_lshlrev_b32_e32 v1, 2, v0
	ds_read_b32 v3, v1 offset:1056
.LBB80_19:
	s_or_b64 exec, exec, s[2:3]
	v_lshrrev_b32_e32 v1, 5, v0
	v_add_lshl_u32 v2, v1, v0, 2
	v_cmp_gt_u32_e64 s[2:3], 64, v0
	v_mbcnt_lo_u32_b32 v1, -1, 0
	s_waitcnt lgkmcnt(0)
	ds_write_b32 v2, v3
	s_waitcnt lgkmcnt(0)
	s_barrier
	s_and_saveexec_b64 s[8:9], s[2:3]
	s_cbranch_execz .LBB80_21
; %bb.20:
	v_lshlrev_b32_e32 v4, 2, v0
	v_lshrrev_b32_e32 v5, 3, v0
	v_add_lshl_u32 v8, v5, v4, 2
	ds_read2_b32 v[4:5], v8 offset1:1
	ds_read2_b32 v[6:7], v8 offset0:2 offset1:3
	v_mbcnt_hi_u32_b32 v9, -1, v1
	v_and_b32_e32 v10, 15, v9
	v_cmp_ne_u32_e32 vcc, 0, v10
	s_waitcnt lgkmcnt(1)
	v_add_u32_e32 v5, v5, v4
	s_waitcnt lgkmcnt(0)
	v_add3_u32 v5, v5, v6, v7
	v_bfe_i32 v7, v9, 4, 1
	s_nop 0
	v_mov_b32_dpp v6, v5 row_shr:1 row_mask:0xf bank_mask:0xf
	v_cndmask_b32_e32 v6, 0, v6, vcc
	v_add_u32_e32 v5, v6, v5
	v_cmp_lt_u32_e32 vcc, 1, v10
	; wave barrier
	s_nop 0
	v_mov_b32_dpp v6, v5 row_shr:2 row_mask:0xf bank_mask:0xf
	v_cndmask_b32_e32 v6, 0, v6, vcc
	v_add_u32_e32 v5, v5, v6
	v_cmp_lt_u32_e32 vcc, 3, v10
	s_nop 0
	v_mov_b32_dpp v6, v5 row_shr:4 row_mask:0xf bank_mask:0xf
	v_cndmask_b32_e32 v6, 0, v6, vcc
	v_add_u32_e32 v5, v5, v6
	v_cmp_lt_u32_e32 vcc, 7, v10
	;; [unrolled: 5-line block ×3, first 2 shown]
	s_nop 0
	v_mov_b32_dpp v6, v5 row_bcast:15 row_mask:0xf bank_mask:0xf
	v_and_b32_e32 v6, v7, v6
	v_add_u32_e32 v5, v5, v6
	v_and_b32_e32 v7, 64, v9
	s_nop 0
	v_mov_b32_dpp v6, v5 row_bcast:31 row_mask:0xf bank_mask:0xf
	v_cndmask_b32_e32 v6, 0, v6, vcc
	v_add_u32_e32 v5, v5, v6
	v_add_u32_e32 v6, -1, v9
	v_cmp_lt_i32_e32 vcc, v6, v7
	v_cndmask_b32_e32 v6, v6, v9, vcc
	v_lshlrev_b32_e32 v6, 2, v6
	ds_bpermute_b32 v5, v6, v5
	v_cmp_eq_u32_e32 vcc, 0, v0
	s_waitcnt lgkmcnt(0)
	v_add_u32_e32 v4, v5, v4
	v_cndmask_b32_e32 v3, v4, v3, vcc
	ds_write_b32 v8, v3
	; wave barrier
	ds_read2_b32 v[4:5], v8 offset0:1 offset1:2
	ds_read_b32 v6, v8 offset:12
	s_waitcnt lgkmcnt(1)
	v_add_u32_e32 v3, v4, v3
	v_add_u32_e32 v4, v5, v3
	ds_write2_b32 v8, v3, v4 offset0:1 offset1:2
	s_waitcnt lgkmcnt(1)
	v_add_u32_e32 v3, v6, v4
	ds_write_b32 v8, v3 offset:12
.LBB80_21:
	s_or_b64 exec, exec, s[8:9]
	s_waitcnt lgkmcnt(0)
	s_barrier
	ds_read_b32 v3, v2
	s_waitcnt lgkmcnt(0)
	s_barrier
	s_and_saveexec_b64 s[8:9], s[0:1]
	s_cbranch_execz .LBB80_23
; %bb.22:
	v_lshlrev_b32_e32 v2, 2, v0
	ds_write_b32 v2, v3 offset:1056
.LBB80_23:
	s_or_b64 exec, exec, s[8:9]
	s_load_dwordx8 s[8:15], s[4:5], 0x28
	s_load_dwordx2 s[28:29], s[4:5], 0x48
	s_waitcnt lgkmcnt(0)
	s_barrier
	s_and_saveexec_b64 s[4:5], s[0:1]
	s_cbranch_execz .LBB80_32
; %bb.24:
	v_cmp_ne_u32_e32 vcc, 0, v0
	v_mov_b32_e32 v2, 0
	s_and_saveexec_b64 s[0:1], vcc
	s_cbranch_execz .LBB80_26
; %bb.25:
	v_lshlrev_b32_e32 v2, 2, v0
	ds_read_b32 v2, v2 offset:1052
.LBB80_26:
	s_or_b64 exec, exec, s[0:1]
	s_waitcnt lgkmcnt(0)
	v_cmp_gt_u32_e32 vcc, s19, v2
	v_cmp_le_u32_e64 s[0:1], s19, v3
	s_and_b64 s[0:1], vcc, s[0:1]
	s_and_b64 exec, exec, s[0:1]
	s_cbranch_execz .LBB80_32
; %bb.27:
	s_add_u32 s0, s20, s24
	s_addc_u32 s1, s21, s25
	v_mov_b32_e32 v4, 0
	global_load_dword v3, v4, s[0:1]
	s_lshl_b32 s1, 0xff, s17
	v_not_b32_e32 v6, s1
	v_lshlrev_b32_e32 v5, s17, v0
	s_mul_i32 s0, s26, s16
	s_cmp_lg_u32 s6, s0
	s_waitcnt vmcnt(0)
	v_and_b32_e32 v3, v3, v6
	v_or_b32_e32 v3, v3, v5
	ds_write_b32 v4, v3 offset:2096
	s_cbranch_scc1 .LBB80_32
; %bb.28:
	s_add_u32 s0, s14, s24
	s_addc_u32 s1, s15, s25
	global_store_dword v4, v3, s[0:1]
	s_cmp_lt_i32 s17, 1
	s_mov_b64 s[0:1], -1
	s_cbranch_scc0 .LBB80_30
; %bb.29:
	v_bfrev_b32_e32 v4, 1
	v_cmp_lt_i32_e32 vcc, -1, v3
	v_cndmask_b32_e64 v4, v4, -1, vcc
	s_add_u32 s0, s10, s24
	v_xor_b32_e32 v3, v4, v3
	s_addc_u32 s1, s11, s25
	v_mov_b32_e32 v4, 0
	global_store_dword v4, v3, s[0:1]
	s_mov_b64 s[0:1], 0
.LBB80_30:
	s_andn2_b64 vcc, exec, s[0:1]
	s_cbranch_vccnz .LBB80_32
; %bb.31:
	s_add_u32 s0, s12, s24
	v_sub_u32_e32 v2, s19, v2
	s_addc_u32 s1, s13, s25
	v_mov_b32_e32 v3, 0
	global_store_dword v3, v2, s[0:1]
.LBB80_32:
	s_or_b64 exec, exec, s[4:5]
	v_mov_b32_e32 v2, 0
	s_waitcnt lgkmcnt(0)
	s_barrier
	ds_read_b32 v2, v2 offset:2096
	s_bitcmp0_b32 s18, 0
	s_waitcnt lgkmcnt(0)
	v_lshrrev_b32_e32 v2, s17, v2
	s_cbranch_scc0 .LBB80_34
; %bb.33:
	v_and_b32_e32 v3, 0xc0, v0
	v_cmp_lt_u32_sdwa s[4:5], v3, v2 src0_sel:DWORD src1_sel:BYTE_0
	v_cmp_lt_u32_sdwa s[12:13], v0, v2 src0_sel:DWORD src1_sel:BYTE_0
	s_and_b64 s[10:11], s[4:5], exec
	s_and_b64 s[4:5], s[12:13], exec
	s_cbranch_execz .LBB80_35
	s_branch .LBB80_36
.LBB80_34:
                                        ; implicit-def: $sgpr4_sgpr5
                                        ; implicit-def: $sgpr10_sgpr11
.LBB80_35:
	v_or_b32_e32 v3, 63, v0
	v_cmp_gt_u32_sdwa s[0:1], v3, v2 src0_sel:DWORD src1_sel:BYTE_0
	v_cmp_gt_u32_sdwa s[12:13], v0, v2 src0_sel:DWORD src1_sel:BYTE_0
	s_andn2_b64 s[4:5], s[4:5], exec
	s_and_b64 s[12:13], s[12:13], exec
	s_andn2_b64 s[10:11], s[10:11], exec
	s_and_b64 s[0:1], s[0:1], exec
	s_or_b64 s[4:5], s[4:5], s[12:13]
	s_or_b64 s[10:11], s[10:11], s[0:1]
.LBB80_36:
	v_mov_b32_e32 v2, 0
	s_and_saveexec_b64 s[0:1], s[10:11]
	s_cbranch_execz .LBB80_40
; %bb.37:
	v_mov_b32_e32 v2, 0
	s_and_saveexec_b64 s[10:11], s[4:5]
	s_cbranch_execz .LBB80_39
; %bb.38:
	s_lshl_b32 s4, s6, 8
	s_mov_b32 s5, 0
	s_lshl_b64 s[4:5], s[4:5], 1
	s_add_u32 s4, s22, s4
	s_addc_u32 s5, s23, s5
	v_lshlrev_b32_e32 v2, 1, v0
	global_load_sshort v2, v2, s[4:5]
.LBB80_39:
	s_or_b64 exec, exec, s[10:11]
	v_mbcnt_hi_u32_b32 v3, -1, v1
	v_and_b32_e32 v4, 63, v3
	v_cmp_gt_u32_e32 vcc, 32, v4
	v_cndmask_b32_e64 v5, 0, 1, vcc
	v_lshlrev_b32_e32 v5, 5, v5
	v_add_lshl_u32 v5, v5, v3, 2
	s_waitcnt vmcnt(0)
	ds_bpermute_b32 v5, v5, v2
	v_cmp_gt_u32_e32 vcc, 48, v4
	v_cndmask_b32_e64 v6, 0, 1, vcc
	v_lshlrev_b32_e32 v6, 4, v6
	v_cmp_gt_u32_e32 vcc, 56, v4
	s_waitcnt lgkmcnt(0)
	v_add_u32_e32 v2, v5, v2
	v_add_lshl_u32 v5, v6, v3, 2
	ds_bpermute_b32 v5, v5, v2
	v_cndmask_b32_e64 v6, 0, 1, vcc
	v_lshlrev_b32_e32 v6, 3, v6
	v_cmp_gt_u32_e32 vcc, 60, v4
	s_waitcnt lgkmcnt(0)
	v_add_u32_e32 v2, v5, v2
	v_add_lshl_u32 v5, v6, v3, 2
	ds_bpermute_b32 v5, v5, v2
	;; [unrolled: 7-line block ×3, first 2 shown]
	v_cndmask_b32_e64 v6, 0, 1, vcc
	v_lshlrev_b32_e32 v6, 1, v6
	v_cmp_ne_u32_e32 vcc, 63, v4
	s_waitcnt lgkmcnt(0)
	v_add_u32_e32 v2, v5, v2
	v_add_lshl_u32 v5, v6, v3, 2
	ds_bpermute_b32 v5, v5, v2
	v_addc_co_u32_e32 v3, vcc, 0, v3, vcc
	v_lshlrev_b32_e32 v3, 2, v3
	s_waitcnt lgkmcnt(0)
	v_add_u32_e32 v2, v5, v2
	ds_bpermute_b32 v3, v3, v2
	s_waitcnt lgkmcnt(0)
	v_add_u32_e32 v2, v3, v2
.LBB80_40:
	s_or_b64 exec, exec, s[0:1]
	v_and_b32_e32 v3, 63, v0
	v_cmp_eq_u32_e32 vcc, 0, v3
	s_and_saveexec_b64 s[0:1], vcc
	s_cbranch_execz .LBB80_42
; %bb.41:
	v_lshrrev_b32_e32 v3, 4, v0
	v_and_b32_e32 v3, 12, v3
	ds_write_b32 v3, v2 offset:2080
.LBB80_42:
	s_or_b64 exec, exec, s[0:1]
	s_waitcnt lgkmcnt(0)
	s_barrier
	s_and_saveexec_b64 s[0:1], s[2:3]
	s_cbranch_execz .LBB80_49
; %bb.43:
	v_cmp_gt_u32_e32 vcc, 4, v0
	v_mov_b32_e32 v2, 0
	s_and_saveexec_b64 s[0:1], vcc
	s_cbranch_execz .LBB80_45
; %bb.44:
	v_lshlrev_b32_e32 v2, 2, v0
	ds_read_b32 v2, v2 offset:2080
.LBB80_45:
	s_or_b64 exec, exec, s[0:1]
	v_mbcnt_hi_u32_b32 v1, -1, v1
	v_and_b32_e32 v3, 63, v1
	v_cmp_gt_u32_e32 vcc, 62, v3
	v_cndmask_b32_e64 v4, 0, 1, vcc
	v_lshlrev_b32_e32 v4, 1, v4
	v_add_lshl_u32 v4, v4, v1, 2
	s_waitcnt lgkmcnt(0)
	ds_bpermute_b32 v4, v4, v2
	v_cmp_ne_u32_e32 vcc, 63, v3
	v_addc_co_u32_e32 v3, vcc, 0, v1, vcc
	v_cmp_eq_u32_e32 vcc, 0, v0
	s_waitcnt lgkmcnt(0)
	v_add_u32_e32 v1, v4, v2
	v_lshlrev_b32_e32 v2, 2, v3
	ds_bpermute_b32 v2, v2, v1
	s_and_saveexec_b64 s[0:1], vcc
	s_cbranch_execz .LBB80_47
; %bb.46:
	s_lshl_b64 s[2:3], s[6:7], 2
	s_add_u32 s2, s8, s2
	s_addc_u32 s3, s9, s3
	v_mov_b32_e32 v3, 0
	global_load_dword v4, v3, s[2:3]
	s_waitcnt vmcnt(0) lgkmcnt(0)
	v_add3_u32 v1, v2, v1, v4
	global_store_dword v3, v1, s[2:3]
.LBB80_47:
	s_or_b64 exec, exec, s[0:1]
	v_or_b32_e32 v0, s17, v0
	v_cmp_eq_u32_e32 vcc, 0, v0
	s_and_b64 exec, exec, vcc
	s_cbranch_execz .LBB80_49
; %bb.48:
	v_mov_b32_e32 v0, 0
	ds_read_b32 v1, v0 offset:2096
	s_lshl_b32 s0, s6, 8
	s_mov_b32 s1, 0
	s_lshl_b64 s[0:1], s[0:1], 1
	s_add_u32 s0, s22, s0
	s_waitcnt lgkmcnt(1)
	v_mov_b32_e32 v2, 1
	s_addc_u32 s1, s23, s1
	s_waitcnt lgkmcnt(0)
	v_lshlrev_b32_sdwa v1, v2, v1 dst_sel:DWORD dst_unused:UNUSED_PAD src0_sel:DWORD src1_sel:BYTE_0
	global_load_sshort v1, v1, s[0:1]
	s_lshl_b64 s[0:1], s[6:7], 2
	s_add_u32 s0, s28, s0
	s_addc_u32 s1, s29, s1
	s_waitcnt vmcnt(0)
	global_store_dword v0, v1, s[0:1]
.LBB80_49:
	s_endpgm
.LBB80_50:
	s_cbranch_execnz .LBB80_15
	s_branch .LBB80_16
	.section	.rodata,"a",@progbits
	.p2align	6, 0x0
	.amdhsa_kernel _ZN2at6native6mbtopk29computeBlockwiseWithinKCountsIjfEEvPT_PsPjjibS6_PT0_S6_S4_S6_j
		.amdhsa_group_segment_fixed_size 2100
		.amdhsa_private_segment_fixed_size 0
		.amdhsa_kernarg_size 344
		.amdhsa_user_sgpr_count 6
		.amdhsa_user_sgpr_private_segment_buffer 1
		.amdhsa_user_sgpr_dispatch_ptr 0
		.amdhsa_user_sgpr_queue_ptr 0
		.amdhsa_user_sgpr_kernarg_segment_ptr 1
		.amdhsa_user_sgpr_dispatch_id 0
		.amdhsa_user_sgpr_flat_scratch_init 0
		.amdhsa_user_sgpr_kernarg_preload_length 0
		.amdhsa_user_sgpr_kernarg_preload_offset 0
		.amdhsa_user_sgpr_private_segment_size 0
		.amdhsa_uses_dynamic_stack 0
		.amdhsa_system_sgpr_private_segment_wavefront_offset 0
		.amdhsa_system_sgpr_workgroup_id_x 1
		.amdhsa_system_sgpr_workgroup_id_y 1
		.amdhsa_system_sgpr_workgroup_id_z 1
		.amdhsa_system_sgpr_workgroup_info 0
		.amdhsa_system_vgpr_workitem_id 0
		.amdhsa_next_free_vgpr 15
		.amdhsa_next_free_sgpr 30
		.amdhsa_accum_offset 16
		.amdhsa_reserve_vcc 1
		.amdhsa_reserve_flat_scratch 0
		.amdhsa_float_round_mode_32 0
		.amdhsa_float_round_mode_16_64 0
		.amdhsa_float_denorm_mode_32 3
		.amdhsa_float_denorm_mode_16_64 3
		.amdhsa_dx10_clamp 1
		.amdhsa_ieee_mode 1
		.amdhsa_fp16_overflow 0
		.amdhsa_tg_split 0
		.amdhsa_exception_fp_ieee_invalid_op 0
		.amdhsa_exception_fp_denorm_src 0
		.amdhsa_exception_fp_ieee_div_zero 0
		.amdhsa_exception_fp_ieee_overflow 0
		.amdhsa_exception_fp_ieee_underflow 0
		.amdhsa_exception_fp_ieee_inexact 0
		.amdhsa_exception_int_div_zero 0
	.end_amdhsa_kernel
	.section	.text._ZN2at6native6mbtopk29computeBlockwiseWithinKCountsIjfEEvPT_PsPjjibS6_PT0_S6_S4_S6_j,"axG",@progbits,_ZN2at6native6mbtopk29computeBlockwiseWithinKCountsIjfEEvPT_PsPjjibS6_PT0_S6_S4_S6_j,comdat
.Lfunc_end80:
	.size	_ZN2at6native6mbtopk29computeBlockwiseWithinKCountsIjfEEvPT_PsPjjibS6_PT0_S6_S4_S6_j, .Lfunc_end80-_ZN2at6native6mbtopk29computeBlockwiseWithinKCountsIjfEEvPT_PsPjjibS6_PT0_S6_S4_S6_j
                                        ; -- End function
	.section	.AMDGPU.csdata,"",@progbits
; Kernel info:
; codeLenInByte = 2332
; NumSgprs: 34
; NumVgprs: 15
; NumAgprs: 0
; TotalNumVgprs: 15
; ScratchSize: 0
; MemoryBound: 0
; FloatMode: 240
; IeeeMode: 1
; LDSByteSize: 2100 bytes/workgroup (compile time only)
; SGPRBlocks: 4
; VGPRBlocks: 1
; NumSGPRsForWavesPerEU: 34
; NumVGPRsForWavesPerEU: 15
; AccumOffset: 16
; Occupancy: 8
; WaveLimiterHint : 1
; COMPUTE_PGM_RSRC2:SCRATCH_EN: 0
; COMPUTE_PGM_RSRC2:USER_SGPR: 6
; COMPUTE_PGM_RSRC2:TRAP_HANDLER: 0
; COMPUTE_PGM_RSRC2:TGID_X_EN: 1
; COMPUTE_PGM_RSRC2:TGID_Y_EN: 1
; COMPUTE_PGM_RSRC2:TGID_Z_EN: 1
; COMPUTE_PGM_RSRC2:TIDIG_COMP_CNT: 0
; COMPUTE_PGM_RSRC3_GFX90A:ACCUM_OFFSET: 3
; COMPUTE_PGM_RSRC3_GFX90A:TG_SPLIT: 0
	.section	.text._ZN2at6native6mbtopk10gatherTopKIfjLi1EEEvNS_4cuda6detail10TensorInfoIKT_T0_EES8_S8_bjS8_NS5_IS6_S8_EES8_NS5_IlS8_EES8_jjPS6_PjSD_j,"axG",@progbits,_ZN2at6native6mbtopk10gatherTopKIfjLi1EEEvNS_4cuda6detail10TensorInfoIKT_T0_EES8_S8_bjS8_NS5_IS6_S8_EES8_NS5_IlS8_EES8_jjPS6_PjSD_j,comdat
	.protected	_ZN2at6native6mbtopk10gatherTopKIfjLi1EEEvNS_4cuda6detail10TensorInfoIKT_T0_EES8_S8_bjS8_NS5_IS6_S8_EES8_NS5_IlS8_EES8_jjPS6_PjSD_j ; -- Begin function _ZN2at6native6mbtopk10gatherTopKIfjLi1EEEvNS_4cuda6detail10TensorInfoIKT_T0_EES8_S8_bjS8_NS5_IS6_S8_EES8_NS5_IlS8_EES8_jjPS6_PjSD_j
	.globl	_ZN2at6native6mbtopk10gatherTopKIfjLi1EEEvNS_4cuda6detail10TensorInfoIKT_T0_EES8_S8_bjS8_NS5_IS6_S8_EES8_NS5_IlS8_EES8_jjPS6_PjSD_j
	.p2align	8
	.type	_ZN2at6native6mbtopk10gatherTopKIfjLi1EEEvNS_4cuda6detail10TensorInfoIKT_T0_EES8_S8_bjS8_NS5_IS6_S8_EES8_NS5_IlS8_EES8_jjPS6_PjSD_j,@function
_ZN2at6native6mbtopk10gatherTopKIfjLi1EEEvNS_4cuda6detail10TensorInfoIKT_T0_EES8_S8_bjS8_NS5_IS6_S8_EES8_NS5_IlS8_EES8_jjPS6_PjSD_j: ; @_ZN2at6native6mbtopk10gatherTopKIfjLi1EEEvNS_4cuda6detail10TensorInfoIKT_T0_EES8_S8_bjS8_NS5_IS6_S8_EES8_NS5_IlS8_EES8_jjPS6_PjSD_j
; %bb.0:
	s_load_dwordx2 s[0:1], s[4:5], 0x2d8
	s_load_dword s2, s[4:5], 0x2d0
	s_waitcnt lgkmcnt(0)
	s_mul_i32 s1, s1, s8
	s_add_i32 s1, s1, s7
	s_mul_i32 s0, s1, s0
	s_add_i32 s0, s0, s6
	s_cmp_ge_u32 s0, s2
	s_cbranch_scc1 .LBB81_40
; %bb.1:
	s_load_dwordx8 s[8:15], s[4:5], 0x2a8
	s_mov_b32 s25, 0
	s_load_dwordx2 s[6:7], s[4:5], 0x1d0
	s_load_dwordx2 s[20:21], s[4:5], 0xf0
	;; [unrolled: 1-line block ×3, first 2 shown]
	s_waitcnt lgkmcnt(0)
	v_cvt_f32_u32_e32 v1, s10
	s_sub_i32 s1, 0, s10
	v_rcp_iflag_f32_e32 v1, v1
	v_mul_f32_e32 v1, 0x4f7ffffe, v1
	v_cvt_u32_f32_e32 v1, v1
	v_readfirstlane_b32 s2, v1
	s_mul_i32 s1, s1, s2
	s_mul_hi_u32 s1, s2, s1
	s_add_i32 s2, s2, s1
	s_mul_hi_u32 s1, s0, s2
	s_mul_i32 s2, s1, s10
	s_sub_i32 s2, s0, s2
	s_add_i32 s3, s1, 1
	s_sub_i32 s11, s2, s10
	s_cmp_ge_u32 s2, s10
	s_cselect_b32 s1, s3, s1
	s_cselect_b32 s2, s11, s2
	s_add_i32 s3, s1, 1
	s_cmp_ge_u32 s2, s10
	s_cselect_b32 s24, s3, s1
	s_mul_i32 s16, s24, s10
	s_sub_i32 s11, s0, s16
	s_lshl_b64 s[0:1], s[24:25], 2
	s_add_u32 s0, s12, s0
	s_addc_u32 s1, s13, s1
	s_load_dword s33, s[0:1], 0x0
	v_cmp_ne_u32_e64 s[0:1], 0, v0
	v_cmp_eq_u32_e64 s[2:3], 0, v0
	s_and_saveexec_b64 s[12:13], s[2:3]
	s_cbranch_execz .LBB81_17
; %bb.2:
	s_load_dwordx2 s[26:27], s[4:5], 0x2c8
	s_mov_b32 s17, s25
	s_lshl_b64 s[28:29], s[16:17], 2
	s_add_u32 s16, s14, s28
	s_addc_u32 s17, s15, s29
	s_waitcnt lgkmcnt(0)
	s_add_u32 s18, s26, s28
	s_addc_u32 s19, s27, s29
	s_cmp_lt_u32 s10, 4
	s_cbranch_scc1 .LBB81_14
; %bb.3:
	s_mov_b32 s34, s25
	s_mov_b32 s35, s25
	;; [unrolled: 1-line block ×3, first 2 shown]
.LBB81_4:                               ; =>This Inner Loop Header: Depth=1
	s_add_u32 s16, s14, s28
	s_addc_u32 s17, s15, s29
	s_load_dwordx4 s[16:19], s[16:17], 0x0
	s_add_u32 s30, s26, s28
	s_addc_u32 s31, s27, s29
	s_cmp_ge_u32 s36, s11
	s_cbranch_scc0 .LBB81_11
; %bb.5:                                ;   in Loop: Header=BB81_4 Depth=1
	s_add_i32 s37, s36, 1
	s_cmp_ge_u32 s37, s11
	s_cbranch_scc0 .LBB81_12
.LBB81_6:                               ;   in Loop: Header=BB81_4 Depth=1
	s_add_i32 s37, s37, 1
	s_cmp_ge_u32 s37, s11
	s_cbranch_scc0 .LBB81_13
.LBB81_7:                               ;   in Loop: Header=BB81_4 Depth=1
	s_add_i32 s37, s37, 1
	s_cmp_ge_u32 s37, s11
	s_cbranch_scc1 .LBB81_9
.LBB81_8:                               ;   in Loop: Header=BB81_4 Depth=1
	s_load_dword s30, s[30:31], 0xc
	s_waitcnt lgkmcnt(0)
	s_add_i32 s25, s25, s19
	s_add_i32 s34, s30, s34
.LBB81_9:                               ;   in Loop: Header=BB81_4 Depth=1
	s_waitcnt lgkmcnt(0)
	s_add_i32 s16, s16, s35
	s_add_i32 s16, s16, s17
	;; [unrolled: 1-line block ×4, first 2 shown]
	s_add_u32 s14, s14, 16
	s_addc_u32 s15, s15, 0
	s_add_u32 s26, s26, 16
	s_addc_u32 s27, s27, 0
	s_add_i32 s31, s37, 4
	s_add_u32 s18, s26, s28
	s_addc_u32 s19, s27, s29
	s_add_u32 s16, s14, s28
	s_addc_u32 s17, s15, s29
	s_add_i32 s30, s37, 1
	s_cmp_ge_u32 s31, s10
	s_cbranch_scc1 .LBB81_15
; %bb.10:                               ;   in Loop: Header=BB81_4 Depth=1
	s_mov_b32 s36, s30
	s_branch .LBB81_4
.LBB81_11:                              ;   in Loop: Header=BB81_4 Depth=1
	s_load_dword s37, s[30:31], 0x0
	s_waitcnt lgkmcnt(0)
	s_add_i32 s25, s16, s25
	s_add_i32 s34, s37, s34
	;; [unrolled: 1-line block ×3, first 2 shown]
	s_cmp_ge_u32 s37, s11
	s_cbranch_scc1 .LBB81_6
.LBB81_12:                              ;   in Loop: Header=BB81_4 Depth=1
	s_load_dword s38, s[30:31], 0x4
	s_waitcnt lgkmcnt(0)
	s_add_i32 s25, s25, s17
	s_add_i32 s34, s38, s34
	;; [unrolled: 1-line block ×3, first 2 shown]
	s_cmp_ge_u32 s37, s11
	s_cbranch_scc1 .LBB81_7
.LBB81_13:                              ;   in Loop: Header=BB81_4 Depth=1
	s_load_dword s38, s[30:31], 0x8
	s_waitcnt lgkmcnt(0)
	s_add_i32 s25, s25, s18
	s_add_i32 s34, s38, s34
	;; [unrolled: 1-line block ×3, first 2 shown]
	s_cmp_ge_u32 s37, s11
	s_cbranch_scc0 .LBB81_8
	s_branch .LBB81_9
.LBB81_14:
	s_mov_b32 s34, 0
	s_mov_b32 s35, 0
	;; [unrolled: 1-line block ×3, first 2 shown]
	s_cmp_ge_u32 s14, s10
	s_cbranch_scc0 .LBB81_38
	s_branch .LBB81_16
.LBB81_15:
	s_add_i32 s14, s36, 4
	s_cmp_ge_u32 s14, s10
	s_cbranch_scc0 .LBB81_38
.LBB81_16:
	v_mov_b32_e32 v2, s34
	v_mov_b32_e32 v3, s35
	;; [unrolled: 1-line block ×4, first 2 shown]
	ds_write_b96 v1, v[2:4] offset:1056
.LBB81_17:
	s_or_b64 exec, exec, s[12:13]
	s_load_dword s16, s[4:5], 0x23c
	s_load_dword s17, s[4:5], 0x15c
	s_load_dword s18, s[4:5], 0x6c
	s_load_dwordx4 s[12:15], s[4:5], 0xd8
	s_mul_i32 s19, s9, s11
	s_lshl_b32 s25, s19, 8
	s_waitcnt lgkmcnt(0)
	s_add_i32 s15, s11, 1
	s_mov_b32 s11, 0
	s_sub_i32 s19, s12, s25
	s_add_u32 s19, s19, 0xff
	s_addc_u32 s26, 0, 0
	v_mov_b32_e32 v1, s19
	v_alignbit_b32 v1, s26, v1, 8
	s_cmp_lt_u32 s15, s10
	v_readfirstlane_b32 s10, v1
	s_cselect_b32 s9, s9, s10
	s_cmp_eq_u32 s9, 0
	s_barrier
	s_cbranch_scc1 .LBB81_40
; %bb.18:
	s_mul_i32 s10, s24, s18
	s_mul_i32 s18, s24, s17
	;; [unrolled: 1-line block ×3, first 2 shown]
	s_lshl_b64 s[16:17], s[10:11], 2
	s_add_u32 s15, s22, s16
	s_mov_b32 s19, s11
	s_addc_u32 s16, s23, s17
	s_lshl_b64 s[18:19], s[18:19], 2
	s_add_u32 s17, s20, s18
	s_mov_b32 s27, s11
	v_mov_b32_e32 v1, 0
	s_addc_u32 s18, s21, s19
	s_lshl_b64 s[10:11], s[26:27], 3
	ds_read_b96 v[2:4], v1 offset:1056
	s_add_u32 s19, s6, s10
	s_addc_u32 s20, s7, s11
	s_cmp_gt_i32 s33, -1
	s_cselect_b32 s10, 0x80000000, -1
	v_cmp_o_f32_e64 s[6:7], s33, s33
	s_xor_b32 s10, s10, s33
	s_waitcnt lgkmcnt(0)
	v_add_u32_e32 v5, v2, v3
	v_lshrrev_b32_e32 v2, 5, v0
	s_and_b64 s[6:7], s[6:7], exec
	v_add_lshl_u32 v6, v2, v0, 2
	v_lshlrev_b32_e32 v2, 2, v0
	v_lshrrev_b32_e32 v3, 3, v0
	s_cselect_b32 s21, s10, -1
	s_bitcmp1_b32 s14, 0
	s_load_dword s10, s[4:5], 0xe8
	s_load_dword s14, s[4:5], 0x1c8
	v_add_lshl_u32 v7, v3, v2, 2
	v_add_u32_e32 v2, -1, v0
	v_lshrrev_b32_e32 v3, 5, v2
	v_add_lshl_u32 v8, v3, v2, 2
	v_mbcnt_lo_u32_b32 v3, -1, 0
	v_add_u32_e32 v2, s25, v0
	v_mbcnt_hi_u32_b32 v10, -1, v3
	s_cselect_b64 s[6:7], -1, 0
	v_cmp_gt_u32_e64 s[4:5], 64, v0
	s_waitcnt lgkmcnt(0)
	v_mul_lo_u32 v0, s10, v2
	s_lshl_b32 s22, s10, 8
	v_bfrev_b32_e32 v9, 1
	v_and_b32_e32 v11, 15, v10
	v_bfe_i32 v12, v10, 4, 1
	v_add_u32_e32 v13, -1, v10
	v_and_b32_e32 v14, 64, v10
                                        ; implicit-def: $vgpr15
	s_branch .LBB81_21
.LBB81_19:                              ;   in Loop: Header=BB81_21 Depth=1
	s_or_b64 exec, exec, s[10:11]
	v_add_u32_e32 v5, v18, v5
.LBB81_20:                              ;   in Loop: Header=BB81_21 Depth=1
	s_add_i32 s9, s9, -1
	v_add_u32_e32 v4, v17, v4
	v_add_u32_e32 v0, s22, v0
	s_cmp_lg_u32 s9, 0
	v_add_u32_e32 v2, 0x100, v2
	s_cbranch_scc0 .LBB81_40
.LBB81_21:                              ; =>This Inner Loop Header: Depth=1
	v_cmp_gt_u32_e32 vcc, s12, v2
	v_mov_b32_e32 v3, 0
	v_mov_b32_e32 v16, 0
	s_and_saveexec_b64 s[10:11], vcc
	s_cbranch_execz .LBB81_23
; %bb.22:                               ;   in Loop: Header=BB81_21 Depth=1
	v_lshlrev_b64 v[16:17], 2, v[0:1]
	v_mov_b32_e32 v3, s16
	v_add_co_u32_e32 v16, vcc, s15, v16
	v_addc_co_u32_e32 v17, vcc, v3, v17, vcc
	global_load_dword v15, v[16:17], off
	s_waitcnt vmcnt(0)
	v_cmp_lt_i32_e32 vcc, -1, v15
	v_cndmask_b32_e32 v3, -1, v9, vcc
	v_xor_b32_e32 v3, v3, v15
	v_cmp_o_f32_e32 vcc, v15, v15
	v_cndmask_b32_e32 v16, -1, v3, vcc
	v_cmp_lt_u32_e32 vcc, s21, v16
	v_cndmask_b32_e64 v3, 0, 1, vcc
	v_cmp_gt_u32_e32 vcc, s21, v16
	v_cndmask_b32_e64 v17, 0, 1, vcc
	v_cndmask_b32_e64 v3, v17, v3, s[6:7]
	v_cmp_eq_u32_e32 vcc, s21, v16
	v_and_b32_e32 v3, 1, v3
	v_cndmask_b32_e64 v16, 0, 1, vcc
.LBB81_23:                              ;   in Loop: Header=BB81_21 Depth=1
	s_or_b64 exec, exec, s[10:11]
	ds_write_b32 v6, v3
	s_waitcnt lgkmcnt(0)
	s_barrier
	s_and_saveexec_b64 s[10:11], s[4:5]
	s_cbranch_execz .LBB81_25
; %bb.24:                               ;   in Loop: Header=BB81_21 Depth=1
	ds_read2_b32 v[18:19], v7 offset1:1
	ds_read2_b32 v[20:21], v7 offset0:2 offset1:3
	v_cmp_ne_u32_e32 vcc, 0, v11
	; wave barrier
	s_waitcnt lgkmcnt(1)
	v_add_u32_e32 v17, v19, v18
	s_waitcnt lgkmcnt(0)
	v_add3_u32 v17, v17, v20, v21
	s_nop 1
	v_mov_b32_dpp v19, v17 row_shr:1 row_mask:0xf bank_mask:0xf
	v_cndmask_b32_e32 v19, 0, v19, vcc
	v_add_u32_e32 v17, v19, v17
	v_cmp_lt_u32_e32 vcc, 1, v11
	s_nop 0
	v_mov_b32_dpp v19, v17 row_shr:2 row_mask:0xf bank_mask:0xf
	v_cndmask_b32_e32 v19, 0, v19, vcc
	v_add_u32_e32 v17, v17, v19
	v_cmp_lt_u32_e32 vcc, 3, v11
	;; [unrolled: 5-line block ×4, first 2 shown]
	s_nop 0
	v_mov_b32_dpp v19, v17 row_bcast:15 row_mask:0xf bank_mask:0xf
	v_and_b32_e32 v19, v12, v19
	v_add_u32_e32 v17, v17, v19
	s_nop 1
	v_mov_b32_dpp v19, v17 row_bcast:31 row_mask:0xf bank_mask:0xf
	v_cndmask_b32_e32 v19, 0, v19, vcc
	v_cmp_lt_i32_e32 vcc, v13, v14
	v_add_u32_e32 v17, v17, v19
	v_cndmask_b32_e32 v19, v13, v10, vcc
	v_lshlrev_b32_e32 v19, 2, v19
	ds_bpermute_b32 v17, v19, v17
	s_waitcnt lgkmcnt(0)
	v_add_u32_e32 v17, v17, v18
	v_cndmask_b32_e64 v17, v17, v3, s[2:3]
	ds_write_b32 v7, v17
	; wave barrier
	ds_read2_b32 v[18:19], v7 offset0:1 offset1:2
	ds_read_b32 v20, v7 offset:12
	s_waitcnt lgkmcnt(1)
	v_add_u32_e32 v17, v18, v17
	v_add_u32_e32 v18, v19, v17
	ds_write2_b32 v7, v17, v18 offset0:1 offset1:2
	s_waitcnt lgkmcnt(1)
	v_add_u32_e32 v17, v20, v18
	ds_write_b32 v7, v17 offset:12
.LBB81_25:                              ;   in Loop: Header=BB81_21 Depth=1
	s_or_b64 exec, exec, s[10:11]
	v_mov_b32_e32 v18, 0
	s_waitcnt lgkmcnt(0)
	s_barrier
	s_and_saveexec_b64 s[10:11], s[0:1]
	s_cbranch_execz .LBB81_27
; %bb.26:                               ;   in Loop: Header=BB81_21 Depth=1
	ds_read_b32 v18, v8
.LBB81_27:                              ;   in Loop: Header=BB81_21 Depth=1
	s_or_b64 exec, exec, s[10:11]
	ds_read_b32 v17, v1 offset:1048
	v_cmp_ne_u32_e32 vcc, 0, v3
	s_waitcnt lgkmcnt(0)
	s_barrier
	s_and_saveexec_b64 s[10:11], vcc
	s_cbranch_execz .LBB81_29
; %bb.28:                               ;   in Loop: Header=BB81_21 Depth=1
	v_add_u32_e32 v20, v18, v4
	v_mul_lo_u32 v18, v20, s14
	v_mov_b32_e32 v19, v1
	v_lshlrev_b64 v[18:19], 2, v[18:19]
	v_mov_b32_e32 v3, s18
	v_add_co_u32_e32 v18, vcc, s17, v18
	v_addc_co_u32_e32 v19, vcc, v3, v19, vcc
	global_store_dword v[18:19], v15, off
	v_mul_lo_u32 v18, v20, s8
	v_mov_b32_e32 v19, v1
	v_lshlrev_b64 v[18:19], 3, v[18:19]
	v_mov_b32_e32 v20, s20
	v_add_co_u32_e32 v18, vcc, s19, v18
	v_mov_b32_e32 v3, v1
	v_addc_co_u32_e32 v19, vcc, v20, v19, vcc
	global_store_dwordx2 v[18:19], v[2:3], off
.LBB81_29:                              ;   in Loop: Header=BB81_21 Depth=1
	s_or_b64 exec, exec, s[10:11]
	v_cmp_le_u32_e32 vcc, s13, v5
	s_cbranch_vccnz .LBB81_20
; %bb.30:                               ;   in Loop: Header=BB81_21 Depth=1
	ds_write_b32 v6, v16
	s_waitcnt lgkmcnt(0)
	s_barrier
	s_and_saveexec_b64 s[10:11], s[4:5]
	s_cbranch_execz .LBB81_32
; %bb.31:                               ;   in Loop: Header=BB81_21 Depth=1
	ds_read2_b32 v[18:19], v7 offset1:1
	ds_read2_b32 v[20:21], v7 offset0:2 offset1:3
	v_cmp_ne_u32_e32 vcc, 0, v11
	; wave barrier
	s_waitcnt lgkmcnt(1)
	v_add_u32_e32 v3, v19, v18
	s_waitcnt lgkmcnt(0)
	v_add3_u32 v3, v3, v20, v21
	s_nop 1
	v_mov_b32_dpp v19, v3 row_shr:1 row_mask:0xf bank_mask:0xf
	v_cndmask_b32_e32 v19, 0, v19, vcc
	v_add_u32_e32 v3, v19, v3
	v_cmp_lt_u32_e32 vcc, 1, v11
	s_nop 0
	v_mov_b32_dpp v19, v3 row_shr:2 row_mask:0xf bank_mask:0xf
	v_cndmask_b32_e32 v19, 0, v19, vcc
	v_add_u32_e32 v3, v3, v19
	v_cmp_lt_u32_e32 vcc, 3, v11
	;; [unrolled: 5-line block ×4, first 2 shown]
	s_nop 0
	v_mov_b32_dpp v19, v3 row_bcast:15 row_mask:0xf bank_mask:0xf
	v_and_b32_e32 v19, v12, v19
	v_add_u32_e32 v3, v3, v19
	s_nop 1
	v_mov_b32_dpp v19, v3 row_bcast:31 row_mask:0xf bank_mask:0xf
	v_cndmask_b32_e32 v19, 0, v19, vcc
	v_cmp_lt_i32_e32 vcc, v13, v14
	v_add_u32_e32 v3, v3, v19
	v_cndmask_b32_e32 v19, v13, v10, vcc
	v_lshlrev_b32_e32 v19, 2, v19
	ds_bpermute_b32 v3, v19, v3
	s_waitcnt lgkmcnt(0)
	v_add_u32_e32 v3, v3, v18
	v_cndmask_b32_e64 v3, v3, v16, s[2:3]
	ds_write_b32 v7, v3
	; wave barrier
	ds_read2_b32 v[18:19], v7 offset0:1 offset1:2
	ds_read_b32 v20, v7 offset:12
	s_waitcnt lgkmcnt(1)
	v_add_u32_e32 v3, v18, v3
	v_add_u32_e32 v18, v19, v3
	ds_write2_b32 v7, v3, v18 offset0:1 offset1:2
	s_waitcnt lgkmcnt(1)
	v_add_u32_e32 v3, v20, v18
	ds_write_b32 v7, v3 offset:12
.LBB81_32:                              ;   in Loop: Header=BB81_21 Depth=1
	s_or_b64 exec, exec, s[10:11]
	v_mov_b32_e32 v3, 0
	s_waitcnt lgkmcnt(0)
	s_barrier
	s_and_saveexec_b64 s[10:11], s[0:1]
	s_cbranch_execz .LBB81_34
; %bb.33:                               ;   in Loop: Header=BB81_21 Depth=1
	ds_read_b32 v3, v8
.LBB81_34:                              ;   in Loop: Header=BB81_21 Depth=1
	s_or_b64 exec, exec, s[10:11]
	ds_read_b32 v18, v1 offset:1048
	v_cmp_ne_u32_e32 vcc, 0, v16
	s_waitcnt lgkmcnt(0)
	s_barrier
	s_and_saveexec_b64 s[10:11], vcc
	s_cbranch_execz .LBB81_19
; %bb.35:                               ;   in Loop: Header=BB81_21 Depth=1
	v_add_u32_e32 v16, v3, v5
	v_cmp_gt_u32_e32 vcc, s13, v16
	s_and_b64 exec, exec, vcc
	s_cbranch_execz .LBB81_19
; %bb.36:                               ;   in Loop: Header=BB81_21 Depth=1
	v_mul_lo_u32 v20, v16, s14
	v_mov_b32_e32 v21, v1
	v_lshlrev_b64 v[20:21], 2, v[20:21]
	v_mov_b32_e32 v3, s18
	v_add_co_u32_e32 v20, vcc, s17, v20
	v_addc_co_u32_e32 v21, vcc, v3, v21, vcc
	global_store_dword v[20:21], v15, off
	v_mul_lo_u32 v20, v16, s8
	v_mov_b32_e32 v21, v1
	v_lshlrev_b64 v[20:21], 3, v[20:21]
	v_mov_b32_e32 v16, s20
	v_add_co_u32_e32 v20, vcc, s19, v20
	v_mov_b32_e32 v3, v1
	v_addc_co_u32_e32 v21, vcc, v16, v21, vcc
	global_store_dwordx2 v[20:21], v[2:3], off
	s_branch .LBB81_19
.LBB81_37:                              ;   in Loop: Header=BB81_38 Depth=1
	s_add_u32 s16, s16, 4
	s_addc_u32 s17, s17, 0
	s_waitcnt lgkmcnt(0)
	s_add_i32 s35, s15, s35
	s_add_u32 s18, s18, 4
	s_addc_u32 s19, s19, 0
	s_add_i32 s14, s14, 1
	s_cmp_lt_u32 s14, s10
	s_cbranch_scc0 .LBB81_16
.LBB81_38:                              ; =>This Inner Loop Header: Depth=1
	s_load_dword s15, s[16:17], 0x0
	s_cmp_ge_u32 s14, s11
	s_cbranch_scc1 .LBB81_37
; %bb.39:                               ;   in Loop: Header=BB81_38 Depth=1
	s_load_dword s26, s[18:19], 0x0
	s_waitcnt lgkmcnt(0)
	s_add_i32 s25, s15, s25
	s_add_i32 s34, s26, s34
	s_branch .LBB81_37
.LBB81_40:
	s_endpgm
	.section	.rodata,"a",@progbits
	.p2align	6, 0x0
	.amdhsa_kernel _ZN2at6native6mbtopk10gatherTopKIfjLi1EEEvNS_4cuda6detail10TensorInfoIKT_T0_EES8_S8_bjS8_NS5_IS6_S8_EES8_NS5_IlS8_EES8_jjPS6_PjSD_j
		.amdhsa_group_segment_fixed_size 1068
		.amdhsa_private_segment_fixed_size 0
		.amdhsa_kernarg_size 984
		.amdhsa_user_sgpr_count 6
		.amdhsa_user_sgpr_private_segment_buffer 1
		.amdhsa_user_sgpr_dispatch_ptr 0
		.amdhsa_user_sgpr_queue_ptr 0
		.amdhsa_user_sgpr_kernarg_segment_ptr 1
		.amdhsa_user_sgpr_dispatch_id 0
		.amdhsa_user_sgpr_flat_scratch_init 0
		.amdhsa_user_sgpr_kernarg_preload_length 0
		.amdhsa_user_sgpr_kernarg_preload_offset 0
		.amdhsa_user_sgpr_private_segment_size 0
		.amdhsa_uses_dynamic_stack 0
		.amdhsa_system_sgpr_private_segment_wavefront_offset 0
		.amdhsa_system_sgpr_workgroup_id_x 1
		.amdhsa_system_sgpr_workgroup_id_y 1
		.amdhsa_system_sgpr_workgroup_id_z 1
		.amdhsa_system_sgpr_workgroup_info 0
		.amdhsa_system_vgpr_workitem_id 0
		.amdhsa_next_free_vgpr 22
		.amdhsa_next_free_sgpr 39
		.amdhsa_accum_offset 24
		.amdhsa_reserve_vcc 1
		.amdhsa_reserve_flat_scratch 0
		.amdhsa_float_round_mode_32 0
		.amdhsa_float_round_mode_16_64 0
		.amdhsa_float_denorm_mode_32 3
		.amdhsa_float_denorm_mode_16_64 3
		.amdhsa_dx10_clamp 1
		.amdhsa_ieee_mode 1
		.amdhsa_fp16_overflow 0
		.amdhsa_tg_split 0
		.amdhsa_exception_fp_ieee_invalid_op 0
		.amdhsa_exception_fp_denorm_src 0
		.amdhsa_exception_fp_ieee_div_zero 0
		.amdhsa_exception_fp_ieee_overflow 0
		.amdhsa_exception_fp_ieee_underflow 0
		.amdhsa_exception_fp_ieee_inexact 0
		.amdhsa_exception_int_div_zero 0
	.end_amdhsa_kernel
	.section	.text._ZN2at6native6mbtopk10gatherTopKIfjLi1EEEvNS_4cuda6detail10TensorInfoIKT_T0_EES8_S8_bjS8_NS5_IS6_S8_EES8_NS5_IlS8_EES8_jjPS6_PjSD_j,"axG",@progbits,_ZN2at6native6mbtopk10gatherTopKIfjLi1EEEvNS_4cuda6detail10TensorInfoIKT_T0_EES8_S8_bjS8_NS5_IS6_S8_EES8_NS5_IlS8_EES8_jjPS6_PjSD_j,comdat
.Lfunc_end81:
	.size	_ZN2at6native6mbtopk10gatherTopKIfjLi1EEEvNS_4cuda6detail10TensorInfoIKT_T0_EES8_S8_bjS8_NS5_IS6_S8_EES8_NS5_IlS8_EES8_jjPS6_PjSD_j, .Lfunc_end81-_ZN2at6native6mbtopk10gatherTopKIfjLi1EEEvNS_4cuda6detail10TensorInfoIKT_T0_EES8_S8_bjS8_NS5_IS6_S8_EES8_NS5_IlS8_EES8_jjPS6_PjSD_j
                                        ; -- End function
	.section	.AMDGPU.csdata,"",@progbits
; Kernel info:
; codeLenInByte = 2120
; NumSgprs: 43
; NumVgprs: 22
; NumAgprs: 0
; TotalNumVgprs: 22
; ScratchSize: 0
; MemoryBound: 0
; FloatMode: 240
; IeeeMode: 1
; LDSByteSize: 1068 bytes/workgroup (compile time only)
; SGPRBlocks: 5
; VGPRBlocks: 2
; NumSGPRsForWavesPerEU: 43
; NumVGPRsForWavesPerEU: 22
; AccumOffset: 24
; Occupancy: 8
; WaveLimiterHint : 1
; COMPUTE_PGM_RSRC2:SCRATCH_EN: 0
; COMPUTE_PGM_RSRC2:USER_SGPR: 6
; COMPUTE_PGM_RSRC2:TRAP_HANDLER: 0
; COMPUTE_PGM_RSRC2:TGID_X_EN: 1
; COMPUTE_PGM_RSRC2:TGID_Y_EN: 1
; COMPUTE_PGM_RSRC2:TGID_Z_EN: 1
; COMPUTE_PGM_RSRC2:TIDIG_COMP_CNT: 0
; COMPUTE_PGM_RSRC3_GFX90A:ACCUM_OFFSET: 5
; COMPUTE_PGM_RSRC3_GFX90A:TG_SPLIT: 0
	.section	.text._ZN2at6native6sbtopk10gatherTopKIfjLi1ELb0EEEvNS_4cuda6detail10TensorInfoIKT_T0_EES8_S8_bS8_S8_NS5_IS6_S8_EES8_NS5_IlS8_EES8_PS6_,"axG",@progbits,_ZN2at6native6sbtopk10gatherTopKIfjLi1ELb0EEEvNS_4cuda6detail10TensorInfoIKT_T0_EES8_S8_bS8_S8_NS5_IS6_S8_EES8_NS5_IlS8_EES8_PS6_,comdat
	.protected	_ZN2at6native6sbtopk10gatherTopKIfjLi1ELb0EEEvNS_4cuda6detail10TensorInfoIKT_T0_EES8_S8_bS8_S8_NS5_IS6_S8_EES8_NS5_IlS8_EES8_PS6_ ; -- Begin function _ZN2at6native6sbtopk10gatherTopKIfjLi1ELb0EEEvNS_4cuda6detail10TensorInfoIKT_T0_EES8_S8_bS8_S8_NS5_IS6_S8_EES8_NS5_IlS8_EES8_PS6_
	.globl	_ZN2at6native6sbtopk10gatherTopKIfjLi1ELb0EEEvNS_4cuda6detail10TensorInfoIKT_T0_EES8_S8_bS8_S8_NS5_IS6_S8_EES8_NS5_IlS8_EES8_PS6_
	.p2align	8
	.type	_ZN2at6native6sbtopk10gatherTopKIfjLi1ELb0EEEvNS_4cuda6detail10TensorInfoIKT_T0_EES8_S8_bS8_S8_NS5_IS6_S8_EES8_NS5_IlS8_EES8_PS6_,@function
_ZN2at6native6sbtopk10gatherTopKIfjLi1ELb0EEEvNS_4cuda6detail10TensorInfoIKT_T0_EES8_S8_bS8_S8_NS5_IS6_S8_EES8_NS5_IlS8_EES8_PS6_: ; @_ZN2at6native6sbtopk10gatherTopKIfjLi1ELb0EEEvNS_4cuda6detail10TensorInfoIKT_T0_EES8_S8_bS8_S8_NS5_IS6_S8_EES8_NS5_IlS8_EES8_PS6_
; %bb.0:
	s_load_dwordx2 s[10:11], s[4:5], 0x2b8
	s_load_dwordx4 s[60:63], s[4:5], 0xd8
	s_add_u32 s2, s4, 0x2b8
	s_addc_u32 s3, s5, 0
	s_waitcnt lgkmcnt(0)
	s_mul_i32 s0, s11, s8
	s_add_i32 s0, s0, s7
	s_mul_i32 s0, s0, s10
	s_add_i32 s14, s0, s6
	s_cmp_ge_u32 s14, s63
	s_cbranch_scc1 .LBB82_414
; %bb.1:
	s_load_dwordx2 s[0:1], s[4:5], 0x1d0
                                        ; implicit-def: $vgpr54 : SGPR spill to VGPR lane
	s_mov_b32 s8, 0
	s_waitcnt lgkmcnt(0)
	v_writelane_b32 v54, s0, 0
	v_writelane_b32 v54, s1, 1
	s_load_dwordx2 s[0:1], s[4:5], 0xf0
	s_waitcnt lgkmcnt(0)
	v_writelane_b32 v54, s0, 2
	v_writelane_b32 v54, s1, 3
	s_load_dword s11, s[4:5], 0xe8
	s_load_dword s7, s[4:5], 0x6c
	s_load_dwordx2 s[0:1], s[4:5], 0x0
	v_writelane_b32 v54, s8, 4
	v_writelane_b32 v54, s9, 5
	v_cmp_eq_u32_e64 s[8:9], 0, v0
	s_mov_b64 s[12:13], exec
	v_writelane_b32 v54, s8, 6
	v_writelane_b32 v54, s9, 7
	s_and_b64 s[8:9], s[12:13], s[8:9]
	s_mov_b64 exec, s[8:9]
	s_cbranch_execz .LBB82_3
; %bb.2:
	v_mov_b32_e32 v2, 0
	v_mov_b32_e32 v3, s60
	;; [unrolled: 1-line block ×3, first 2 shown]
	ds_write_b96 v2, v[2:4] offset:4096
.LBB82_3:
	s_or_b64 exec, exec, s[12:13]
	s_load_dword s8, s[4:5], 0x23c
	s_waitcnt lgkmcnt(0)
	s_barrier
	v_mbcnt_lo_u32_b32 v1, -1, 0
	v_writelane_b32 v54, s8, 8
	v_writelane_b32 v54, s4, 9
	;; [unrolled: 1-line block ×3, first 2 shown]
	s_load_dword s4, s[4:5], 0x15c
	s_mov_b32 s5, 0
	v_mbcnt_hi_u32_b32 v1, -1, v1
	v_cmp_gt_u32_e32 vcc, 64, v0
	v_mov_b32_e32 v11, 0
	s_waitcnt lgkmcnt(0)
	v_writelane_b32 v54, s4, 11
	s_mul_i32 s4, s7, s14
	s_lshl_b64 s[4:5], s[4:5], 2
	s_add_u32 s33, s0, s4
	s_addc_u32 s8, s1, s5
	s_load_dword s0, s[2:3], 0xc
	s_bitcmp1_b32 s62, 0
	v_writelane_b32 v54, s14, 12
	s_cselect_b64 s[4:5], -1, 0
	v_writelane_b32 v54, s4, 13
	v_writelane_b32 v54, s5, 14
	s_xor_b64 s[4:5], s[4:5], -1
	v_writelane_b32 v54, s4, 15
	v_writelane_b32 v54, s5, 16
	s_waitcnt lgkmcnt(0)
	s_and_b32 s9, s0, 0xffff
	s_bfe_u32 s5, s0, 0xa0006
	v_cmp_gt_i32_e64 s[0:1], 4, v1
	s_lshl_b32 s73, s9, 2
	s_and_b64 s[70:71], vcc, s[0:1]
	s_cmpk_gt_u32 s60, 0x300
	s_cselect_b64 s[0:1], -1, 0
	v_writelane_b32 v54, s0, 17
	s_cmp_gt_u32 s9, 63
	v_writelane_b32 v54, s1, 18
	s_cselect_b64 s[0:1], -1, 0
	v_writelane_b32 v54, s0, 19
	v_writelane_b32 v54, s1, 20
	s_add_i32 s0, s9, -1
	s_add_i32 s4, s0, s60
	s_cmp_lt_u32 s6, s10
	v_writelane_b32 v54, s0, 21
	s_cselect_b32 s0, 12, 18
	s_add_u32 s0, s2, s0
	s_addc_u32 s1, s3, 0
	v_writelane_b32 v54, s0, 22
	s_add_i32 s2, s5, -2
	v_writelane_b32 v54, s1, 23
	s_lshr_b32 s0, s2, 1
	s_add_i32 s3, s0, 1
	s_cmpk_gt_u32 s9, 0x7f
	s_cselect_b64 s[0:1], -1, 0
	v_writelane_b32 v54, s0, 24
	v_mul_lo_u32 v12, v0, s11
	v_mov_b32_e32 v13, v11
	v_writelane_b32 v54, s1, 25
	v_cmp_gt_u32_e64 s[6:7], s60, v0
	v_lshlrev_b64 v[2:3], 2, v[12:13]
	v_writelane_b32 v54, s6, 26
	v_mov_b32_e32 v21, s8
	v_add_co_u32_e32 v8, vcc, s33, v2
	v_lshrrev_b32_e32 v2, 4, v0
	v_writelane_b32 v54, s7, 27
	v_addc_co_u32_e32 v9, vcc, v21, v3, vcc
	v_and_b32_e32 v22, 60, v2
	v_cmp_gt_u32_e64 s[6:7], 2, v0
	v_lshlrev_b64 v[2:3], v1, -1
	v_writelane_b32 v54, s6, 28
	v_not_b32_e32 v6, v2
	v_cvt_f32_u32_e32 v2, s73
	v_writelane_b32 v54, s7, 29
	s_and_b32 s6, s5, 0x3fe
	s_and_b32 s7, s3, 7
	s_cmp_gt_u32 s2, 13
	s_cselect_b64 s[12:13], -1, 0
	v_writelane_b32 v54, s12, 30
	v_rcp_iflag_f32_e32 v2, v2
	v_writelane_b32 v54, s13, 31
	s_and_b32 s2, s3, -8
	v_writelane_b32 v54, s2, 32
	s_cmp_lg_u32 s7, 0
	v_writelane_b32 v54, s7, 33
	s_cselect_b64 s[2:3], -1, 0
	v_writelane_b32 v54, s2, 34
	v_mul_f32_e32 v2, 0x4f7ffffe, v2
	v_writelane_b32 v54, s3, 35
	v_cvt_u32_f32_e32 v2, v2
	v_writelane_b32 v54, s5, 36
	s_cmp_lg_u32 s6, s5
	v_writelane_b32 v54, s6, 37
	s_cselect_b64 s[2:3], -1, 0
	v_writelane_b32 v54, s2, 38
	v_writelane_b32 v54, s3, 39
	s_sub_i32 s2, 0, s73
	v_readfirstlane_b32 s3, v2
	v_cvt_f32_u32_e32 v2, s9
	s_mul_i32 s2, s2, s3
	s_mul_hi_u32 s2, s3, s2
	s_add_i32 s2, s3, s2
	v_writelane_b32 v54, s2, 40
	s_mul_hi_u32 s2, s60, s2
	v_rcp_iflag_f32_e32 v5, v2
	s_mul_i32 s2, s2, s73
	s_sub_i32 s2, s60, s2
	s_sub_i32 s3, s2, s73
	s_cmp_ge_u32 s2, s73
	v_mul_f32_e32 v5, 0x4f7ffffe, v5
	s_cselect_b32 s2, s3, s2
	v_cvt_u32_f32_e32 v5, v5
	s_sub_i32 s3, s2, s73
	s_cmp_ge_u32 s2, s73
	s_cselect_b32 s2, s3, s2
	v_lshlrev_b32_e32 v20, 2, v0
	s_sub_i32 s75, s60, s2
	s_sub_i32 s3, 0, s9
	v_readfirstlane_b32 s5, v5
	v_cmp_gt_u32_e64 s[6:7], s75, v20
	s_mul_i32 s3, s3, s5
	v_writelane_b32 v54, s6, 41
	s_mul_hi_u32 s3, s5, s3
	v_writelane_b32 v54, s7, 42
	s_add_i32 s3, s5, s3
	v_writelane_b32 v54, s3, 43
	s_mul_hi_u32 s3, s4, s3
	s_mul_i32 s3, s3, s9
	s_sub_i32 s3, s4, s3
	s_sub_i32 s5, s3, s9
	v_add_u32_e32 v24, s75, v0
	s_cmp_ge_u32 s3, s9
	v_mul_lo_u32 v10, v24, s11
	s_cselect_b32 s3, s5, s3
	v_not_b32_e32 v7, v3
	v_lshlrev_b64 v[2:3], 2, v[10:11]
	s_sub_i32 s5, s3, s9
	v_add_co_u32_e32 v14, vcc, s33, v2
	s_cmp_ge_u32 s3, s9
	v_mul_lo_u32 v2, s11, v20
	s_cselect_b32 s3, s5, s3
	v_add_u32_e32 v25, s11, v2
	v_or_b32_e32 v2, 2, v20
	s_sub_i32 s4, s4, s3
	v_mul_lo_u32 v26, s11, v2
	v_or_b32_e32 v2, 3, v20
	s_add_i32 s3, s9, s60
	v_cmp_gt_u32_e64 s[6:7], s4, v0
	v_mul_lo_u32 v27, s11, v2
	v_add_u32_e32 v2, s3, v0
	v_lshlrev_b32_e32 v4, 2, v1
	v_mov_b32_e32 v10, s8
	v_writelane_b32 v54, s6, 44
	s_mul_i32 s72, s11, s9
	v_subrev_u32_e32 v2, s2, v2
	v_cmp_eq_u32_e64 s[0:1], 0, v1
	v_add_u32_e32 v23, 0xc00, v20
	v_and_b32_e32 v13, 0x100, v4
	v_cmp_gt_u32_e64 s[14:15], s60, v24
	v_addc_co_u32_e32 v15, vcc, v10, v3, vcc
	v_writelane_b32 v54, s7, 45
	s_lshl_b32 s5, s72, 2
	v_lshlrev_b32_e32 v28, 2, v12
	v_mul_lo_u32 v29, s11, v2
	v_lshlrev_b32_e32 v30, 4, v0
	s_lshl_b32 s12, s9, 4
	v_or_b32_e32 v31, 0xc00, v4
	s_mov_b32 s13, 30
	s_mov_b64 s[86:87], 0
	v_mov_b32_e32 v36, s61
	v_mov_b32_e32 v16, 1.0
	v_bfrev_b32_e32 v32, 1
	v_mov_b32_e32 v33, 0xc00
	v_mov_b32_e32 v19, 0
	s_mov_b32 s6, 0
	v_mov_b32_e32 v35, 0
	v_mov_b32_e32 v34, 0
	v_writelane_b32 v54, s11, 46
                                        ; implicit-def: $sgpr88_sgpr89
                                        ; implicit-def: $sgpr90_sgpr91
                                        ; implicit-def: $sgpr94_sgpr95
                                        ; implicit-def: $sgpr64_sgpr65
                                        ; implicit-def: $sgpr92_sgpr93
                                        ; implicit-def: $sgpr66_sgpr67
                                        ; implicit-def: $sgpr2_sgpr3
                                        ; implicit-def: $sgpr80_sgpr81
                                        ; implicit-def: $sgpr82_sgpr83
                                        ; implicit-def: $sgpr84_sgpr85
	s_branch .LBB82_6
.LBB82_4:                               ;   in Loop: Header=BB82_6 Depth=1
	s_or_b64 exec, exec, s[22:23]
	s_andn2_b64 s[10:11], s[84:85], exec
	s_and_b64 s[20:21], s[20:21], exec
	s_or_b64 s[84:85], s[10:11], s[20:21]
	s_andn2_b64 s[82:83], s[82:83], exec
	s_andn2_b64 s[80:81], s[80:81], exec
	;; [unrolled: 1-line block ×4, first 2 shown]
	s_orn2_b64 s[18:19], s[18:19], exec
	v_mov_b32_e32 v34, v5
	v_mov_b32_e32 v35, v4
	;; [unrolled: 1-line block ×4, first 2 shown]
.LBB82_5:                               ;   in Loop: Header=BB82_6 Depth=1
	s_or_b64 exec, exec, s[16:17]
	s_and_b64 s[10:11], exec, s[18:19]
	s_or_b64 s[86:87], s[10:11], s[86:87]
	s_andn2_b64 s[10:11], s[92:93], exec
	s_and_b64 s[16:17], s[84:85], exec
	s_or_b64 s[92:93], s[10:11], s[16:17]
	s_andn2_b64 s[10:11], s[64:65], exec
	s_and_b64 s[16:17], s[82:83], exec
	;; [unrolled: 3-line block ×5, first 2 shown]
	s_or_b64 s[88:89], s[10:11], s[16:17]
	s_andn2_b64 exec, exec, s[86:87]
	s_cbranch_execz .LBB82_410
.LBB82_6:                               ; =>This Loop Header: Depth=1
                                        ;     Child Loop BB82_14 Depth 2
                                        ;     Child Loop BB82_32 Depth 2
	;; [unrolled: 1-line block ×25, first 2 shown]
	ds_read_b64 v[2:3], v11 offset:4096
	s_waitcnt lgkmcnt(0)
	v_readfirstlane_b32 s7, v2
	s_cmp_lg_u32 s7, 0
	s_cbranch_scc1 .LBB82_39
; %bb.7:                                ;   in Loop: Header=BB82_6 Depth=1
	v_readlane_b32 s10, v54, 17
	v_readlane_b32 s11, v54, 18
	s_and_b64 vcc, exec, s[10:11]
	s_cbranch_vccz .LBB82_22
; %bb.8:                                ;   in Loop: Header=BB82_6 Depth=1
	s_movk_i32 s7, 0x301
	v_cmp_gt_u32_e32 vcc, s7, v3
	s_mov_b64 s[16:17], 0
	s_mov_b64 s[18:19], 0
	s_cbranch_vccz .LBB82_23
; %bb.9:                                ;   in Loop: Header=BB82_6 Depth=1
	v_mov_b32_e32 v2, 0
	s_mov_b64 s[18:19], exec
	v_readlane_b32 s10, v54, 26
	v_readlane_b32 s11, v54, 27
	s_and_b64 s[10:11], s[18:19], s[10:11]
	s_mov_b64 exec, s[10:11]
	s_cbranch_execz .LBB82_11
; %bb.10:                               ;   in Loop: Header=BB82_6 Depth=1
	global_load_dword v2, v[8:9], off
.LBB82_11:                              ;   in Loop: Header=BB82_6 Depth=1
	s_or_b64 exec, exec, s[18:19]
	s_mov_b64 s[22:23], exec
	v_readlane_b32 s10, v54, 26
	v_readlane_b32 s11, v54, 27
	s_and_b64 s[10:11], s[22:23], s[10:11]
	s_mov_b64 exec, s[10:11]
	s_cbranch_execz .LBB82_24
; %bb.12:                               ;   in Loop: Header=BB82_6 Depth=1
	v_readlane_b32 s10, v54, 22
	v_readlane_b32 s11, v54, 23
	;; [unrolled: 1-line block ×3, first 2 shown]
	s_mov_b64 s[24:25], 0
	s_nop 2
	global_load_ushort v3, v11, s[10:11]
	s_waitcnt vmcnt(0)
	v_add_u32_e32 v5, v0, v3
	v_mul_lo_u32 v4, s7, v3
	v_mul_lo_u32 v10, s7, v5
	v_mov_b32_e32 v5, v0
	s_branch .LBB82_14
.LBB82_13:                              ;   in Loop: Header=BB82_14 Depth=2
	s_or_b64 exec, exec, s[20:21]
	v_add_u32_e32 v10, v10, v4
	s_waitcnt vmcnt(0)
	v_mov_b32_e32 v2, v17
	s_andn2_b64 exec, exec, s[24:25]
	s_cbranch_execz .LBB82_24
.LBB82_14:                              ;   Parent Loop BB82_6 Depth=1
                                        ; =>  This Inner Loop Header: Depth=2
	v_add_u32_e32 v5, v5, v3
	v_cmp_gt_u32_e64 s[18:19], s60, v5
	v_cmp_le_u32_e32 vcc, s60, v5
	s_waitcnt lgkmcnt(0)
	v_mov_b32_e32 v18, 0
	v_mov_b32_e32 v17, 0
	s_and_saveexec_b64 s[20:21], s[18:19]
	s_cbranch_execz .LBB82_16
; %bb.15:                               ;   in Loop: Header=BB82_14 Depth=2
	v_lshlrev_b64 v[38:39], 2, v[10:11]
	v_add_co_u32_e64 v38, s[18:19], s33, v38
	v_addc_co_u32_e64 v39, s[18:19], v21, v39, s[18:19]
	global_load_dword v17, v[38:39], off
.LBB82_16:                              ;   in Loop: Header=BB82_14 Depth=2
	s_or_b64 exec, exec, s[20:21]
	v_cmp_lt_i32_e64 s[18:19], -1, v2
	v_cndmask_b32_e64 v37, -1, v32, s[18:19]
	v_xor_b32_e32 v37, v37, v2
	v_cmp_o_f32_e64 s[18:19], v2, v2
	v_cndmask_b32_e64 v37, -1, v37, s[18:19]
	v_and_b32_e32 v37, v37, v34
	v_cmp_eq_u32_e64 s[18:19], v37, v35
	s_cmp_lg_u64 s[18:19], 0
	s_cselect_b64 s[10:11], -1, 0
	s_and_b64 s[10:11], s[0:1], s[10:11]
	s_and_saveexec_b64 s[26:27], s[10:11]
	s_cbranch_execz .LBB82_20
; %bb.17:                               ;   in Loop: Header=BB82_14 Depth=2
	s_mov_b64 s[30:31], exec
	v_mbcnt_lo_u32_b32 v18, s30, 0
	v_mbcnt_hi_u32_b32 v18, s31, v18
	s_bcnt1_i32_b64 s7, s[18:19]
	v_cmp_eq_u32_e64 s[20:21], 0, v18
                                        ; implicit-def: $vgpr37
	s_and_saveexec_b64 s[28:29], s[20:21]
	s_cbranch_execz .LBB82_19
; %bb.18:                               ;   in Loop: Header=BB82_14 Depth=2
	s_bcnt1_i32_b64 s10, s[30:31]
	s_mul_i32 s10, s7, s10
	v_mov_b32_e32 v37, s10
	ds_add_rtn_u32 v37, v11, v37 offset:4104
.LBB82_19:                              ;   in Loop: Header=BB82_14 Depth=2
	s_or_b64 exec, exec, s[28:29]
	s_waitcnt lgkmcnt(0)
	v_readfirstlane_b32 s10, v37
	v_mov_b32_e32 v37, s10
	v_mad_u32_u24 v18, s7, v18, v37
.LBB82_20:                              ;   in Loop: Header=BB82_14 Depth=2
	s_or_b64 exec, exec, s[26:27]
	ds_bpermute_b32 v18, v13, v18
	s_and_b64 s[10:11], exec, vcc
	s_or_b64 s[24:25], s[10:11], s[24:25]
	s_and_saveexec_b64 s[20:21], s[18:19]
	s_cbranch_execz .LBB82_13
; %bb.21:                               ;   in Loop: Header=BB82_14 Depth=2
	v_and_b32_e32 v38, s18, v6
	v_and_b32_e32 v37, s19, v7
	v_bcnt_u32_b32 v38, v38, 0
	v_bcnt_u32_b32 v37, v37, v38
	v_lshlrev_b32_e32 v37, 2, v37
	s_waitcnt lgkmcnt(0)
	v_lshl_add_u32 v18, v18, 2, v37
	ds_write_b32 v18, v2
	s_branch .LBB82_13
.LBB82_22:                              ;   in Loop: Header=BB82_6 Depth=1
	s_mov_b64 s[18:19], 0
                                        ; implicit-def: $sgpr7
	s_cbranch_execnz .LBB82_27
	s_branch .LBB82_37
.LBB82_23:                              ;   in Loop: Header=BB82_6 Depth=1
	s_mov_b32 s7, 0
	s_and_b64 vcc, exec, s[16:17]
	s_cbranch_vccnz .LBB82_27
	s_branch .LBB82_37
.LBB82_24:                              ;   in Loop: Header=BB82_6 Depth=1
	s_or_b64 exec, exec, s[22:23]
	s_waitcnt lgkmcnt(0)
	s_barrier
	s_mov_b64 s[18:19], exec
	v_readlane_b32 s10, v54, 6
	v_readlane_b32 s11, v54, 7
	s_and_b64 s[10:11], s[18:19], s[10:11]
	s_mov_b64 exec, s[10:11]
	s_cbranch_execz .LBB82_26
; %bb.25:                               ;   in Loop: Header=BB82_6 Depth=1
	s_waitcnt vmcnt(0)
	ds_read_b32 v2, v11 offset:4104
	s_waitcnt lgkmcnt(0)
	ds_write_b32 v11, v2 offset:4096
.LBB82_26:                              ;   in Loop: Header=BB82_6 Depth=1
	s_or_b64 exec, exec, s[18:19]
	s_waitcnt lgkmcnt(0)
	s_barrier
	s_mov_b64 s[18:19], -1
	s_mov_b32 s7, 0
	s_and_b64 vcc, exec, s[16:17]
	s_cbranch_vccz .LBB82_37
.LBB82_27:                              ;   in Loop: Header=BB82_6 Depth=1
	s_waitcnt vmcnt(0)
	v_mov_b32_e32 v2, 0
	s_mov_b64 s[16:17], exec
	v_readlane_b32 s10, v54, 26
	v_readlane_b32 s11, v54, 27
	s_and_b64 s[10:11], s[16:17], s[10:11]
	s_mov_b64 exec, s[10:11]
	s_cbranch_execz .LBB82_29
; %bb.28:                               ;   in Loop: Header=BB82_6 Depth=1
	global_load_dword v2, v[8:9], off
.LBB82_29:                              ;   in Loop: Header=BB82_6 Depth=1
	s_or_b64 exec, exec, s[16:17]
	s_mov_b64 s[16:17], exec
	v_readlane_b32 s10, v54, 26
	v_readlane_b32 s11, v54, 27
	s_and_b64 s[10:11], s[16:17], s[10:11]
	s_mov_b64 exec, s[10:11]
	s_cbranch_execz .LBB82_34
; %bb.30:                               ;   in Loop: Header=BB82_6 Depth=1
	v_readlane_b32 s10, v54, 22
	v_readlane_b32 s11, v54, 23
	;; [unrolled: 1-line block ×3, first 2 shown]
	s_mov_b64 s[20:21], 0
	v_mov_b32_e32 v4, v20
	v_mov_b32_e32 v18, v0
	s_nop 0
	global_load_ushort v3, v11, s[10:11]
	s_waitcnt vmcnt(0)
	v_add_u32_e32 v10, v0, v3
	v_lshlrev_b32_e32 v5, 2, v3
	v_mul_lo_u32 v17, s7, v3
	v_mul_lo_u32 v10, s7, v10
	s_branch .LBB82_32
.LBB82_31:                              ;   in Loop: Header=BB82_32 Depth=2
	s_or_b64 exec, exec, s[22:23]
	s_and_b64 s[10:11], exec, vcc
	s_or_b64 s[20:21], s[10:11], s[20:21]
	ds_write_b32 v4, v2
	v_add_u32_e32 v4, v4, v5
	v_add_u32_e32 v10, v10, v17
	s_waitcnt vmcnt(0)
	v_mov_b32_e32 v2, v37
	s_andn2_b64 exec, exec, s[20:21]
	s_cbranch_execz .LBB82_34
.LBB82_32:                              ;   Parent Loop BB82_6 Depth=1
                                        ; =>  This Inner Loop Header: Depth=2
	v_add_u32_e32 v18, v18, v3
	v_cmp_gt_u32_e64 s[18:19], s60, v18
	v_cmp_le_u32_e32 vcc, s60, v18
	v_mov_b32_e32 v37, 0
	s_and_saveexec_b64 s[22:23], s[18:19]
	s_cbranch_execz .LBB82_31
; %bb.33:                               ;   in Loop: Header=BB82_32 Depth=2
	v_lshlrev_b64 v[38:39], 2, v[10:11]
	v_mov_b32_e32 v37, s8
	v_add_co_u32_e64 v38, s[18:19], s33, v38
	v_addc_co_u32_e64 v39, s[18:19], v37, v39, s[18:19]
	global_load_dword v37, v[38:39], off
	s_branch .LBB82_31
.LBB82_34:                              ;   in Loop: Header=BB82_6 Depth=1
	s_or_b64 exec, exec, s[16:17]
	s_waitcnt lgkmcnt(0)
	s_barrier
	s_mov_b64 s[16:17], exec
	v_readlane_b32 s10, v54, 6
	v_readlane_b32 s11, v54, 7
	s_and_b64 s[10:11], s[16:17], s[10:11]
	s_mov_b64 exec, s[10:11]
	s_cbranch_execz .LBB82_36
; %bb.35:                               ;   in Loop: Header=BB82_6 Depth=1
	s_waitcnt vmcnt(0)
	v_mov_b32_e32 v2, s60
	ds_write_b32 v11, v2 offset:4096
.LBB82_36:                              ;   in Loop: Header=BB82_6 Depth=1
	s_or_b64 exec, exec, s[16:17]
	s_mov_b64 s[18:19], -1
	s_waitcnt lgkmcnt(0)
	s_barrier
                                        ; implicit-def: $sgpr7
.LBB82_37:                              ;   in Loop: Header=BB82_6 Depth=1
	s_and_b64 vcc, exec, s[18:19]
	s_cbranch_vccz .LBB82_39
; %bb.38:                               ;   in Loop: Header=BB82_6 Depth=1
	s_waitcnt vmcnt(0)
	ds_read_b32 v2, v11 offset:4096
	s_waitcnt lgkmcnt(0)
	v_readfirstlane_b32 s7, v2
.LBB82_39:                              ;   in Loop: Header=BB82_6 Depth=1
	s_cmp_lt_i32 s7, 1
	s_cbranch_scc0 .LBB82_51
; %bb.40:                               ;   in Loop: Header=BB82_6 Depth=1
	s_waitcnt vmcnt(0)
	v_mov_b32_e32 v2, 0
	s_mov_b32 s10, 0
	v_mov_b32_e32 v3, 0
	v_mov_b32_e32 v4, v2
	;; [unrolled: 1-line block ×3, first 2 shown]
	s_mov_b64 s[48:49], exec
	v_readlane_b32 s16, v54, 41
	v_readlane_b32 s17, v54, 42
	s_and_b64 s[16:17], s[48:49], s[16:17]
	s_mov_b64 exec, s[16:17]
	s_cbranch_execz .LBB82_44
; %bb.41:                               ;   in Loop: Header=BB82_6 Depth=1
	s_and_b32 s11, s13, 0xfe
	s_mov_b64 s[50:51], 0
	s_mov_b32 s16, 0
	s_mov_b32 s17, 0
	;; [unrolled: 1-line block ×4, first 2 shown]
	v_mov_b32_e32 v17, v20
.LBB82_42:                              ;   Parent Loop BB82_6 Depth=1
                                        ; =>  This Inner Loop Header: Depth=2
	v_add_u32_e32 v10, s10, v28
	v_lshlrev_b64 v[2:3], 2, v[10:11]
	v_mov_b32_e32 v18, s8
	v_add_u32_e32 v10, s10, v25
	v_add_co_u32_e64 v2, s[18:19], s33, v2
	v_lshlrev_b64 v[4:5], 2, v[10:11]
	v_addc_co_u32_e64 v3, s[18:19], v18, v3, s[18:19]
	v_add_u32_e32 v10, s10, v26
	global_load_dword v37, v[2:3], off
	v_add_co_u32_e64 v2, s[18:19], s33, v4
	v_lshlrev_b64 v[38:39], 2, v[10:11]
	v_add_u32_e32 v10, s10, v27
	v_addc_co_u32_e64 v3, s[18:19], v18, v5, s[18:19]
	v_lshlrev_b64 v[4:5], 2, v[10:11]
	global_load_dword v10, v[2:3], off
	v_add_co_u32_e64 v2, s[18:19], s33, v38
	v_addc_co_u32_e64 v3, s[18:19], v18, v39, s[18:19]
	global_load_dword v38, v[2:3], off
	v_add_co_u32_e64 v2, s[18:19], s33, v4
	v_addc_co_u32_e64 v3, s[18:19], v18, v5, s[18:19]
	global_load_dword v2, v[2:3], off
	v_add_u32_e32 v17, s73, v17
	v_cmp_le_u32_e32 vcc, s75, v17
	s_add_i32 s10, s10, s5
	s_waitcnt vmcnt(3)
	v_cmp_lt_i32_e64 s[18:19], -1, v37
	v_cndmask_b32_e64 v3, -1, v32, s[18:19]
	v_xor_b32_e32 v3, v3, v37
	s_waitcnt vmcnt(2)
	v_cmp_lt_i32_e64 s[18:19], -1, v10
	v_cndmask_b32_e64 v4, -1, v32, s[18:19]
	v_cmp_o_f32_e64 s[18:19], v37, v37
	v_cndmask_b32_e64 v3, -1, v3, s[18:19]
	v_xor_b32_e32 v4, v4, v10
	s_waitcnt vmcnt(1)
	v_cmp_lt_i32_e64 s[18:19], -1, v38
	v_cndmask_b32_e64 v5, -1, v32, s[18:19]
	v_cmp_o_f32_e64 s[18:19], v10, v10
	v_cndmask_b32_e64 v4, -1, v4, s[18:19]
	v_xor_b32_e32 v5, v5, v38
	s_waitcnt vmcnt(0)
	v_cmp_lt_i32_e64 s[18:19], -1, v2
	v_cndmask_b32_e64 v10, -1, v32, s[18:19]
	v_and_b32_e32 v18, v3, v34
	v_bfe_u32 v3, v3, s11, 2
	v_cmp_o_f32_e64 s[18:19], v38, v38
	v_cndmask_b32_e64 v5, -1, v5, s[18:19]
	v_cmp_eq_u32_e64 s[18:19], v18, v35
	v_cmp_eq_u32_e64 s[20:21], 0, v3
	v_and_b32_e32 v18, v4, v34
	v_bfe_u32 v4, v4, s11, 2
	v_cmp_eq_u32_e64 s[22:23], 1, v3
	s_and_b64 s[20:21], s[18:19], s[20:21]
	v_xor_b32_e32 v10, v10, v2
	v_cmp_eq_u32_e64 s[24:25], 2, v3
	v_cmp_eq_u32_e64 s[26:27], 3, v3
	v_cmp_o_f32_e64 s[28:29], v2, v2
	v_cmp_eq_u32_e64 s[30:31], 0, v4
	v_cmp_eq_u32_e64 s[34:35], 1, v4
	;; [unrolled: 1-line block ×4, first 2 shown]
	v_cndmask_b32_e64 v4, 0, 1, s[20:21]
	s_and_b64 s[20:21], s[18:19], s[22:23]
	v_cndmask_b32_e64 v2, -1, v10, s[28:29]
	v_cmp_eq_u32_e64 s[28:29], v18, v35
	v_and_b32_e32 v3, v5, v34
	v_bfe_u32 v5, v5, s11, 2
	v_cndmask_b32_e64 v10, 0, 1, s[20:21]
	s_and_b64 s[20:21], s[18:19], s[24:25]
	s_and_b64 s[18:19], s[18:19], s[26:27]
	v_cndmask_b32_e64 v18, 0, 1, s[20:21]
	v_cndmask_b32_e64 v37, 0, 1, s[18:19]
	v_cmp_eq_u32_e64 s[18:19], v3, v35
	v_and_b32_e32 v3, v2, v34
	v_bfe_u32 v2, v2, s11, 2
	v_cmp_eq_u32_e64 s[20:21], 0, v5
	s_and_b64 s[30:31], s[28:29], s[30:31]
	s_and_b64 s[34:35], s[28:29], s[34:35]
	;; [unrolled: 1-line block ×4, first 2 shown]
	v_cmp_eq_u32_e64 s[22:23], 1, v5
	v_cmp_eq_u32_e64 s[24:25], 2, v5
	;; [unrolled: 1-line block ×3, first 2 shown]
	v_cndmask_b32_e64 v5, 0, 1, s[34:35]
	v_cmp_ne_u32_e64 s[34:35], 0, v18
	v_cndmask_b32_e64 v18, 0, 1, s[28:29]
	v_cmp_eq_u32_e64 s[28:29], v3, v35
	v_cmp_eq_u32_e64 s[38:39], 0, v2
	s_and_b64 s[20:21], s[18:19], s[20:21]
	v_cmp_eq_u32_e64 s[42:43], 1, v2
	v_cmp_eq_u32_e64 s[44:45], 2, v2
	;; [unrolled: 1-line block ×3, first 2 shown]
	v_cndmask_b32_e64 v2, 0, 1, s[20:21]
	s_and_b64 s[22:23], s[18:19], s[22:23]
	s_and_b64 s[24:25], s[18:19], s[24:25]
	;; [unrolled: 1-line block ×4, first 2 shown]
	v_cmp_ne_u32_e64 s[40:41], 0, v4
	v_cndmask_b32_e64 v4, 0, 1, s[30:31]
	v_cmp_ne_u32_e64 s[30:31], 0, v10
	v_cndmask_b32_e64 v10, 0, 1, s[36:37]
	v_cmp_ne_u32_e64 s[36:37], 0, v37
	v_cmp_ne_u32_e64 s[20:21], 0, v5
	v_cndmask_b32_e64 v3, 0, 1, s[22:23]
	v_cndmask_b32_e64 v5, 0, 1, s[18:19]
	v_cmp_ne_u32_e64 s[18:19], 0, v2
	v_cndmask_b32_e64 v2, 0, 1, s[26:27]
	s_and_b64 s[26:27], s[28:29], s[42:43]
	s_bcnt1_i32_b64 s54, s[40:41]
	v_cmp_ne_u32_e64 s[40:41], 0, v4
	s_bcnt1_i32_b64 s30, s[30:31]
	s_bcnt1_i32_b64 s31, s[34:35]
	v_cmp_ne_u32_e64 s[22:23], 0, v10
	v_cndmask_b32_e64 v4, 0, 1, s[24:25]
	s_bcnt1_i32_b64 s34, s[36:37]
	s_bcnt1_i32_b64 s37, s[20:21]
	v_cmp_ne_u32_e64 s[20:21], 0, v3
	v_cndmask_b32_e64 v3, 0, 1, s[26:27]
	s_and_b64 s[26:27], s[28:29], s[44:45]
	v_cmp_ne_u32_e64 s[24:25], 0, v18
	s_bcnt1_i32_b64 s38, s[22:23]
	v_cmp_ne_u32_e64 s[22:23], 0, v4
	v_cndmask_b32_e64 v4, 0, 1, s[26:27]
	s_and_b64 s[26:27], s[28:29], s[46:47]
	s_bcnt1_i32_b64 s35, s[40:41]
	s_add_i32 s36, s53, s54
	s_add_i32 s30, s52, s30
	;; [unrolled: 1-line block ×3, first 2 shown]
	s_bcnt1_i32_b64 s31, s[24:25]
	v_cmp_ne_u32_e64 s[24:25], 0, v5
	v_cndmask_b32_e64 v5, 0, 1, s[26:27]
	s_add_i32 s16, s16, s34
	s_bcnt1_i32_b64 s26, s[18:19]
	v_cmp_ne_u32_e64 s[18:19], 0, v2
	s_add_i32 s27, s36, s35
	s_bcnt1_i32_b64 s28, s[20:21]
	v_cmp_ne_u32_e64 s[20:21], 0, v3
	;; [unrolled: 3-line block ×4, first 2 shown]
	s_add_i32 s16, s16, s31
	s_bcnt1_i32_b64 s18, s[18:19]
	s_add_i32 s19, s27, s26
	s_bcnt1_i32_b64 s20, s[20:21]
	;; [unrolled: 2-line block ×4, first 2 shown]
	s_add_i32 s16, s16, s34
	s_add_i32 s53, s19, s18
	;; [unrolled: 1-line block ×5, first 2 shown]
	s_or_b64 s[50:51], vcc, s[50:51]
	v_mov_b32_e32 v2, s53
	v_mov_b32_e32 v3, s52
	;; [unrolled: 1-line block ×4, first 2 shown]
	s_andn2_b64 exec, exec, s[50:51]
	s_cbranch_execnz .LBB82_42
; %bb.43:                               ;   in Loop: Header=BB82_6 Depth=1
	s_or_b64 exec, exec, s[50:51]
.LBB82_44:                              ;   in Loop: Header=BB82_6 Depth=1
	s_or_b64 exec, exec, s[48:49]
	v_mov_b32_e32 v17, 0
	s_and_saveexec_b64 s[16:17], s[14:15]
	s_cbranch_execz .LBB82_46
; %bb.45:                               ;   in Loop: Header=BB82_6 Depth=1
	global_load_dword v17, v[14:15], off
.LBB82_46:                              ;   in Loop: Header=BB82_6 Depth=1
	s_or_b64 exec, exec, s[16:17]
	s_mov_b64 s[16:17], 0
	s_mov_b64 s[76:77], 0
	s_and_saveexec_b64 s[20:21], s[14:15]
	s_cbranch_execz .LBB82_53
; %bb.47:                               ;   in Loop: Header=BB82_6 Depth=1
	s_and_b32 s10, s13, 0xfe
	s_mov_b64 s[22:23], 0
	v_mov_b32_e32 v10, v29
	v_mov_b32_e32 v18, v24
	s_branch .LBB82_49
.LBB82_48:                              ;   in Loop: Header=BB82_49 Depth=2
	s_or_b64 exec, exec, s[24:25]
	s_and_b64 s[18:19], exec, vcc
	s_waitcnt vmcnt(0)
	v_cmp_lt_i32_e32 vcc, -1, v17
	v_cndmask_b32_e32 v38, -1, v32, vcc
	v_xor_b32_e32 v38, v38, v17
	v_cmp_o_f32_e32 vcc, v17, v17
	v_cndmask_b32_e32 v17, -1, v38, vcc
	v_and_b32_e32 v38, v17, v34
	v_bfe_u32 v17, v17, s10, 2
	s_or_b64 s[22:23], s[18:19], s[22:23]
	v_cmp_eq_u32_e32 vcc, v38, v35
	v_cmp_eq_u32_e64 s[18:19], 0, v17
	s_and_b64 s[18:19], vcc, s[18:19]
	v_cndmask_b32_e64 v38, 0, 1, s[18:19]
	v_cmp_ne_u32_e64 s[18:19], 0, v38
	s_bcnt1_i32_b64 s11, s[18:19]
	v_cmp_eq_u32_e64 s[18:19], 1, v17
	s_and_b64 s[18:19], vcc, s[18:19]
	v_cndmask_b32_e64 v38, 0, 1, s[18:19]
	v_cmp_ne_u32_e64 s[18:19], 0, v38
	v_add_u32_e32 v2, s11, v2
	s_bcnt1_i32_b64 s11, s[18:19]
	v_cmp_eq_u32_e64 s[18:19], 2, v17
	s_and_b64 s[18:19], vcc, s[18:19]
	v_cndmask_b32_e64 v38, 0, 1, s[18:19]
	v_cmp_ne_u32_e64 s[18:19], 0, v38
	v_add_u32_e32 v3, s11, v3
	s_bcnt1_i32_b64 s11, s[18:19]
	v_cmp_eq_u32_e64 s[18:19], 3, v17
	s_and_b64 s[18:19], vcc, s[18:19]
	v_cndmask_b32_e64 v17, 0, 1, s[18:19]
	v_cmp_ne_u32_e32 vcc, 0, v17
	v_add_u32_e32 v4, s11, v4
	s_bcnt1_i32_b64 s11, vcc
	v_add_u32_e32 v5, s11, v5
	v_add_u32_e32 v10, s72, v10
	v_mov_b32_e32 v17, v37
	s_andn2_b64 exec, exec, s[22:23]
	s_cbranch_execz .LBB82_52
.LBB82_49:                              ;   Parent Loop BB82_6 Depth=1
                                        ; =>  This Inner Loop Header: Depth=2
	v_add_u32_e32 v18, s9, v18
	v_cmp_gt_u32_e64 s[18:19], s60, v18
	v_cmp_le_u32_e32 vcc, s60, v18
	v_mov_b32_e32 v37, 0
	s_and_saveexec_b64 s[24:25], s[18:19]
	s_cbranch_execz .LBB82_48
; %bb.50:                               ;   in Loop: Header=BB82_49 Depth=2
	v_lshlrev_b64 v[38:39], 2, v[10:11]
	v_mov_b32_e32 v37, s8
	v_add_co_u32_e64 v38, s[18:19], s33, v38
	v_addc_co_u32_e64 v39, s[18:19], v37, v39, s[18:19]
	global_load_dword v37, v[38:39], off
	s_branch .LBB82_48
.LBB82_51:                              ;   in Loop: Header=BB82_6 Depth=1
	s_mov_b64 s[76:77], 0
                                        ; implicit-def: $vgpr5
	s_cbranch_execnz .LBB82_54
	s_branch .LBB82_63
.LBB82_52:                              ;   in Loop: Header=BB82_6 Depth=1
	s_or_b64 exec, exec, s[22:23]
	s_mov_b64 s[76:77], exec
.LBB82_53:                              ;   in Loop: Header=BB82_6 Depth=1
	s_or_b64 exec, exec, s[20:21]
	s_and_b64 vcc, exec, s[16:17]
	s_cbranch_vccz .LBB82_63
.LBB82_54:                              ;   in Loop: Header=BB82_6 Depth=1
	v_readlane_b32 s10, v54, 40
	s_mul_hi_u32 s10, s7, s10
	s_mul_i32 s10, s10, s73
	s_sub_i32 s10, s7, s10
	s_sub_i32 s11, s10, s73
	s_cmp_ge_u32 s10, s73
	s_cselect_b32 s10, s11, s10
	s_sub_i32 s11, s10, s73
	s_cmp_ge_u32 s10, s73
	s_cselect_b32 s10, s11, s10
	s_sub_i32 s10, s7, s10
	v_cmp_gt_u32_e32 vcc, s10, v20
	s_mov_b32 s62, 0
	s_waitcnt vmcnt(0)
	v_mov_b32_e32 v2, 0
	v_mov_b32_e32 v3, 0
	;; [unrolled: 1-line block ×4, first 2 shown]
	s_and_saveexec_b64 s[78:79], vcc
	s_cbranch_execz .LBB82_58
; %bb.55:                               ;   in Loop: Header=BB82_6 Depth=1
	s_and_b32 s11, s13, 0xfe
	s_mov_b64 s[16:17], 0
	v_mov_b32_e32 v10, v30
	s_mov_b32 s63, 0
	s_mov_b32 s68, 0
	;; [unrolled: 1-line block ×3, first 2 shown]
	v_mov_b32_e32 v17, v20
.LBB82_56:                              ;   Parent Loop BB82_6 Depth=1
                                        ; =>  This Inner Loop Header: Depth=2
	ds_read_b128 v[2:5], v10
	v_add_u32_e32 v17, s73, v17
	v_cmp_le_u32_e32 vcc, s10, v17
	v_add_u32_e32 v10, s12, v10
	s_waitcnt lgkmcnt(0)
	v_cmp_lt_i32_e64 s[18:19], -1, v2
	v_cndmask_b32_e64 v18, -1, v32, s[18:19]
	v_cmp_lt_i32_e64 s[18:19], -1, v3
	v_cndmask_b32_e64 v37, -1, v32, s[18:19]
	;; [unrolled: 2-line block ×4, first 2 shown]
	v_xor_b32_e32 v37, v37, v3
	v_cmp_o_f32_e64 s[18:19], v3, v3
	v_xor_b32_e32 v3, v38, v4
	v_cmp_o_f32_e64 s[20:21], v4, v4
	;; [unrolled: 2-line block ×4, first 2 shown]
	v_cndmask_b32_e64 v2, -1, v5, s[24:25]
	v_cndmask_b32_e64 v5, -1, v37, s[18:19]
	v_and_b32_e32 v18, v2, v34
	v_bfe_u32 v2, v2, s11, 2
	v_cndmask_b32_e64 v3, -1, v3, s[20:21]
	v_and_b32_e32 v37, v5, v34
	v_bfe_u32 v5, v5, s11, 2
	v_cmp_eq_u32_e64 s[18:19], v18, v35
	v_cmp_eq_u32_e64 s[26:27], 0, v2
	v_cndmask_b32_e64 v4, -1, v4, s[22:23]
	v_and_b32_e32 v38, v3, v34
	v_bfe_u32 v3, v3, s11, 2
	v_cmp_eq_u32_e64 s[20:21], v37, v35
	v_cmp_eq_u32_e64 s[28:29], 0, v5
	s_and_b64 s[26:27], s[18:19], s[26:27]
	v_and_b32_e32 v39, v4, v34
	v_bfe_u32 v4, v4, s11, 2
	v_cmp_eq_u32_e64 s[22:23], v38, v35
	v_cmp_eq_u32_e64 s[30:31], 0, v3
	;; [unrolled: 1-line block ×5, first 2 shown]
	v_cndmask_b32_e64 v2, 0, 1, s[26:27]
	s_and_b64 s[26:27], s[20:21], s[28:29]
	v_cmp_eq_u32_e64 s[24:25], v39, v35
	v_cmp_eq_u32_e64 s[34:35], 0, v4
	;; [unrolled: 1-line block ×5, first 2 shown]
	v_cndmask_b32_e64 v3, 0, 1, s[26:27]
	s_and_b64 s[26:27], s[22:23], s[30:31]
	v_cmp_eq_u32_e64 s[42:43], 1, v4
	v_cmp_eq_u32_e64 s[50:51], 2, v4
	;; [unrolled: 1-line block ×3, first 2 shown]
	v_cndmask_b32_e64 v4, 0, 1, s[26:27]
	s_and_b64 s[26:27], s[24:25], s[34:35]
	v_cmp_eq_u32_e64 s[38:39], 1, v5
	v_cmp_eq_u32_e64 s[46:47], 2, v5
	;; [unrolled: 1-line block ×3, first 2 shown]
	v_cndmask_b32_e64 v5, 0, 1, s[26:27]
	s_and_b64 s[26:27], s[18:19], s[36:37]
	v_cndmask_b32_e64 v18, 0, 1, s[26:27]
	s_and_b64 s[26:27], s[20:21], s[38:39]
	;; [unrolled: 2-line block ×5, first 2 shown]
	s_and_b64 s[18:19], s[18:19], s[52:53]
	v_cndmask_b32_e64 v40, 0, 1, s[26:27]
	s_and_b64 s[26:27], s[20:21], s[46:47]
	v_cndmask_b32_e64 v44, 0, 1, s[18:19]
	;; [unrolled: 2-line block ×7, first 2 shown]
	v_cndmask_b32_e64 v47, 0, 1, s[18:19]
	v_cmp_ne_u32_e64 s[18:19], 0, v2
	v_cmp_ne_u32_e64 s[20:21], 0, v3
	;; [unrolled: 1-line block ×11, first 2 shown]
	s_bcnt1_i32_b64 s18, s[18:19]
	s_bcnt1_i32_b64 s19, s[20:21]
	;; [unrolled: 1-line block ×8, first 2 shown]
	v_cmp_ne_u32_e64 s[34:35], 0, v39
	v_cmp_ne_u32_e64 s[40:41], 0, v42
	;; [unrolled: 1-line block ×3, first 2 shown]
	s_bcnt1_i32_b64 s23, s[28:29]
	s_bcnt1_i32_b64 s27, s[38:39]
	;; [unrolled: 1-line block ×3, first 2 shown]
	s_add_i32 s18, s69, s18
	s_add_i32 s22, s68, s22
	;; [unrolled: 1-line block ×4, first 2 shown]
	v_cmp_ne_u32_e64 s[42:43], 0, v43
	v_cmp_ne_u32_e64 s[50:51], 0, v47
	s_bcnt1_i32_b64 s25, s[34:35]
	s_bcnt1_i32_b64 s28, s[40:41]
	;; [unrolled: 1-line block ×3, first 2 shown]
	s_add_i32 s18, s18, s19
	s_add_i32 s19, s22, s23
	;; [unrolled: 1-line block ×4, first 2 shown]
	s_bcnt1_i32_b64 s29, s[42:43]
	s_bcnt1_i32_b64 s35, s[50:51]
	s_add_i32 s18, s18, s20
	s_add_i32 s19, s19, s24
	;; [unrolled: 1-line block ×8, first 2 shown]
	s_or_b64 s[16:17], vcc, s[16:17]
	v_mov_b32_e32 v2, s69
	v_mov_b32_e32 v3, s68
	;; [unrolled: 1-line block ×4, first 2 shown]
	s_andn2_b64 exec, exec, s[16:17]
	s_cbranch_execnz .LBB82_56
; %bb.57:                               ;   in Loop: Header=BB82_6 Depth=1
	s_or_b64 exec, exec, s[16:17]
.LBB82_58:                              ;   in Loop: Header=BB82_6 Depth=1
	s_or_b64 exec, exec, s[78:79]
	v_add_u32_e32 v10, s10, v0
	v_cmp_gt_u32_e32 vcc, s7, v10
	s_and_saveexec_b64 s[16:17], vcc
	s_cbranch_execz .LBB82_62
; %bb.59:                               ;   in Loop: Header=BB82_6 Depth=1
	s_and_b32 s10, s13, 0xfe
	v_lshlrev_b32_e32 v17, 2, v10
	s_mov_b64 s[28:29], 0
.LBB82_60:                              ;   Parent Loop BB82_6 Depth=1
                                        ; =>  This Inner Loop Header: Depth=2
	ds_read_b32 v18, v17
	v_add_u32_e32 v10, s9, v10
	v_cmp_le_u32_e32 vcc, s7, v10
	v_add_u32_e32 v17, s73, v17
	s_waitcnt lgkmcnt(0)
	v_cmp_lt_i32_e64 s[18:19], -1, v18
	v_cndmask_b32_e64 v37, -1, v32, s[18:19]
	v_xor_b32_e32 v37, v37, v18
	v_cmp_o_f32_e64 s[18:19], v18, v18
	v_cndmask_b32_e64 v18, -1, v37, s[18:19]
	v_and_b32_e32 v37, v18, v34
	v_bfe_u32 v18, v18, s10, 2
	v_cmp_eq_u32_e64 s[18:19], v37, v35
	v_cmp_eq_u32_e64 s[20:21], 0, v18
	;; [unrolled: 1-line block ×3, first 2 shown]
	s_and_b64 s[20:21], s[18:19], s[20:21]
	v_cmp_eq_u32_e64 s[24:25], 2, v18
	v_cmp_eq_u32_e64 s[26:27], 3, v18
	v_cndmask_b32_e64 v18, 0, 1, s[20:21]
	s_and_b64 s[20:21], s[18:19], s[22:23]
	v_cndmask_b32_e64 v37, 0, 1, s[20:21]
	s_and_b64 s[20:21], s[18:19], s[24:25]
	s_and_b64 s[18:19], s[18:19], s[26:27]
	v_cndmask_b32_e64 v38, 0, 1, s[20:21]
	v_cndmask_b32_e64 v39, 0, 1, s[18:19]
	v_cmp_ne_u32_e64 s[18:19], 0, v18
	v_cmp_ne_u32_e64 s[20:21], 0, v37
	;; [unrolled: 1-line block ×4, first 2 shown]
	s_bcnt1_i32_b64 s11, s[18:19]
	s_bcnt1_i32_b64 s18, s[20:21]
	;; [unrolled: 1-line block ×4, first 2 shown]
	v_add_u32_e32 v2, s11, v2
	v_add_u32_e32 v3, s18, v3
	;; [unrolled: 1-line block ×3, first 2 shown]
	s_or_b64 s[28:29], vcc, s[28:29]
	v_add_u32_e32 v5, s20, v5
	s_andn2_b64 exec, exec, s[28:29]
	s_cbranch_execnz .LBB82_60
; %bb.61:                               ;   in Loop: Header=BB82_6 Depth=1
	s_or_b64 exec, exec, s[28:29]
	s_or_b64 s[76:77], s[76:77], exec
.LBB82_62:                              ;   in Loop: Header=BB82_6 Depth=1
	s_or_b64 exec, exec, s[16:17]
.LBB82_63:                              ;   in Loop: Header=BB82_6 Depth=1
	s_and_saveexec_b64 s[16:17], s[76:77]
	s_or_b64 exec, exec, s[16:17]
	s_lshl_b32 s7, s6, 6
	s_and_saveexec_b64 s[16:17], s[0:1]
	s_cbranch_execz .LBB82_65
; %bb.64:                               ;   in Loop: Header=BB82_6 Depth=1
	v_or_b32_e32 v10, s7, v22
	v_lshlrev_b32_e32 v10, 2, v10
	s_waitcnt vmcnt(0)
	ds_write_b128 v10, v[2:5] offset:3072
.LBB82_65:                              ;   in Loop: Header=BB82_6 Depth=1
	s_or_b64 exec, exec, s[16:17]
	s_waitcnt lgkmcnt(0)
	s_barrier
	s_and_saveexec_b64 s[16:17], s[70:71]
	s_cbranch_execz .LBB82_79
; %bb.66:                               ;   in Loop: Header=BB82_6 Depth=1
	v_readlane_b32 s10, v54, 19
	v_readlane_b32 s11, v54, 20
	v_add_u32_e32 v4, s7, v1
	s_andn2_b64 vcc, exec, s[10:11]
	s_waitcnt vmcnt(0)
	v_mov_b32_e32 v2, 0
	s_cbranch_vccnz .LBB82_78
; %bb.67:                               ;   in Loop: Header=BB82_6 Depth=1
	v_readlane_b32 s18, v54, 24
	v_readlane_b32 s19, v54, 25
	s_mov_b32 s10, 0
	s_and_b64 vcc, exec, s[18:19]
	v_mov_b32_e32 v2, 0
	s_cbranch_vccz .LBB82_71
; %bb.68:                               ;   in Loop: Header=BB82_6 Depth=1
	v_readlane_b32 s10, v54, 30
	v_readlane_b32 s18, v54, 4
	;; [unrolled: 1-line block ×3, first 2 shown]
	v_lshl_add_u32 v5, v4, 2, v33
	v_readlane_b32 s19, v54, 5
	s_andn2_b64 vcc, exec, s[10:11]
	s_cbranch_vccnz .LBB82_72
; %bb.69:                               ;   in Loop: Header=BB82_6 Depth=1
	v_writelane_b32 v54, s18, 4
	v_writelane_b32 v54, s19, 5
	s_mov_b32 s19, 1
	s_mov_b32 s18, 0
	v_mov_b32_e32 v2, 0
	v_readlane_b32 s10, v54, 32
	v_mov_b32_e32 v3, 0
.LBB82_70:                              ;   Parent Loop BB82_6 Depth=1
                                        ; =>  This Inner Loop Header: Depth=2
	v_lshl_add_u32 v10, s18, 4, v5
	v_lshl_add_u32 v17, s19, 4, v5
	ds_read2_b32 v[38:39], v10 offset1:8
	ds_read2_b32 v[40:41], v17 offset1:8
	ds_read2_b32 v[42:43], v10 offset0:16 offset1:24
	ds_read2_b32 v[44:45], v17 offset0:16 offset1:24
	;; [unrolled: 1-line block ×6, first 2 shown]
	s_waitcnt lgkmcnt(7)
	v_add3_u32 v2, v38, v2, v39
	s_waitcnt lgkmcnt(6)
	v_add3_u32 v3, v40, v3, v41
	;; [unrolled: 2-line block ×3, first 2 shown]
	v_add3_u32 v2, v42, v2, v43
	s_add_i32 s19, s19, 16
	s_add_i32 s18, s18, 16
	s_add_i32 s10, s10, -8
	s_waitcnt lgkmcnt(3)
	v_add3_u32 v2, v46, v2, v47
	s_waitcnt lgkmcnt(2)
	v_add3_u32 v3, v48, v3, v49
	s_cmp_lg_u32 s10, 0
	s_waitcnt lgkmcnt(0)
	v_add3_u32 v3, v52, v3, v53
	v_add3_u32 v2, v50, v2, v51
	s_cbranch_scc1 .LBB82_70
	s_branch .LBB82_73
.LBB82_71:                              ;   in Loop: Header=BB82_6 Depth=1
	s_cbranch_execnz .LBB82_76
	s_branch .LBB82_78
.LBB82_72:                              ;   in Loop: Header=BB82_6 Depth=1
	s_mov_b32 s10, s18
	s_mov_b32 s19, s18
	v_writelane_b32 v54, s10, 4
	v_pk_mov_b32 v[2:3], s[18:19], s[18:19] op_sel:[0,1]
	s_mov_b32 s19, 1
	v_writelane_b32 v54, s11, 5
.LBB82_73:                              ;   in Loop: Header=BB82_6 Depth=1
	v_readlane_b32 s10, v54, 34
	v_readlane_b32 s11, v54, 35
	s_andn2_b64 vcc, exec, s[10:11]
	v_readlane_b32 s10, v54, 33
	s_cbranch_vccnz .LBB82_75
.LBB82_74:                              ;   Parent Loop BB82_6 Depth=1
                                        ; =>  This Inner Loop Header: Depth=2
	v_lshl_add_u32 v10, s18, 4, v5
	v_lshl_add_u32 v17, s19, 4, v5
	ds_read_b32 v17, v17
	ds_read_b32 v10, v10
	s_add_i32 s19, s19, 2
	s_add_i32 s18, s18, 2
	s_add_i32 s10, s10, -1
	s_cmp_lg_u32 s10, 0
	s_waitcnt lgkmcnt(1)
	v_add_u32_e32 v3, v17, v3
	s_waitcnt lgkmcnt(0)
	v_add_u32_e32 v2, v10, v2
	s_cbranch_scc1 .LBB82_74
.LBB82_75:                              ;   in Loop: Header=BB82_6 Depth=1
	v_readlane_b32 s18, v54, 38
	v_add_u32_e32 v2, v2, v3
	v_readlane_b32 s10, v54, 37
	v_readlane_b32 s19, v54, 39
	s_and_b64 vcc, exec, s[18:19]
	s_cbranch_vccz .LBB82_78
.LBB82_76:                              ;   in Loop: Header=BB82_6 Depth=1
	s_lshl_b32 s11, s6, 8
	s_lshl_b32 s18, s10, 4
	s_add_i32 s11, s11, s18
	v_add_u32_e32 v3, s11, v31
	v_readlane_b32 s11, v54, 36
	s_sub_i32 s10, s11, s10
.LBB82_77:                              ;   Parent Loop BB82_6 Depth=1
                                        ; =>  This Inner Loop Header: Depth=2
	ds_read_b32 v5, v3
	s_add_i32 s10, s10, -1
	v_add_u32_e32 v3, 16, v3
	s_cmp_eq_u32 s10, 0
	s_waitcnt lgkmcnt(0)
	v_add_u32_e32 v2, v5, v2
	s_cbranch_scc0 .LBB82_77
.LBB82_78:                              ;   in Loop: Header=BB82_6 Depth=1
	v_lshlrev_b32_e32 v3, 2, v4
	ds_write_b32 v3, v2 offset:3072
.LBB82_79:                              ;   in Loop: Header=BB82_6 Depth=1
	s_or_b64 exec, exec, s[16:17]
	s_lshl_b32 s7, s7, 2
	s_waitcnt vmcnt(0)
	v_mov_b32_e32 v2, s7
	s_waitcnt lgkmcnt(0)
	s_barrier
	ds_read_b128 v[2:5], v2 offset:3072
	s_and_b32 s10, s13, 0xfe
	v_readlane_b32 s16, v54, 15
	s_lshl_b32 s69, 3, s10
	v_readlane_b32 s17, v54, 16
	s_waitcnt lgkmcnt(0)
	v_readfirstlane_b32 s7, v2
	v_readfirstlane_b32 s68, v3
	;; [unrolled: 1-line block ×4, first 2 shown]
	s_not_b32 s74, s69
	s_andn2_b64 vcc, exec, s[16:17]
	v_cmp_eq_u32_e64 s[18:19], 1, v36
	s_cbranch_vccnz .LBB82_92
; %bb.80:                               ;   in Loop: Header=BB82_6 Depth=1
	s_cmp_eq_u32 s7, 1
	s_cselect_b64 s[16:17], -1, 0
	s_and_b64 s[36:37], s[16:17], s[18:19]
	s_mov_b64 s[38:39], -1
	v_mov_b32_e32 v4, v35
	v_mov_b32_e32 v5, v34
	;; [unrolled: 1-line block ×3, first 2 shown]
                                        ; implicit-def: $sgpr22_sgpr23
                                        ; implicit-def: $sgpr28_sgpr29
                                        ; implicit-def: $sgpr26_sgpr27
	s_and_saveexec_b64 s[16:17], s[36:37]
	s_cbranch_execz .LBB82_108
; %bb.81:                               ;   in Loop: Header=BB82_6 Depth=1
	ds_read_b32 v2, v11 offset:4096
	s_waitcnt lgkmcnt(0)
	s_barrier
	v_readfirstlane_b32 s28, v2
	s_mov_b64 s[20:21], exec
	v_readlane_b32 s22, v54, 28
	v_readlane_b32 s23, v54, 29
	s_and_b64 s[22:23], s[20:21], s[22:23]
	s_mov_b64 exec, s[22:23]
	s_cbranch_execz .LBB82_83
; %bb.82:                               ;   in Loop: Header=BB82_6 Depth=1
	ds_write_b32 v23, v11
.LBB82_83:                              ;   in Loop: Header=BB82_6 Depth=1
	s_or_b64 exec, exec, s[20:21]
	v_and_b32_e32 v4, s74, v35
	v_or_b32_e32 v5, s69, v34
	s_cmp_eq_u32 s28, 0
	s_waitcnt lgkmcnt(0)
	s_barrier
	s_cbranch_scc1 .LBB82_94
; %bb.84:                               ;   in Loop: Header=BB82_6 Depth=1
	v_readlane_b32 s20, v54, 21
	s_add_i32 s20, s28, s20
	v_readlane_b32 s21, v54, 43
	s_mul_hi_u32 s21, s20, s21
	s_mul_i32 s21, s21, s9
	s_sub_i32 s21, s20, s21
	s_sub_i32 s22, s21, s9
	s_cmp_ge_u32 s21, s9
	s_cselect_b32 s21, s22, s21
	s_sub_i32 s22, s21, s9
	s_cmp_ge_u32 s21, s9
	s_cselect_b32 s21, s22, s21
	s_sub_i32 s29, s20, s21
	v_cmp_gt_u32_e32 vcc, s29, v0
	s_mov_b64 s[20:21], 0
                                        ; implicit-def: $vgpr3
	s_and_saveexec_b64 s[22:23], vcc
	s_cbranch_execz .LBB82_96
; %bb.85:                               ;   in Loop: Header=BB82_6 Depth=1
	s_mov_b64 s[24:25], 0
	v_mov_b32_e32 v10, v20
	v_mov_b32_e32 v18, v0
                                        ; implicit-def: $sgpr26_sgpr27
	s_branch .LBB82_87
.LBB82_86:                              ;   in Loop: Header=BB82_87 Depth=2
	s_or_b64 exec, exec, s[20:21]
	s_waitcnt lgkmcnt(0)
	s_barrier
	ds_read_b64 v[2:3], v11 offset:3072
	v_add_u32_e32 v18, s9, v18
	v_cmp_le_u32_e64 s[20:21], s29, v18
	v_add_u32_e32 v10, s73, v10
	s_waitcnt lgkmcnt(0)
	v_cmp_neq_f32_e32 vcc, 0, v2
	s_or_b64 s[20:21], s[20:21], vcc
	s_and_b64 s[20:21], exec, s[20:21]
	s_or_b64 s[24:25], s[20:21], s[24:25]
	s_andn2_b64 s[20:21], s[26:27], exec
	s_and_b64 s[26:27], vcc, exec
	s_or_b64 s[26:27], s[20:21], s[26:27]
	s_barrier
	s_andn2_b64 exec, exec, s[24:25]
	s_cbranch_execz .LBB82_95
.LBB82_87:                              ;   Parent Loop BB82_6 Depth=1
                                        ; =>  This Inner Loop Header: Depth=2
	v_cmp_gt_u32_e32 vcc, s28, v18
	v_mov_b32_e32 v17, 0
	s_and_saveexec_b64 s[20:21], vcc
	s_cbranch_execz .LBB82_89
; %bb.88:                               ;   in Loop: Header=BB82_87 Depth=2
	ds_read_b32 v17, v10
.LBB82_89:                              ;   in Loop: Header=BB82_87 Depth=2
	s_or_b64 exec, exec, s[20:21]
	s_and_saveexec_b64 s[20:21], vcc
	s_cbranch_execz .LBB82_86
; %bb.90:                               ;   in Loop: Header=BB82_87 Depth=2
	s_waitcnt lgkmcnt(0)
	v_cmp_lt_i32_e32 vcc, -1, v17
	v_cndmask_b32_e32 v2, -1, v32, vcc
	v_xor_b32_e32 v2, v2, v17
	v_cmp_o_f32_e32 vcc, v17, v17
	v_cndmask_b32_e32 v2, -1, v2, vcc
	v_and_b32_e32 v2, v2, v5
	v_cmp_eq_u32_e32 vcc, v2, v4
	s_and_b64 exec, exec, vcc
	s_cbranch_execz .LBB82_86
; %bb.91:                               ;   in Loop: Header=BB82_87 Depth=2
	ds_write_b64 v11, v[16:17] offset:3072
	s_branch .LBB82_86
.LBB82_92:                              ;   in Loop: Header=BB82_6 Depth=1
	s_mov_b64 s[24:25], 0
	s_mov_b64 s[20:21], 0
                                        ; implicit-def: $sgpr26_sgpr27
                                        ; implicit-def: $sgpr28_sgpr29
                                        ; implicit-def: $sgpr22_sgpr23
                                        ; implicit-def: $vgpr2
                                        ; implicit-def: $vgpr37
                                        ; implicit-def: $vgpr4
                                        ; implicit-def: $vgpr5
                                        ; implicit-def: $vgpr3
	s_cbranch_execnz .LBB82_244
.LBB82_93:                              ;   in Loop: Header=BB82_6 Depth=1
	s_mov_b64 s[30:31], s[22:23]
	s_mov_b64 s[34:35], s[22:23]
	s_and_saveexec_b64 s[16:17], s[24:25]
	s_cbranch_execnz .LBB82_406
	s_branch .LBB82_407
.LBB82_94:                              ;   in Loop: Header=BB82_6 Depth=1
	s_mov_b64 s[22:23], -1
	s_mov_b64 s[20:21], 0
                                        ; implicit-def: $sgpr26_sgpr27
                                        ; implicit-def: $vgpr3
	s_mov_b64 s[28:29], s[22:23]
	s_cbranch_execnz .LBB82_97
	s_branch .LBB82_107
.LBB82_95:                              ;   in Loop: Header=BB82_6 Depth=1
	s_or_b64 exec, exec, s[24:25]
	s_and_b64 s[20:21], s[26:27], exec
.LBB82_96:                              ;   in Loop: Header=BB82_6 Depth=1
	s_or_b64 exec, exec, s[22:23]
	s_mov_b64 s[26:27], -1
	s_mov_b64 s[22:23], 0
	s_mov_b64 s[28:29], s[22:23]
	s_branch .LBB82_107
.LBB82_97:                              ;   in Loop: Header=BB82_6 Depth=1
	s_mov_b64 s[20:21], 0
                                        ; implicit-def: $vgpr3
	s_mov_b64 s[22:23], exec
	v_readlane_b32 s24, v54, 44
	v_readlane_b32 s25, v54, 45
	s_and_b64 s[24:25], s[22:23], s[24:25]
	s_mov_b64 exec, s[24:25]
	s_cbranch_execz .LBB82_106
; %bb.98:                               ;   in Loop: Header=BB82_6 Depth=1
	s_mov_b64 s[24:25], 0
	v_mov_b32_e32 v10, v12
	v_mov_b32_e32 v18, v0
                                        ; implicit-def: $sgpr26_sgpr27
	s_branch .LBB82_100
.LBB82_99:                              ;   in Loop: Header=BB82_100 Depth=2
	s_or_b64 exec, exec, s[20:21]
	s_waitcnt lgkmcnt(0)
	s_barrier
	ds_read_b64 v[2:3], v11 offset:3072
	v_add_u32_e32 v18, s9, v18
	v_cmp_le_u32_e64 s[20:21], s4, v18
	v_add_u32_e32 v10, s72, v10
	s_waitcnt lgkmcnt(0)
	v_cmp_neq_f32_e32 vcc, 0, v2
	s_or_b64 s[20:21], s[20:21], vcc
	s_and_b64 s[20:21], exec, s[20:21]
	s_or_b64 s[24:25], s[20:21], s[24:25]
	s_andn2_b64 s[20:21], s[26:27], exec
	s_and_b64 s[26:27], vcc, exec
	s_or_b64 s[26:27], s[20:21], s[26:27]
	s_barrier
	s_andn2_b64 exec, exec, s[24:25]
	s_cbranch_execz .LBB82_105
.LBB82_100:                             ;   Parent Loop BB82_6 Depth=1
                                        ; =>  This Inner Loop Header: Depth=2
	v_cmp_gt_u32_e32 vcc, s60, v18
	s_waitcnt vmcnt(0)
	v_mov_b32_e32 v17, 0
	s_and_saveexec_b64 s[28:29], vcc
	s_cbranch_execz .LBB82_102
; %bb.101:                              ;   in Loop: Header=BB82_100 Depth=2
	v_lshlrev_b64 v[2:3], 2, v[10:11]
	v_mov_b32_e32 v17, s8
	v_add_co_u32_e64 v2, s[20:21], s33, v2
	v_addc_co_u32_e64 v3, s[20:21], v17, v3, s[20:21]
	global_load_dword v17, v[2:3], off
.LBB82_102:                             ;   in Loop: Header=BB82_100 Depth=2
	s_or_b64 exec, exec, s[28:29]
	s_and_saveexec_b64 s[20:21], vcc
	s_cbranch_execz .LBB82_99
; %bb.103:                              ;   in Loop: Header=BB82_100 Depth=2
	s_waitcnt vmcnt(0)
	v_cmp_lt_i32_e32 vcc, -1, v17
	v_cndmask_b32_e32 v2, -1, v32, vcc
	v_xor_b32_e32 v2, v2, v17
	v_cmp_o_f32_e32 vcc, v17, v17
	v_cndmask_b32_e32 v2, -1, v2, vcc
	v_and_b32_e32 v2, v2, v5
	v_cmp_eq_u32_e32 vcc, v2, v4
	s_and_b64 exec, exec, vcc
	s_cbranch_execz .LBB82_99
; %bb.104:                              ;   in Loop: Header=BB82_100 Depth=2
	ds_write_b64 v11, v[16:17] offset:3072
	s_branch .LBB82_99
.LBB82_105:                             ;   in Loop: Header=BB82_6 Depth=1
	s_or_b64 exec, exec, s[24:25]
	s_and_b64 s[20:21], s[26:27], exec
.LBB82_106:                             ;   in Loop: Header=BB82_6 Depth=1
	s_or_b64 exec, exec, s[22:23]
	s_mov_b64 s[28:29], -1
	s_mov_b64 s[22:23], 0
	s_mov_b64 s[26:27], 0
.LBB82_107:                             ;   in Loop: Header=BB82_6 Depth=1
	s_orn2_b64 s[38:39], s[20:21], exec
.LBB82_108:                             ;   in Loop: Header=BB82_6 Depth=1
	s_or_b64 exec, exec, s[16:17]
	s_mov_b64 s[30:31], 0
	s_mov_b64 s[24:25], 0
	;; [unrolled: 1-line block ×3, first 2 shown]
                                        ; implicit-def: $vgpr2
                                        ; implicit-def: $vgpr37
	s_and_saveexec_b64 s[34:35], s[38:39]
	s_cbranch_execz .LBB82_243
; %bb.109:                              ;   in Loop: Header=BB82_6 Depth=1
	s_xor_b64 s[24:25], s[36:37], -1
	v_mov_b32_e32 v37, 1
	v_mov_b32_e32 v2, 1
	s_and_saveexec_b64 s[16:17], s[24:25]
	s_cbranch_execz .LBB82_119
; %bb.110:                              ;   in Loop: Header=BB82_6 Depth=1
	v_cmp_ge_u32_e32 vcc, s7, v36
                                        ; implicit-def: $sgpr36
                                        ; implicit-def: $sgpr20_sgpr21
	s_and_saveexec_b64 s[24:25], vcc
	s_xor_b64 s[24:25], exec, s[24:25]
	s_cbranch_execz .LBB82_116
; %bb.111:                              ;   in Loop: Header=BB82_6 Depth=1
	ds_read_b32 v2, v11 offset:4096
	s_waitcnt lgkmcnt(0)
	v_cmp_ne_u32_e32 vcc, 0, v2
	s_cbranch_vccnz .LBB82_115
; %bb.112:                              ;   in Loop: Header=BB82_6 Depth=1
	s_mov_b64 s[20:21], exec
	v_readlane_b32 s36, v54, 6
	v_readlane_b32 s37, v54, 7
	s_and_b64 s[36:37], s[20:21], s[36:37]
	s_mov_b64 exec, s[36:37]
	s_cbranch_execz .LBB82_114
; %bb.113:                              ;   in Loop: Header=BB82_6 Depth=1
	v_mov_b32_e32 v2, s7
	ds_write_b32 v11, v2 offset:4100
.LBB82_114:                             ;   in Loop: Header=BB82_6 Depth=1
	s_or_b64 exec, exec, s[20:21]
	s_waitcnt lgkmcnt(0)
	s_barrier
.LBB82_115:                             ;   in Loop: Header=BB82_6 Depth=1
	v_and_b32_e32 v4, s74, v4
	v_or_b32_e32 v5, s69, v5
	s_mov_b64 s[20:21], 0
	s_mov_b32 s36, 8
.LBB82_116:                             ;   in Loop: Header=BB82_6 Depth=1
	s_or_saveexec_b64 s[24:25], s[24:25]
	v_mov_b32_e32 v2, s36
	v_mov_b32_e32 v37, v36
	s_xor_b64 exec, exec, s[24:25]
; %bb.117:                              ;   in Loop: Header=BB82_6 Depth=1
	v_subrev_u32_e32 v37, s7, v36
	v_mov_b32_e32 v2, 0
	s_or_b64 s[20:21], s[20:21], exec
; %bb.118:                              ;   in Loop: Header=BB82_6 Depth=1
	s_or_b64 exec, exec, s[24:25]
	s_and_b64 s[20:21], s[20:21], exec
.LBB82_119:                             ;   in Loop: Header=BB82_6 Depth=1
	s_or_b64 exec, exec, s[16:17]
	s_mov_b64 s[38:39], -1
                                        ; implicit-def: $sgpr16_sgpr17
                                        ; implicit-def: $sgpr36_sgpr37
                                        ; implicit-def: $sgpr42_sgpr43
	s_and_saveexec_b64 s[24:25], s[20:21]
	s_xor_b64 s[24:25], exec, s[24:25]
	s_cbranch_execz .LBB82_240
; %bb.120:                              ;   in Loop: Header=BB82_6 Depth=1
	s_cmp_eq_u32 s68, 1
	s_cselect_b64 s[16:17], -1, 0
	v_cmp_eq_u32_e32 vcc, 1, v37
	s_and_b64 s[44:45], s[16:17], vcc
	s_mov_b64 s[46:47], -1
                                        ; implicit-def: $sgpr36_sgpr37
                                        ; implicit-def: $sgpr40_sgpr41
                                        ; implicit-def: $sgpr38_sgpr39
	s_and_saveexec_b64 s[16:17], s[44:45]
	s_cbranch_execz .LBB82_146
; %bb.121:                              ;   in Loop: Header=BB82_6 Depth=1
	ds_read_b32 v2, v11 offset:4096
	s_waitcnt lgkmcnt(0)
	s_barrier
	v_readfirstlane_b32 s42, v2
	s_mov_b64 s[20:21], exec
	v_readlane_b32 s36, v54, 28
	v_readlane_b32 s37, v54, 29
	s_and_b64 s[36:37], s[20:21], s[36:37]
	s_mov_b64 exec, s[36:37]
	s_cbranch_execz .LBB82_123
; %bb.122:                              ;   in Loop: Header=BB82_6 Depth=1
	ds_write_b32 v23, v11
.LBB82_123:                             ;   in Loop: Header=BB82_6 Depth=1
	s_or_b64 exec, exec, s[20:21]
	v_and_b32_e32 v2, s74, v4
	v_lshl_or_b32 v4, 1, s10, v2
	v_or_b32_e32 v5, s69, v5
	s_cmp_eq_u32 s42, 0
	s_waitcnt lgkmcnt(0)
	s_barrier
	s_cbranch_scc1 .LBB82_132
; %bb.124:                              ;   in Loop: Header=BB82_6 Depth=1
	v_readlane_b32 s20, v54, 21
	s_add_i32 s20, s42, s20
	v_readlane_b32 s21, v54, 43
	s_mul_hi_u32 s21, s20, s21
	s_mul_i32 s21, s21, s9
	s_sub_i32 s21, s20, s21
	s_sub_i32 s36, s21, s9
	s_cmp_ge_u32 s21, s9
	s_cselect_b32 s21, s36, s21
	s_sub_i32 s36, s21, s9
	s_cmp_ge_u32 s21, s9
	s_cselect_b32 s21, s36, s21
	s_sub_i32 s43, s20, s21
	v_cmp_gt_u32_e32 vcc, s43, v0
	s_mov_b64 s[20:21], 0
                                        ; implicit-def: $vgpr3
	s_and_saveexec_b64 s[36:37], vcc
	s_cbranch_execz .LBB82_134
; %bb.125:                              ;   in Loop: Header=BB82_6 Depth=1
	s_mov_b64 s[38:39], 0
	v_mov_b32_e32 v10, v20
	v_mov_b32_e32 v18, v0
                                        ; implicit-def: $sgpr40_sgpr41
	s_branch .LBB82_127
.LBB82_126:                             ;   in Loop: Header=BB82_127 Depth=2
	s_or_b64 exec, exec, s[20:21]
	s_waitcnt lgkmcnt(0)
	s_barrier
	ds_read_b64 v[2:3], v11 offset:3072
	v_add_u32_e32 v18, s9, v18
	v_cmp_le_u32_e64 s[20:21], s43, v18
	v_add_u32_e32 v10, s73, v10
	s_waitcnt lgkmcnt(0)
	v_cmp_neq_f32_e32 vcc, 0, v2
	s_or_b64 s[20:21], s[20:21], vcc
	s_and_b64 s[20:21], exec, s[20:21]
	s_or_b64 s[38:39], s[20:21], s[38:39]
	s_andn2_b64 s[20:21], s[40:41], exec
	s_and_b64 s[40:41], vcc, exec
	s_or_b64 s[40:41], s[20:21], s[40:41]
	s_barrier
	s_andn2_b64 exec, exec, s[38:39]
	s_cbranch_execz .LBB82_133
.LBB82_127:                             ;   Parent Loop BB82_6 Depth=1
                                        ; =>  This Inner Loop Header: Depth=2
	v_cmp_gt_u32_e32 vcc, s42, v18
	s_waitcnt vmcnt(0)
	v_mov_b32_e32 v17, 0
	s_and_saveexec_b64 s[20:21], vcc
	s_cbranch_execz .LBB82_129
; %bb.128:                              ;   in Loop: Header=BB82_127 Depth=2
	ds_read_b32 v17, v10
.LBB82_129:                             ;   in Loop: Header=BB82_127 Depth=2
	s_or_b64 exec, exec, s[20:21]
	s_and_saveexec_b64 s[20:21], vcc
	s_cbranch_execz .LBB82_126
; %bb.130:                              ;   in Loop: Header=BB82_127 Depth=2
	s_waitcnt lgkmcnt(0)
	v_cmp_lt_i32_e32 vcc, -1, v17
	v_cndmask_b32_e32 v2, -1, v32, vcc
	v_xor_b32_e32 v2, v2, v17
	v_cmp_o_f32_e32 vcc, v17, v17
	v_cndmask_b32_e32 v2, -1, v2, vcc
	v_and_b32_e32 v2, v2, v5
	v_cmp_eq_u32_e32 vcc, v2, v4
	s_and_b64 exec, exec, vcc
	s_cbranch_execz .LBB82_126
; %bb.131:                              ;   in Loop: Header=BB82_127 Depth=2
	ds_write_b64 v11, v[16:17] offset:3072
	s_branch .LBB82_126
.LBB82_132:                             ;   in Loop: Header=BB82_6 Depth=1
	s_mov_b64 s[36:37], -1
	s_mov_b64 s[20:21], 0
                                        ; implicit-def: $sgpr38_sgpr39
                                        ; implicit-def: $vgpr3
	s_mov_b64 s[40:41], s[36:37]
	s_cbranch_execnz .LBB82_135
	s_branch .LBB82_145
.LBB82_133:                             ;   in Loop: Header=BB82_6 Depth=1
	s_or_b64 exec, exec, s[38:39]
	s_and_b64 s[20:21], s[40:41], exec
.LBB82_134:                             ;   in Loop: Header=BB82_6 Depth=1
	s_or_b64 exec, exec, s[36:37]
	s_mov_b64 s[38:39], -1
	s_mov_b64 s[36:37], 0
	s_mov_b64 s[40:41], s[36:37]
	s_branch .LBB82_145
.LBB82_135:                             ;   in Loop: Header=BB82_6 Depth=1
	s_mov_b64 s[20:21], 0
                                        ; implicit-def: $vgpr3
	s_mov_b64 s[36:37], exec
	v_readlane_b32 s38, v54, 44
	v_readlane_b32 s39, v54, 45
	s_and_b64 s[38:39], s[36:37], s[38:39]
	s_mov_b64 exec, s[38:39]
	s_cbranch_execz .LBB82_144
; %bb.136:                              ;   in Loop: Header=BB82_6 Depth=1
	s_mov_b64 s[38:39], 0
	v_mov_b32_e32 v10, v12
	v_mov_b32_e32 v18, v0
                                        ; implicit-def: $sgpr40_sgpr41
	s_branch .LBB82_138
.LBB82_137:                             ;   in Loop: Header=BB82_138 Depth=2
	s_or_b64 exec, exec, s[20:21]
	s_waitcnt lgkmcnt(0)
	s_barrier
	ds_read_b64 v[2:3], v11 offset:3072
	v_add_u32_e32 v18, s9, v18
	v_cmp_le_u32_e64 s[20:21], s4, v18
	v_add_u32_e32 v10, s72, v10
	s_waitcnt lgkmcnt(0)
	v_cmp_neq_f32_e32 vcc, 0, v2
	s_or_b64 s[20:21], s[20:21], vcc
	s_and_b64 s[20:21], exec, s[20:21]
	s_or_b64 s[38:39], s[20:21], s[38:39]
	s_andn2_b64 s[20:21], s[40:41], exec
	s_and_b64 s[40:41], vcc, exec
	s_or_b64 s[40:41], s[20:21], s[40:41]
	s_barrier
	s_andn2_b64 exec, exec, s[38:39]
	s_cbranch_execz .LBB82_143
.LBB82_138:                             ;   Parent Loop BB82_6 Depth=1
                                        ; =>  This Inner Loop Header: Depth=2
	v_cmp_gt_u32_e32 vcc, s60, v18
	s_waitcnt vmcnt(0)
	v_mov_b32_e32 v17, 0
	s_and_saveexec_b64 s[42:43], vcc
	s_cbranch_execz .LBB82_140
; %bb.139:                              ;   in Loop: Header=BB82_138 Depth=2
	v_lshlrev_b64 v[2:3], 2, v[10:11]
	v_mov_b32_e32 v17, s8
	v_add_co_u32_e64 v2, s[20:21], s33, v2
	v_addc_co_u32_e64 v3, s[20:21], v17, v3, s[20:21]
	global_load_dword v17, v[2:3], off
.LBB82_140:                             ;   in Loop: Header=BB82_138 Depth=2
	s_or_b64 exec, exec, s[42:43]
	s_and_saveexec_b64 s[20:21], vcc
	s_cbranch_execz .LBB82_137
; %bb.141:                              ;   in Loop: Header=BB82_138 Depth=2
	s_waitcnt vmcnt(0)
	v_cmp_lt_i32_e32 vcc, -1, v17
	v_cndmask_b32_e32 v2, -1, v32, vcc
	v_xor_b32_e32 v2, v2, v17
	v_cmp_o_f32_e32 vcc, v17, v17
	v_cndmask_b32_e32 v2, -1, v2, vcc
	v_and_b32_e32 v2, v2, v5
	v_cmp_eq_u32_e32 vcc, v2, v4
	s_and_b64 exec, exec, vcc
	s_cbranch_execz .LBB82_137
; %bb.142:                              ;   in Loop: Header=BB82_138 Depth=2
	ds_write_b64 v11, v[16:17] offset:3072
	s_branch .LBB82_137
.LBB82_143:                             ;   in Loop: Header=BB82_6 Depth=1
	s_or_b64 exec, exec, s[38:39]
	s_and_b64 s[20:21], s[40:41], exec
.LBB82_144:                             ;   in Loop: Header=BB82_6 Depth=1
	s_or_b64 exec, exec, s[36:37]
	s_mov_b64 s[40:41], -1
	s_mov_b64 s[36:37], 0
	s_mov_b64 s[38:39], 0
.LBB82_145:                             ;   in Loop: Header=BB82_6 Depth=1
	s_orn2_b64 s[46:47], s[20:21], exec
.LBB82_146:                             ;   in Loop: Header=BB82_6 Depth=1
	s_or_b64 exec, exec, s[16:17]
	s_mov_b64 s[20:21], 0
                                        ; implicit-def: $vgpr2
	s_and_saveexec_b64 s[42:43], s[46:47]
	s_cbranch_execz .LBB82_239
; %bb.147:                              ;   in Loop: Header=BB82_6 Depth=1
	s_xor_b64 s[20:21], s[44:45], -1
	s_mov_b64 s[48:49], 0
	v_mov_b32_e32 v18, 1
	v_mov_b32_e32 v2, 1
	s_and_saveexec_b64 s[16:17], s[20:21]
	s_cbranch_execz .LBB82_157
; %bb.148:                              ;   in Loop: Header=BB82_6 Depth=1
	v_cmp_ge_u32_e32 vcc, s68, v37
                                        ; implicit-def: $sgpr46
                                        ; implicit-def: $sgpr20_sgpr21
	s_and_saveexec_b64 s[44:45], vcc
	s_xor_b64 s[44:45], exec, s[44:45]
	s_cbranch_execz .LBB82_154
; %bb.149:                              ;   in Loop: Header=BB82_6 Depth=1
	ds_read_b32 v2, v11 offset:4096
	s_waitcnt lgkmcnt(0)
	v_cmp_ne_u32_e32 vcc, 0, v2
	s_cbranch_vccnz .LBB82_153
; %bb.150:                              ;   in Loop: Header=BB82_6 Depth=1
	s_mov_b64 s[20:21], exec
	v_readlane_b32 s46, v54, 6
	v_readlane_b32 s47, v54, 7
	s_and_b64 s[46:47], s[20:21], s[46:47]
	s_mov_b64 exec, s[46:47]
	s_cbranch_execz .LBB82_152
; %bb.151:                              ;   in Loop: Header=BB82_6 Depth=1
	v_mov_b32_e32 v2, s68
	ds_write_b32 v11, v2 offset:4100
.LBB82_152:                             ;   in Loop: Header=BB82_6 Depth=1
	s_or_b64 exec, exec, s[20:21]
	s_waitcnt lgkmcnt(0)
	s_barrier
.LBB82_153:                             ;   in Loop: Header=BB82_6 Depth=1
	v_and_b32_e32 v2, s74, v4
	v_lshl_or_b32 v4, 1, s10, v2
	v_or_b32_e32 v5, s69, v5
	s_mov_b64 s[20:21], 0
	s_mov_b32 s46, 8
.LBB82_154:                             ;   in Loop: Header=BB82_6 Depth=1
	s_or_saveexec_b64 s[44:45], s[44:45]
	v_mov_b32_e32 v2, s46
	s_xor_b64 exec, exec, s[44:45]
; %bb.155:                              ;   in Loop: Header=BB82_6 Depth=1
	v_subrev_u32_e32 v37, s68, v37
	v_mov_b32_e32 v2, 0
	s_or_b64 s[20:21], s[20:21], exec
; %bb.156:                              ;   in Loop: Header=BB82_6 Depth=1
	s_or_b64 exec, exec, s[44:45]
	s_and_b64 s[48:49], s[20:21], exec
	v_mov_b32_e32 v18, v37
.LBB82_157:                             ;   in Loop: Header=BB82_6 Depth=1
	s_or_b64 exec, exec, s[16:17]
	s_mov_b64 s[16:17], -1
                                        ; implicit-def: $sgpr20_sgpr21
                                        ; implicit-def: $sgpr46_sgpr47
                                        ; implicit-def: $sgpr52_sgpr53
	s_and_saveexec_b64 s[44:45], s[48:49]
	s_cbranch_execz .LBB82_238
; %bb.158:                              ;   in Loop: Header=BB82_6 Depth=1
	s_cmp_eq_u32 s11, 1
	s_cselect_b64 s[16:17], -1, 0
	v_cmp_eq_u32_e32 vcc, 1, v18
	s_and_b64 s[54:55], s[16:17], vcc
	s_mov_b64 s[20:21], -1
                                        ; implicit-def: $sgpr46_sgpr47
                                        ; implicit-def: $sgpr50_sgpr51
                                        ; implicit-def: $sgpr48_sgpr49
	s_and_saveexec_b64 s[16:17], s[54:55]
	s_cbranch_execz .LBB82_184
; %bb.159:                              ;   in Loop: Header=BB82_6 Depth=1
	ds_read_b32 v2, v11 offset:4096
	s_waitcnt lgkmcnt(0)
	s_barrier
	v_readfirstlane_b32 s52, v2
	s_mov_b64 s[20:21], exec
	v_readlane_b32 s46, v54, 28
	v_readlane_b32 s47, v54, 29
	s_and_b64 s[46:47], s[20:21], s[46:47]
	s_mov_b64 exec, s[46:47]
	s_cbranch_execz .LBB82_161
; %bb.160:                              ;   in Loop: Header=BB82_6 Depth=1
	ds_write_b32 v23, v11
.LBB82_161:                             ;   in Loop: Header=BB82_6 Depth=1
	s_or_b64 exec, exec, s[20:21]
	v_and_b32_e32 v2, s74, v4
	v_lshl_or_b32 v4, 2, s10, v2
	v_or_b32_e32 v5, s69, v5
	s_cmp_eq_u32 s52, 0
	s_waitcnt lgkmcnt(0)
	s_barrier
	s_cbranch_scc1 .LBB82_170
; %bb.162:                              ;   in Loop: Header=BB82_6 Depth=1
	v_readlane_b32 s20, v54, 21
	s_add_i32 s20, s52, s20
	v_readlane_b32 s21, v54, 43
	s_mul_hi_u32 s21, s20, s21
	s_mul_i32 s21, s21, s9
	s_sub_i32 s21, s20, s21
	s_sub_i32 s46, s21, s9
	s_cmp_ge_u32 s21, s9
	s_cselect_b32 s21, s46, s21
	s_sub_i32 s46, s21, s9
	s_cmp_ge_u32 s21, s9
	s_cselect_b32 s21, s46, s21
	s_sub_i32 s53, s20, s21
	v_cmp_gt_u32_e32 vcc, s53, v0
	s_mov_b64 s[20:21], 0
                                        ; implicit-def: $vgpr3
	s_and_saveexec_b64 s[46:47], vcc
	s_cbranch_execz .LBB82_172
; %bb.163:                              ;   in Loop: Header=BB82_6 Depth=1
	s_mov_b64 s[48:49], 0
	v_mov_b32_e32 v10, v20
	v_mov_b32_e32 v37, v0
                                        ; implicit-def: $sgpr50_sgpr51
	s_branch .LBB82_165
.LBB82_164:                             ;   in Loop: Header=BB82_165 Depth=2
	s_or_b64 exec, exec, s[20:21]
	s_waitcnt lgkmcnt(0)
	s_barrier
	ds_read_b64 v[2:3], v11 offset:3072
	v_add_u32_e32 v37, s9, v37
	v_cmp_le_u32_e64 s[20:21], s53, v37
	v_add_u32_e32 v10, s73, v10
	s_waitcnt lgkmcnt(0)
	v_cmp_neq_f32_e32 vcc, 0, v2
	s_or_b64 s[20:21], s[20:21], vcc
	s_and_b64 s[20:21], exec, s[20:21]
	s_or_b64 s[48:49], s[20:21], s[48:49]
	s_andn2_b64 s[20:21], s[50:51], exec
	s_and_b64 s[50:51], vcc, exec
	s_or_b64 s[50:51], s[20:21], s[50:51]
	s_barrier
	s_andn2_b64 exec, exec, s[48:49]
	s_cbranch_execz .LBB82_171
.LBB82_165:                             ;   Parent Loop BB82_6 Depth=1
                                        ; =>  This Inner Loop Header: Depth=2
	v_cmp_gt_u32_e32 vcc, s52, v37
	s_waitcnt vmcnt(0)
	v_mov_b32_e32 v17, 0
	s_and_saveexec_b64 s[20:21], vcc
	s_cbranch_execz .LBB82_167
; %bb.166:                              ;   in Loop: Header=BB82_165 Depth=2
	ds_read_b32 v17, v10
.LBB82_167:                             ;   in Loop: Header=BB82_165 Depth=2
	s_or_b64 exec, exec, s[20:21]
	s_and_saveexec_b64 s[20:21], vcc
	s_cbranch_execz .LBB82_164
; %bb.168:                              ;   in Loop: Header=BB82_165 Depth=2
	s_waitcnt lgkmcnt(0)
	v_cmp_lt_i32_e32 vcc, -1, v17
	v_cndmask_b32_e32 v2, -1, v32, vcc
	v_xor_b32_e32 v2, v2, v17
	v_cmp_o_f32_e32 vcc, v17, v17
	v_cndmask_b32_e32 v2, -1, v2, vcc
	v_and_b32_e32 v2, v2, v5
	v_cmp_eq_u32_e32 vcc, v2, v4
	s_and_b64 exec, exec, vcc
	s_cbranch_execz .LBB82_164
; %bb.169:                              ;   in Loop: Header=BB82_165 Depth=2
	ds_write_b64 v11, v[16:17] offset:3072
	s_branch .LBB82_164
.LBB82_170:                             ;   in Loop: Header=BB82_6 Depth=1
	s_mov_b64 s[46:47], -1
	s_mov_b64 s[20:21], 0
                                        ; implicit-def: $sgpr48_sgpr49
                                        ; implicit-def: $vgpr3
	s_mov_b64 s[50:51], s[46:47]
	s_cbranch_execnz .LBB82_173
	s_branch .LBB82_183
.LBB82_171:                             ;   in Loop: Header=BB82_6 Depth=1
	s_or_b64 exec, exec, s[48:49]
	s_and_b64 s[20:21], s[50:51], exec
.LBB82_172:                             ;   in Loop: Header=BB82_6 Depth=1
	s_or_b64 exec, exec, s[46:47]
	s_mov_b64 s[48:49], -1
	s_mov_b64 s[46:47], 0
	s_mov_b64 s[50:51], s[46:47]
	s_branch .LBB82_183
.LBB82_173:                             ;   in Loop: Header=BB82_6 Depth=1
	s_mov_b64 s[20:21], 0
                                        ; implicit-def: $vgpr3
	s_mov_b64 s[46:47], exec
	v_readlane_b32 s48, v54, 44
	v_readlane_b32 s49, v54, 45
	s_and_b64 s[48:49], s[46:47], s[48:49]
	s_mov_b64 exec, s[48:49]
	s_cbranch_execz .LBB82_182
; %bb.174:                              ;   in Loop: Header=BB82_6 Depth=1
	s_mov_b64 s[48:49], 0
	v_mov_b32_e32 v10, v12
	v_mov_b32_e32 v37, v0
                                        ; implicit-def: $sgpr50_sgpr51
	s_branch .LBB82_176
.LBB82_175:                             ;   in Loop: Header=BB82_176 Depth=2
	s_or_b64 exec, exec, s[20:21]
	s_waitcnt lgkmcnt(0)
	s_barrier
	ds_read_b64 v[2:3], v11 offset:3072
	v_add_u32_e32 v37, s9, v37
	v_cmp_le_u32_e64 s[20:21], s4, v37
	v_add_u32_e32 v10, s72, v10
	s_waitcnt lgkmcnt(0)
	v_cmp_neq_f32_e32 vcc, 0, v2
	s_or_b64 s[20:21], s[20:21], vcc
	s_and_b64 s[20:21], exec, s[20:21]
	s_or_b64 s[48:49], s[20:21], s[48:49]
	s_andn2_b64 s[20:21], s[50:51], exec
	s_and_b64 s[50:51], vcc, exec
	s_or_b64 s[50:51], s[20:21], s[50:51]
	s_barrier
	s_andn2_b64 exec, exec, s[48:49]
	s_cbranch_execz .LBB82_181
.LBB82_176:                             ;   Parent Loop BB82_6 Depth=1
                                        ; =>  This Inner Loop Header: Depth=2
	v_cmp_gt_u32_e32 vcc, s60, v37
	s_waitcnt vmcnt(0)
	v_mov_b32_e32 v17, 0
	s_and_saveexec_b64 s[52:53], vcc
	s_cbranch_execz .LBB82_178
; %bb.177:                              ;   in Loop: Header=BB82_176 Depth=2
	v_lshlrev_b64 v[2:3], 2, v[10:11]
	v_mov_b32_e32 v17, s8
	v_add_co_u32_e64 v2, s[20:21], s33, v2
	v_addc_co_u32_e64 v3, s[20:21], v17, v3, s[20:21]
	global_load_dword v17, v[2:3], off
.LBB82_178:                             ;   in Loop: Header=BB82_176 Depth=2
	s_or_b64 exec, exec, s[52:53]
	s_and_saveexec_b64 s[20:21], vcc
	s_cbranch_execz .LBB82_175
; %bb.179:                              ;   in Loop: Header=BB82_176 Depth=2
	s_waitcnt vmcnt(0)
	v_cmp_lt_i32_e32 vcc, -1, v17
	v_cndmask_b32_e32 v2, -1, v32, vcc
	v_xor_b32_e32 v2, v2, v17
	v_cmp_o_f32_e32 vcc, v17, v17
	v_cndmask_b32_e32 v2, -1, v2, vcc
	v_and_b32_e32 v2, v2, v5
	v_cmp_eq_u32_e32 vcc, v2, v4
	s_and_b64 exec, exec, vcc
	s_cbranch_execz .LBB82_175
; %bb.180:                              ;   in Loop: Header=BB82_176 Depth=2
	ds_write_b64 v11, v[16:17] offset:3072
	s_branch .LBB82_175
.LBB82_181:                             ;   in Loop: Header=BB82_6 Depth=1
	s_or_b64 exec, exec, s[48:49]
	s_and_b64 s[20:21], s[50:51], exec
.LBB82_182:                             ;   in Loop: Header=BB82_6 Depth=1
	s_or_b64 exec, exec, s[46:47]
	s_mov_b64 s[50:51], -1
	s_mov_b64 s[46:47], 0
	s_mov_b64 s[48:49], 0
.LBB82_183:                             ;   in Loop: Header=BB82_6 Depth=1
	s_orn2_b64 s[20:21], s[20:21], exec
.LBB82_184:                             ;   in Loop: Header=BB82_6 Depth=1
	s_or_b64 exec, exec, s[16:17]
	s_mov_b64 s[16:17], 0
                                        ; implicit-def: $vgpr2
	s_and_saveexec_b64 s[52:53], s[20:21]
	s_cbranch_execz .LBB82_237
; %bb.185:                              ;   in Loop: Header=BB82_6 Depth=1
	s_xor_b64 s[20:21], s[54:55], -1
	s_mov_b64 s[56:57], 0
	v_mov_b32_e32 v37, 1
	v_mov_b32_e32 v2, 1
	s_and_saveexec_b64 s[16:17], s[20:21]
	s_cbranch_execz .LBB82_195
; %bb.186:                              ;   in Loop: Header=BB82_6 Depth=1
	v_cmp_ge_u32_e32 vcc, s11, v18
                                        ; implicit-def: $sgpr56
                                        ; implicit-def: $sgpr20_sgpr21
	s_and_saveexec_b64 s[54:55], vcc
	s_xor_b64 s[54:55], exec, s[54:55]
	s_cbranch_execz .LBB82_192
; %bb.187:                              ;   in Loop: Header=BB82_6 Depth=1
	ds_read_b32 v2, v11 offset:4096
	s_waitcnt lgkmcnt(0)
	v_cmp_ne_u32_e32 vcc, 0, v2
	s_cbranch_vccnz .LBB82_191
; %bb.188:                              ;   in Loop: Header=BB82_6 Depth=1
	s_mov_b64 s[20:21], exec
	v_readlane_b32 s56, v54, 6
	v_readlane_b32 s57, v54, 7
	s_and_b64 s[56:57], s[20:21], s[56:57]
	s_mov_b64 exec, s[56:57]
	s_cbranch_execz .LBB82_190
; %bb.189:                              ;   in Loop: Header=BB82_6 Depth=1
	v_mov_b32_e32 v2, s11
	ds_write_b32 v11, v2 offset:4100
.LBB82_190:                             ;   in Loop: Header=BB82_6 Depth=1
	s_or_b64 exec, exec, s[20:21]
	s_waitcnt lgkmcnt(0)
	s_barrier
.LBB82_191:                             ;   in Loop: Header=BB82_6 Depth=1
	v_and_b32_e32 v2, s74, v4
	v_lshl_or_b32 v4, 2, s10, v2
	v_or_b32_e32 v5, s69, v5
	s_mov_b64 s[20:21], 0
	s_mov_b32 s56, 8
.LBB82_192:                             ;   in Loop: Header=BB82_6 Depth=1
	s_or_saveexec_b64 s[54:55], s[54:55]
	v_mov_b32_e32 v2, s56
	s_xor_b64 exec, exec, s[54:55]
; %bb.193:                              ;   in Loop: Header=BB82_6 Depth=1
	v_subrev_u32_e32 v18, s11, v18
	v_mov_b32_e32 v2, 0
	s_or_b64 s[20:21], s[20:21], exec
; %bb.194:                              ;   in Loop: Header=BB82_6 Depth=1
	s_or_b64 exec, exec, s[54:55]
	s_and_b64 s[56:57], s[20:21], exec
	v_mov_b32_e32 v37, v18
.LBB82_195:                             ;   in Loop: Header=BB82_6 Depth=1
	s_or_b64 exec, exec, s[16:17]
	s_mov_b64 s[16:17], -1
                                        ; implicit-def: $sgpr20_sgpr21
                                        ; implicit-def: $sgpr76_sgpr77
                                        ; implicit-def: $sgpr58_sgpr59
	s_and_saveexec_b64 s[54:55], s[56:57]
	s_cbranch_execz .LBB82_236
; %bb.196:                              ;   in Loop: Header=BB82_6 Depth=1
	s_cmp_eq_u32 s62, 1
	s_cselect_b64 s[16:17], -1, 0
	v_cmp_eq_u32_e32 vcc, 1, v37
	s_mov_b64 s[78:79], -1
	s_and_b64 s[56:57], s[16:17], vcc
                                        ; implicit-def: $sgpr20_sgpr21
                                        ; implicit-def: $sgpr76_sgpr77
                                        ; implicit-def: $sgpr58_sgpr59
	s_mov_b64 s[16:17], exec
	v_writelane_b32 v54, s56, 47
	v_writelane_b32 v54, s57, 48
	s_and_b64 s[56:57], s[16:17], s[56:57]
	s_mov_b64 exec, s[56:57]
	s_cbranch_execz .LBB82_223
; %bb.197:                              ;   in Loop: Header=BB82_6 Depth=1
	ds_read_b32 v2, v11 offset:4096
	s_waitcnt lgkmcnt(0)
	s_barrier
	v_readfirstlane_b32 s63, v2
	s_mov_b64 s[20:21], exec
	v_readlane_b32 s56, v54, 28
	v_readlane_b32 s57, v54, 29
	s_and_b64 s[56:57], s[20:21], s[56:57]
	s_mov_b64 exec, s[56:57]
	s_cbranch_execz .LBB82_199
; %bb.198:                              ;   in Loop: Header=BB82_6 Depth=1
	ds_write_b32 v23, v11
.LBB82_199:                             ;   in Loop: Header=BB82_6 Depth=1
	s_or_b64 exec, exec, s[20:21]
	v_or_b32_e32 v4, s69, v4
	v_or_b32_e32 v5, s69, v5
	s_cmp_eq_u32 s63, 0
	s_waitcnt lgkmcnt(0)
	s_barrier
	s_cbranch_scc1 .LBB82_208
; %bb.200:                              ;   in Loop: Header=BB82_6 Depth=1
	v_readlane_b32 s20, v54, 21
	s_add_i32 s20, s63, s20
	v_readlane_b32 s21, v54, 43
	s_mul_hi_u32 s21, s20, s21
	s_mul_i32 s21, s21, s9
	s_sub_i32 s21, s20, s21
	s_sub_i32 s56, s21, s9
	s_cmp_ge_u32 s21, s9
	s_cselect_b32 s21, s56, s21
	s_sub_i32 s56, s21, s9
	s_cmp_ge_u32 s21, s9
	s_cselect_b32 s21, s56, s21
	s_sub_i32 s56, s20, s21
	s_mov_b64 s[78:79], 0
	v_cmp_gt_u32_e32 vcc, s56, v0
                                        ; implicit-def: $vgpr3
	s_mov_b64 s[20:21], exec
	v_writelane_b32 v54, s20, 49
	v_writelane_b32 v54, s21, 50
	s_and_b64 s[20:21], s[20:21], vcc
	s_mov_b64 exec, s[20:21]
	s_cbranch_execz .LBB82_210
; %bb.201:                              ;   in Loop: Header=BB82_6 Depth=1
	s_mov_b64 s[76:77], 0
	v_mov_b32_e32 v10, v20
	v_mov_b32_e32 v18, v0
                                        ; implicit-def: $sgpr78_sgpr79
	s_branch .LBB82_203
.LBB82_202:                             ;   in Loop: Header=BB82_203 Depth=2
	s_or_b64 exec, exec, s[20:21]
	s_waitcnt lgkmcnt(0)
	s_barrier
	ds_read_b64 v[2:3], v11 offset:3072
	v_add_u32_e32 v18, s9, v18
	v_cmp_le_u32_e64 s[20:21], s56, v18
	v_add_u32_e32 v10, s73, v10
	s_waitcnt lgkmcnt(0)
	v_cmp_neq_f32_e32 vcc, 0, v2
	s_or_b64 s[20:21], s[20:21], vcc
	s_and_b64 s[20:21], exec, s[20:21]
	s_or_b64 s[76:77], s[20:21], s[76:77]
	s_andn2_b64 s[20:21], s[78:79], exec
	s_and_b64 s[58:59], vcc, exec
	s_or_b64 s[78:79], s[20:21], s[58:59]
	s_barrier
	s_andn2_b64 exec, exec, s[76:77]
	s_cbranch_execz .LBB82_209
.LBB82_203:                             ;   Parent Loop BB82_6 Depth=1
                                        ; =>  This Inner Loop Header: Depth=2
	v_cmp_gt_u32_e32 vcc, s63, v18
	s_waitcnt vmcnt(0)
	v_mov_b32_e32 v17, 0
	s_and_saveexec_b64 s[20:21], vcc
	s_cbranch_execz .LBB82_205
; %bb.204:                              ;   in Loop: Header=BB82_203 Depth=2
	ds_read_b32 v17, v10
.LBB82_205:                             ;   in Loop: Header=BB82_203 Depth=2
	s_or_b64 exec, exec, s[20:21]
	s_and_saveexec_b64 s[20:21], vcc
	s_cbranch_execz .LBB82_202
; %bb.206:                              ;   in Loop: Header=BB82_203 Depth=2
	s_waitcnt lgkmcnt(0)
	v_cmp_lt_i32_e32 vcc, -1, v17
	v_cndmask_b32_e32 v2, -1, v32, vcc
	v_xor_b32_e32 v2, v2, v17
	v_cmp_o_f32_e32 vcc, v17, v17
	v_cndmask_b32_e32 v2, -1, v2, vcc
	v_and_b32_e32 v2, v2, v5
	v_cmp_eq_u32_e32 vcc, v2, v4
	s_and_b64 exec, exec, vcc
	s_cbranch_execz .LBB82_202
; %bb.207:                              ;   in Loop: Header=BB82_203 Depth=2
	ds_write_b64 v11, v[16:17] offset:3072
	s_branch .LBB82_202
.LBB82_208:                             ;   in Loop: Header=BB82_6 Depth=1
	s_mov_b64 s[20:21], -1
	s_mov_b64 s[78:79], 0
                                        ; implicit-def: $sgpr58_sgpr59
                                        ; implicit-def: $vgpr3
	s_branch .LBB82_211
.LBB82_209:                             ;   in Loop: Header=BB82_6 Depth=1
	s_or_b64 exec, exec, s[76:77]
	s_and_b64 s[78:79], s[78:79], exec
.LBB82_210:                             ;   in Loop: Header=BB82_6 Depth=1
	v_readlane_b32 s20, v54, 49
	v_readlane_b32 s21, v54, 50
	s_or_b64 exec, exec, s[20:21]
	s_mov_b64 s[58:59], -1
	s_mov_b64 s[20:21], 0
.LBB82_211:                             ;   in Loop: Header=BB82_6 Depth=1
	s_and_b64 vcc, exec, s[20:21]
	s_mov_b64 s[76:77], s[20:21]
	s_cbranch_vccz .LBB82_222
; %bb.212:                              ;   in Loop: Header=BB82_6 Depth=1
	s_mov_b64 s[78:79], 0
                                        ; implicit-def: $vgpr3
	s_mov_b64 s[56:57], exec
	v_readlane_b32 s20, v54, 44
	v_readlane_b32 s21, v54, 45
	v_writelane_b32 v54, s56, 51
	s_and_b64 s[20:21], s[56:57], s[20:21]
	v_writelane_b32 v54, s57, 52
	s_mov_b64 exec, s[20:21]
	s_cbranch_execz .LBB82_221
; %bb.213:                              ;   in Loop: Header=BB82_6 Depth=1
	s_mov_b64 s[76:77], 0
	v_mov_b32_e32 v10, v12
	v_mov_b32_e32 v18, v0
                                        ; implicit-def: $sgpr78_sgpr79
	s_branch .LBB82_215
.LBB82_214:                             ;   in Loop: Header=BB82_215 Depth=2
	s_or_b64 exec, exec, s[20:21]
	s_waitcnt lgkmcnt(0)
	s_barrier
	ds_read_b64 v[2:3], v11 offset:3072
	v_add_u32_e32 v18, s9, v18
	v_cmp_le_u32_e64 s[20:21], s4, v18
	v_add_u32_e32 v10, s72, v10
	s_waitcnt lgkmcnt(0)
	v_cmp_neq_f32_e32 vcc, 0, v2
	s_or_b64 s[20:21], s[20:21], vcc
	s_and_b64 s[20:21], exec, s[20:21]
	s_or_b64 s[76:77], s[20:21], s[76:77]
	s_andn2_b64 s[20:21], s[78:79], exec
	s_and_b64 s[56:57], vcc, exec
	s_or_b64 s[78:79], s[20:21], s[56:57]
	s_barrier
	s_andn2_b64 exec, exec, s[76:77]
	s_cbranch_execz .LBB82_220
.LBB82_215:                             ;   Parent Loop BB82_6 Depth=1
                                        ; =>  This Inner Loop Header: Depth=2
	v_cmp_gt_u32_e32 vcc, s60, v18
	s_waitcnt vmcnt(0)
	v_mov_b32_e32 v17, 0
	s_and_saveexec_b64 s[58:59], vcc
	s_cbranch_execz .LBB82_217
; %bb.216:                              ;   in Loop: Header=BB82_215 Depth=2
	v_lshlrev_b64 v[2:3], 2, v[10:11]
	v_mov_b32_e32 v17, s8
	v_add_co_u32_e64 v2, s[20:21], s33, v2
	v_addc_co_u32_e64 v3, s[20:21], v17, v3, s[20:21]
	global_load_dword v17, v[2:3], off
.LBB82_217:                             ;   in Loop: Header=BB82_215 Depth=2
	s_or_b64 exec, exec, s[58:59]
	s_and_saveexec_b64 s[20:21], vcc
	s_cbranch_execz .LBB82_214
; %bb.218:                              ;   in Loop: Header=BB82_215 Depth=2
	s_waitcnt vmcnt(0)
	v_cmp_lt_i32_e32 vcc, -1, v17
	v_cndmask_b32_e32 v2, -1, v32, vcc
	v_xor_b32_e32 v2, v2, v17
	v_cmp_o_f32_e32 vcc, v17, v17
	v_cndmask_b32_e32 v2, -1, v2, vcc
	v_and_b32_e32 v2, v2, v5
	v_cmp_eq_u32_e32 vcc, v2, v4
	s_and_b64 exec, exec, vcc
	s_cbranch_execz .LBB82_214
; %bb.219:                              ;   in Loop: Header=BB82_215 Depth=2
	ds_write_b64 v11, v[16:17] offset:3072
	s_branch .LBB82_214
.LBB82_220:                             ;   in Loop: Header=BB82_6 Depth=1
	s_or_b64 exec, exec, s[76:77]
	s_and_b64 s[78:79], s[78:79], exec
.LBB82_221:                             ;   in Loop: Header=BB82_6 Depth=1
	v_readlane_b32 s20, v54, 51
	v_readlane_b32 s21, v54, 52
	s_or_b64 exec, exec, s[20:21]
	s_mov_b64 s[76:77], -1
	s_mov_b64 s[20:21], 0
	s_mov_b64 s[58:59], 0
.LBB82_222:                             ;   in Loop: Header=BB82_6 Depth=1
	s_orn2_b64 s[78:79], s[78:79], exec
.LBB82_223:                             ;   in Loop: Header=BB82_6 Depth=1
	s_or_b64 exec, exec, s[16:17]
	s_mov_b64 vcc, 0
                                        ; implicit-def: $vgpr2
                                        ; implicit-def: $vgpr10
	s_and_saveexec_b64 s[16:17], s[78:79]
	s_cbranch_execz .LBB82_235
; %bb.224:                              ;   in Loop: Header=BB82_6 Depth=1
	v_readlane_b32 s56, v54, 47
	v_readlane_b32 s57, v54, 48
	s_xor_b64 s[78:79], s[56:57], -1
	v_mov_b32_e32 v2, 1
	v_mov_b32_e32 v10, 1
	s_and_saveexec_b64 s[56:57], s[78:79]
	s_cbranch_execz .LBB82_234
; %bb.225:                              ;   in Loop: Header=BB82_6 Depth=1
	v_cmp_ge_u32_e32 vcc, s62, v37
                                        ; implicit-def: $sgpr63
	s_and_saveexec_b64 s[78:79], vcc
	s_xor_b64 s[78:79], exec, s[78:79]
	s_cbranch_execz .LBB82_231
; %bb.226:                              ;   in Loop: Header=BB82_6 Depth=1
	ds_read_b32 v2, v11 offset:4096
	s_waitcnt lgkmcnt(0)
	v_cmp_ne_u32_e32 vcc, 0, v2
	s_cbranch_vccnz .LBB82_230
; %bb.227:                              ;   in Loop: Header=BB82_6 Depth=1
	v_writelane_b32 v54, s78, 53
	v_writelane_b32 v54, s79, 54
	s_mov_b64 s[78:79], exec
	v_writelane_b32 v54, s78, 55
	v_writelane_b32 v54, s79, 56
	v_readlane_b32 vcc_lo, v54, 6
	v_readlane_b32 s78, v54, 55
	v_readlane_b32 vcc_hi, v54, 7
	v_readlane_b32 s79, v54, 56
	s_and_b64 vcc, s[78:79], vcc
	s_mov_b64 exec, vcc
	s_cbranch_execz .LBB82_229
; %bb.228:                              ;   in Loop: Header=BB82_6 Depth=1
	v_mov_b32_e32 v2, s62
	ds_write_b32 v11, v2 offset:4100
.LBB82_229:                             ;   in Loop: Header=BB82_6 Depth=1
	v_readlane_b32 vcc_lo, v54, 55
	v_readlane_b32 vcc_hi, v54, 56
	s_or_b64 exec, exec, vcc
	v_readlane_b32 s78, v54, 53
	v_readlane_b32 s79, v54, 54
	s_waitcnt lgkmcnt(0)
	s_barrier
.LBB82_230:                             ;   in Loop: Header=BB82_6 Depth=1
	v_or_b32_e32 v4, s69, v4
	v_or_b32_e32 v5, s69, v5
	s_mov_b32 s63, 8
.LBB82_231:                             ;   in Loop: Header=BB82_6 Depth=1
	s_or_saveexec_b64 s[78:79], s[78:79]
	v_mov_b32_e32 v2, s63
	s_xor_b64 exec, exec, s[78:79]
; %bb.232:                              ;   in Loop: Header=BB82_6 Depth=1
	v_subrev_u32_e32 v37, s62, v37
	v_mov_b32_e32 v2, 8
; %bb.233:                              ;   in Loop: Header=BB82_6 Depth=1
	s_or_b64 exec, exec, s[78:79]
	v_mov_b32_e32 v10, v37
.LBB82_234:                             ;   in Loop: Header=BB82_6 Depth=1
	s_or_b64 exec, exec, s[56:57]
	s_mov_b64 vcc, exec
.LBB82_235:                             ;   in Loop: Header=BB82_6 Depth=1
	s_or_b64 exec, exec, s[16:17]
	s_orn2_b64 s[16:17], vcc, exec
	v_mov_b32_e32 v37, v10
.LBB82_236:                             ;   in Loop: Header=BB82_6 Depth=1
	s_or_b64 exec, exec, s[54:55]
	s_andn2_b64 s[46:47], s[46:47], exec
	s_and_b64 s[20:21], s[20:21], exec
	s_or_b64 s[46:47], s[46:47], s[20:21]
	s_andn2_b64 s[20:21], s[50:51], exec
	s_and_b64 s[50:51], s[76:77], exec
	s_or_b64 s[50:51], s[20:21], s[50:51]
	;; [unrolled: 3-line block ×3, first 2 shown]
	s_and_b64 s[16:17], s[16:17], exec
	v_mov_b32_e32 v18, v37
.LBB82_237:                             ;   in Loop: Header=BB82_6 Depth=1
	s_or_b64 exec, exec, s[52:53]
	s_and_b64 s[52:53], s[46:47], exec
	s_and_b64 s[46:47], s[50:51], exec
	;; [unrolled: 1-line block ×3, first 2 shown]
	s_orn2_b64 s[16:17], s[16:17], exec
.LBB82_238:                             ;   in Loop: Header=BB82_6 Depth=1
	s_or_b64 exec, exec, s[44:45]
	s_andn2_b64 s[36:37], s[36:37], exec
	s_and_b64 s[44:45], s[52:53], exec
	s_or_b64 s[36:37], s[36:37], s[44:45]
	s_andn2_b64 s[40:41], s[40:41], exec
	s_and_b64 s[44:45], s[46:47], exec
	s_andn2_b64 s[38:39], s[38:39], exec
	s_and_b64 s[20:21], s[20:21], exec
	s_or_b64 s[40:41], s[40:41], s[44:45]
	s_or_b64 s[38:39], s[38:39], s[20:21]
	s_and_b64 s[20:21], s[16:17], exec
	v_mov_b32_e32 v37, v18
.LBB82_239:                             ;   in Loop: Header=BB82_6 Depth=1
	s_or_b64 exec, exec, s[42:43]
	s_and_b64 s[42:43], s[36:37], exec
	s_and_b64 s[36:37], s[40:41], exec
	;; [unrolled: 1-line block ×3, first 2 shown]
	s_orn2_b64 s[38:39], s[20:21], exec
.LBB82_240:                             ;   in Loop: Header=BB82_6 Depth=1
	s_or_b64 exec, exec, s[24:25]
	s_mov_b64 s[24:25], 0
	s_mov_b64 s[20:21], 0
	s_and_saveexec_b64 s[40:41], s[38:39]
	s_xor_b64 s[38:39], exec, s[40:41]
; %bb.241:                              ;   in Loop: Header=BB82_6 Depth=1
	v_cmp_eq_u32_e32 vcc, 8, v2
	v_cmp_ne_u32_e64 s[20:21], 8, v2
	s_andn2_b64 s[42:43], s[42:43], exec
	s_andn2_b64 s[36:37], s[36:37], exec
	;; [unrolled: 1-line block ×3, first 2 shown]
	s_and_b64 s[20:21], s[20:21], exec
	s_and_b64 s[24:25], vcc, exec
; %bb.242:                              ;   in Loop: Header=BB82_6 Depth=1
	s_or_b64 exec, exec, s[38:39]
	s_andn2_b64 s[22:23], s[22:23], exec
	s_and_b64 s[38:39], s[42:43], exec
	s_andn2_b64 s[28:29], s[28:29], exec
	s_and_b64 s[36:37], s[36:37], exec
	;; [unrolled: 2-line block ×3, first 2 shown]
	s_or_b64 s[22:23], s[22:23], s[38:39]
	s_or_b64 s[28:29], s[28:29], s[36:37]
	;; [unrolled: 1-line block ×3, first 2 shown]
	s_and_b64 s[20:21], s[20:21], exec
	s_and_b64 s[24:25], s[24:25], exec
.LBB82_243:                             ;   in Loop: Header=BB82_6 Depth=1
	s_or_b64 exec, exec, s[34:35]
	s_and_b64 vcc, exec, s[30:31]
	s_cbranch_vccz .LBB82_93
.LBB82_244:                             ;   in Loop: Header=BB82_6 Depth=1
	s_cmp_eq_u32 s62, 1
	s_cselect_b64 s[16:17], -1, 0
	s_and_b64 s[28:29], s[16:17], s[18:19]
	s_mov_b64 s[18:19], -1
                                        ; implicit-def: $sgpr30_sgpr31
                                        ; implicit-def: $sgpr34_sgpr35
                                        ; implicit-def: $sgpr22_sgpr23
	s_and_saveexec_b64 s[16:17], s[28:29]
	s_cbranch_execz .LBB82_270
; %bb.245:                              ;   in Loop: Header=BB82_6 Depth=1
	ds_read_b32 v2, v11 offset:4096
	s_waitcnt lgkmcnt(0)
	s_barrier
	v_readfirstlane_b32 s34, v2
	s_mov_b64 s[18:19], exec
	v_readlane_b32 s22, v54, 28
	v_readlane_b32 s23, v54, 29
	s_and_b64 s[22:23], s[18:19], s[22:23]
	s_mov_b64 exec, s[22:23]
	s_cbranch_execz .LBB82_247
; %bb.246:                              ;   in Loop: Header=BB82_6 Depth=1
	ds_write_b32 v23, v11
.LBB82_247:                             ;   in Loop: Header=BB82_6 Depth=1
	s_or_b64 exec, exec, s[18:19]
	v_or_b32_e32 v35, s69, v35
	v_or_b32_e32 v34, s69, v34
	s_cmp_eq_u32 s34, 0
	s_waitcnt lgkmcnt(0)
	s_barrier
	s_cbranch_scc1 .LBB82_256
; %bb.248:                              ;   in Loop: Header=BB82_6 Depth=1
	v_readlane_b32 s18, v54, 21
	s_add_i32 s18, s34, s18
	v_readlane_b32 s19, v54, 43
	s_mul_hi_u32 s19, s18, s19
	s_mul_i32 s19, s19, s9
	s_sub_i32 s19, s18, s19
	s_sub_i32 s22, s19, s9
	s_cmp_ge_u32 s19, s9
	s_cselect_b32 s19, s22, s19
	s_sub_i32 s22, s19, s9
	s_cmp_ge_u32 s19, s9
	s_cselect_b32 s19, s22, s19
	s_sub_i32 s35, s18, s19
	v_cmp_gt_u32_e32 vcc, s35, v0
	s_mov_b64 s[18:19], 0
                                        ; implicit-def: $vgpr19
	s_and_saveexec_b64 s[22:23], vcc
	s_cbranch_execz .LBB82_258
; %bb.249:                              ;   in Loop: Header=BB82_6 Depth=1
	s_mov_b64 s[26:27], 0
	v_mov_b32_e32 v2, v20
	v_mov_b32_e32 v3, v0
                                        ; implicit-def: $sgpr30_sgpr31
	s_branch .LBB82_251
.LBB82_250:                             ;   in Loop: Header=BB82_251 Depth=2
	s_or_b64 exec, exec, s[18:19]
	s_waitcnt lgkmcnt(0)
	s_barrier
	ds_read_b64 v[18:19], v11 offset:3072
	v_add_u32_e32 v3, s9, v3
	v_cmp_le_u32_e64 s[18:19], s35, v3
	v_add_u32_e32 v2, s73, v2
	s_waitcnt lgkmcnt(0)
	v_cmp_neq_f32_e32 vcc, 0, v18
	s_or_b64 s[18:19], s[18:19], vcc
	s_and_b64 s[18:19], exec, s[18:19]
	s_or_b64 s[26:27], s[18:19], s[26:27]
	s_andn2_b64 s[18:19], s[30:31], exec
	s_and_b64 s[30:31], vcc, exec
	s_or_b64 s[30:31], s[18:19], s[30:31]
	s_barrier
	s_andn2_b64 exec, exec, s[26:27]
	s_cbranch_execz .LBB82_257
.LBB82_251:                             ;   Parent Loop BB82_6 Depth=1
                                        ; =>  This Inner Loop Header: Depth=2
	v_cmp_gt_u32_e32 vcc, s34, v3
	s_waitcnt vmcnt(0)
	v_mov_b32_e32 v17, 0
	s_and_saveexec_b64 s[18:19], vcc
	s_cbranch_execz .LBB82_253
; %bb.252:                              ;   in Loop: Header=BB82_251 Depth=2
	ds_read_b32 v17, v2
.LBB82_253:                             ;   in Loop: Header=BB82_251 Depth=2
	s_or_b64 exec, exec, s[18:19]
	s_and_saveexec_b64 s[18:19], vcc
	s_cbranch_execz .LBB82_250
; %bb.254:                              ;   in Loop: Header=BB82_251 Depth=2
	s_waitcnt lgkmcnt(0)
	v_cmp_lt_i32_e32 vcc, -1, v17
	v_cndmask_b32_e32 v4, -1, v32, vcc
	v_xor_b32_e32 v4, v4, v17
	v_cmp_o_f32_e32 vcc, v17, v17
	v_cndmask_b32_e32 v4, -1, v4, vcc
	v_and_b32_e32 v4, v4, v34
	v_cmp_eq_u32_e32 vcc, v4, v35
	s_and_b64 exec, exec, vcc
	s_cbranch_execz .LBB82_250
; %bb.255:                              ;   in Loop: Header=BB82_251 Depth=2
	ds_write_b64 v11, v[16:17] offset:3072
	s_branch .LBB82_250
.LBB82_256:                             ;   in Loop: Header=BB82_6 Depth=1
	s_mov_b64 s[30:31], -1
	s_mov_b64 s[18:19], 0
                                        ; implicit-def: $sgpr34_sgpr35
                                        ; implicit-def: $vgpr19
	s_mov_b64 s[22:23], s[30:31]
	s_cbranch_execnz .LBB82_259
	s_branch .LBB82_269
.LBB82_257:                             ;   in Loop: Header=BB82_6 Depth=1
	s_or_b64 exec, exec, s[26:27]
	s_and_b64 s[18:19], s[30:31], exec
.LBB82_258:                             ;   in Loop: Header=BB82_6 Depth=1
	s_or_b64 exec, exec, s[22:23]
	s_mov_b64 s[30:31], 0
	s_mov_b64 s[34:35], -1
	s_mov_b64 s[22:23], s[30:31]
	s_branch .LBB82_269
.LBB82_259:                             ;   in Loop: Header=BB82_6 Depth=1
	s_mov_b64 s[18:19], 0
                                        ; implicit-def: $vgpr19
	s_mov_b64 s[22:23], exec
	v_readlane_b32 s26, v54, 44
	v_readlane_b32 s27, v54, 45
	s_and_b64 s[26:27], s[22:23], s[26:27]
	s_mov_b64 exec, s[26:27]
	s_cbranch_execz .LBB82_268
; %bb.260:                              ;   in Loop: Header=BB82_6 Depth=1
	s_mov_b64 s[26:27], 0
	v_mov_b32_e32 v10, v12
	v_mov_b32_e32 v2, v0
                                        ; implicit-def: $sgpr30_sgpr31
	s_branch .LBB82_262
.LBB82_261:                             ;   in Loop: Header=BB82_262 Depth=2
	s_or_b64 exec, exec, s[18:19]
	s_waitcnt lgkmcnt(0)
	s_barrier
	ds_read_b64 v[18:19], v11 offset:3072
	v_add_u32_e32 v2, s9, v2
	v_cmp_le_u32_e64 s[18:19], s4, v2
	v_add_u32_e32 v10, s72, v10
	s_waitcnt lgkmcnt(0)
	v_cmp_neq_f32_e32 vcc, 0, v18
	s_or_b64 s[18:19], s[18:19], vcc
	s_and_b64 s[18:19], exec, s[18:19]
	s_or_b64 s[26:27], s[18:19], s[26:27]
	s_andn2_b64 s[18:19], s[30:31], exec
	s_and_b64 s[30:31], vcc, exec
	s_or_b64 s[30:31], s[18:19], s[30:31]
	s_barrier
	s_andn2_b64 exec, exec, s[26:27]
	s_cbranch_execz .LBB82_267
.LBB82_262:                             ;   Parent Loop BB82_6 Depth=1
                                        ; =>  This Inner Loop Header: Depth=2
	v_cmp_gt_u32_e32 vcc, s60, v2
	s_waitcnt vmcnt(0)
	v_mov_b32_e32 v17, 0
	s_and_saveexec_b64 s[34:35], vcc
	s_cbranch_execz .LBB82_264
; %bb.263:                              ;   in Loop: Header=BB82_262 Depth=2
	v_lshlrev_b64 v[4:5], 2, v[10:11]
	v_mov_b32_e32 v3, s8
	v_add_co_u32_e64 v4, s[18:19], s33, v4
	v_addc_co_u32_e64 v5, s[18:19], v3, v5, s[18:19]
	global_load_dword v17, v[4:5], off
.LBB82_264:                             ;   in Loop: Header=BB82_262 Depth=2
	s_or_b64 exec, exec, s[34:35]
	s_and_saveexec_b64 s[18:19], vcc
	s_cbranch_execz .LBB82_261
; %bb.265:                              ;   in Loop: Header=BB82_262 Depth=2
	s_waitcnt vmcnt(0)
	v_cmp_lt_i32_e32 vcc, -1, v17
	v_cndmask_b32_e32 v3, -1, v32, vcc
	v_xor_b32_e32 v3, v3, v17
	v_cmp_o_f32_e32 vcc, v17, v17
	v_cndmask_b32_e32 v3, -1, v3, vcc
	v_and_b32_e32 v3, v3, v34
	v_cmp_eq_u32_e32 vcc, v3, v35
	s_and_b64 exec, exec, vcc
	s_cbranch_execz .LBB82_261
; %bb.266:                              ;   in Loop: Header=BB82_262 Depth=2
	ds_write_b64 v11, v[16:17] offset:3072
	s_branch .LBB82_261
.LBB82_267:                             ;   in Loop: Header=BB82_6 Depth=1
	s_or_b64 exec, exec, s[26:27]
	s_and_b64 s[18:19], s[30:31], exec
.LBB82_268:                             ;   in Loop: Header=BB82_6 Depth=1
	s_or_b64 exec, exec, s[22:23]
	s_mov_b64 s[34:35], 0
	s_mov_b64 s[30:31], -1
	s_mov_b64 s[22:23], 0
.LBB82_269:                             ;   in Loop: Header=BB82_6 Depth=1
	s_orn2_b64 s[18:19], s[18:19], exec
.LBB82_270:                             ;   in Loop: Header=BB82_6 Depth=1
	s_or_b64 exec, exec, s[16:17]
                                        ; implicit-def: $vgpr2
                                        ; implicit-def: $vgpr37
                                        ; implicit-def: $vgpr4
                                        ; implicit-def: $vgpr5
                                        ; implicit-def: $vgpr3
	s_and_saveexec_b64 s[26:27], s[18:19]
	s_cbranch_execz .LBB82_405
; %bb.271:                              ;   in Loop: Header=BB82_6 Depth=1
	s_xor_b64 s[28:29], s[28:29], -1
	s_mov_b64 s[18:19], 0
	v_mov_b32_e32 v37, 1
	v_mov_b32_e32 v2, 1
	s_and_saveexec_b64 s[16:17], s[28:29]
	s_cbranch_execz .LBB82_281
; %bb.272:                              ;   in Loop: Header=BB82_6 Depth=1
	v_cmp_ge_u32_e32 vcc, s62, v36
                                        ; implicit-def: $sgpr36
                                        ; implicit-def: $sgpr18_sgpr19
	s_and_saveexec_b64 s[28:29], vcc
	s_xor_b64 s[28:29], exec, s[28:29]
	s_cbranch_execz .LBB82_278
; %bb.273:                              ;   in Loop: Header=BB82_6 Depth=1
	ds_read_b32 v2, v11 offset:4096
	s_waitcnt lgkmcnt(0)
	v_cmp_ne_u32_e32 vcc, 0, v2
	s_cbranch_vccnz .LBB82_277
; %bb.274:                              ;   in Loop: Header=BB82_6 Depth=1
	s_mov_b64 s[18:19], exec
	v_readlane_b32 s36, v54, 6
	v_readlane_b32 s37, v54, 7
	s_and_b64 s[36:37], s[18:19], s[36:37]
	s_mov_b64 exec, s[36:37]
	s_cbranch_execz .LBB82_276
; %bb.275:                              ;   in Loop: Header=BB82_6 Depth=1
	v_mov_b32_e32 v2, s62
	ds_write_b32 v11, v2 offset:4100
.LBB82_276:                             ;   in Loop: Header=BB82_6 Depth=1
	s_or_b64 exec, exec, s[18:19]
	s_waitcnt lgkmcnt(0)
	s_barrier
.LBB82_277:                             ;   in Loop: Header=BB82_6 Depth=1
	v_or_b32_e32 v35, s69, v35
	v_or_b32_e32 v34, s69, v34
	s_mov_b64 s[18:19], 0
	s_mov_b32 s36, 5
.LBB82_278:                             ;   in Loop: Header=BB82_6 Depth=1
	s_or_saveexec_b64 s[28:29], s[28:29]
	v_mov_b32_e32 v2, s36
	s_xor_b64 exec, exec, s[28:29]
; %bb.279:                              ;   in Loop: Header=BB82_6 Depth=1
	v_subrev_u32_e32 v36, s62, v36
	v_mov_b32_e32 v2, 0
	s_or_b64 s[18:19], s[18:19], exec
; %bb.280:                              ;   in Loop: Header=BB82_6 Depth=1
	s_or_b64 exec, exec, s[28:29]
	s_and_b64 s[18:19], s[18:19], exec
	v_mov_b32_e32 v37, v36
.LBB82_281:                             ;   in Loop: Header=BB82_6 Depth=1
	s_or_b64 exec, exec, s[16:17]
	s_mov_b64 s[38:39], -1
                                        ; implicit-def: $sgpr16_sgpr17
                                        ; implicit-def: $sgpr36_sgpr37
                                        ; implicit-def: $sgpr42_sgpr43
	s_and_saveexec_b64 s[28:29], s[18:19]
	s_xor_b64 s[28:29], exec, s[28:29]
	s_cbranch_execz .LBB82_402
; %bb.282:                              ;   in Loop: Header=BB82_6 Depth=1
	s_cmp_eq_u32 s11, 1
	s_cselect_b64 s[16:17], -1, 0
	v_cmp_eq_u32_e32 vcc, 1, v37
	s_and_b64 s[44:45], s[16:17], vcc
	s_mov_b64 s[46:47], -1
                                        ; implicit-def: $sgpr36_sgpr37
                                        ; implicit-def: $sgpr38_sgpr39
                                        ; implicit-def: $sgpr40_sgpr41
	s_and_saveexec_b64 s[16:17], s[44:45]
	s_cbranch_execz .LBB82_308
; %bb.283:                              ;   in Loop: Header=BB82_6 Depth=1
	ds_read_b32 v2, v11 offset:4096
	s_waitcnt lgkmcnt(0)
	s_barrier
	v_readfirstlane_b32 s42, v2
	s_mov_b64 s[18:19], exec
	v_readlane_b32 s36, v54, 28
	v_readlane_b32 s37, v54, 29
	s_and_b64 s[36:37], s[18:19], s[36:37]
	s_mov_b64 exec, s[36:37]
	s_cbranch_execz .LBB82_285
; %bb.284:                              ;   in Loop: Header=BB82_6 Depth=1
	ds_write_b32 v23, v11
.LBB82_285:                             ;   in Loop: Header=BB82_6 Depth=1
	s_or_b64 exec, exec, s[18:19]
	v_and_b32_e32 v2, s74, v35
	v_lshl_or_b32 v35, 2, s10, v2
	v_or_b32_e32 v34, s69, v34
	s_cmp_eq_u32 s42, 0
	s_waitcnt lgkmcnt(0)
	s_barrier
	s_cbranch_scc1 .LBB82_294
; %bb.286:                              ;   in Loop: Header=BB82_6 Depth=1
	v_readlane_b32 s18, v54, 21
	s_add_i32 s18, s42, s18
	v_readlane_b32 s19, v54, 43
	s_mul_hi_u32 s19, s18, s19
	s_mul_i32 s19, s19, s9
	s_sub_i32 s19, s18, s19
	s_sub_i32 s36, s19, s9
	s_cmp_ge_u32 s19, s9
	s_cselect_b32 s19, s36, s19
	s_sub_i32 s36, s19, s9
	s_cmp_ge_u32 s19, s9
	s_cselect_b32 s19, s36, s19
	s_sub_i32 s43, s18, s19
	v_cmp_gt_u32_e32 vcc, s43, v0
	s_mov_b64 s[18:19], 0
                                        ; implicit-def: $vgpr19
	s_and_saveexec_b64 s[36:37], vcc
	s_cbranch_execz .LBB82_296
; %bb.287:                              ;   in Loop: Header=BB82_6 Depth=1
	s_mov_b64 s[38:39], 0
	v_mov_b32_e32 v2, v20
	v_mov_b32_e32 v3, v0
                                        ; implicit-def: $sgpr40_sgpr41
	s_branch .LBB82_289
.LBB82_288:                             ;   in Loop: Header=BB82_289 Depth=2
	s_or_b64 exec, exec, s[18:19]
	s_waitcnt lgkmcnt(0)
	s_barrier
	ds_read_b64 v[18:19], v11 offset:3072
	v_add_u32_e32 v3, s9, v3
	v_cmp_le_u32_e64 s[18:19], s43, v3
	v_add_u32_e32 v2, s73, v2
	s_waitcnt lgkmcnt(0)
	v_cmp_neq_f32_e32 vcc, 0, v18
	s_or_b64 s[18:19], s[18:19], vcc
	s_and_b64 s[18:19], exec, s[18:19]
	s_or_b64 s[38:39], s[18:19], s[38:39]
	s_andn2_b64 s[18:19], s[40:41], exec
	s_and_b64 s[40:41], vcc, exec
	s_or_b64 s[40:41], s[18:19], s[40:41]
	s_barrier
	s_andn2_b64 exec, exec, s[38:39]
	s_cbranch_execz .LBB82_295
.LBB82_289:                             ;   Parent Loop BB82_6 Depth=1
                                        ; =>  This Inner Loop Header: Depth=2
	v_cmp_gt_u32_e32 vcc, s42, v3
	s_waitcnt vmcnt(0)
	v_mov_b32_e32 v17, 0
	s_and_saveexec_b64 s[18:19], vcc
	s_cbranch_execz .LBB82_291
; %bb.290:                              ;   in Loop: Header=BB82_289 Depth=2
	ds_read_b32 v17, v2
.LBB82_291:                             ;   in Loop: Header=BB82_289 Depth=2
	s_or_b64 exec, exec, s[18:19]
	s_and_saveexec_b64 s[18:19], vcc
	s_cbranch_execz .LBB82_288
; %bb.292:                              ;   in Loop: Header=BB82_289 Depth=2
	s_waitcnt lgkmcnt(0)
	v_cmp_lt_i32_e32 vcc, -1, v17
	v_cndmask_b32_e32 v4, -1, v32, vcc
	v_xor_b32_e32 v4, v4, v17
	v_cmp_o_f32_e32 vcc, v17, v17
	v_cndmask_b32_e32 v4, -1, v4, vcc
	v_and_b32_e32 v4, v4, v34
	v_cmp_eq_u32_e32 vcc, v4, v35
	s_and_b64 exec, exec, vcc
	s_cbranch_execz .LBB82_288
; %bb.293:                              ;   in Loop: Header=BB82_289 Depth=2
	ds_write_b64 v11, v[16:17] offset:3072
	s_branch .LBB82_288
.LBB82_294:                             ;   in Loop: Header=BB82_6 Depth=1
	s_mov_b64 s[36:37], -1
	s_mov_b64 s[18:19], 0
                                        ; implicit-def: $sgpr38_sgpr39
                                        ; implicit-def: $vgpr19
	s_mov_b64 s[40:41], s[36:37]
	s_cbranch_execnz .LBB82_297
	s_branch .LBB82_307
.LBB82_295:                             ;   in Loop: Header=BB82_6 Depth=1
	s_or_b64 exec, exec, s[38:39]
	s_and_b64 s[18:19], s[40:41], exec
.LBB82_296:                             ;   in Loop: Header=BB82_6 Depth=1
	s_or_b64 exec, exec, s[36:37]
	s_mov_b64 s[36:37], 0
	s_mov_b64 s[38:39], -1
	s_mov_b64 s[40:41], s[36:37]
	s_branch .LBB82_307
.LBB82_297:                             ;   in Loop: Header=BB82_6 Depth=1
	s_mov_b64 s[18:19], 0
                                        ; implicit-def: $vgpr19
	s_mov_b64 s[36:37], exec
	v_readlane_b32 s38, v54, 44
	v_readlane_b32 s39, v54, 45
	s_and_b64 s[38:39], s[36:37], s[38:39]
	s_mov_b64 exec, s[38:39]
	s_cbranch_execz .LBB82_306
; %bb.298:                              ;   in Loop: Header=BB82_6 Depth=1
	s_mov_b64 s[38:39], 0
	v_mov_b32_e32 v10, v12
	v_mov_b32_e32 v2, v0
                                        ; implicit-def: $sgpr40_sgpr41
	s_branch .LBB82_300
.LBB82_299:                             ;   in Loop: Header=BB82_300 Depth=2
	s_or_b64 exec, exec, s[18:19]
	s_waitcnt lgkmcnt(0)
	s_barrier
	ds_read_b64 v[18:19], v11 offset:3072
	v_add_u32_e32 v2, s9, v2
	v_cmp_le_u32_e64 s[18:19], s4, v2
	v_add_u32_e32 v10, s72, v10
	s_waitcnt lgkmcnt(0)
	v_cmp_neq_f32_e32 vcc, 0, v18
	s_or_b64 s[18:19], s[18:19], vcc
	s_and_b64 s[18:19], exec, s[18:19]
	s_or_b64 s[38:39], s[18:19], s[38:39]
	s_andn2_b64 s[18:19], s[40:41], exec
	s_and_b64 s[40:41], vcc, exec
	s_or_b64 s[40:41], s[18:19], s[40:41]
	s_barrier
	s_andn2_b64 exec, exec, s[38:39]
	s_cbranch_execz .LBB82_305
.LBB82_300:                             ;   Parent Loop BB82_6 Depth=1
                                        ; =>  This Inner Loop Header: Depth=2
	v_cmp_gt_u32_e32 vcc, s60, v2
	s_waitcnt vmcnt(0)
	v_mov_b32_e32 v17, 0
	s_and_saveexec_b64 s[42:43], vcc
	s_cbranch_execz .LBB82_302
; %bb.301:                              ;   in Loop: Header=BB82_300 Depth=2
	v_lshlrev_b64 v[4:5], 2, v[10:11]
	v_mov_b32_e32 v3, s8
	v_add_co_u32_e64 v4, s[18:19], s33, v4
	v_addc_co_u32_e64 v5, s[18:19], v3, v5, s[18:19]
	global_load_dword v17, v[4:5], off
.LBB82_302:                             ;   in Loop: Header=BB82_300 Depth=2
	s_or_b64 exec, exec, s[42:43]
	s_and_saveexec_b64 s[18:19], vcc
	s_cbranch_execz .LBB82_299
; %bb.303:                              ;   in Loop: Header=BB82_300 Depth=2
	s_waitcnt vmcnt(0)
	v_cmp_lt_i32_e32 vcc, -1, v17
	v_cndmask_b32_e32 v3, -1, v32, vcc
	v_xor_b32_e32 v3, v3, v17
	v_cmp_o_f32_e32 vcc, v17, v17
	v_cndmask_b32_e32 v3, -1, v3, vcc
	v_and_b32_e32 v3, v3, v34
	v_cmp_eq_u32_e32 vcc, v3, v35
	s_and_b64 exec, exec, vcc
	s_cbranch_execz .LBB82_299
; %bb.304:                              ;   in Loop: Header=BB82_300 Depth=2
	ds_write_b64 v11, v[16:17] offset:3072
	s_branch .LBB82_299
.LBB82_305:                             ;   in Loop: Header=BB82_6 Depth=1
	s_or_b64 exec, exec, s[38:39]
	s_and_b64 s[18:19], s[40:41], exec
.LBB82_306:                             ;   in Loop: Header=BB82_6 Depth=1
	s_or_b64 exec, exec, s[36:37]
	s_mov_b64 s[38:39], 0
	s_mov_b64 s[36:37], -1
	s_mov_b64 s[40:41], 0
.LBB82_307:                             ;   in Loop: Header=BB82_6 Depth=1
	s_orn2_b64 s[46:47], s[18:19], exec
.LBB82_308:                             ;   in Loop: Header=BB82_6 Depth=1
	s_or_b64 exec, exec, s[16:17]
	s_mov_b64 s[18:19], 0
                                        ; implicit-def: $vgpr2
	s_and_saveexec_b64 s[42:43], s[46:47]
	s_cbranch_execz .LBB82_401
; %bb.309:                              ;   in Loop: Header=BB82_6 Depth=1
	s_xor_b64 s[18:19], s[44:45], -1
	s_mov_b64 s[48:49], 0
	v_mov_b32_e32 v3, 1
	v_mov_b32_e32 v2, 1
	s_and_saveexec_b64 s[16:17], s[18:19]
	s_cbranch_execz .LBB82_319
; %bb.310:                              ;   in Loop: Header=BB82_6 Depth=1
	v_cmp_ge_u32_e32 vcc, s11, v37
                                        ; implicit-def: $sgpr46
                                        ; implicit-def: $sgpr18_sgpr19
	s_and_saveexec_b64 s[44:45], vcc
	s_xor_b64 s[44:45], exec, s[44:45]
	s_cbranch_execz .LBB82_316
; %bb.311:                              ;   in Loop: Header=BB82_6 Depth=1
	ds_read_b32 v2, v11 offset:4096
	s_waitcnt lgkmcnt(0)
	v_cmp_ne_u32_e32 vcc, 0, v2
	s_cbranch_vccnz .LBB82_315
; %bb.312:                              ;   in Loop: Header=BB82_6 Depth=1
	s_mov_b64 s[18:19], exec
	v_readlane_b32 s46, v54, 6
	v_readlane_b32 s47, v54, 7
	s_and_b64 s[46:47], s[18:19], s[46:47]
	s_mov_b64 exec, s[46:47]
	s_cbranch_execz .LBB82_314
; %bb.313:                              ;   in Loop: Header=BB82_6 Depth=1
	v_mov_b32_e32 v2, s11
	ds_write_b32 v11, v2 offset:4100
.LBB82_314:                             ;   in Loop: Header=BB82_6 Depth=1
	s_or_b64 exec, exec, s[18:19]
	s_waitcnt lgkmcnt(0)
	s_barrier
.LBB82_315:                             ;   in Loop: Header=BB82_6 Depth=1
	v_and_b32_e32 v2, s74, v35
	v_lshl_or_b32 v35, 2, s10, v2
	v_or_b32_e32 v34, s69, v34
	s_mov_b64 s[18:19], 0
	s_mov_b32 s46, 5
.LBB82_316:                             ;   in Loop: Header=BB82_6 Depth=1
	s_or_saveexec_b64 s[44:45], s[44:45]
	v_mov_b32_e32 v2, s46
	s_xor_b64 exec, exec, s[44:45]
; %bb.317:                              ;   in Loop: Header=BB82_6 Depth=1
	v_subrev_u32_e32 v37, s11, v37
	v_mov_b32_e32 v2, 0
	s_or_b64 s[18:19], s[18:19], exec
; %bb.318:                              ;   in Loop: Header=BB82_6 Depth=1
	s_or_b64 exec, exec, s[44:45]
	s_and_b64 s[48:49], s[18:19], exec
	v_mov_b32_e32 v3, v37
.LBB82_319:                             ;   in Loop: Header=BB82_6 Depth=1
	s_or_b64 exec, exec, s[16:17]
	s_mov_b64 s[16:17], -1
                                        ; implicit-def: $sgpr18_sgpr19
                                        ; implicit-def: $sgpr46_sgpr47
                                        ; implicit-def: $sgpr52_sgpr53
	s_and_saveexec_b64 s[44:45], s[48:49]
	s_cbranch_execz .LBB82_400
; %bb.320:                              ;   in Loop: Header=BB82_6 Depth=1
	s_cmp_eq_u32 s68, 1
	s_cselect_b64 s[16:17], -1, 0
	v_cmp_eq_u32_e32 vcc, 1, v3
	s_and_b64 s[54:55], s[16:17], vcc
	s_mov_b64 s[18:19], -1
                                        ; implicit-def: $sgpr46_sgpr47
                                        ; implicit-def: $sgpr48_sgpr49
                                        ; implicit-def: $sgpr50_sgpr51
	s_and_saveexec_b64 s[16:17], s[54:55]
	s_cbranch_execz .LBB82_346
; %bb.321:                              ;   in Loop: Header=BB82_6 Depth=1
	ds_read_b32 v2, v11 offset:4096
	s_waitcnt lgkmcnt(0)
	s_barrier
	v_readfirstlane_b32 s11, v2
	s_mov_b64 s[18:19], exec
	v_readlane_b32 s46, v54, 28
	v_readlane_b32 s47, v54, 29
	s_and_b64 s[46:47], s[18:19], s[46:47]
	s_mov_b64 exec, s[46:47]
	s_cbranch_execz .LBB82_323
; %bb.322:                              ;   in Loop: Header=BB82_6 Depth=1
	ds_write_b32 v23, v11
.LBB82_323:                             ;   in Loop: Header=BB82_6 Depth=1
	s_or_b64 exec, exec, s[18:19]
	v_and_b32_e32 v2, s74, v35
	v_lshl_or_b32 v35, 1, s10, v2
	v_or_b32_e32 v34, s69, v34
	s_cmp_eq_u32 s11, 0
	s_waitcnt lgkmcnt(0)
	s_barrier
	s_cbranch_scc1 .LBB82_332
; %bb.324:                              ;   in Loop: Header=BB82_6 Depth=1
	v_readlane_b32 s18, v54, 21
	s_add_i32 s18, s11, s18
	v_readlane_b32 s19, v54, 43
	s_mul_hi_u32 s19, s18, s19
	s_mul_i32 s19, s19, s9
	s_sub_i32 s19, s18, s19
	s_sub_i32 s46, s19, s9
	s_cmp_ge_u32 s19, s9
	s_cselect_b32 s19, s46, s19
	s_sub_i32 s46, s19, s9
	s_cmp_ge_u32 s19, s9
	s_cselect_b32 s19, s46, s19
	s_sub_i32 s52, s18, s19
	v_cmp_gt_u32_e32 vcc, s52, v0
	s_mov_b64 s[18:19], 0
                                        ; implicit-def: $vgpr19
	s_and_saveexec_b64 s[46:47], vcc
	s_cbranch_execz .LBB82_334
; %bb.325:                              ;   in Loop: Header=BB82_6 Depth=1
	s_mov_b64 s[48:49], 0
	v_mov_b32_e32 v2, v20
	v_mov_b32_e32 v4, v0
                                        ; implicit-def: $sgpr50_sgpr51
	s_branch .LBB82_327
.LBB82_326:                             ;   in Loop: Header=BB82_327 Depth=2
	s_or_b64 exec, exec, s[18:19]
	s_waitcnt lgkmcnt(0)
	s_barrier
	ds_read_b64 v[18:19], v11 offset:3072
	v_add_u32_e32 v4, s9, v4
	v_cmp_le_u32_e64 s[18:19], s52, v4
	v_add_u32_e32 v2, s73, v2
	s_waitcnt lgkmcnt(0)
	v_cmp_neq_f32_e32 vcc, 0, v18
	s_or_b64 s[18:19], s[18:19], vcc
	s_and_b64 s[18:19], exec, s[18:19]
	s_or_b64 s[48:49], s[18:19], s[48:49]
	s_andn2_b64 s[18:19], s[50:51], exec
	s_and_b64 s[50:51], vcc, exec
	s_or_b64 s[50:51], s[18:19], s[50:51]
	s_barrier
	s_andn2_b64 exec, exec, s[48:49]
	s_cbranch_execz .LBB82_333
.LBB82_327:                             ;   Parent Loop BB82_6 Depth=1
                                        ; =>  This Inner Loop Header: Depth=2
	v_cmp_gt_u32_e32 vcc, s11, v4
	s_waitcnt vmcnt(0)
	v_mov_b32_e32 v17, 0
	s_and_saveexec_b64 s[18:19], vcc
	s_cbranch_execz .LBB82_329
; %bb.328:                              ;   in Loop: Header=BB82_327 Depth=2
	ds_read_b32 v17, v2
.LBB82_329:                             ;   in Loop: Header=BB82_327 Depth=2
	s_or_b64 exec, exec, s[18:19]
	s_and_saveexec_b64 s[18:19], vcc
	s_cbranch_execz .LBB82_326
; %bb.330:                              ;   in Loop: Header=BB82_327 Depth=2
	s_waitcnt lgkmcnt(0)
	v_cmp_lt_i32_e32 vcc, -1, v17
	v_cndmask_b32_e32 v5, -1, v32, vcc
	v_xor_b32_e32 v5, v5, v17
	v_cmp_o_f32_e32 vcc, v17, v17
	v_cndmask_b32_e32 v5, -1, v5, vcc
	v_and_b32_e32 v5, v5, v34
	v_cmp_eq_u32_e32 vcc, v5, v35
	s_and_b64 exec, exec, vcc
	s_cbranch_execz .LBB82_326
; %bb.331:                              ;   in Loop: Header=BB82_327 Depth=2
	ds_write_b64 v11, v[16:17] offset:3072
	s_branch .LBB82_326
.LBB82_332:                             ;   in Loop: Header=BB82_6 Depth=1
	s_mov_b64 s[46:47], -1
	s_mov_b64 s[18:19], 0
                                        ; implicit-def: $sgpr48_sgpr49
                                        ; implicit-def: $vgpr19
	s_mov_b64 s[50:51], s[46:47]
	s_cbranch_execnz .LBB82_335
	s_branch .LBB82_345
.LBB82_333:                             ;   in Loop: Header=BB82_6 Depth=1
	s_or_b64 exec, exec, s[48:49]
	s_and_b64 s[18:19], s[50:51], exec
.LBB82_334:                             ;   in Loop: Header=BB82_6 Depth=1
	s_or_b64 exec, exec, s[46:47]
	s_mov_b64 s[46:47], 0
	s_mov_b64 s[48:49], -1
	s_mov_b64 s[50:51], s[46:47]
	s_branch .LBB82_345
.LBB82_335:                             ;   in Loop: Header=BB82_6 Depth=1
	s_mov_b64 s[18:19], 0
                                        ; implicit-def: $vgpr19
	s_mov_b64 s[46:47], exec
	v_readlane_b32 s48, v54, 44
	v_readlane_b32 s49, v54, 45
	s_and_b64 s[48:49], s[46:47], s[48:49]
	s_mov_b64 exec, s[48:49]
	s_cbranch_execz .LBB82_344
; %bb.336:                              ;   in Loop: Header=BB82_6 Depth=1
	s_mov_b64 s[48:49], 0
	v_mov_b32_e32 v10, v12
	v_mov_b32_e32 v2, v0
                                        ; implicit-def: $sgpr50_sgpr51
	s_branch .LBB82_338
.LBB82_337:                             ;   in Loop: Header=BB82_338 Depth=2
	s_or_b64 exec, exec, s[18:19]
	s_waitcnt lgkmcnt(0)
	s_barrier
	ds_read_b64 v[18:19], v11 offset:3072
	v_add_u32_e32 v2, s9, v2
	v_cmp_le_u32_e64 s[18:19], s4, v2
	v_add_u32_e32 v10, s72, v10
	s_waitcnt lgkmcnt(0)
	v_cmp_neq_f32_e32 vcc, 0, v18
	s_or_b64 s[18:19], s[18:19], vcc
	s_and_b64 s[18:19], exec, s[18:19]
	s_or_b64 s[48:49], s[18:19], s[48:49]
	s_andn2_b64 s[18:19], s[50:51], exec
	s_and_b64 s[50:51], vcc, exec
	s_or_b64 s[50:51], s[18:19], s[50:51]
	s_barrier
	s_andn2_b64 exec, exec, s[48:49]
	s_cbranch_execz .LBB82_343
.LBB82_338:                             ;   Parent Loop BB82_6 Depth=1
                                        ; =>  This Inner Loop Header: Depth=2
	v_cmp_gt_u32_e32 vcc, s60, v2
	s_waitcnt vmcnt(0)
	v_mov_b32_e32 v17, 0
	s_and_saveexec_b64 s[52:53], vcc
	s_cbranch_execz .LBB82_340
; %bb.339:                              ;   in Loop: Header=BB82_338 Depth=2
	v_lshlrev_b64 v[4:5], 2, v[10:11]
	v_mov_b32_e32 v17, s8
	v_add_co_u32_e64 v4, s[18:19], s33, v4
	v_addc_co_u32_e64 v5, s[18:19], v17, v5, s[18:19]
	global_load_dword v17, v[4:5], off
.LBB82_340:                             ;   in Loop: Header=BB82_338 Depth=2
	s_or_b64 exec, exec, s[52:53]
	s_and_saveexec_b64 s[18:19], vcc
	s_cbranch_execz .LBB82_337
; %bb.341:                              ;   in Loop: Header=BB82_338 Depth=2
	s_waitcnt vmcnt(0)
	v_cmp_lt_i32_e32 vcc, -1, v17
	v_cndmask_b32_e32 v4, -1, v32, vcc
	v_xor_b32_e32 v4, v4, v17
	v_cmp_o_f32_e32 vcc, v17, v17
	v_cndmask_b32_e32 v4, -1, v4, vcc
	v_and_b32_e32 v4, v4, v34
	v_cmp_eq_u32_e32 vcc, v4, v35
	s_and_b64 exec, exec, vcc
	s_cbranch_execz .LBB82_337
; %bb.342:                              ;   in Loop: Header=BB82_338 Depth=2
	ds_write_b64 v11, v[16:17] offset:3072
	s_branch .LBB82_337
.LBB82_343:                             ;   in Loop: Header=BB82_6 Depth=1
	s_or_b64 exec, exec, s[48:49]
	s_and_b64 s[18:19], s[50:51], exec
.LBB82_344:                             ;   in Loop: Header=BB82_6 Depth=1
	s_or_b64 exec, exec, s[46:47]
	s_mov_b64 s[48:49], 0
	s_mov_b64 s[46:47], -1
	s_mov_b64 s[50:51], 0
.LBB82_345:                             ;   in Loop: Header=BB82_6 Depth=1
	s_orn2_b64 s[18:19], s[18:19], exec
.LBB82_346:                             ;   in Loop: Header=BB82_6 Depth=1
	s_or_b64 exec, exec, s[16:17]
	s_mov_b64 s[16:17], 0
                                        ; implicit-def: $vgpr2
	s_and_saveexec_b64 s[52:53], s[18:19]
	s_cbranch_execz .LBB82_399
; %bb.347:                              ;   in Loop: Header=BB82_6 Depth=1
	s_xor_b64 s[18:19], s[54:55], -1
	s_mov_b64 s[56:57], 0
	v_mov_b32_e32 v4, 1
	v_mov_b32_e32 v2, 1
	s_and_saveexec_b64 s[16:17], s[18:19]
	s_cbranch_execz .LBB82_357
; %bb.348:                              ;   in Loop: Header=BB82_6 Depth=1
	v_cmp_ge_u32_e32 vcc, s68, v3
                                        ; implicit-def: $sgpr11
                                        ; implicit-def: $sgpr18_sgpr19
	s_and_saveexec_b64 s[54:55], vcc
	s_xor_b64 s[54:55], exec, s[54:55]
	s_cbranch_execz .LBB82_354
; %bb.349:                              ;   in Loop: Header=BB82_6 Depth=1
	ds_read_b32 v2, v11 offset:4096
	s_waitcnt lgkmcnt(0)
	v_cmp_ne_u32_e32 vcc, 0, v2
	s_cbranch_vccnz .LBB82_353
; %bb.350:                              ;   in Loop: Header=BB82_6 Depth=1
	s_mov_b64 s[18:19], exec
	v_readlane_b32 s56, v54, 6
	v_readlane_b32 s57, v54, 7
	s_and_b64 s[56:57], s[18:19], s[56:57]
	s_mov_b64 exec, s[56:57]
	s_cbranch_execz .LBB82_352
; %bb.351:                              ;   in Loop: Header=BB82_6 Depth=1
	v_mov_b32_e32 v2, s68
	ds_write_b32 v11, v2 offset:4100
.LBB82_352:                             ;   in Loop: Header=BB82_6 Depth=1
	s_or_b64 exec, exec, s[18:19]
	s_waitcnt lgkmcnt(0)
	s_barrier
.LBB82_353:                             ;   in Loop: Header=BB82_6 Depth=1
	v_and_b32_e32 v2, s74, v35
	v_lshl_or_b32 v35, 1, s10, v2
	v_or_b32_e32 v34, s69, v34
	s_mov_b64 s[18:19], 0
	s_mov_b32 s11, 5
.LBB82_354:                             ;   in Loop: Header=BB82_6 Depth=1
	s_or_saveexec_b64 s[54:55], s[54:55]
	v_mov_b32_e32 v2, s11
	s_xor_b64 exec, exec, s[54:55]
; %bb.355:                              ;   in Loop: Header=BB82_6 Depth=1
	v_subrev_u32_e32 v3, s68, v3
	v_mov_b32_e32 v2, 0
	s_or_b64 s[18:19], s[18:19], exec
; %bb.356:                              ;   in Loop: Header=BB82_6 Depth=1
	s_or_b64 exec, exec, s[54:55]
	s_and_b64 s[56:57], s[18:19], exec
	v_mov_b32_e32 v4, v3
.LBB82_357:                             ;   in Loop: Header=BB82_6 Depth=1
	s_or_b64 exec, exec, s[16:17]
	s_mov_b64 s[16:17], -1
                                        ; implicit-def: $sgpr18_sgpr19
                                        ; implicit-def: $sgpr58_sgpr59
                                        ; implicit-def: $sgpr76_sgpr77
	s_and_saveexec_b64 s[54:55], s[56:57]
	s_cbranch_execz .LBB82_398
; %bb.358:                              ;   in Loop: Header=BB82_6 Depth=1
	s_cmp_eq_u32 s7, 1
	s_cselect_b64 s[10:11], -1, 0
	v_cmp_eq_u32_e32 vcc, 1, v4
	s_and_b64 s[56:57], s[10:11], vcc
	s_mov_b64 s[78:79], -1
                                        ; implicit-def: $sgpr18_sgpr19
                                        ; implicit-def: $sgpr58_sgpr59
                                        ; implicit-def: $sgpr76_sgpr77
	s_and_saveexec_b64 s[16:17], s[56:57]
	s_cbranch_execz .LBB82_385
; %bb.359:                              ;   in Loop: Header=BB82_6 Depth=1
	ds_read_b32 v2, v11 offset:4096
	s_waitcnt lgkmcnt(0)
	s_barrier
	v_readfirstlane_b32 s10, v2
	s_mov_b64 s[18:19], exec
	v_readlane_b32 s58, v54, 28
	v_readlane_b32 s59, v54, 29
	s_and_b64 s[58:59], s[18:19], s[58:59]
	s_mov_b64 exec, s[58:59]
	s_cbranch_execz .LBB82_361
; %bb.360:                              ;   in Loop: Header=BB82_6 Depth=1
	ds_write_b32 v23, v11
.LBB82_361:                             ;   in Loop: Header=BB82_6 Depth=1
	s_or_b64 exec, exec, s[18:19]
	v_and_b32_e32 v35, s74, v35
	v_or_b32_e32 v34, s69, v34
	s_cmp_eq_u32 s10, 0
	s_waitcnt lgkmcnt(0)
	s_barrier
	s_cbranch_scc1 .LBB82_370
; %bb.362:                              ;   in Loop: Header=BB82_6 Depth=1
	v_readlane_b32 s11, v54, 21
	s_add_i32 s11, s10, s11
	v_readlane_b32 s18, v54, 43
	s_mul_hi_u32 s18, s11, s18
	s_mul_i32 s18, s18, s9
	s_sub_i32 s18, s11, s18
	s_sub_i32 s19, s18, s9
	s_cmp_ge_u32 s18, s9
	s_cselect_b32 s18, s19, s18
	s_sub_i32 s19, s18, s9
	s_cmp_ge_u32 s18, s9
	s_cselect_b32 s18, s19, s18
	s_sub_i32 s11, s11, s18
	v_cmp_gt_u32_e32 vcc, s11, v0
	s_mov_b64 s[78:79], 0
                                        ; implicit-def: $vgpr19
	s_and_saveexec_b64 s[58:59], vcc
	s_cbranch_execz .LBB82_372
; %bb.363:                              ;   in Loop: Header=BB82_6 Depth=1
	s_mov_b64 s[76:77], 0
	v_mov_b32_e32 v2, v20
	v_mov_b32_e32 v3, v0
                                        ; implicit-def: $sgpr78_sgpr79
	s_branch .LBB82_365
.LBB82_364:                             ;   in Loop: Header=BB82_365 Depth=2
	s_or_b64 exec, exec, s[18:19]
	s_waitcnt lgkmcnt(0)
	s_barrier
	ds_read_b64 v[18:19], v11 offset:3072
	v_add_u32_e32 v3, s9, v3
	v_cmp_le_u32_e64 s[18:19], s11, v3
	v_add_u32_e32 v2, s73, v2
	s_waitcnt lgkmcnt(0)
	v_cmp_neq_f32_e32 vcc, 0, v18
	s_or_b64 s[18:19], s[18:19], vcc
	s_and_b64 s[18:19], exec, s[18:19]
	s_or_b64 s[76:77], s[18:19], s[76:77]
	s_andn2_b64 s[18:19], s[78:79], exec
	s_and_b64 s[62:63], vcc, exec
	s_or_b64 s[78:79], s[18:19], s[62:63]
	s_barrier
	s_andn2_b64 exec, exec, s[76:77]
	s_cbranch_execz .LBB82_371
.LBB82_365:                             ;   Parent Loop BB82_6 Depth=1
                                        ; =>  This Inner Loop Header: Depth=2
	v_cmp_gt_u32_e32 vcc, s10, v3
	s_waitcnt vmcnt(0)
	v_mov_b32_e32 v17, 0
	s_and_saveexec_b64 s[18:19], vcc
	s_cbranch_execz .LBB82_367
; %bb.366:                              ;   in Loop: Header=BB82_365 Depth=2
	ds_read_b32 v17, v2
.LBB82_367:                             ;   in Loop: Header=BB82_365 Depth=2
	s_or_b64 exec, exec, s[18:19]
	s_and_saveexec_b64 s[18:19], vcc
	s_cbranch_execz .LBB82_364
; %bb.368:                              ;   in Loop: Header=BB82_365 Depth=2
	s_waitcnt lgkmcnt(0)
	v_cmp_lt_i32_e32 vcc, -1, v17
	v_cndmask_b32_e32 v5, -1, v32, vcc
	v_xor_b32_e32 v5, v5, v17
	v_cmp_o_f32_e32 vcc, v17, v17
	v_cndmask_b32_e32 v5, -1, v5, vcc
	v_and_b32_e32 v5, v5, v34
	v_cmp_eq_u32_e32 vcc, v5, v35
	s_and_b64 exec, exec, vcc
	s_cbranch_execz .LBB82_364
; %bb.369:                              ;   in Loop: Header=BB82_365 Depth=2
	ds_write_b64 v11, v[16:17] offset:3072
	s_branch .LBB82_364
.LBB82_370:                             ;   in Loop: Header=BB82_6 Depth=1
	s_mov_b64 s[18:19], -1
	s_mov_b64 s[78:79], 0
                                        ; implicit-def: $sgpr58_sgpr59
                                        ; implicit-def: $vgpr19
	s_branch .LBB82_373
.LBB82_371:                             ;   in Loop: Header=BB82_6 Depth=1
	s_or_b64 exec, exec, s[76:77]
	s_and_b64 s[78:79], s[78:79], exec
.LBB82_372:                             ;   in Loop: Header=BB82_6 Depth=1
	s_or_b64 exec, exec, s[58:59]
	s_mov_b64 s[18:19], 0
	s_mov_b64 s[58:59], -1
.LBB82_373:                             ;   in Loop: Header=BB82_6 Depth=1
	s_and_b64 vcc, exec, s[18:19]
	s_mov_b64 s[76:77], s[18:19]
	s_cbranch_vccz .LBB82_384
; %bb.374:                              ;   in Loop: Header=BB82_6 Depth=1
	s_mov_b64 s[78:79], 0
                                        ; implicit-def: $vgpr19
	s_mov_b64 s[62:63], exec
	v_readlane_b32 s10, v54, 44
	v_readlane_b32 s11, v54, 45
	s_and_b64 s[10:11], s[62:63], s[10:11]
	s_mov_b64 exec, s[10:11]
	s_cbranch_execz .LBB82_383
; %bb.375:                              ;   in Loop: Header=BB82_6 Depth=1
	s_mov_b64 s[76:77], 0
	v_mov_b32_e32 v10, v12
	v_mov_b32_e32 v2, v0
                                        ; implicit-def: $sgpr78_sgpr79
	s_branch .LBB82_377
.LBB82_376:                             ;   in Loop: Header=BB82_377 Depth=2
	s_or_b64 exec, exec, s[18:19]
	s_waitcnt lgkmcnt(0)
	s_barrier
	ds_read_b64 v[18:19], v11 offset:3072
	v_add_u32_e32 v2, s9, v2
	v_cmp_le_u32_e64 s[18:19], s4, v2
	v_add_u32_e32 v10, s72, v10
	s_waitcnt lgkmcnt(0)
	v_cmp_neq_f32_e32 vcc, 0, v18
	s_or_b64 s[10:11], s[18:19], vcc
	s_and_b64 s[10:11], exec, s[10:11]
	s_or_b64 s[76:77], s[10:11], s[76:77]
	s_andn2_b64 s[10:11], s[78:79], exec
	s_and_b64 s[18:19], vcc, exec
	s_or_b64 s[78:79], s[10:11], s[18:19]
	s_barrier
	s_andn2_b64 exec, exec, s[76:77]
	s_cbranch_execz .LBB82_382
.LBB82_377:                             ;   Parent Loop BB82_6 Depth=1
                                        ; =>  This Inner Loop Header: Depth=2
	v_cmp_gt_u32_e32 vcc, s60, v2
	s_waitcnt vmcnt(0)
	v_mov_b32_e32 v17, 0
	s_and_saveexec_b64 s[58:59], vcc
	s_cbranch_execz .LBB82_379
; %bb.378:                              ;   in Loop: Header=BB82_377 Depth=2
	v_lshlrev_b64 v[18:19], 2, v[10:11]
	v_mov_b32_e32 v3, s8
	v_add_co_u32_e64 v18, s[18:19], s33, v18
	v_addc_co_u32_e64 v19, s[18:19], v3, v19, s[18:19]
	global_load_dword v17, v[18:19], off
.LBB82_379:                             ;   in Loop: Header=BB82_377 Depth=2
	s_or_b64 exec, exec, s[58:59]
	s_and_saveexec_b64 s[18:19], vcc
	s_cbranch_execz .LBB82_376
; %bb.380:                              ;   in Loop: Header=BB82_377 Depth=2
	s_waitcnt vmcnt(0)
	v_cmp_lt_i32_e32 vcc, -1, v17
	v_cndmask_b32_e32 v3, -1, v32, vcc
	v_xor_b32_e32 v3, v3, v17
	v_cmp_o_f32_e32 vcc, v17, v17
	v_cndmask_b32_e32 v3, -1, v3, vcc
	v_and_b32_e32 v3, v3, v34
	v_cmp_eq_u32_e32 vcc, v3, v35
	s_and_b64 exec, exec, vcc
	s_cbranch_execz .LBB82_376
; %bb.381:                              ;   in Loop: Header=BB82_377 Depth=2
	ds_write_b64 v11, v[16:17] offset:3072
	s_branch .LBB82_376
.LBB82_382:                             ;   in Loop: Header=BB82_6 Depth=1
	s_or_b64 exec, exec, s[76:77]
	s_and_b64 s[78:79], s[78:79], exec
.LBB82_383:                             ;   in Loop: Header=BB82_6 Depth=1
	s_or_b64 exec, exec, s[62:63]
	s_mov_b64 s[58:59], 0
	s_mov_b64 s[18:19], -1
	s_mov_b64 s[76:77], 0
.LBB82_384:                             ;   in Loop: Header=BB82_6 Depth=1
	s_orn2_b64 s[78:79], s[78:79], exec
.LBB82_385:                             ;   in Loop: Header=BB82_6 Depth=1
	s_or_b64 exec, exec, s[16:17]
	s_mov_b64 vcc, 0
                                        ; implicit-def: $vgpr2
                                        ; implicit-def: $vgpr3
	s_and_saveexec_b64 s[16:17], s[78:79]
	s_cbranch_execz .LBB82_397
; %bb.386:                              ;   in Loop: Header=BB82_6 Depth=1
	s_xor_b64 s[10:11], s[56:57], -1
	v_mov_b32_e32 v2, 1
	v_mov_b32_e32 v3, 1
	s_and_saveexec_b64 s[56:57], s[10:11]
	s_cbranch_execz .LBB82_396
; %bb.387:                              ;   in Loop: Header=BB82_6 Depth=1
	v_cmp_ge_u32_e32 vcc, s7, v4
                                        ; implicit-def: $sgpr10
	s_and_saveexec_b64 s[62:63], vcc
	s_xor_b64 s[78:79], exec, s[62:63]
	s_cbranch_execz .LBB82_393
; %bb.388:                              ;   in Loop: Header=BB82_6 Depth=1
	ds_read_b32 v2, v11 offset:4096
	s_waitcnt lgkmcnt(0)
	v_cmp_ne_u32_e32 vcc, 0, v2
	s_cbranch_vccnz .LBB82_392
; %bb.389:                              ;   in Loop: Header=BB82_6 Depth=1
	s_mov_b64 vcc, exec
	v_readlane_b32 s10, v54, 6
	v_readlane_b32 s11, v54, 7
	s_and_b64 s[10:11], vcc, s[10:11]
	s_mov_b64 exec, s[10:11]
	s_cbranch_execz .LBB82_391
; %bb.390:                              ;   in Loop: Header=BB82_6 Depth=1
	v_mov_b32_e32 v2, s7
	ds_write_b32 v11, v2 offset:4100
.LBB82_391:                             ;   in Loop: Header=BB82_6 Depth=1
	s_or_b64 exec, exec, vcc
	s_waitcnt lgkmcnt(0)
	s_barrier
.LBB82_392:                             ;   in Loop: Header=BB82_6 Depth=1
	v_and_b32_e32 v35, s74, v35
	v_or_b32_e32 v34, s69, v34
	s_mov_b32 s10, 5
.LBB82_393:                             ;   in Loop: Header=BB82_6 Depth=1
	s_or_saveexec_b64 s[78:79], s[78:79]
	v_mov_b32_e32 v2, s10
	s_xor_b64 exec, exec, s[78:79]
; %bb.394:                              ;   in Loop: Header=BB82_6 Depth=1
	v_subrev_u32_e32 v4, s7, v4
	v_mov_b32_e32 v2, 5
; %bb.395:                              ;   in Loop: Header=BB82_6 Depth=1
	s_or_b64 exec, exec, s[78:79]
	v_mov_b32_e32 v3, v4
.LBB82_396:                             ;   in Loop: Header=BB82_6 Depth=1
	s_or_b64 exec, exec, s[56:57]
	s_mov_b64 vcc, exec
.LBB82_397:                             ;   in Loop: Header=BB82_6 Depth=1
	s_or_b64 exec, exec, s[16:17]
	s_orn2_b64 s[16:17], vcc, exec
	v_mov_b32_e32 v4, v3
.LBB82_398:                             ;   in Loop: Header=BB82_6 Depth=1
	s_or_b64 exec, exec, s[54:55]
	s_andn2_b64 s[10:11], s[46:47], exec
	s_and_b64 s[18:19], s[18:19], exec
	s_or_b64 s[46:47], s[10:11], s[18:19]
	s_andn2_b64 s[10:11], s[48:49], exec
	s_and_b64 s[18:19], s[58:59], exec
	s_or_b64 s[48:49], s[10:11], s[18:19]
	;; [unrolled: 3-line block ×3, first 2 shown]
	s_and_b64 s[16:17], s[16:17], exec
	v_mov_b32_e32 v3, v4
.LBB82_399:                             ;   in Loop: Header=BB82_6 Depth=1
	s_or_b64 exec, exec, s[52:53]
	s_and_b64 s[52:53], s[46:47], exec
	s_and_b64 s[46:47], s[48:49], exec
	;; [unrolled: 1-line block ×3, first 2 shown]
	s_orn2_b64 s[16:17], s[16:17], exec
.LBB82_400:                             ;   in Loop: Header=BB82_6 Depth=1
	s_or_b64 exec, exec, s[44:45]
	s_andn2_b64 s[10:11], s[36:37], exec
	s_and_b64 s[36:37], s[52:53], exec
	s_or_b64 s[36:37], s[10:11], s[36:37]
	s_andn2_b64 s[10:11], s[38:39], exec
	s_and_b64 s[38:39], s[46:47], exec
	s_or_b64 s[38:39], s[10:11], s[38:39]
	;; [unrolled: 3-line block ×3, first 2 shown]
	s_and_b64 s[18:19], s[16:17], exec
	v_mov_b32_e32 v37, v3
.LBB82_401:                             ;   in Loop: Header=BB82_6 Depth=1
	s_or_b64 exec, exec, s[42:43]
	s_and_b64 s[42:43], s[36:37], exec
	s_and_b64 s[36:37], s[38:39], exec
	;; [unrolled: 1-line block ×3, first 2 shown]
	s_orn2_b64 s[38:39], s[18:19], exec
.LBB82_402:                             ;   in Loop: Header=BB82_6 Depth=1
	s_or_b64 exec, exec, s[28:29]
	s_mov_b64 s[18:19], s[24:25]
	s_mov_b64 s[28:29], s[20:21]
	s_and_saveexec_b64 s[40:41], s[38:39]
; %bb.403:                              ;   in Loop: Header=BB82_6 Depth=1
	v_cmp_ne_u32_e64 s[18:19], 5, v2
	v_cmp_eq_u32_e32 vcc, 5, v2
	s_andn2_b64 s[10:11], s[20:21], exec
	s_and_b64 s[18:19], s[18:19], exec
	s_or_b64 s[28:29], s[10:11], s[18:19]
	s_andn2_b64 s[10:11], s[24:25], exec
	s_and_b64 s[18:19], vcc, exec
	s_andn2_b64 s[42:43], s[42:43], exec
	s_andn2_b64 s[36:37], s[36:37], exec
	;; [unrolled: 1-line block ×3, first 2 shown]
	s_or_b64 s[18:19], s[10:11], s[18:19]
; %bb.404:                              ;   in Loop: Header=BB82_6 Depth=1
	s_or_b64 exec, exec, s[40:41]
	s_andn2_b64 s[10:11], s[30:31], exec
	s_and_b64 s[30:31], s[42:43], exec
	s_or_b64 s[30:31], s[10:11], s[30:31]
	s_andn2_b64 s[10:11], s[34:35], exec
	s_and_b64 s[34:35], s[36:37], exec
	s_or_b64 s[34:35], s[10:11], s[34:35]
	;; [unrolled: 3-line block ×5, first 2 shown]
	v_mov_b32_e32 v4, v35
	v_mov_b32_e32 v5, v34
	;; [unrolled: 1-line block ×3, first 2 shown]
.LBB82_405:                             ;   in Loop: Header=BB82_6 Depth=1
	s_or_b64 exec, exec, s[26:27]
	s_mov_b64 s[28:29], s[22:23]
	s_mov_b64 s[26:27], s[22:23]
	s_and_saveexec_b64 s[16:17], s[24:25]
.LBB82_406:                             ;   in Loop: Header=BB82_6 Depth=1
	v_mov_b32_e32 v2, 0
	s_andn2_b64 s[22:23], s[22:23], exec
	s_andn2_b64 s[30:31], s[30:31], exec
	;; [unrolled: 1-line block ×5, first 2 shown]
	s_or_b64 s[20:21], s[20:21], exec
.LBB82_407:                             ;   in Loop: Header=BB82_6 Depth=1
	s_or_b64 exec, exec, s[16:17]
	s_andn2_b64 s[10:11], s[84:85], exec
	s_and_b64 s[16:17], s[22:23], exec
	s_or_b64 s[84:85], s[10:11], s[16:17]
	s_andn2_b64 s[10:11], s[82:83], exec
	s_and_b64 s[16:17], s[30:31], exec
	s_or_b64 s[82:83], s[10:11], s[16:17]
	;; [unrolled: 3-line block ×4, first 2 shown]
	s_andn2_b64 s[10:11], s[66:67], exec
	s_and_b64 s[16:17], s[26:27], exec
	s_mov_b64 s[18:19], -1
	s_or_b64 s[66:67], s[10:11], s[16:17]
                                        ; implicit-def: $vgpr34
                                        ; implicit-def: $vgpr35
                                        ; implicit-def: $vgpr36
                                        ; implicit-def: $vgpr19
	s_and_saveexec_b64 s[10:11], s[20:21]
	s_xor_b64 s[16:17], exec, s[10:11]
	s_cbranch_execz .LBB82_5
; %bb.408:                              ;   in Loop: Header=BB82_6 Depth=1
	v_cmp_eq_u32_e32 vcc, 0, v2
	s_mov_b64 s[20:21], -1
	s_and_saveexec_b64 s[22:23], vcc
	s_cbranch_execz .LBB82_4
; %bb.409:                              ;   in Loop: Header=BB82_6 Depth=1
	s_xor_b32 s6, s6, 1
	s_add_i32 s7, s13, -2
	s_cmp_eq_u32 s13, 0
	s_cselect_b64 s[10:11], -1, 0
	s_xor_b64 s[20:21], exec, -1
	s_orn2_b64 s[18:19], s[10:11], exec
	s_mov_b32 s13, s7
	s_branch .LBB82_4
.LBB82_410:
	s_or_b64 exec, exec, s[86:87]
	s_xor_b64 s[16:17], s[64:65], -1
	s_xor_b64 s[20:21], s[94:95], -1
	;; [unrolled: 1-line block ×5, first 2 shown]
	s_mov_b64 s[12:13], 0
	s_and_saveexec_b64 s[6:7], s[4:5]
	s_xor_b64 s[10:11], exec, s[6:7]
	s_cbranch_execnz .LBB82_415
; %bb.411:
	s_andn2_saveexec_b64 s[0:1], s[10:11]
	s_cbranch_execnz .LBB82_434
.LBB82_412:
	s_or_b64 exec, exec, s[0:1]
	s_and_saveexec_b64 s[0:1], s[12:13]
.LBB82_413:
	; divergent unreachable
.LBB82_414:
	s_endpgm
.LBB82_415:
	s_mov_b64 s[14:15], 0
	s_and_saveexec_b64 s[4:5], s[18:19]
	s_xor_b64 s[12:13], exec, s[4:5]
	s_cbranch_execz .LBB82_432
; %bb.416:
	s_mov_b64 s[18:19], 0
	s_and_saveexec_b64 s[4:5], s[20:21]
	s_xor_b64 s[14:15], exec, s[4:5]
	s_cbranch_execz .LBB82_430
; %bb.417:
	s_and_saveexec_b64 s[4:5], s[16:17]
	s_xor_b64 s[16:17], exec, s[4:5]
	s_cbranch_execz .LBB82_428
; %bb.418:
	s_and_saveexec_b64 s[4:5], s[2:3]
	s_xor_b64 s[2:3], exec, s[4:5]
; %bb.419:
	v_bfrev_b32_e32 v1, 1
	v_cmp_lt_i32_e32 vcc, -1, v4
	v_cndmask_b32_e64 v1, v1, -1, vcc
	v_xor_b32_e32 v3, v1, v4
; %bb.420:
	s_or_b64 exec, exec, s[2:3]
	s_mov_b64 s[2:3], exec
	v_readlane_b32 s4, v54, 6
	v_readlane_b32 s5, v54, 7
	;; [unrolled: 1-line block ×3, first 2 shown]
	s_and_b64 s[4:5], s[2:3], s[4:5]
	v_readlane_b32 s35, v54, 14
	v_readlane_b32 s20, v54, 46
	s_mov_b64 exec, s[4:5]
	s_cbranch_execz .LBB82_422
; %bb.421:
	v_mov_b32_e32 v1, 0
	ds_write_b32 v1, v1 offset:4108
.LBB82_422:
	s_or_b64 exec, exec, s[2:3]
	v_mov_b32_e32 v11, 0
	s_waitcnt lgkmcnt(0)
	s_barrier
	s_mov_b64 s[2:3], exec
	v_readlane_b32 s4, v54, 26
	v_readlane_b32 s5, v54, 27
	s_and_b64 s[4:5], s[2:3], s[4:5]
	s_mov_b64 exec, s[4:5]
	s_cbranch_execz .LBB82_424
; %bb.423:
	global_load_dword v11, v[8:9], off
.LBB82_424:
	s_or_b64 exec, exec, s[2:3]
	v_readlane_b32 s3, v54, 12
	v_readlane_b32 s2, v54, 11
	;; [unrolled: 1-line block ×3, first 2 shown]
	s_add_i32 s42, s60, 63
	s_mul_i32 s2, s2, s3
	s_mul_i32 s4, s4, s3
	s_mov_b32 s3, 0
	s_andn2_b32 s42, s42, 63
	s_lshl_b64 s[6:7], s[2:3], 2
	v_readlane_b32 s18, v54, 2
	v_readlane_b32 s19, v54, 3
	s_add_u32 s43, s18, s6
	s_mov_b32 s5, s3
	s_addc_u32 s44, s19, s7
	s_lshl_b64 s[2:3], s[4:5], 3
	v_readlane_b32 s4, v54, 0
	v_readlane_b32 s5, v54, 1
	s_add_u32 s45, s4, s2
	s_addc_u32 s46, s5, s3
	v_readlane_b32 s2, v54, 9
	v_readlane_b32 s3, v54, 10
	s_load_dword s47, s[2:3], 0x1c8
	s_load_dword s48, s[2:3], 0x2a8
	v_bfrev_b32_e32 v1, 1
	v_cmp_lt_i32_e32 vcc, -1, v3
	v_cndmask_b32_e32 v2, -1, v1, vcc
	v_xor_b32_e32 v2, v2, v3
	v_cmp_o_f32_e32 vcc, v3, v3
	v_add_u32_e32 v3, s9, v0
	v_cndmask_b32_e32 v12, -1, v2, vcc
	v_cmp_gt_u32_e32 vcc, s42, v0
	s_mov_b64 s[18:19], -1
	s_mov_b64 s[2:3], 0
	v_mul_lo_u32 v2, s20, v3
	s_mov_b64 s[4:5], 0
	s_and_saveexec_b64 s[30:31], vcc
	s_cbranch_execnz .LBB82_435
; %bb.425:
	s_or_b64 exec, exec, s[30:31]
	s_and_saveexec_b64 s[40:41], s[18:19]
	s_cbranch_execnz .LBB82_452
.LBB82_426:
	s_or_b64 exec, exec, s[40:41]
	s_and_saveexec_b64 s[0:1], s[4:5]
	s_xor_b64 s[0:1], exec, s[0:1]
	s_cbranch_execnz .LBB82_474
.LBB82_427:
	s_or_b64 exec, exec, s[0:1]
	s_and_b64 s[18:19], s[2:3], exec
.LBB82_428:
	s_andn2_saveexec_b64 s[0:1], s[16:17]
	s_cbranch_execnz .LBB82_477
.LBB82_429:
	s_or_b64 exec, exec, s[0:1]
	s_and_b64 s[18:19], s[18:19], exec
.LBB82_430:
	s_andn2_saveexec_b64 s[0:1], s[14:15]
	s_cbranch_execnz .LBB82_476
.LBB82_431:
	s_or_b64 exec, exec, s[0:1]
	s_and_b64 s[14:15], s[18:19], exec
.LBB82_432:
	s_andn2_saveexec_b64 s[0:1], s[12:13]
	s_cbranch_execnz .LBB82_475
.LBB82_433:
	s_or_b64 exec, exec, s[0:1]
	s_and_b64 s[12:13], s[14:15], exec
	s_andn2_saveexec_b64 s[0:1], s[10:11]
	s_cbranch_execz .LBB82_412
.LBB82_434:
	s_or_b64 s[12:13], s[12:13], exec
	s_trap 2
	s_or_b64 exec, exec, s[0:1]
	s_and_saveexec_b64 s[0:1], s[12:13]
	s_cbranch_execnz .LBB82_413
	s_branch .LBB82_414
.LBB82_435:
	v_mul_lo_u32 v4, s20, v3
	s_mov_b64 s[18:19], 0
	v_mov_b32_e32 v5, 0
	v_mov_b32_e32 v10, v0
                                        ; implicit-def: $sgpr20_sgpr21
                                        ; implicit-def: $vgpr14
	s_branch .LBB82_437
.LBB82_436:                             ;   in Loop: Header=BB82_437 Depth=1
	s_or_b64 exec, exec, s[22:23]
	s_xor_b64 s[6:7], s[26:27], -1
	s_and_b64 s[4:5], exec, s[4:5]
	s_or_b64 s[18:19], s[4:5], s[18:19]
	s_andn2_b64 s[4:5], s[20:21], exec
	s_and_b64 s[6:7], s[6:7], exec
	s_or_b64 s[20:21], s[4:5], s[6:7]
	s_waitcnt vmcnt(0)
	v_mov_b32_e32 v11, v15
	v_mov_b32_e32 v10, v3
	s_andn2_b64 exec, exec, s[18:19]
	s_cbranch_execz .LBB82_451
.LBB82_437:                             ; =>This Inner Loop Header: Depth=1
	v_add_u32_e32 v3, s9, v10
	v_cmp_gt_u32_e32 vcc, s60, v3
	v_mov_b32_e32 v15, 0
	s_and_saveexec_b64 s[4:5], vcc
	s_cbranch_execz .LBB82_439
; %bb.438:                              ;   in Loop: Header=BB82_437 Depth=1
	s_waitcnt vmcnt(0)
	v_lshlrev_b64 v[16:17], 2, v[4:5]
	v_mov_b32_e32 v15, s8
	v_add_co_u32_e32 v16, vcc, s33, v16
	v_addc_co_u32_e32 v17, vcc, v15, v17, vcc
	global_load_dword v15, v[16:17], off
.LBB82_439:                             ;   in Loop: Header=BB82_437 Depth=1
	s_or_b64 exec, exec, s[4:5]
	v_cmp_gt_u32_e32 vcc, s60, v10
	s_mov_b64 s[22:23], 0
	s_and_saveexec_b64 s[4:5], vcc
	s_cbranch_execz .LBB82_441
; %bb.440:                              ;   in Loop: Header=BB82_437 Depth=1
	s_waitcnt vmcnt(0)
	v_cmp_lt_i32_e32 vcc, -1, v11
	v_cndmask_b32_e32 v16, -1, v1, vcc
	v_xor_b32_e32 v16, v16, v11
	v_cmp_o_f32_e32 vcc, v11, v11
	v_cndmask_b32_e32 v16, -1, v16, vcc
	v_cmp_gt_u32_e32 vcc, v16, v12
	v_cndmask_b32_e64 v17, 0, 1, vcc
	v_cmp_lt_u32_e32 vcc, v16, v12
	v_cndmask_b32_e64 v16, 0, 1, vcc
	v_cndmask_b32_e64 v16, v16, v17, s[34:35]
	v_and_b32_e32 v16, 1, v16
	v_cmp_eq_u32_e32 vcc, 1, v16
	s_and_b64 s[22:23], vcc, exec
.LBB82_441:                             ;   in Loop: Header=BB82_437 Depth=1
	s_or_b64 exec, exec, s[4:5]
	v_cndmask_b32_e64 v16, 0, 1, s[22:23]
	v_cmp_ne_u32_e32 vcc, 0, v16
	s_cmp_lg_u64 vcc, 0
	s_cselect_b64 s[4:5], -1, 0
	s_and_b64 s[4:5], s[0:1], s[4:5]
	s_and_saveexec_b64 s[24:25], s[4:5]
	s_cbranch_execz .LBB82_445
; %bb.442:                              ;   in Loop: Header=BB82_437 Depth=1
	s_mov_b64 s[28:29], exec
	s_waitcnt lgkmcnt(0)
	v_mbcnt_lo_u32_b32 v14, s28, 0
	v_mbcnt_hi_u32_b32 v14, s29, v14
	s_bcnt1_i32_b64 s6, vcc
	v_cmp_eq_u32_e64 s[4:5], 0, v14
                                        ; implicit-def: $vgpr16
	s_and_saveexec_b64 s[26:27], s[4:5]
	s_cbranch_execz .LBB82_444
; %bb.443:                              ;   in Loop: Header=BB82_437 Depth=1
	s_bcnt1_i32_b64 s4, s[28:29]
	s_mul_i32 s4, s6, s4
	v_mov_b32_e32 v16, s4
	ds_add_rtn_u32 v16, v5, v16 offset:4108
.LBB82_444:                             ;   in Loop: Header=BB82_437 Depth=1
	s_or_b64 exec, exec, s[26:27]
	s_waitcnt lgkmcnt(0)
	v_readfirstlane_b32 s4, v16
	v_mov_b32_e32 v16, s4
	v_mad_u32_u24 v14, s6, v14, v16
.LBB82_445:                             ;   in Loop: Header=BB82_437 Depth=1
	s_or_b64 exec, exec, s[24:25]
	s_waitcnt lgkmcnt(0)
	ds_bpermute_b32 v14, v13, v14
	s_mov_b64 s[4:5], -1
	s_mov_b64 s[28:29], -1
                                        ; implicit-def: $sgpr26_sgpr27
	s_and_saveexec_b64 s[24:25], s[22:23]
	s_cbranch_execz .LBB82_449
; %bb.446:                              ;   in Loop: Header=BB82_437 Depth=1
	s_waitcnt vmcnt(0)
	v_and_b32_e32 v17, vcc_lo, v6
	v_and_b32_e32 v16, vcc_hi, v7
	v_bcnt_u32_b32 v17, v17, 0
	v_bcnt_u32_b32 v16, v16, v17
	s_waitcnt lgkmcnt(0)
	v_add_u32_e32 v16, v14, v16
	v_cmp_gt_u32_e32 vcc, s61, v16
	s_mov_b64 s[22:23], 0
	s_and_saveexec_b64 s[26:27], vcc
	s_cbranch_execz .LBB82_448
; %bb.447:                              ;   in Loop: Header=BB82_437 Depth=1
	v_mul_lo_u32 v18, v16, s47
	v_mov_b32_e32 v19, v5
	v_lshlrev_b64 v[18:19], 2, v[18:19]
	v_mov_b32_e32 v17, s44
	v_add_co_u32_e32 v18, vcc, s43, v18
	v_mul_lo_u32 v16, v16, s48
	v_addc_co_u32_e32 v19, vcc, v17, v19, vcc
	v_mov_b32_e32 v17, v5
	v_lshlrev_b64 v[16:17], 3, v[16:17]
	global_store_dword v[18:19], v11, off
	v_mov_b32_e32 v18, s46
	v_add_co_u32_e32 v16, vcc, s45, v16
	s_mov_b64 s[22:23], exec
	v_mov_b32_e32 v11, v5
	v_addc_co_u32_e32 v17, vcc, v18, v17, vcc
	global_store_dwordx2 v[16:17], v[10:11], off
.LBB82_448:                             ;   in Loop: Header=BB82_437 Depth=1
	s_or_b64 exec, exec, s[26:27]
	s_mov_b64 s[26:27], -1
	s_orn2_b64 s[28:29], s[22:23], exec
.LBB82_449:                             ;   in Loop: Header=BB82_437 Depth=1
	s_or_b64 exec, exec, s[24:25]
	s_and_saveexec_b64 s[22:23], s[28:29]
	s_cbranch_execz .LBB82_436
; %bb.450:                              ;   in Loop: Header=BB82_437 Depth=1
	v_cmp_le_u32_e32 vcc, s42, v3
	v_add_u32_e32 v4, s72, v4
	s_andn2_b64 s[26:27], s[26:27], exec
	s_orn2_b64 s[4:5], vcc, exec
	s_branch .LBB82_436
.LBB82_451:
	s_or_b64 exec, exec, s[18:19]
	s_mov_b64 s[4:5], exec
	s_orn2_b64 s[18:19], s[20:21], exec
	s_or_b64 exec, exec, s[30:31]
	s_and_saveexec_b64 s[40:41], s[18:19]
	s_cbranch_execz .LBB82_426
.LBB82_452:
	v_mov_b32_e32 v3, 0
	v_mov_b32_e32 v1, 0
	s_waitcnt lgkmcnt(0)
	s_barrier
	s_mov_b64 s[2:3], exec
	v_readlane_b32 s6, v54, 26
	v_readlane_b32 s7, v54, 27
	s_and_b64 s[6:7], s[2:3], s[6:7]
	s_mov_b64 exec, s[6:7]
	s_cbranch_execz .LBB82_454
; %bb.453:
	global_load_dword v1, v[8:9], off
.LBB82_454:
	s_or_b64 exec, exec, s[2:3]
	s_mov_b64 s[6:7], 0
	v_bfrev_b32_e32 v4, 1
                                        ; implicit-def: $sgpr18_sgpr19
                                        ; implicit-def: $sgpr20_sgpr21
                                        ; implicit-def: $sgpr22_sgpr23
                                        ; implicit-def: $vgpr5
	s_branch .LBB82_457
.LBB82_455:                             ;   in Loop: Header=BB82_457 Depth=1
	s_or_b64 exec, exec, s[28:29]
	s_andn2_b64 s[2:3], s[22:23], exec
	s_and_b64 s[22:23], s[34:35], exec
	s_or_b64 s[22:23], s[2:3], s[22:23]
	s_andn2_b64 s[2:3], s[20:21], exec
	s_and_b64 s[20:21], s[26:27], exec
	s_or_b64 s[20:21], s[2:3], s[20:21]
	v_mov_b32_e32 v0, v8
	v_mov_b32_e32 v1, v10
.LBB82_456:                             ;   in Loop: Header=BB82_457 Depth=1
	s_or_b64 exec, exec, s[24:25]
	s_xor_b64 s[2:3], s[22:23], -1
	s_and_b64 s[24:25], exec, s[20:21]
	s_or_b64 s[6:7], s[24:25], s[6:7]
	s_andn2_b64 s[18:19], s[18:19], exec
	s_and_b64 s[2:3], s[2:3], exec
	s_or_b64 s[18:19], s[18:19], s[2:3]
	s_andn2_b64 exec, exec, s[6:7]
	s_cbranch_execz .LBB82_472
.LBB82_457:                             ; =>This Inner Loop Header: Depth=1
	v_cmp_gt_u32_e32 vcc, s42, v0
	s_or_b64 s[22:23], s[22:23], exec
	s_or_b64 s[20:21], s[20:21], exec
	s_and_saveexec_b64 s[24:25], vcc
	s_cbranch_execz .LBB82_456
; %bb.458:                              ;   in Loop: Header=BB82_457 Depth=1
	v_add_u32_e32 v8, s9, v0
	v_cmp_gt_u32_e32 vcc, s60, v8
	v_mov_b32_e32 v9, 0
	s_and_saveexec_b64 s[2:3], vcc
	s_cbranch_execz .LBB82_460
; %bb.459:                              ;   in Loop: Header=BB82_457 Depth=1
	s_waitcnt vmcnt(0)
	v_lshlrev_b64 v[10:11], 2, v[2:3]
	v_mov_b32_e32 v9, s8
	v_add_co_u32_e32 v10, vcc, s33, v10
	v_addc_co_u32_e32 v11, vcc, v9, v11, vcc
	global_load_dword v9, v[10:11], off
.LBB82_460:                             ;   in Loop: Header=BB82_457 Depth=1
	s_or_b64 exec, exec, s[2:3]
	s_waitcnt vmcnt(0)
	v_cmp_lt_i32_e64 s[2:3], -1, v1
	v_cndmask_b32_e64 v10, -1, v4, s[2:3]
	v_xor_b32_e32 v10, v10, v1
	v_cmp_o_f32_e64 s[2:3], v1, v1
	v_cndmask_b32_e64 v10, -1, v10, s[2:3]
	v_cmp_gt_u32_e32 vcc, s60, v0
	v_cmp_eq_u32_e64 s[2:3], v10, v12
	s_and_b64 s[28:29], vcc, s[2:3]
	v_cndmask_b32_e64 v10, 0, 1, s[28:29]
	v_cmp_ne_u32_e32 vcc, 0, v10
	s_cmp_lg_u64 vcc, 0
	s_cselect_b64 s[2:3], -1, 0
	s_and_b64 s[2:3], s[0:1], s[2:3]
	s_and_saveexec_b64 s[26:27], s[2:3]
	s_cbranch_execz .LBB82_464
; %bb.461:                              ;   in Loop: Header=BB82_457 Depth=1
	s_mov_b64 s[34:35], exec
	v_mbcnt_lo_u32_b32 v5, s34, 0
	v_mbcnt_hi_u32_b32 v5, s35, v5
	s_bcnt1_i32_b64 s36, vcc
	v_cmp_eq_u32_e64 s[2:3], 0, v5
                                        ; implicit-def: $vgpr10
	s_and_saveexec_b64 s[30:31], s[2:3]
	s_cbranch_execz .LBB82_463
; %bb.462:                              ;   in Loop: Header=BB82_457 Depth=1
	s_bcnt1_i32_b64 s2, s[34:35]
	s_mul_i32 s2, s36, s2
	v_mov_b32_e32 v10, s2
	ds_add_rtn_u32 v10, v3, v10 offset:4108
.LBB82_463:                             ;   in Loop: Header=BB82_457 Depth=1
	s_or_b64 exec, exec, s[30:31]
	s_waitcnt lgkmcnt(0)
	v_readfirstlane_b32 s2, v10
	v_mov_b32_e32 v10, s2
	v_mad_u32_u24 v5, s36, v5, v10
.LBB82_464:                             ;   in Loop: Header=BB82_457 Depth=1
	s_or_b64 exec, exec, s[26:27]
	ds_bpermute_b32 v5, v13, v5
	s_cmp_eq_u64 vcc, 0
	s_cselect_b64 s[30:31], -1, 0
	s_mov_b64 s[26:27], -1
	s_mov_b64 s[34:35], -1
	s_waitcnt lgkmcnt(0)
	v_cmp_gt_u32_e64 s[2:3], s61, v5
	s_or_b64 s[2:3], s[30:31], s[2:3]
	v_cndmask_b32_e64 v10, v1, v9, s[2:3]
	s_and_b64 s[36:37], s[28:29], s[2:3]
	s_mov_b64 s[30:31], -1
	s_and_saveexec_b64 s[28:29], s[36:37]
	s_cbranch_execz .LBB82_470
; %bb.465:                              ;   in Loop: Header=BB82_457 Depth=1
	v_and_b32_e32 v11, vcc_lo, v6
	v_and_b32_e32 v10, vcc_hi, v7
	v_bcnt_u32_b32 v11, v11, 0
	v_bcnt_u32_b32 v10, v10, v11
	v_sub_u32_e32 v11, s61, v5
	v_cmp_le_u32_e64 s[30:31], v11, v10
	v_cmp_gt_u32_e32 vcc, v11, v10
	s_mov_b64 s[36:37], -1
	s_and_saveexec_b64 s[34:35], vcc
	s_cbranch_execz .LBB82_469
; %bb.466:                              ;   in Loop: Header=BB82_457 Depth=1
	v_add_u32_e32 v10, v5, v10
	v_cmp_gt_u32_e32 vcc, s61, v10
	s_mov_b64 s[38:39], s[30:31]
	s_and_saveexec_b64 s[36:37], vcc
	s_cbranch_execz .LBB82_468
; %bb.467:                              ;   in Loop: Header=BB82_457 Depth=1
	v_mul_lo_u32 v14, v10, s47
	v_mov_b32_e32 v15, v3
	v_lshlrev_b64 v[14:15], 2, v[14:15]
	v_mov_b32_e32 v11, s44
	v_add_co_u32_e32 v14, vcc, s43, v14
	v_mul_lo_u32 v10, v10, s48
	v_addc_co_u32_e32 v15, vcc, v11, v15, vcc
	v_mov_b32_e32 v11, v3
	v_lshlrev_b64 v[10:11], 3, v[10:11]
	global_store_dword v[14:15], v1, off
	v_mov_b32_e32 v14, s46
	v_add_co_u32_e32 v10, vcc, s45, v10
	v_mov_b32_e32 v1, v3
	v_addc_co_u32_e32 v11, vcc, v14, v11, vcc
	s_or_b64 s[38:39], s[30:31], exec
	global_store_dwordx2 v[10:11], v[0:1], off
.LBB82_468:                             ;   in Loop: Header=BB82_457 Depth=1
	s_or_b64 exec, exec, s[36:37]
	s_andn2_b64 s[30:31], s[30:31], exec
	s_and_b64 s[38:39], s[38:39], exec
	s_xor_b64 s[36:37], exec, -1
	s_or_b64 s[30:31], s[30:31], s[38:39]
.LBB82_469:                             ;   in Loop: Header=BB82_457 Depth=1
	s_or_b64 exec, exec, s[34:35]
	s_orn2_b64 s[34:35], s[36:37], exec
	s_or_b64 s[2:3], s[2:3], exec
	s_orn2_b64 s[30:31], s[30:31], exec
	v_mov_b32_e32 v10, v9
.LBB82_470:                             ;   in Loop: Header=BB82_457 Depth=1
	s_or_b64 exec, exec, s[28:29]
	s_and_saveexec_b64 s[28:29], s[30:31]
	s_cbranch_execz .LBB82_455
; %bb.471:                              ;   in Loop: Header=BB82_457 Depth=1
	s_xor_b64 s[2:3], s[2:3], -1
	v_add_u32_e32 v2, s72, v2
	s_or_b64 s[34:35], s[34:35], exec
	s_orn2_b64 s[26:27], s[2:3], exec
	s_branch .LBB82_455
.LBB82_472:
	s_or_b64 exec, exec, s[6:7]
	s_mov_b64 s[0:1], 0
	s_and_saveexec_b64 s[2:3], s[18:19]
	s_xor_b64 s[2:3], exec, s[2:3]
	s_cbranch_execnz .LBB82_478
.LBB82_473:
	s_or_b64 exec, exec, s[2:3]
	s_and_b64 s[2:3], s[0:1], exec
	s_andn2_b64 s[4:5], s[4:5], exec
	s_or_b64 exec, exec, s[40:41]
	s_and_saveexec_b64 s[0:1], s[4:5]
	s_xor_b64 s[0:1], exec, s[0:1]
	s_cbranch_execz .LBB82_427
.LBB82_474:
	s_or_b64 s[2:3], s[2:3], exec
	s_trap 2
	s_branch .LBB82_427
.LBB82_475:
	s_or_b64 s[14:15], s[14:15], exec
	s_trap 2
	s_branch .LBB82_433
.LBB82_476:
	s_or_b64 s[18:19], s[18:19], exec
	s_trap 2
	s_branch .LBB82_431
.LBB82_477:
	s_trap 2
	s_or_b64 s[18:19], s[18:19], exec
	s_branch .LBB82_429
.LBB82_478:
	s_mov_b64 s[0:1], exec
	s_trap 2
	s_branch .LBB82_473
	.section	.rodata,"a",@progbits
	.p2align	6, 0x0
	.amdhsa_kernel _ZN2at6native6sbtopk10gatherTopKIfjLi1ELb0EEEvNS_4cuda6detail10TensorInfoIKT_T0_EES8_S8_bS8_S8_NS5_IS6_S8_EES8_NS5_IlS8_EES8_PS6_
		.amdhsa_group_segment_fixed_size 4112
		.amdhsa_private_segment_fixed_size 0
		.amdhsa_kernarg_size 952
		.amdhsa_user_sgpr_count 6
		.amdhsa_user_sgpr_private_segment_buffer 1
		.amdhsa_user_sgpr_dispatch_ptr 0
		.amdhsa_user_sgpr_queue_ptr 0
		.amdhsa_user_sgpr_kernarg_segment_ptr 1
		.amdhsa_user_sgpr_dispatch_id 0
		.amdhsa_user_sgpr_flat_scratch_init 0
		.amdhsa_user_sgpr_kernarg_preload_length 0
		.amdhsa_user_sgpr_kernarg_preload_offset 0
		.amdhsa_user_sgpr_private_segment_size 0
		.amdhsa_uses_dynamic_stack 0
		.amdhsa_system_sgpr_private_segment_wavefront_offset 0
		.amdhsa_system_sgpr_workgroup_id_x 1
		.amdhsa_system_sgpr_workgroup_id_y 1
		.amdhsa_system_sgpr_workgroup_id_z 1
		.amdhsa_system_sgpr_workgroup_info 0
		.amdhsa_system_vgpr_workitem_id 0
		.amdhsa_next_free_vgpr 55
		.amdhsa_next_free_sgpr 96
		.amdhsa_accum_offset 56
		.amdhsa_reserve_vcc 1
		.amdhsa_reserve_flat_scratch 0
		.amdhsa_float_round_mode_32 0
		.amdhsa_float_round_mode_16_64 0
		.amdhsa_float_denorm_mode_32 3
		.amdhsa_float_denorm_mode_16_64 3
		.amdhsa_dx10_clamp 1
		.amdhsa_ieee_mode 1
		.amdhsa_fp16_overflow 0
		.amdhsa_tg_split 0
		.amdhsa_exception_fp_ieee_invalid_op 0
		.amdhsa_exception_fp_denorm_src 0
		.amdhsa_exception_fp_ieee_div_zero 0
		.amdhsa_exception_fp_ieee_overflow 0
		.amdhsa_exception_fp_ieee_underflow 0
		.amdhsa_exception_fp_ieee_inexact 0
		.amdhsa_exception_int_div_zero 0
	.end_amdhsa_kernel
	.section	.text._ZN2at6native6sbtopk10gatherTopKIfjLi1ELb0EEEvNS_4cuda6detail10TensorInfoIKT_T0_EES8_S8_bS8_S8_NS5_IS6_S8_EES8_NS5_IlS8_EES8_PS6_,"axG",@progbits,_ZN2at6native6sbtopk10gatherTopKIfjLi1ELb0EEEvNS_4cuda6detail10TensorInfoIKT_T0_EES8_S8_bS8_S8_NS5_IS6_S8_EES8_NS5_IlS8_EES8_PS6_,comdat
.Lfunc_end82:
	.size	_ZN2at6native6sbtopk10gatherTopKIfjLi1ELb0EEEvNS_4cuda6detail10TensorInfoIKT_T0_EES8_S8_bS8_S8_NS5_IS6_S8_EES8_NS5_IlS8_EES8_PS6_, .Lfunc_end82-_ZN2at6native6sbtopk10gatherTopKIfjLi1ELb0EEEvNS_4cuda6detail10TensorInfoIKT_T0_EES8_S8_bS8_S8_NS5_IS6_S8_EES8_NS5_IlS8_EES8_PS6_
                                        ; -- End function
	.section	.AMDGPU.csdata,"",@progbits
; Kernel info:
; codeLenInByte = 16068
; NumSgprs: 100
; NumVgprs: 55
; NumAgprs: 0
; TotalNumVgprs: 55
; ScratchSize: 0
; MemoryBound: 0
; FloatMode: 240
; IeeeMode: 1
; LDSByteSize: 4112 bytes/workgroup (compile time only)
; SGPRBlocks: 12
; VGPRBlocks: 6
; NumSGPRsForWavesPerEU: 100
; NumVGPRsForWavesPerEU: 55
; AccumOffset: 56
; Occupancy: 8
; WaveLimiterHint : 1
; COMPUTE_PGM_RSRC2:SCRATCH_EN: 0
; COMPUTE_PGM_RSRC2:USER_SGPR: 6
; COMPUTE_PGM_RSRC2:TRAP_HANDLER: 0
; COMPUTE_PGM_RSRC2:TGID_X_EN: 1
; COMPUTE_PGM_RSRC2:TGID_Y_EN: 1
; COMPUTE_PGM_RSRC2:TGID_Z_EN: 1
; COMPUTE_PGM_RSRC2:TIDIG_COMP_CNT: 0
; COMPUTE_PGM_RSRC3_GFX90A:ACCUM_OFFSET: 13
; COMPUTE_PGM_RSRC3_GFX90A:TG_SPLIT: 0
	.section	.text._ZN2at6native6mbtopk23computeBlockDigitCountsIfjjLi2EEEvNS_4cuda6detail10TensorInfoIKT_T0_EEjPjjS8_iijT1_PSB_Ps,"axG",@progbits,_ZN2at6native6mbtopk23computeBlockDigitCountsIfjjLi2EEEvNS_4cuda6detail10TensorInfoIKT_T0_EEjPjjS8_iijT1_PSB_Ps,comdat
	.protected	_ZN2at6native6mbtopk23computeBlockDigitCountsIfjjLi2EEEvNS_4cuda6detail10TensorInfoIKT_T0_EEjPjjS8_iijT1_PSB_Ps ; -- Begin function _ZN2at6native6mbtopk23computeBlockDigitCountsIfjjLi2EEEvNS_4cuda6detail10TensorInfoIKT_T0_EEjPjjS8_iijT1_PSB_Ps
	.globl	_ZN2at6native6mbtopk23computeBlockDigitCountsIfjjLi2EEEvNS_4cuda6detail10TensorInfoIKT_T0_EEjPjjS8_iijT1_PSB_Ps
	.p2align	8
	.type	_ZN2at6native6mbtopk23computeBlockDigitCountsIfjjLi2EEEvNS_4cuda6detail10TensorInfoIKT_T0_EEjPjjS8_iijT1_PSB_Ps,@function
_ZN2at6native6mbtopk23computeBlockDigitCountsIfjjLi2EEEvNS_4cuda6detail10TensorInfoIKT_T0_EEjPjjS8_iijT1_PSB_Ps: ; @_ZN2at6native6mbtopk23computeBlockDigitCountsIfjjLi2EEEvNS_4cuda6detail10TensorInfoIKT_T0_EEjPjjS8_iijT1_PSB_Ps
; %bb.0:
	s_load_dwordx2 s[10:11], s[4:5], 0xf8
	s_load_dwordx4 s[12:15], s[4:5], 0xe8
	s_load_dwordx2 s[0:1], s[4:5], 0x110
	s_waitcnt lgkmcnt(0)
	v_cvt_f32_u32_e32 v1, s10
	s_sub_i32 s2, 0, s10
	s_mul_i32 s1, s1, s8
	s_add_i32 s1, s1, s7
	v_rcp_iflag_f32_e32 v1, v1
	s_mul_i32 s16, s1, s0
	s_add_i32 s16, s16, s6
	s_mov_b32 s7, 0
	v_mul_f32_e32 v1, 0x4f7ffffe, v1
	v_cvt_u32_f32_e32 v1, v1
	v_readfirstlane_b32 s0, v1
	s_mul_i32 s2, s2, s0
	s_mul_hi_u32 s1, s0, s2
	s_add_i32 s0, s0, s1
	s_mul_hi_u32 s0, s16, s0
	s_mul_i32 s1, s0, s10
	s_sub_i32 s1, s16, s1
	s_add_i32 s2, s0, 1
	s_sub_i32 s3, s1, s10
	s_cmp_ge_u32 s1, s10
	s_cselect_b32 s0, s2, s0
	s_cselect_b32 s1, s3, s1
	s_add_i32 s2, s0, 1
	s_cmp_ge_u32 s1, s10
	s_cselect_b32 s6, s2, s0
	s_cmp_ge_u32 s6, s12
	s_cbranch_scc1 .LBB83_29
; %bb.1:
	s_load_dword s12, s[4:5], 0xc
	s_load_dwordx4 s[0:3], s[4:5], 0x100
	s_lshl_b64 s[8:9], s[6:7], 2
	s_movk_i32 s7, 0x100
	v_cmp_gt_u32_e32 vcc, s7, v0
	s_waitcnt lgkmcnt(0)
	v_cvt_f32_u32_e32 v1, s12
	s_add_u32 s0, s0, s8
	s_addc_u32 s1, s1, s9
	v_rcp_iflag_f32_e32 v1, v1
	v_mul_f32_e32 v1, 0x4f7ffffe, v1
	v_cvt_u32_f32_e32 v1, v1
	v_readfirstlane_b32 s18, v1
	v_lshlrev_b32_e32 v1, 2, v0
	s_and_saveexec_b64 s[8:9], vcc
	s_cbranch_execz .LBB83_3
; %bb.2:
	v_mov_b32_e32 v2, 0
	ds_write_b32 v1, v2
.LBB83_3:
	s_or_b64 exec, exec, s[8:9]
	s_load_dword s8, s[4:5], 0xd8
	s_mul_i32 s7, s6, s10
	s_sub_i32 s7, s16, s7
	s_add_i32 s9, s7, 1
	s_mul_i32 s7, s15, s7
	s_lshl_b32 s17, s7, 8
	s_waitcnt lgkmcnt(0)
	s_sub_i32 s7, s8, s17
	s_add_u32 s7, s7, 0xff
	s_addc_u32 s19, 0, 0
	v_mov_b32_e32 v2, s7
	v_alignbit_b32 v2, s19, v2, 8
	s_cmp_lt_u32 s9, s10
	v_readfirstlane_b32 s7, v2
	s_cselect_b32 s15, s15, s7
	s_cmp_lt_i32 s15, 1
	s_mov_b32 s7, 0
	s_barrier
	s_cbranch_scc1 .LBB83_25
; %bb.4:
	s_sub_i32 s9, 0, s12
	s_mul_i32 s9, s9, s18
	s_mul_hi_u32 s9, s18, s9
	s_add_i32 s9, s18, s9
	s_load_dwordx2 s[18:19], s[4:5], 0x6c
	s_load_dwordx2 s[20:21], s[4:5], 0x0
	s_mul_hi_u32 s4, s6, s9
	s_load_dword s9, s[0:1], 0x0
	s_mul_i32 s0, s4, s12
	s_sub_i32 s0, s6, s0
	s_add_i32 s1, s4, 1
	s_sub_i32 s5, s0, s12
	s_cmp_ge_u32 s0, s12
	s_cselect_b32 s1, s1, s4
	s_cselect_b32 s0, s5, s0
	s_add_i32 s4, s1, 1
	s_cmp_ge_u32 s0, s12
	s_cselect_b32 s0, s4, s1
	s_mul_i32 s1, s0, s12
	s_sub_i32 s1, s6, s1
	s_waitcnt lgkmcnt(0)
	s_mul_i32 s1, s1, s19
	s_mul_i32 s0, s0, s18
	s_add_i32 s6, s0, s1
	s_lshl_b64 s[0:1], s[6:7], 2
	s_add_u32 s6, s20, s0
	s_addc_u32 s10, s21, s1
	s_and_b32 s12, s14, 0xff
	s_cmp_lt_u32 s15, 4
	s_cbranch_scc1 .LBB83_19
; %bb.5:
	v_add_u32_e32 v2, s17, v0
	v_add_u32_e32 v3, 0x200, v2
	;; [unrolled: 1-line block ×3, first 2 shown]
	v_mul_lo_u32 v6, s13, v3
	v_add_u32_e32 v3, 0x100, v2
	s_and_b32 s7, s15, 0x7ffffffc
	v_mul_lo_u32 v5, s13, v4
	s_lshl_b32 s14, s13, 10
	v_mul_lo_u32 v7, s13, v3
	v_mul_lo_u32 v8, s13, v2
	s_mov_b32 s18, 0
	v_mov_b32_e32 v3, 0
	v_mov_b32_e32 v9, 1
	v_bfrev_b32_e32 v10, 1
	s_mov_b32 s19, 0
	s_branch .LBB83_7
.LBB83_6:                               ;   in Loop: Header=BB83_7 Depth=1
	s_or_b64 exec, exec, s[4:5]
	s_add_i32 s19, s19, 4
	s_add_i32 s18, s18, s14
	s_cmp_eq_u32 s7, s19
	v_add_u32_e32 v4, 0x400, v4
	s_cbranch_scc1 .LBB83_19
.LBB83_7:                               ; =>This Inner Loop Header: Depth=1
	v_add_u32_e32 v2, 0xfffffd00, v4
	v_cmp_gt_u32_e64 s[0:1], s8, v2
	s_and_saveexec_b64 s[4:5], s[0:1]
	s_cbranch_execz .LBB83_10
; %bb.8:                                ;   in Loop: Header=BB83_7 Depth=1
	v_add_u32_e32 v2, s18, v8
	v_lshlrev_b64 v[12:13], 2, v[2:3]
	v_mov_b32_e32 v2, s10
	v_add_co_u32_e64 v12, s[0:1], s6, v12
	v_addc_co_u32_e64 v13, s[0:1], v2, v13, s[0:1]
	global_load_dword v2, v[12:13], off
	s_waitcnt vmcnt(0)
	v_cmp_lt_i32_e64 s[0:1], -1, v2
	v_cndmask_b32_e64 v11, -1, v10, s[0:1]
	v_xor_b32_e32 v11, v11, v2
	v_cmp_o_f32_e64 s[0:1], v2, v2
	v_cndmask_b32_e64 v2, -1, v11, s[0:1]
	v_xor_b32_e32 v11, s9, v2
	v_and_b32_e32 v11, s11, v11
	v_cmp_eq_u32_e64 s[0:1], 0, v11
	s_and_b64 exec, exec, s[0:1]
	s_cbranch_execz .LBB83_10
; %bb.9:                                ;   in Loop: Header=BB83_7 Depth=1
	v_bfe_u32 v2, v2, s12, 8
	v_lshlrev_b32_e32 v2, 2, v2
	ds_add_u32 v2, v9
.LBB83_10:                              ;   in Loop: Header=BB83_7 Depth=1
	s_or_b64 exec, exec, s[4:5]
	v_add_u32_e32 v2, 0xfffffe00, v4
	v_cmp_gt_u32_e64 s[0:1], s8, v2
	s_and_saveexec_b64 s[4:5], s[0:1]
	s_cbranch_execz .LBB83_13
; %bb.11:                               ;   in Loop: Header=BB83_7 Depth=1
	v_add_u32_e32 v2, s18, v7
	v_lshlrev_b64 v[12:13], 2, v[2:3]
	v_mov_b32_e32 v2, s10
	v_add_co_u32_e64 v12, s[0:1], s6, v12
	v_addc_co_u32_e64 v13, s[0:1], v2, v13, s[0:1]
	global_load_dword v2, v[12:13], off
	s_waitcnt vmcnt(0)
	v_cmp_lt_i32_e64 s[0:1], -1, v2
	v_cndmask_b32_e64 v11, -1, v10, s[0:1]
	v_xor_b32_e32 v11, v11, v2
	v_cmp_o_f32_e64 s[0:1], v2, v2
	v_cndmask_b32_e64 v2, -1, v11, s[0:1]
	v_xor_b32_e32 v11, s9, v2
	v_and_b32_e32 v11, s11, v11
	v_cmp_eq_u32_e64 s[0:1], 0, v11
	s_and_b64 exec, exec, s[0:1]
	s_cbranch_execz .LBB83_13
; %bb.12:                               ;   in Loop: Header=BB83_7 Depth=1
	v_bfe_u32 v2, v2, s12, 8
	v_lshlrev_b32_e32 v2, 2, v2
	ds_add_u32 v2, v9
.LBB83_13:                              ;   in Loop: Header=BB83_7 Depth=1
	s_or_b64 exec, exec, s[4:5]
	v_add_u32_e32 v2, 0xffffff00, v4
	v_cmp_gt_u32_e64 s[0:1], s8, v2
	s_and_saveexec_b64 s[4:5], s[0:1]
	s_cbranch_execz .LBB83_16
; %bb.14:                               ;   in Loop: Header=BB83_7 Depth=1
	v_add_u32_e32 v2, s18, v6
	v_lshlrev_b64 v[12:13], 2, v[2:3]
	v_mov_b32_e32 v2, s10
	v_add_co_u32_e64 v12, s[0:1], s6, v12
	v_addc_co_u32_e64 v13, s[0:1], v2, v13, s[0:1]
	global_load_dword v2, v[12:13], off
	s_waitcnt vmcnt(0)
	v_cmp_lt_i32_e64 s[0:1], -1, v2
	v_cndmask_b32_e64 v11, -1, v10, s[0:1]
	v_xor_b32_e32 v11, v11, v2
	v_cmp_o_f32_e64 s[0:1], v2, v2
	v_cndmask_b32_e64 v2, -1, v11, s[0:1]
	v_xor_b32_e32 v11, s9, v2
	v_and_b32_e32 v11, s11, v11
	v_cmp_eq_u32_e64 s[0:1], 0, v11
	s_and_b64 exec, exec, s[0:1]
	s_cbranch_execz .LBB83_16
; %bb.15:                               ;   in Loop: Header=BB83_7 Depth=1
	v_bfe_u32 v2, v2, s12, 8
	v_lshlrev_b32_e32 v2, 2, v2
	ds_add_u32 v2, v9
.LBB83_16:                              ;   in Loop: Header=BB83_7 Depth=1
	s_or_b64 exec, exec, s[4:5]
	v_cmp_gt_u32_e64 s[0:1], s8, v4
	s_and_saveexec_b64 s[4:5], s[0:1]
	s_cbranch_execz .LBB83_6
; %bb.17:                               ;   in Loop: Header=BB83_7 Depth=1
	v_add_u32_e32 v2, s18, v5
	v_lshlrev_b64 v[12:13], 2, v[2:3]
	v_mov_b32_e32 v2, s10
	v_add_co_u32_e64 v12, s[0:1], s6, v12
	v_addc_co_u32_e64 v13, s[0:1], v2, v13, s[0:1]
	global_load_dword v2, v[12:13], off
	s_waitcnt vmcnt(0)
	v_cmp_lt_i32_e64 s[0:1], -1, v2
	v_cndmask_b32_e64 v11, -1, v10, s[0:1]
	v_xor_b32_e32 v11, v11, v2
	v_cmp_o_f32_e64 s[0:1], v2, v2
	v_cndmask_b32_e64 v2, -1, v11, s[0:1]
	v_xor_b32_e32 v11, s9, v2
	v_and_b32_e32 v11, s11, v11
	v_cmp_eq_u32_e64 s[0:1], 0, v11
	s_and_b64 exec, exec, s[0:1]
	s_cbranch_execz .LBB83_6
; %bb.18:                               ;   in Loop: Header=BB83_7 Depth=1
	v_bfe_u32 v2, v2, s12, 8
	v_lshlrev_b32_e32 v2, 2, v2
	ds_add_u32 v2, v9
	s_branch .LBB83_6
.LBB83_19:
	s_and_b32 s14, s15, 3
	s_cmp_eq_u32 s14, 0
	s_cbranch_scc1 .LBB83_25
; %bb.20:
	s_lshl_b32 s0, s7, 8
	s_add_i32 s0, s0, s17
	v_add_u32_e32 v4, s0, v0
	v_mul_lo_u32 v2, s13, v4
	s_lshl_b32 s7, s13, 8
	v_mov_b32_e32 v3, 0
	v_mov_b32_e32 v5, 1
	v_bfrev_b32_e32 v6, 1
	s_branch .LBB83_22
.LBB83_21:                              ;   in Loop: Header=BB83_22 Depth=1
	s_or_b64 exec, exec, s[4:5]
	s_add_i32 s14, s14, -1
	v_add_u32_e32 v2, s7, v2
	s_cmp_lg_u32 s14, 0
	v_add_u32_e32 v4, 0x100, v4
	s_cbranch_scc0 .LBB83_25
.LBB83_22:                              ; =>This Inner Loop Header: Depth=1
	v_cmp_gt_u32_e64 s[0:1], s8, v4
	s_and_saveexec_b64 s[4:5], s[0:1]
	s_cbranch_execz .LBB83_21
; %bb.23:                               ;   in Loop: Header=BB83_22 Depth=1
	v_lshlrev_b64 v[8:9], 2, v[2:3]
	v_mov_b32_e32 v7, s10
	v_add_co_u32_e64 v8, s[0:1], s6, v8
	v_addc_co_u32_e64 v9, s[0:1], v7, v9, s[0:1]
	global_load_dword v7, v[8:9], off
	s_waitcnt vmcnt(0)
	v_cmp_lt_i32_e64 s[0:1], -1, v7
	v_cndmask_b32_e64 v8, -1, v6, s[0:1]
	v_xor_b32_e32 v8, v8, v7
	v_cmp_o_f32_e64 s[0:1], v7, v7
	v_cndmask_b32_e64 v7, -1, v8, s[0:1]
	v_xor_b32_e32 v8, s9, v7
	v_and_b32_e32 v8, s11, v8
	v_cmp_eq_u32_e64 s[0:1], 0, v8
	s_and_b64 exec, exec, s[0:1]
	s_cbranch_execz .LBB83_21
; %bb.24:                               ;   in Loop: Header=BB83_22 Depth=1
	v_bfe_u32 v7, v7, s12, 8
	v_lshlrev_b32_e32 v7, 2, v7
	ds_add_u32 v7, v5
	s_branch .LBB83_21
.LBB83_25:
	v_mov_b32_e32 v2, 0
	s_waitcnt lgkmcnt(0)
	s_barrier
	s_and_saveexec_b64 s[0:1], vcc
	s_cbranch_execz .LBB83_27
; %bb.26:
	ds_read_b32 v2, v1
.LBB83_27:
	s_or_b64 exec, exec, s[0:1]
	s_and_saveexec_b64 s[0:1], vcc
	s_cbranch_execz .LBB83_29
; %bb.28:
	v_lshl_or_b32 v0, s16, 8, v0
	v_mov_b32_e32 v1, 0
	v_lshlrev_b64 v[0:1], 1, v[0:1]
	v_mov_b32_e32 v3, s3
	v_add_co_u32_e32 v0, vcc, s2, v0
	v_addc_co_u32_e32 v1, vcc, v3, v1, vcc
	s_waitcnt lgkmcnt(0)
	global_store_short v[0:1], v2, off
.LBB83_29:
	s_endpgm
	.section	.rodata,"a",@progbits
	.p2align	6, 0x0
	.amdhsa_kernel _ZN2at6native6mbtopk23computeBlockDigitCountsIfjjLi2EEEvNS_4cuda6detail10TensorInfoIKT_T0_EEjPjjS8_iijT1_PSB_Ps
		.amdhsa_group_segment_fixed_size 1024
		.amdhsa_private_segment_fixed_size 0
		.amdhsa_kernarg_size 528
		.amdhsa_user_sgpr_count 6
		.amdhsa_user_sgpr_private_segment_buffer 1
		.amdhsa_user_sgpr_dispatch_ptr 0
		.amdhsa_user_sgpr_queue_ptr 0
		.amdhsa_user_sgpr_kernarg_segment_ptr 1
		.amdhsa_user_sgpr_dispatch_id 0
		.amdhsa_user_sgpr_flat_scratch_init 0
		.amdhsa_user_sgpr_kernarg_preload_length 0
		.amdhsa_user_sgpr_kernarg_preload_offset 0
		.amdhsa_user_sgpr_private_segment_size 0
		.amdhsa_uses_dynamic_stack 0
		.amdhsa_system_sgpr_private_segment_wavefront_offset 0
		.amdhsa_system_sgpr_workgroup_id_x 1
		.amdhsa_system_sgpr_workgroup_id_y 1
		.amdhsa_system_sgpr_workgroup_id_z 1
		.amdhsa_system_sgpr_workgroup_info 0
		.amdhsa_system_vgpr_workitem_id 0
		.amdhsa_next_free_vgpr 14
		.amdhsa_next_free_sgpr 22
		.amdhsa_accum_offset 16
		.amdhsa_reserve_vcc 1
		.amdhsa_reserve_flat_scratch 0
		.amdhsa_float_round_mode_32 0
		.amdhsa_float_round_mode_16_64 0
		.amdhsa_float_denorm_mode_32 3
		.amdhsa_float_denorm_mode_16_64 3
		.amdhsa_dx10_clamp 1
		.amdhsa_ieee_mode 1
		.amdhsa_fp16_overflow 0
		.amdhsa_tg_split 0
		.amdhsa_exception_fp_ieee_invalid_op 0
		.amdhsa_exception_fp_denorm_src 0
		.amdhsa_exception_fp_ieee_div_zero 0
		.amdhsa_exception_fp_ieee_overflow 0
		.amdhsa_exception_fp_ieee_underflow 0
		.amdhsa_exception_fp_ieee_inexact 0
		.amdhsa_exception_int_div_zero 0
	.end_amdhsa_kernel
	.section	.text._ZN2at6native6mbtopk23computeBlockDigitCountsIfjjLi2EEEvNS_4cuda6detail10TensorInfoIKT_T0_EEjPjjS8_iijT1_PSB_Ps,"axG",@progbits,_ZN2at6native6mbtopk23computeBlockDigitCountsIfjjLi2EEEvNS_4cuda6detail10TensorInfoIKT_T0_EEjPjjS8_iijT1_PSB_Ps,comdat
.Lfunc_end83:
	.size	_ZN2at6native6mbtopk23computeBlockDigitCountsIfjjLi2EEEvNS_4cuda6detail10TensorInfoIKT_T0_EEjPjjS8_iijT1_PSB_Ps, .Lfunc_end83-_ZN2at6native6mbtopk23computeBlockDigitCountsIfjjLi2EEEvNS_4cuda6detail10TensorInfoIKT_T0_EEjPjjS8_iijT1_PSB_Ps
                                        ; -- End function
	.section	.AMDGPU.csdata,"",@progbits
; Kernel info:
; codeLenInByte = 1488
; NumSgprs: 26
; NumVgprs: 14
; NumAgprs: 0
; TotalNumVgprs: 14
; ScratchSize: 0
; MemoryBound: 0
; FloatMode: 240
; IeeeMode: 1
; LDSByteSize: 1024 bytes/workgroup (compile time only)
; SGPRBlocks: 3
; VGPRBlocks: 1
; NumSGPRsForWavesPerEU: 26
; NumVGPRsForWavesPerEU: 14
; AccumOffset: 16
; Occupancy: 8
; WaveLimiterHint : 1
; COMPUTE_PGM_RSRC2:SCRATCH_EN: 0
; COMPUTE_PGM_RSRC2:USER_SGPR: 6
; COMPUTE_PGM_RSRC2:TRAP_HANDLER: 0
; COMPUTE_PGM_RSRC2:TGID_X_EN: 1
; COMPUTE_PGM_RSRC2:TGID_Y_EN: 1
; COMPUTE_PGM_RSRC2:TGID_Z_EN: 1
; COMPUTE_PGM_RSRC2:TIDIG_COMP_CNT: 0
; COMPUTE_PGM_RSRC3_GFX90A:ACCUM_OFFSET: 3
; COMPUTE_PGM_RSRC3_GFX90A:TG_SPLIT: 0
	.section	.text._ZN2at6native6mbtopk10gatherTopKIfjLi2EEEvNS_4cuda6detail10TensorInfoIKT_T0_EES8_S8_bjS8_NS5_IS6_S8_EES8_NS5_IlS8_EES8_jjPS6_PjSD_j,"axG",@progbits,_ZN2at6native6mbtopk10gatherTopKIfjLi2EEEvNS_4cuda6detail10TensorInfoIKT_T0_EES8_S8_bjS8_NS5_IS6_S8_EES8_NS5_IlS8_EES8_jjPS6_PjSD_j,comdat
	.protected	_ZN2at6native6mbtopk10gatherTopKIfjLi2EEEvNS_4cuda6detail10TensorInfoIKT_T0_EES8_S8_bjS8_NS5_IS6_S8_EES8_NS5_IlS8_EES8_jjPS6_PjSD_j ; -- Begin function _ZN2at6native6mbtopk10gatherTopKIfjLi2EEEvNS_4cuda6detail10TensorInfoIKT_T0_EES8_S8_bjS8_NS5_IS6_S8_EES8_NS5_IlS8_EES8_jjPS6_PjSD_j
	.globl	_ZN2at6native6mbtopk10gatherTopKIfjLi2EEEvNS_4cuda6detail10TensorInfoIKT_T0_EES8_S8_bjS8_NS5_IS6_S8_EES8_NS5_IlS8_EES8_jjPS6_PjSD_j
	.p2align	8
	.type	_ZN2at6native6mbtopk10gatherTopKIfjLi2EEEvNS_4cuda6detail10TensorInfoIKT_T0_EES8_S8_bjS8_NS5_IS6_S8_EES8_NS5_IlS8_EES8_jjPS6_PjSD_j,@function
_ZN2at6native6mbtopk10gatherTopKIfjLi2EEEvNS_4cuda6detail10TensorInfoIKT_T0_EES8_S8_bjS8_NS5_IS6_S8_EES8_NS5_IlS8_EES8_jjPS6_PjSD_j: ; @_ZN2at6native6mbtopk10gatherTopKIfjLi2EEEvNS_4cuda6detail10TensorInfoIKT_T0_EES8_S8_bjS8_NS5_IS6_S8_EES8_NS5_IlS8_EES8_jjPS6_PjSD_j
; %bb.0:
	s_load_dwordx2 s[0:1], s[4:5], 0x2d8
	s_load_dword s2, s[4:5], 0x2d0
	s_waitcnt lgkmcnt(0)
	s_mul_i32 s1, s1, s8
	s_add_i32 s1, s1, s7
	s_mul_i32 s0, s1, s0
	s_add_i32 s0, s0, s6
	s_cmp_ge_u32 s0, s2
	s_cbranch_scc1 .LBB84_40
; %bb.1:
	s_load_dwordx8 s[8:15], s[4:5], 0x2a8
	s_load_dwordx2 s[20:21], s[4:5], 0x23c
	s_load_dword s33, s[4:5], 0x1dc
	s_load_dwordx2 s[6:7], s[4:5], 0x1d0
	s_load_dwordx2 s[28:29], s[4:5], 0x15c
	s_load_dword s40, s[4:5], 0xfc
	s_load_dwordx2 s[24:25], s[4:5], 0x0
	s_load_dwordx2 s[22:23], s[4:5], 0xf0
	;; [unrolled: 1-line block ×3, first 2 shown]
	s_load_dword s41, s[4:5], 0xc
	s_mov_b32 s27, 0
	s_waitcnt lgkmcnt(0)
	v_cvt_f32_u32_e32 v1, s10
	s_sub_i32 s1, 0, s10
	v_cvt_f32_u32_e32 v2, s41
	v_rcp_iflag_f32_e32 v1, v1
	v_mul_f32_e32 v1, 0x4f7ffffe, v1
	v_cvt_u32_f32_e32 v1, v1
	v_readfirstlane_b32 s2, v1
	s_mul_i32 s1, s1, s2
	s_mul_hi_u32 s1, s2, s1
	s_add_i32 s2, s2, s1
	v_rcp_iflag_f32_e32 v1, v2
	s_mul_hi_u32 s1, s0, s2
	s_mul_i32 s2, s1, s10
	s_sub_i32 s2, s0, s2
	s_add_i32 s3, s1, 1
	s_sub_i32 s11, s2, s10
	v_mul_f32_e32 v1, 0x4f7ffffe, v1
	s_cmp_ge_u32 s2, s10
	v_cvt_u32_f32_e32 v1, v1
	v_cvt_f32_u32_e32 v2, s40
	s_cselect_b32 s1, s3, s1
	s_cselect_b32 s2, s11, s2
	s_add_i32 s3, s1, 1
	s_cmp_ge_u32 s2, s10
	s_cselect_b32 s26, s3, s1
	v_readfirstlane_b32 s1, v1
	v_rcp_iflag_f32_e32 v1, v2
	v_cvt_f32_u32_e32 v2, s33
	s_mul_i32 s16, s26, s10
	s_sub_i32 s11, s0, s16
	v_mul_f32_e32 v1, 0x4f7ffffe, v1
	s_sub_i32 s0, 0, s41
	v_cvt_u32_f32_e32 v1, v1
	v_rcp_iflag_f32_e32 v2, v2
	s_mul_i32 s0, s0, s1
	s_mul_hi_u32 s0, s1, s0
	s_add_i32 s1, s1, s0
	s_mul_hi_u32 s44, s26, s1
	v_readfirstlane_b32 s1, v1
	v_mul_f32_e32 v1, 0x4f7ffffe, v2
	v_cvt_u32_f32_e32 v1, v1
	s_sub_i32 s0, 0, s40
	s_mul_i32 s0, s0, s1
	s_mul_hi_u32 s0, s1, s0
	s_add_i32 s2, s1, s0
	s_sub_i32 s0, 0, s33
	v_readfirstlane_b32 s1, v1
	s_mul_i32 s0, s0, s1
	s_mul_hi_u32 s0, s1, s0
	s_add_i32 s3, s1, s0
	s_lshl_b64 s[0:1], s[26:27], 2
	s_add_u32 s0, s12, s0
	s_addc_u32 s1, s13, s1
	s_load_dword s42, s[0:1], 0x0
	s_mul_hi_u32 s45, s26, s2
	s_mul_hi_u32 s43, s26, s3
	v_cmp_ne_u32_e64 s[0:1], 0, v0
	v_cmp_eq_u32_e64 s[2:3], 0, v0
	s_and_saveexec_b64 s[12:13], s[2:3]
	s_cbranch_execz .LBB84_17
; %bb.2:
	s_load_dwordx2 s[34:35], s[4:5], 0x2c8
	s_mov_b32 s17, s27
	s_lshl_b64 s[36:37], s[16:17], 2
	s_add_u32 s16, s14, s36
	s_addc_u32 s17, s15, s37
	s_waitcnt lgkmcnt(0)
	s_add_u32 s18, s34, s36
	s_addc_u32 s19, s35, s37
	s_cmp_lt_u32 s10, 4
	s_cbranch_scc1 .LBB84_14
; %bb.3:
	s_mov_b32 s46, s27
	s_mov_b32 s47, s27
	;; [unrolled: 1-line block ×3, first 2 shown]
.LBB84_4:                               ; =>This Inner Loop Header: Depth=1
	s_add_u32 s16, s14, s36
	s_addc_u32 s17, s15, s37
	s_load_dwordx4 s[16:19], s[16:17], 0x0
	s_add_u32 s38, s34, s36
	s_addc_u32 s39, s35, s37
	s_cmp_ge_u32 s48, s11
	s_cbranch_scc0 .LBB84_11
; %bb.5:                                ;   in Loop: Header=BB84_4 Depth=1
	s_add_i32 s49, s48, 1
	s_cmp_ge_u32 s49, s11
	s_cbranch_scc0 .LBB84_12
.LBB84_6:                               ;   in Loop: Header=BB84_4 Depth=1
	s_add_i32 s49, s49, 1
	s_cmp_ge_u32 s49, s11
	s_cbranch_scc0 .LBB84_13
.LBB84_7:                               ;   in Loop: Header=BB84_4 Depth=1
	s_add_i32 s49, s49, 1
	s_cmp_ge_u32 s49, s11
	s_cbranch_scc1 .LBB84_9
.LBB84_8:                               ;   in Loop: Header=BB84_4 Depth=1
	s_load_dword s38, s[38:39], 0xc
	s_waitcnt lgkmcnt(0)
	s_add_i32 s27, s27, s19
	s_add_i32 s46, s38, s46
.LBB84_9:                               ;   in Loop: Header=BB84_4 Depth=1
	s_waitcnt lgkmcnt(0)
	s_add_i32 s16, s16, s47
	s_add_i32 s16, s16, s17
	s_add_i32 s16, s16, s18
	s_add_i32 s47, s16, s19
	s_add_u32 s14, s14, 16
	s_addc_u32 s15, s15, 0
	s_add_u32 s34, s34, 16
	s_addc_u32 s35, s35, 0
	s_add_i32 s39, s49, 4
	s_add_u32 s18, s34, s36
	s_addc_u32 s19, s35, s37
	s_add_u32 s16, s14, s36
	s_addc_u32 s17, s15, s37
	s_add_i32 s38, s49, 1
	s_cmp_ge_u32 s39, s10
	s_cbranch_scc1 .LBB84_15
; %bb.10:                               ;   in Loop: Header=BB84_4 Depth=1
	s_mov_b32 s48, s38
	s_branch .LBB84_4
.LBB84_11:                              ;   in Loop: Header=BB84_4 Depth=1
	s_load_dword s49, s[38:39], 0x0
	s_waitcnt lgkmcnt(0)
	s_add_i32 s27, s16, s27
	s_add_i32 s46, s49, s46
	;; [unrolled: 1-line block ×3, first 2 shown]
	s_cmp_ge_u32 s49, s11
	s_cbranch_scc1 .LBB84_6
.LBB84_12:                              ;   in Loop: Header=BB84_4 Depth=1
	s_load_dword s50, s[38:39], 0x4
	s_waitcnt lgkmcnt(0)
	s_add_i32 s27, s27, s17
	s_add_i32 s46, s50, s46
	;; [unrolled: 1-line block ×3, first 2 shown]
	s_cmp_ge_u32 s49, s11
	s_cbranch_scc1 .LBB84_7
.LBB84_13:                              ;   in Loop: Header=BB84_4 Depth=1
	s_load_dword s50, s[38:39], 0x8
	s_waitcnt lgkmcnt(0)
	s_add_i32 s27, s27, s18
	s_add_i32 s46, s50, s46
	;; [unrolled: 1-line block ×3, first 2 shown]
	s_cmp_ge_u32 s49, s11
	s_cbranch_scc0 .LBB84_8
	s_branch .LBB84_9
.LBB84_14:
	s_mov_b32 s46, 0
	s_mov_b32 s47, 0
	s_mov_b32 s14, 0
	s_cmp_ge_u32 s14, s10
	s_cbranch_scc0 .LBB84_38
	s_branch .LBB84_16
.LBB84_15:
	s_add_i32 s14, s48, 4
	s_cmp_ge_u32 s14, s10
	s_cbranch_scc0 .LBB84_38
.LBB84_16:
	v_mov_b32_e32 v2, s46
	v_mov_b32_e32 v3, s47
	;; [unrolled: 1-line block ×4, first 2 shown]
	ds_write_b96 v1, v[2:4] offset:1056
.LBB84_17:
	s_or_b64 exec, exec, s[12:13]
	s_load_dwordx4 s[12:15], s[4:5], 0xd8
	s_mul_i32 s16, s9, s11
	s_lshl_b32 s27, s16, 8
	s_waitcnt lgkmcnt(0)
	s_add_i32 s15, s11, 1
	s_mov_b32 s11, 0
	s_sub_i32 s16, s12, s27
	s_add_u32 s16, s16, 0xff
	s_addc_u32 s17, 0, 0
	v_mov_b32_e32 v1, s16
	v_alignbit_b32 v1, s17, v1, 8
	s_cmp_lt_u32 s15, s10
	v_readfirstlane_b32 s10, v1
	s_cselect_b32 s9, s9, s10
	s_cmp_eq_u32 s9, 0
	s_barrier
	s_cbranch_scc1 .LBB84_40
; %bb.18:
	s_mul_i32 s10, s44, s41
	s_sub_i32 s10, s26, s10
	s_add_i32 s15, s44, 1
	s_sub_i32 s16, s10, s41
	s_cmp_ge_u32 s10, s41
	s_cselect_b32 s15, s15, s44
	s_cselect_b32 s10, s16, s10
	s_add_i32 s16, s15, 1
	s_cmp_ge_u32 s10, s41
	s_cselect_b32 s10, s16, s15
	s_mul_i32 s15, s10, s41
	s_sub_i32 s15, s26, s15
	s_mul_i32 s15, s15, s31
	s_mul_i32 s10, s10, s30
	s_add_i32 s10, s10, s15
	s_mul_i32 s15, s45, s40
	s_sub_i32 s15, s26, s15
	s_add_i32 s16, s45, 1
	s_sub_i32 s17, s15, s40
	s_cmp_ge_u32 s15, s40
	s_cselect_b32 s16, s16, s45
	s_cselect_b32 s15, s17, s15
	s_add_i32 s17, s16, 1
	s_cmp_ge_u32 s15, s40
	s_cselect_b32 s15, s17, s16
	s_mul_i32 s16, s15, s40
	s_sub_i32 s16, s26, s16
	s_mul_i32 s16, s16, s29
	s_mul_i32 s15, s15, s28
	s_add_i32 s18, s15, s16
	;; [unrolled: 15-line block ×3, first 2 shown]
	s_lshl_b64 s[16:17], s[10:11], 2
	s_add_u32 s15, s24, s16
	s_mov_b32 s19, s11
	s_addc_u32 s16, s25, s17
	s_lshl_b64 s[18:19], s[18:19], 2
	s_add_u32 s17, s22, s18
	s_mov_b32 s21, s11
	v_mov_b32_e32 v1, 0
	s_addc_u32 s18, s23, s19
	s_lshl_b64 s[10:11], s[20:21], 3
	ds_read_b96 v[2:4], v1 offset:1056
	s_add_u32 s19, s6, s10
	s_addc_u32 s20, s7, s11
	s_cmp_gt_i32 s42, -1
	s_cselect_b32 s10, 0x80000000, -1
	v_cmp_o_f32_e64 s[6:7], s42, s42
	s_xor_b32 s10, s10, s42
	s_waitcnt lgkmcnt(0)
	v_add_u32_e32 v5, v2, v3
	v_lshrrev_b32_e32 v2, 5, v0
	s_and_b64 s[6:7], s[6:7], exec
	v_add_lshl_u32 v6, v2, v0, 2
	v_lshlrev_b32_e32 v2, 2, v0
	v_lshrrev_b32_e32 v3, 3, v0
	s_cselect_b32 s21, s10, -1
	s_bitcmp1_b32 s14, 0
	s_load_dword s10, s[4:5], 0xe8
	s_load_dword s14, s[4:5], 0x1c8
	v_add_lshl_u32 v7, v3, v2, 2
	v_add_u32_e32 v2, -1, v0
	v_lshrrev_b32_e32 v3, 5, v2
	v_add_lshl_u32 v8, v3, v2, 2
	v_mbcnt_lo_u32_b32 v3, -1, 0
	v_add_u32_e32 v2, s27, v0
	v_mbcnt_hi_u32_b32 v10, -1, v3
	s_cselect_b64 s[6:7], -1, 0
	v_cmp_gt_u32_e64 s[4:5], 64, v0
	s_waitcnt lgkmcnt(0)
	v_mul_lo_u32 v0, s10, v2
	s_lshl_b32 s22, s10, 8
	v_bfrev_b32_e32 v9, 1
	v_and_b32_e32 v11, 15, v10
	v_bfe_i32 v12, v10, 4, 1
	v_add_u32_e32 v13, -1, v10
	v_and_b32_e32 v14, 64, v10
                                        ; implicit-def: $vgpr15
	s_branch .LBB84_21
.LBB84_19:                              ;   in Loop: Header=BB84_21 Depth=1
	s_or_b64 exec, exec, s[10:11]
	v_add_u32_e32 v5, v18, v5
.LBB84_20:                              ;   in Loop: Header=BB84_21 Depth=1
	s_add_i32 s9, s9, -1
	v_add_u32_e32 v4, v17, v4
	v_add_u32_e32 v0, s22, v0
	s_cmp_lg_u32 s9, 0
	v_add_u32_e32 v2, 0x100, v2
	s_cbranch_scc0 .LBB84_40
.LBB84_21:                              ; =>This Inner Loop Header: Depth=1
	v_cmp_gt_u32_e32 vcc, s12, v2
	v_mov_b32_e32 v3, 0
	v_mov_b32_e32 v16, 0
	s_and_saveexec_b64 s[10:11], vcc
	s_cbranch_execz .LBB84_23
; %bb.22:                               ;   in Loop: Header=BB84_21 Depth=1
	v_lshlrev_b64 v[16:17], 2, v[0:1]
	v_mov_b32_e32 v3, s16
	v_add_co_u32_e32 v16, vcc, s15, v16
	v_addc_co_u32_e32 v17, vcc, v3, v17, vcc
	global_load_dword v15, v[16:17], off
	s_waitcnt vmcnt(0)
	v_cmp_lt_i32_e32 vcc, -1, v15
	v_cndmask_b32_e32 v3, -1, v9, vcc
	v_xor_b32_e32 v3, v3, v15
	v_cmp_o_f32_e32 vcc, v15, v15
	v_cndmask_b32_e32 v16, -1, v3, vcc
	v_cmp_lt_u32_e32 vcc, s21, v16
	v_cndmask_b32_e64 v3, 0, 1, vcc
	v_cmp_gt_u32_e32 vcc, s21, v16
	v_cndmask_b32_e64 v17, 0, 1, vcc
	v_cndmask_b32_e64 v3, v17, v3, s[6:7]
	v_cmp_eq_u32_e32 vcc, s21, v16
	v_and_b32_e32 v3, 1, v3
	v_cndmask_b32_e64 v16, 0, 1, vcc
.LBB84_23:                              ;   in Loop: Header=BB84_21 Depth=1
	s_or_b64 exec, exec, s[10:11]
	ds_write_b32 v6, v3
	s_waitcnt lgkmcnt(0)
	s_barrier
	s_and_saveexec_b64 s[10:11], s[4:5]
	s_cbranch_execz .LBB84_25
; %bb.24:                               ;   in Loop: Header=BB84_21 Depth=1
	ds_read2_b32 v[18:19], v7 offset1:1
	ds_read2_b32 v[20:21], v7 offset0:2 offset1:3
	v_cmp_ne_u32_e32 vcc, 0, v11
	; wave barrier
	s_waitcnt lgkmcnt(1)
	v_add_u32_e32 v17, v19, v18
	s_waitcnt lgkmcnt(0)
	v_add3_u32 v17, v17, v20, v21
	s_nop 1
	v_mov_b32_dpp v19, v17 row_shr:1 row_mask:0xf bank_mask:0xf
	v_cndmask_b32_e32 v19, 0, v19, vcc
	v_add_u32_e32 v17, v19, v17
	v_cmp_lt_u32_e32 vcc, 1, v11
	s_nop 0
	v_mov_b32_dpp v19, v17 row_shr:2 row_mask:0xf bank_mask:0xf
	v_cndmask_b32_e32 v19, 0, v19, vcc
	v_add_u32_e32 v17, v17, v19
	v_cmp_lt_u32_e32 vcc, 3, v11
	;; [unrolled: 5-line block ×4, first 2 shown]
	s_nop 0
	v_mov_b32_dpp v19, v17 row_bcast:15 row_mask:0xf bank_mask:0xf
	v_and_b32_e32 v19, v12, v19
	v_add_u32_e32 v17, v17, v19
	s_nop 1
	v_mov_b32_dpp v19, v17 row_bcast:31 row_mask:0xf bank_mask:0xf
	v_cndmask_b32_e32 v19, 0, v19, vcc
	v_cmp_lt_i32_e32 vcc, v13, v14
	v_add_u32_e32 v17, v17, v19
	v_cndmask_b32_e32 v19, v13, v10, vcc
	v_lshlrev_b32_e32 v19, 2, v19
	ds_bpermute_b32 v17, v19, v17
	s_waitcnt lgkmcnt(0)
	v_add_u32_e32 v17, v17, v18
	v_cndmask_b32_e64 v17, v17, v3, s[2:3]
	ds_write_b32 v7, v17
	; wave barrier
	ds_read2_b32 v[18:19], v7 offset0:1 offset1:2
	ds_read_b32 v20, v7 offset:12
	s_waitcnt lgkmcnt(1)
	v_add_u32_e32 v17, v18, v17
	v_add_u32_e32 v18, v19, v17
	ds_write2_b32 v7, v17, v18 offset0:1 offset1:2
	s_waitcnt lgkmcnt(1)
	v_add_u32_e32 v17, v20, v18
	ds_write_b32 v7, v17 offset:12
.LBB84_25:                              ;   in Loop: Header=BB84_21 Depth=1
	s_or_b64 exec, exec, s[10:11]
	v_mov_b32_e32 v18, 0
	s_waitcnt lgkmcnt(0)
	s_barrier
	s_and_saveexec_b64 s[10:11], s[0:1]
	s_cbranch_execz .LBB84_27
; %bb.26:                               ;   in Loop: Header=BB84_21 Depth=1
	ds_read_b32 v18, v8
.LBB84_27:                              ;   in Loop: Header=BB84_21 Depth=1
	s_or_b64 exec, exec, s[10:11]
	ds_read_b32 v17, v1 offset:1048
	v_cmp_ne_u32_e32 vcc, 0, v3
	s_waitcnt lgkmcnt(0)
	s_barrier
	s_and_saveexec_b64 s[10:11], vcc
	s_cbranch_execz .LBB84_29
; %bb.28:                               ;   in Loop: Header=BB84_21 Depth=1
	v_add_u32_e32 v20, v18, v4
	v_mul_lo_u32 v18, v20, s14
	v_mov_b32_e32 v19, v1
	v_lshlrev_b64 v[18:19], 2, v[18:19]
	v_mov_b32_e32 v3, s18
	v_add_co_u32_e32 v18, vcc, s17, v18
	v_addc_co_u32_e32 v19, vcc, v3, v19, vcc
	global_store_dword v[18:19], v15, off
	v_mul_lo_u32 v18, v20, s8
	v_mov_b32_e32 v19, v1
	v_lshlrev_b64 v[18:19], 3, v[18:19]
	v_mov_b32_e32 v20, s20
	v_add_co_u32_e32 v18, vcc, s19, v18
	v_mov_b32_e32 v3, v1
	v_addc_co_u32_e32 v19, vcc, v20, v19, vcc
	global_store_dwordx2 v[18:19], v[2:3], off
.LBB84_29:                              ;   in Loop: Header=BB84_21 Depth=1
	s_or_b64 exec, exec, s[10:11]
	v_cmp_le_u32_e32 vcc, s13, v5
	s_cbranch_vccnz .LBB84_20
; %bb.30:                               ;   in Loop: Header=BB84_21 Depth=1
	ds_write_b32 v6, v16
	s_waitcnt lgkmcnt(0)
	s_barrier
	s_and_saveexec_b64 s[10:11], s[4:5]
	s_cbranch_execz .LBB84_32
; %bb.31:                               ;   in Loop: Header=BB84_21 Depth=1
	ds_read2_b32 v[18:19], v7 offset1:1
	ds_read2_b32 v[20:21], v7 offset0:2 offset1:3
	v_cmp_ne_u32_e32 vcc, 0, v11
	; wave barrier
	s_waitcnt lgkmcnt(1)
	v_add_u32_e32 v3, v19, v18
	s_waitcnt lgkmcnt(0)
	v_add3_u32 v3, v3, v20, v21
	s_nop 1
	v_mov_b32_dpp v19, v3 row_shr:1 row_mask:0xf bank_mask:0xf
	v_cndmask_b32_e32 v19, 0, v19, vcc
	v_add_u32_e32 v3, v19, v3
	v_cmp_lt_u32_e32 vcc, 1, v11
	s_nop 0
	v_mov_b32_dpp v19, v3 row_shr:2 row_mask:0xf bank_mask:0xf
	v_cndmask_b32_e32 v19, 0, v19, vcc
	v_add_u32_e32 v3, v3, v19
	v_cmp_lt_u32_e32 vcc, 3, v11
	s_nop 0
	v_mov_b32_dpp v19, v3 row_shr:4 row_mask:0xf bank_mask:0xf
	v_cndmask_b32_e32 v19, 0, v19, vcc
	v_add_u32_e32 v3, v3, v19
	v_cmp_lt_u32_e32 vcc, 7, v11
	s_nop 0
	v_mov_b32_dpp v19, v3 row_shr:8 row_mask:0xf bank_mask:0xf
	v_cndmask_b32_e32 v19, 0, v19, vcc
	v_add_u32_e32 v3, v3, v19
	v_cmp_lt_u32_e32 vcc, 31, v10
	s_nop 0
	v_mov_b32_dpp v19, v3 row_bcast:15 row_mask:0xf bank_mask:0xf
	v_and_b32_e32 v19, v12, v19
	v_add_u32_e32 v3, v3, v19
	s_nop 1
	v_mov_b32_dpp v19, v3 row_bcast:31 row_mask:0xf bank_mask:0xf
	v_cndmask_b32_e32 v19, 0, v19, vcc
	v_cmp_lt_i32_e32 vcc, v13, v14
	v_add_u32_e32 v3, v3, v19
	v_cndmask_b32_e32 v19, v13, v10, vcc
	v_lshlrev_b32_e32 v19, 2, v19
	ds_bpermute_b32 v3, v19, v3
	s_waitcnt lgkmcnt(0)
	v_add_u32_e32 v3, v3, v18
	v_cndmask_b32_e64 v3, v3, v16, s[2:3]
	ds_write_b32 v7, v3
	; wave barrier
	ds_read2_b32 v[18:19], v7 offset0:1 offset1:2
	ds_read_b32 v20, v7 offset:12
	s_waitcnt lgkmcnt(1)
	v_add_u32_e32 v3, v18, v3
	v_add_u32_e32 v18, v19, v3
	ds_write2_b32 v7, v3, v18 offset0:1 offset1:2
	s_waitcnt lgkmcnt(1)
	v_add_u32_e32 v3, v20, v18
	ds_write_b32 v7, v3 offset:12
.LBB84_32:                              ;   in Loop: Header=BB84_21 Depth=1
	s_or_b64 exec, exec, s[10:11]
	v_mov_b32_e32 v3, 0
	s_waitcnt lgkmcnt(0)
	s_barrier
	s_and_saveexec_b64 s[10:11], s[0:1]
	s_cbranch_execz .LBB84_34
; %bb.33:                               ;   in Loop: Header=BB84_21 Depth=1
	ds_read_b32 v3, v8
.LBB84_34:                              ;   in Loop: Header=BB84_21 Depth=1
	s_or_b64 exec, exec, s[10:11]
	ds_read_b32 v18, v1 offset:1048
	v_cmp_ne_u32_e32 vcc, 0, v16
	s_waitcnt lgkmcnt(0)
	s_barrier
	s_and_saveexec_b64 s[10:11], vcc
	s_cbranch_execz .LBB84_19
; %bb.35:                               ;   in Loop: Header=BB84_21 Depth=1
	v_add_u32_e32 v16, v3, v5
	v_cmp_gt_u32_e32 vcc, s13, v16
	s_and_b64 exec, exec, vcc
	s_cbranch_execz .LBB84_19
; %bb.36:                               ;   in Loop: Header=BB84_21 Depth=1
	v_mul_lo_u32 v20, v16, s14
	v_mov_b32_e32 v21, v1
	v_lshlrev_b64 v[20:21], 2, v[20:21]
	v_mov_b32_e32 v3, s18
	v_add_co_u32_e32 v20, vcc, s17, v20
	v_addc_co_u32_e32 v21, vcc, v3, v21, vcc
	global_store_dword v[20:21], v15, off
	v_mul_lo_u32 v20, v16, s8
	v_mov_b32_e32 v21, v1
	v_lshlrev_b64 v[20:21], 3, v[20:21]
	v_mov_b32_e32 v16, s20
	v_add_co_u32_e32 v20, vcc, s19, v20
	v_mov_b32_e32 v3, v1
	v_addc_co_u32_e32 v21, vcc, v16, v21, vcc
	global_store_dwordx2 v[20:21], v[2:3], off
	s_branch .LBB84_19
.LBB84_37:                              ;   in Loop: Header=BB84_38 Depth=1
	s_add_u32 s16, s16, 4
	s_addc_u32 s17, s17, 0
	s_waitcnt lgkmcnt(0)
	s_add_i32 s47, s15, s47
	s_add_u32 s18, s18, 4
	s_addc_u32 s19, s19, 0
	s_add_i32 s14, s14, 1
	s_cmp_lt_u32 s14, s10
	s_cbranch_scc0 .LBB84_16
.LBB84_38:                              ; =>This Inner Loop Header: Depth=1
	s_load_dword s15, s[16:17], 0x0
	s_cmp_ge_u32 s14, s11
	s_cbranch_scc1 .LBB84_37
; %bb.39:                               ;   in Loop: Header=BB84_38 Depth=1
	s_load_dword s34, s[18:19], 0x0
	s_waitcnt lgkmcnt(0)
	s_add_i32 s27, s15, s27
	s_add_i32 s46, s34, s46
	s_branch .LBB84_37
.LBB84_40:
	s_endpgm
	.section	.rodata,"a",@progbits
	.p2align	6, 0x0
	.amdhsa_kernel _ZN2at6native6mbtopk10gatherTopKIfjLi2EEEvNS_4cuda6detail10TensorInfoIKT_T0_EES8_S8_bjS8_NS5_IS6_S8_EES8_NS5_IlS8_EES8_jjPS6_PjSD_j
		.amdhsa_group_segment_fixed_size 1068
		.amdhsa_private_segment_fixed_size 0
		.amdhsa_kernarg_size 984
		.amdhsa_user_sgpr_count 6
		.amdhsa_user_sgpr_private_segment_buffer 1
		.amdhsa_user_sgpr_dispatch_ptr 0
		.amdhsa_user_sgpr_queue_ptr 0
		.amdhsa_user_sgpr_kernarg_segment_ptr 1
		.amdhsa_user_sgpr_dispatch_id 0
		.amdhsa_user_sgpr_flat_scratch_init 0
		.amdhsa_user_sgpr_kernarg_preload_length 0
		.amdhsa_user_sgpr_kernarg_preload_offset 0
		.amdhsa_user_sgpr_private_segment_size 0
		.amdhsa_uses_dynamic_stack 0
		.amdhsa_system_sgpr_private_segment_wavefront_offset 0
		.amdhsa_system_sgpr_workgroup_id_x 1
		.amdhsa_system_sgpr_workgroup_id_y 1
		.amdhsa_system_sgpr_workgroup_id_z 1
		.amdhsa_system_sgpr_workgroup_info 0
		.amdhsa_system_vgpr_workitem_id 0
		.amdhsa_next_free_vgpr 22
		.amdhsa_next_free_sgpr 51
		.amdhsa_accum_offset 24
		.amdhsa_reserve_vcc 1
		.amdhsa_reserve_flat_scratch 0
		.amdhsa_float_round_mode_32 0
		.amdhsa_float_round_mode_16_64 0
		.amdhsa_float_denorm_mode_32 3
		.amdhsa_float_denorm_mode_16_64 3
		.amdhsa_dx10_clamp 1
		.amdhsa_ieee_mode 1
		.amdhsa_fp16_overflow 0
		.amdhsa_tg_split 0
		.amdhsa_exception_fp_ieee_invalid_op 0
		.amdhsa_exception_fp_denorm_src 0
		.amdhsa_exception_fp_ieee_div_zero 0
		.amdhsa_exception_fp_ieee_overflow 0
		.amdhsa_exception_fp_ieee_underflow 0
		.amdhsa_exception_fp_ieee_inexact 0
		.amdhsa_exception_int_div_zero 0
	.end_amdhsa_kernel
	.section	.text._ZN2at6native6mbtopk10gatherTopKIfjLi2EEEvNS_4cuda6detail10TensorInfoIKT_T0_EES8_S8_bjS8_NS5_IS6_S8_EES8_NS5_IlS8_EES8_jjPS6_PjSD_j,"axG",@progbits,_ZN2at6native6mbtopk10gatherTopKIfjLi2EEEvNS_4cuda6detail10TensorInfoIKT_T0_EES8_S8_bjS8_NS5_IS6_S8_EES8_NS5_IlS8_EES8_jjPS6_PjSD_j,comdat
.Lfunc_end84:
	.size	_ZN2at6native6mbtopk10gatherTopKIfjLi2EEEvNS_4cuda6detail10TensorInfoIKT_T0_EES8_S8_bjS8_NS5_IS6_S8_EES8_NS5_IlS8_EES8_jjPS6_PjSD_j, .Lfunc_end84-_ZN2at6native6mbtopk10gatherTopKIfjLi2EEEvNS_4cuda6detail10TensorInfoIKT_T0_EES8_S8_bjS8_NS5_IS6_S8_EES8_NS5_IlS8_EES8_jjPS6_PjSD_j
                                        ; -- End function
	.section	.AMDGPU.csdata,"",@progbits
; Kernel info:
; codeLenInByte = 2444
; NumSgprs: 55
; NumVgprs: 22
; NumAgprs: 0
; TotalNumVgprs: 22
; ScratchSize: 0
; MemoryBound: 0
; FloatMode: 240
; IeeeMode: 1
; LDSByteSize: 1068 bytes/workgroup (compile time only)
; SGPRBlocks: 6
; VGPRBlocks: 2
; NumSGPRsForWavesPerEU: 55
; NumVGPRsForWavesPerEU: 22
; AccumOffset: 24
; Occupancy: 8
; WaveLimiterHint : 1
; COMPUTE_PGM_RSRC2:SCRATCH_EN: 0
; COMPUTE_PGM_RSRC2:USER_SGPR: 6
; COMPUTE_PGM_RSRC2:TRAP_HANDLER: 0
; COMPUTE_PGM_RSRC2:TGID_X_EN: 1
; COMPUTE_PGM_RSRC2:TGID_Y_EN: 1
; COMPUTE_PGM_RSRC2:TGID_Z_EN: 1
; COMPUTE_PGM_RSRC2:TIDIG_COMP_CNT: 0
; COMPUTE_PGM_RSRC3_GFX90A:ACCUM_OFFSET: 5
; COMPUTE_PGM_RSRC3_GFX90A:TG_SPLIT: 0
	.section	.text._ZN2at6native6sbtopk10gatherTopKIfjLi2ELb0EEEvNS_4cuda6detail10TensorInfoIKT_T0_EES8_S8_bS8_S8_NS5_IS6_S8_EES8_NS5_IlS8_EES8_PS6_,"axG",@progbits,_ZN2at6native6sbtopk10gatherTopKIfjLi2ELb0EEEvNS_4cuda6detail10TensorInfoIKT_T0_EES8_S8_bS8_S8_NS5_IS6_S8_EES8_NS5_IlS8_EES8_PS6_,comdat
	.protected	_ZN2at6native6sbtopk10gatherTopKIfjLi2ELb0EEEvNS_4cuda6detail10TensorInfoIKT_T0_EES8_S8_bS8_S8_NS5_IS6_S8_EES8_NS5_IlS8_EES8_PS6_ ; -- Begin function _ZN2at6native6sbtopk10gatherTopKIfjLi2ELb0EEEvNS_4cuda6detail10TensorInfoIKT_T0_EES8_S8_bS8_S8_NS5_IS6_S8_EES8_NS5_IlS8_EES8_PS6_
	.globl	_ZN2at6native6sbtopk10gatherTopKIfjLi2ELb0EEEvNS_4cuda6detail10TensorInfoIKT_T0_EES8_S8_bS8_S8_NS5_IS6_S8_EES8_NS5_IlS8_EES8_PS6_
	.p2align	8
	.type	_ZN2at6native6sbtopk10gatherTopKIfjLi2ELb0EEEvNS_4cuda6detail10TensorInfoIKT_T0_EES8_S8_bS8_S8_NS5_IS6_S8_EES8_NS5_IlS8_EES8_PS6_,@function
_ZN2at6native6sbtopk10gatherTopKIfjLi2ELb0EEEvNS_4cuda6detail10TensorInfoIKT_T0_EES8_S8_bS8_S8_NS5_IS6_S8_EES8_NS5_IlS8_EES8_PS6_: ; @_ZN2at6native6sbtopk10gatherTopKIfjLi2ELb0EEEvNS_4cuda6detail10TensorInfoIKT_T0_EES8_S8_bS8_S8_NS5_IS6_S8_EES8_NS5_IlS8_EES8_PS6_
; %bb.0:
	s_load_dwordx2 s[10:11], s[4:5], 0x2b8
	s_load_dwordx4 s[60:63], s[4:5], 0xd8
	s_add_u32 s2, s4, 0x2b8
	s_addc_u32 s3, s5, 0
	s_waitcnt lgkmcnt(0)
	s_mul_i32 s0, s11, s8
	s_add_i32 s0, s0, s7
	s_mul_i32 s0, s0, s10
	s_add_i32 s17, s0, s6
	s_cmp_ge_u32 s17, s63
	s_cbranch_scc1 .LBB85_414
; %bb.1:
	s_load_dwordx2 s[8:9], s[4:5], 0x1d0
                                        ; implicit-def: $vgpr54 : SGPR spill to VGPR lane
	s_load_dword s11, s[4:5], 0xc
	s_load_dword s16, s[4:5], 0xe8
	s_load_dwordx2 s[12:13], s[4:5], 0x6c
	s_load_dwordx2 s[0:1], s[4:5], 0x0
	s_mov_b32 s18, 0
	s_waitcnt lgkmcnt(0)
	v_cvt_f32_u32_e32 v1, s11
	s_load_dword s14, s[4:5], 0xfc
	v_writelane_b32 v54, s8, 0
	v_writelane_b32 v54, s9, 1
	s_load_dwordx2 s[8:9], s[4:5], 0x15c
	v_rcp_iflag_f32_e32 v1, v1
	s_waitcnt lgkmcnt(0)
	v_cvt_f32_u32_e32 v2, s14
	v_writelane_b32 v54, s8, 2
	v_writelane_b32 v54, s9, 3
	s_load_dwordx2 s[8:9], s[4:5], 0x23c
	v_mul_f32_e32 v1, 0x4f7ffffe, v1
	v_cvt_u32_f32_e32 v1, v1
	v_rcp_iflag_f32_e32 v2, v2
	s_waitcnt lgkmcnt(0)
	v_writelane_b32 v54, s8, 4
	v_writelane_b32 v54, s9, 5
	s_load_dword s9, s[4:5], 0x1dc
	v_writelane_b32 v54, s4, 6
	v_writelane_b32 v54, s5, 7
	s_load_dwordx2 s[4:5], s[4:5], 0xf0
	v_readfirstlane_b32 s7, v1
	v_mul_f32_e32 v1, 0x4f7ffffe, v2
	s_waitcnt lgkmcnt(0)
	v_cvt_f32_u32_e32 v2, s9
	v_cvt_u32_f32_e32 v1, v1
	v_writelane_b32 v54, s4, 8
	v_writelane_b32 v54, s5, 9
	v_rcp_iflag_f32_e32 v2, v2
	s_sub_i32 s5, 0, s11
	s_mul_i32 s5, s5, s7
	s_mul_hi_u32 s5, s7, s5
	s_add_i32 s7, s7, s5
	v_readfirstlane_b32 s8, v1
	v_mul_f32_e32 v1, 0x4f7ffffe, v2
	s_mul_hi_u32 s5, s17, s7
	s_sub_i32 s7, 0, s14
	v_cvt_u32_f32_e32 v1, v1
	s_mul_i32 s7, s7, s8
	s_mul_hi_u32 s7, s8, s7
	s_add_i32 s8, s8, s7
	s_mul_hi_u32 s4, s17, s8
	s_sub_i32 s7, 0, s9
	v_readfirstlane_b32 s8, v1
	s_mul_i32 s7, s7, s8
	v_writelane_b32 v54, s14, 10
	s_mul_hi_u32 s7, s8, s7
	v_writelane_b32 v54, s4, 11
	s_add_i32 s8, s8, s7
	v_writelane_b32 v54, s9, 12
	s_mul_hi_u32 s4, s17, s8
	v_writelane_b32 v54, s4, 13
	v_cmp_eq_u32_e64 s[8:9], 0, v0
	s_mov_b64 s[14:15], exec
	v_writelane_b32 v54, s8, 14
	v_writelane_b32 v54, s9, 15
	s_and_b64 s[8:9], s[14:15], s[8:9]
	s_mov_b64 exec, s[8:9]
	s_cbranch_execz .LBB85_3
; %bb.2:
	v_mov_b32_e32 v2, 0
	v_mov_b32_e32 v3, s60
	;; [unrolled: 1-line block ×3, first 2 shown]
	ds_write_b96 v2, v[2:4] offset:4096
.LBB85_3:
	s_or_b64 exec, exec, s[14:15]
	s_mul_i32 s7, s5, s11
	s_sub_i32 s7, s17, s7
	s_add_i32 s8, s5, 1
	s_sub_i32 s9, s7, s11
	s_cmp_ge_u32 s7, s11
	s_cselect_b32 s5, s8, s5
	s_cselect_b32 s7, s9, s7
	s_add_i32 s8, s5, 1
	s_cmp_ge_u32 s7, s11
	s_cselect_b32 s5, s8, s5
	s_mul_i32 s4, s5, s11
	s_sub_i32 s4, s17, s4
	s_mul_i32 s4, s4, s13
	s_mul_i32 s5, s5, s12
	s_add_i32 s4, s5, s4
	s_mov_b32 s5, s18
	v_writelane_b32 v54, s17, 16
	s_mov_b32 s8, 0
	s_lshl_b64 s[4:5], s[4:5], 2
	v_writelane_b32 v54, s8, 17
	s_add_u32 s33, s0, s4
	v_writelane_b32 v54, s9, 18
	s_addc_u32 s8, s1, s5
	s_waitcnt lgkmcnt(0)
	s_barrier
	s_load_dword s0, s[2:3], 0xc
	s_bitcmp1_b32 s62, 0
	s_cselect_b64 s[4:5], -1, 0
	v_writelane_b32 v54, s4, 19
	v_writelane_b32 v54, s5, 20
	s_xor_b64 s[4:5], s[4:5], -1
	v_mbcnt_lo_u32_b32 v1, -1, 0
	v_writelane_b32 v54, s4, 21
	v_mbcnt_hi_u32_b32 v1, -1, v1
	v_writelane_b32 v54, s5, 22
	s_waitcnt lgkmcnt(0)
	s_and_b32 s9, s0, 0xffff
	s_bfe_u32 s5, s0, 0xa0006
	v_cmp_gt_u32_e32 vcc, 64, v0
	v_cmp_gt_i32_e64 s[0:1], 4, v1
	s_lshl_b32 s77, s9, 2
	s_and_b64 s[74:75], vcc, s[0:1]
	s_cmpk_gt_u32 s60, 0x300
	s_cselect_b64 s[0:1], -1, 0
	v_writelane_b32 v54, s0, 23
	s_cmp_gt_u32 s9, 63
	v_writelane_b32 v54, s1, 24
	s_cselect_b64 s[0:1], -1, 0
	v_writelane_b32 v54, s0, 25
	v_writelane_b32 v54, s1, 26
	s_add_i32 s0, s9, -1
	s_add_i32 s4, s0, s60
	s_cmp_lt_u32 s6, s10
	v_writelane_b32 v54, s0, 27
	s_cselect_b32 s0, 12, 18
	s_add_u32 s0, s2, s0
	s_addc_u32 s1, s3, 0
	v_writelane_b32 v54, s0, 28
	s_add_i32 s2, s5, -2
	v_writelane_b32 v54, s1, 29
	s_lshr_b32 s0, s2, 1
	s_add_i32 s3, s0, 1
	s_cmpk_gt_u32 s9, 0x7f
	v_mov_b32_e32 v11, 0
	s_cselect_b64 s[0:1], -1, 0
	v_writelane_b32 v54, s0, 30
	v_mul_lo_u32 v12, v0, s16
	v_mov_b32_e32 v13, v11
	v_writelane_b32 v54, s1, 31
	v_cmp_gt_u32_e64 s[6:7], s60, v0
	v_lshlrev_b64 v[2:3], 2, v[12:13]
	v_writelane_b32 v54, s6, 32
	v_mov_b32_e32 v21, s8
	v_add_co_u32_e32 v8, vcc, s33, v2
	v_lshrrev_b32_e32 v2, 4, v0
	v_writelane_b32 v54, s7, 33
	v_addc_co_u32_e32 v9, vcc, v21, v3, vcc
	v_and_b32_e32 v22, 60, v2
	v_cmp_gt_u32_e64 s[6:7], 2, v0
	v_lshlrev_b64 v[2:3], v1, -1
	v_writelane_b32 v54, s6, 34
	v_not_b32_e32 v6, v2
	v_cvt_f32_u32_e32 v2, s77
	v_writelane_b32 v54, s7, 35
	s_and_b32 s6, s5, 0x3fe
	s_and_b32 s7, s3, 7
	s_cmp_gt_u32 s2, 13
	s_cselect_b64 s[10:11], -1, 0
	v_writelane_b32 v54, s10, 36
	v_rcp_iflag_f32_e32 v2, v2
	v_writelane_b32 v54, s11, 37
	s_and_b32 s2, s3, -8
	v_writelane_b32 v54, s2, 38
	s_cmp_lg_u32 s7, 0
	v_writelane_b32 v54, s7, 39
	s_cselect_b64 s[2:3], -1, 0
	v_writelane_b32 v54, s2, 40
	v_mul_f32_e32 v2, 0x4f7ffffe, v2
	v_writelane_b32 v54, s3, 41
	v_cvt_u32_f32_e32 v2, v2
	v_writelane_b32 v54, s5, 42
	s_cmp_lg_u32 s6, s5
	v_writelane_b32 v54, s6, 43
	s_cselect_b64 s[2:3], -1, 0
	v_writelane_b32 v54, s2, 44
	v_writelane_b32 v54, s3, 45
	s_sub_i32 s2, 0, s77
	v_readfirstlane_b32 s3, v2
	v_cvt_f32_u32_e32 v2, s9
	s_mul_i32 s2, s2, s3
	s_mul_hi_u32 s2, s3, s2
	s_add_i32 s2, s3, s2
	v_writelane_b32 v54, s2, 46
	s_mul_hi_u32 s2, s60, s2
	v_rcp_iflag_f32_e32 v5, v2
	s_mul_i32 s2, s2, s77
	s_sub_i32 s2, s60, s2
	s_sub_i32 s3, s2, s77
	s_cmp_ge_u32 s2, s77
	v_mul_f32_e32 v5, 0x4f7ffffe, v5
	s_cselect_b32 s2, s3, s2
	v_cvt_u32_f32_e32 v5, v5
	s_sub_i32 s3, s2, s77
	s_cmp_ge_u32 s2, s77
	s_cselect_b32 s2, s3, s2
	v_lshlrev_b32_e32 v20, 2, v0
	s_sub_i32 s79, s60, s2
	s_sub_i32 s3, 0, s9
	v_readfirstlane_b32 s5, v5
	v_cmp_gt_u32_e64 s[6:7], s79, v20
	s_mul_i32 s3, s3, s5
	v_writelane_b32 v54, s6, 47
	s_mul_hi_u32 s3, s5, s3
	v_writelane_b32 v54, s7, 48
	s_add_i32 s3, s5, s3
	v_writelane_b32 v54, s3, 49
	s_mul_hi_u32 s3, s4, s3
	s_mul_i32 s3, s3, s9
	s_sub_i32 s3, s4, s3
	s_sub_i32 s5, s3, s9
	v_add_u32_e32 v24, s79, v0
	s_cmp_ge_u32 s3, s9
	v_mul_lo_u32 v10, v24, s16
	s_cselect_b32 s3, s5, s3
	v_not_b32_e32 v7, v3
	v_lshlrev_b64 v[2:3], 2, v[10:11]
	s_sub_i32 s5, s3, s9
	v_add_co_u32_e32 v14, vcc, s33, v2
	s_cmp_ge_u32 s3, s9
	v_mul_lo_u32 v2, s16, v20
	s_cselect_b32 s3, s5, s3
	v_add_u32_e32 v25, s16, v2
	v_or_b32_e32 v2, 2, v20
	s_sub_i32 s12, s4, s3
	v_mul_lo_u32 v26, s16, v2
	v_or_b32_e32 v2, 3, v20
	s_add_i32 s3, s9, s60
	v_cmp_gt_u32_e64 s[4:5], s12, v0
	v_mul_lo_u32 v27, s16, v2
	v_add_u32_e32 v2, s3, v0
	v_lshlrev_b32_e32 v4, 2, v1
	v_mov_b32_e32 v10, s8
	v_writelane_b32 v54, s4, 50
	s_mul_i32 s76, s16, s9
	v_subrev_u32_e32 v2, s2, v2
	v_cmp_eq_u32_e64 s[0:1], 0, v1
	v_add_u32_e32 v23, 0xc00, v20
	v_and_b32_e32 v13, 0x100, v4
	v_cmp_gt_u32_e64 s[14:15], s60, v24
	v_addc_co_u32_e32 v15, vcc, v10, v3, vcc
	v_writelane_b32 v54, s5, 51
	s_lshl_b32 s13, s76, 2
	v_lshlrev_b32_e32 v28, 2, v12
	v_mul_lo_u32 v29, s16, v2
	v_lshlrev_b32_e32 v30, 4, v0
	s_lshl_b32 s6, s9, 4
	v_or_b32_e32 v31, 0xc00, v4
	s_mov_b32 s7, 30
	s_mov_b64 s[90:91], 0
	v_mov_b32_e32 v36, s61
	v_mov_b32_e32 v16, 1.0
	v_bfrev_b32_e32 v32, 1
	v_mov_b32_e32 v33, 0xc00
	v_mov_b32_e32 v19, 0
	s_mov_b32 s78, 0
	v_mov_b32_e32 v35, 0
	v_mov_b32_e32 v34, 0
	v_writelane_b32 v54, s16, 52
                                        ; implicit-def: $sgpr92_sgpr93
                                        ; implicit-def: $sgpr94_sgpr95
                                        ; implicit-def: $sgpr66_sgpr67
                                        ; implicit-def: $sgpr68_sgpr69
                                        ; implicit-def: $sgpr64_sgpr65
                                        ; implicit-def: $sgpr70_sgpr71
                                        ; implicit-def: $sgpr2_sgpr3
                                        ; implicit-def: $sgpr84_sgpr85
                                        ; implicit-def: $sgpr86_sgpr87
                                        ; implicit-def: $sgpr88_sgpr89
	s_branch .LBB85_6
.LBB85_4:                               ;   in Loop: Header=BB85_6 Depth=1
	s_or_b64 exec, exec, s[22:23]
	s_andn2_b64 s[4:5], s[88:89], exec
	s_and_b64 s[10:11], s[20:21], exec
	s_or_b64 s[88:89], s[4:5], s[10:11]
	s_andn2_b64 s[86:87], s[86:87], exec
	s_andn2_b64 s[84:85], s[84:85], exec
	;; [unrolled: 1-line block ×4, first 2 shown]
	s_orn2_b64 s[18:19], s[18:19], exec
	v_mov_b32_e32 v34, v5
	v_mov_b32_e32 v35, v4
	v_mov_b32_e32 v36, v37
	v_mov_b32_e32 v19, v3
.LBB85_5:                               ;   in Loop: Header=BB85_6 Depth=1
	s_or_b64 exec, exec, s[16:17]
	s_and_b64 s[4:5], exec, s[18:19]
	s_or_b64 s[90:91], s[4:5], s[90:91]
	s_andn2_b64 s[4:5], s[64:65], exec
	s_and_b64 s[10:11], s[88:89], exec
	s_or_b64 s[64:65], s[4:5], s[10:11]
	s_andn2_b64 s[4:5], s[68:69], exec
	s_and_b64 s[10:11], s[86:87], exec
	;; [unrolled: 3-line block ×5, first 2 shown]
	s_or_b64 s[92:93], s[4:5], s[10:11]
	s_andn2_b64 exec, exec, s[90:91]
	s_cbranch_execz .LBB85_410
.LBB85_6:                               ; =>This Loop Header: Depth=1
                                        ;     Child Loop BB85_14 Depth 2
                                        ;     Child Loop BB85_32 Depth 2
	;; [unrolled: 1-line block ×25, first 2 shown]
	ds_read_b64 v[2:3], v11 offset:4096
	s_waitcnt lgkmcnt(0)
	v_readfirstlane_b32 s4, v2
	s_cmp_lg_u32 s4, 0
	s_cbranch_scc1 .LBB85_39
; %bb.7:                                ;   in Loop: Header=BB85_6 Depth=1
	v_readlane_b32 s4, v54, 23
	v_readlane_b32 s5, v54, 24
	s_and_b64 vcc, exec, s[4:5]
	s_cbranch_vccz .LBB85_22
; %bb.8:                                ;   in Loop: Header=BB85_6 Depth=1
	s_movk_i32 s4, 0x301
	v_cmp_gt_u32_e32 vcc, s4, v3
	s_mov_b64 s[16:17], 0
	s_mov_b64 s[18:19], 0
	s_cbranch_vccz .LBB85_23
; %bb.9:                                ;   in Loop: Header=BB85_6 Depth=1
	v_mov_b32_e32 v2, 0
	s_mov_b64 s[18:19], exec
	v_readlane_b32 s4, v54, 32
	v_readlane_b32 s5, v54, 33
	s_and_b64 s[4:5], s[18:19], s[4:5]
	s_mov_b64 exec, s[4:5]
	s_cbranch_execz .LBB85_11
; %bb.10:                               ;   in Loop: Header=BB85_6 Depth=1
	global_load_dword v2, v[8:9], off
.LBB85_11:                              ;   in Loop: Header=BB85_6 Depth=1
	s_or_b64 exec, exec, s[18:19]
	s_mov_b64 s[22:23], exec
	v_readlane_b32 s4, v54, 32
	v_readlane_b32 s5, v54, 33
	s_and_b64 s[4:5], s[22:23], s[4:5]
	s_mov_b64 exec, s[4:5]
	s_cbranch_execz .LBB85_24
; %bb.12:                               ;   in Loop: Header=BB85_6 Depth=1
	v_readlane_b32 s4, v54, 28
	v_readlane_b32 s5, v54, 29
	s_mov_b64 s[24:25], 0
	s_nop 3
	global_load_ushort v3, v11, s[4:5]
	v_readlane_b32 s4, v54, 52
	s_waitcnt vmcnt(0)
	v_add_u32_e32 v5, v0, v3
	v_mul_lo_u32 v4, s4, v3
	v_mul_lo_u32 v10, s4, v5
	v_mov_b32_e32 v5, v0
	s_branch .LBB85_14
.LBB85_13:                              ;   in Loop: Header=BB85_14 Depth=2
	s_or_b64 exec, exec, s[20:21]
	v_add_u32_e32 v10, v10, v4
	s_waitcnt vmcnt(0)
	v_mov_b32_e32 v2, v17
	s_andn2_b64 exec, exec, s[24:25]
	s_cbranch_execz .LBB85_24
.LBB85_14:                              ;   Parent Loop BB85_6 Depth=1
                                        ; =>  This Inner Loop Header: Depth=2
	v_add_u32_e32 v5, v5, v3
	v_cmp_gt_u32_e64 s[18:19], s60, v5
	v_cmp_le_u32_e32 vcc, s60, v5
	s_waitcnt lgkmcnt(0)
	v_mov_b32_e32 v18, 0
	v_mov_b32_e32 v17, 0
	s_and_saveexec_b64 s[20:21], s[18:19]
	s_cbranch_execz .LBB85_16
; %bb.15:                               ;   in Loop: Header=BB85_14 Depth=2
	v_lshlrev_b64 v[38:39], 2, v[10:11]
	v_add_co_u32_e64 v38, s[18:19], s33, v38
	v_addc_co_u32_e64 v39, s[18:19], v21, v39, s[18:19]
	global_load_dword v17, v[38:39], off
.LBB85_16:                              ;   in Loop: Header=BB85_14 Depth=2
	s_or_b64 exec, exec, s[20:21]
	v_cmp_lt_i32_e64 s[18:19], -1, v2
	v_cndmask_b32_e64 v37, -1, v32, s[18:19]
	v_xor_b32_e32 v37, v37, v2
	v_cmp_o_f32_e64 s[18:19], v2, v2
	v_cndmask_b32_e64 v37, -1, v37, s[18:19]
	v_and_b32_e32 v37, v37, v34
	v_cmp_eq_u32_e64 s[18:19], v37, v35
	s_cmp_lg_u64 s[18:19], 0
	s_cselect_b64 s[4:5], -1, 0
	s_and_b64 s[4:5], s[0:1], s[4:5]
	s_and_saveexec_b64 s[26:27], s[4:5]
	s_cbranch_execz .LBB85_20
; %bb.17:                               ;   in Loop: Header=BB85_14 Depth=2
	s_mov_b64 s[30:31], exec
	v_mbcnt_lo_u32_b32 v18, s30, 0
	v_mbcnt_hi_u32_b32 v18, s31, v18
	s_bcnt1_i32_b64 s4, s[18:19]
	v_cmp_eq_u32_e64 s[20:21], 0, v18
                                        ; implicit-def: $vgpr37
	s_and_saveexec_b64 s[28:29], s[20:21]
	s_cbranch_execz .LBB85_19
; %bb.18:                               ;   in Loop: Header=BB85_14 Depth=2
	s_bcnt1_i32_b64 s5, s[30:31]
	s_mul_i32 s5, s4, s5
	v_mov_b32_e32 v37, s5
	ds_add_rtn_u32 v37, v11, v37 offset:4104
.LBB85_19:                              ;   in Loop: Header=BB85_14 Depth=2
	s_or_b64 exec, exec, s[28:29]
	s_waitcnt lgkmcnt(0)
	v_readfirstlane_b32 s5, v37
	v_mov_b32_e32 v37, s5
	v_mad_u32_u24 v18, s4, v18, v37
.LBB85_20:                              ;   in Loop: Header=BB85_14 Depth=2
	s_or_b64 exec, exec, s[26:27]
	ds_bpermute_b32 v18, v13, v18
	s_and_b64 s[4:5], exec, vcc
	s_or_b64 s[24:25], s[4:5], s[24:25]
	s_and_saveexec_b64 s[20:21], s[18:19]
	s_cbranch_execz .LBB85_13
; %bb.21:                               ;   in Loop: Header=BB85_14 Depth=2
	v_and_b32_e32 v38, s18, v6
	v_and_b32_e32 v37, s19, v7
	v_bcnt_u32_b32 v38, v38, 0
	v_bcnt_u32_b32 v37, v37, v38
	v_lshlrev_b32_e32 v37, 2, v37
	s_waitcnt lgkmcnt(0)
	v_lshl_add_u32 v18, v18, 2, v37
	ds_write_b32 v18, v2
	s_branch .LBB85_13
.LBB85_22:                              ;   in Loop: Header=BB85_6 Depth=1
	s_mov_b64 s[18:19], 0
                                        ; implicit-def: $sgpr4
	s_cbranch_execnz .LBB85_27
	s_branch .LBB85_37
.LBB85_23:                              ;   in Loop: Header=BB85_6 Depth=1
	s_mov_b32 s4, 0
	s_and_b64 vcc, exec, s[16:17]
	s_cbranch_vccnz .LBB85_27
	s_branch .LBB85_37
.LBB85_24:                              ;   in Loop: Header=BB85_6 Depth=1
	s_or_b64 exec, exec, s[22:23]
	s_waitcnt lgkmcnt(0)
	s_barrier
	s_mov_b64 s[18:19], exec
	v_readlane_b32 s4, v54, 14
	v_readlane_b32 s5, v54, 15
	s_and_b64 s[4:5], s[18:19], s[4:5]
	s_mov_b64 exec, s[4:5]
	s_cbranch_execz .LBB85_26
; %bb.25:                               ;   in Loop: Header=BB85_6 Depth=1
	s_waitcnt vmcnt(0)
	ds_read_b32 v2, v11 offset:4104
	s_waitcnt lgkmcnt(0)
	ds_write_b32 v11, v2 offset:4096
.LBB85_26:                              ;   in Loop: Header=BB85_6 Depth=1
	s_or_b64 exec, exec, s[18:19]
	s_waitcnt lgkmcnt(0)
	s_barrier
	s_mov_b64 s[18:19], -1
	s_mov_b32 s4, 0
	s_and_b64 vcc, exec, s[16:17]
	s_cbranch_vccz .LBB85_37
.LBB85_27:                              ;   in Loop: Header=BB85_6 Depth=1
	s_waitcnt vmcnt(0)
	v_mov_b32_e32 v2, 0
	s_mov_b64 s[16:17], exec
	v_readlane_b32 s4, v54, 32
	v_readlane_b32 s5, v54, 33
	s_and_b64 s[4:5], s[16:17], s[4:5]
	s_mov_b64 exec, s[4:5]
	s_cbranch_execz .LBB85_29
; %bb.28:                               ;   in Loop: Header=BB85_6 Depth=1
	global_load_dword v2, v[8:9], off
.LBB85_29:                              ;   in Loop: Header=BB85_6 Depth=1
	s_or_b64 exec, exec, s[16:17]
	s_mov_b64 s[16:17], exec
	v_readlane_b32 s4, v54, 32
	v_readlane_b32 s5, v54, 33
	s_and_b64 s[4:5], s[16:17], s[4:5]
	s_mov_b64 exec, s[4:5]
	s_cbranch_execz .LBB85_34
; %bb.30:                               ;   in Loop: Header=BB85_6 Depth=1
	v_readlane_b32 s4, v54, 28
	v_readlane_b32 s5, v54, 29
	s_mov_b64 s[20:21], 0
	v_mov_b32_e32 v4, v20
	v_mov_b32_e32 v18, v0
	s_nop 1
	global_load_ushort v3, v11, s[4:5]
	v_readlane_b32 s4, v54, 52
	s_waitcnt vmcnt(0)
	v_add_u32_e32 v10, v0, v3
	v_lshlrev_b32_e32 v5, 2, v3
	v_mul_lo_u32 v17, s4, v3
	v_mul_lo_u32 v10, s4, v10
	s_branch .LBB85_32
.LBB85_31:                              ;   in Loop: Header=BB85_32 Depth=2
	s_or_b64 exec, exec, s[22:23]
	s_and_b64 s[4:5], exec, vcc
	s_or_b64 s[20:21], s[4:5], s[20:21]
	ds_write_b32 v4, v2
	v_add_u32_e32 v4, v4, v5
	v_add_u32_e32 v10, v10, v17
	s_waitcnt vmcnt(0)
	v_mov_b32_e32 v2, v37
	s_andn2_b64 exec, exec, s[20:21]
	s_cbranch_execz .LBB85_34
.LBB85_32:                              ;   Parent Loop BB85_6 Depth=1
                                        ; =>  This Inner Loop Header: Depth=2
	v_add_u32_e32 v18, v18, v3
	v_cmp_gt_u32_e64 s[18:19], s60, v18
	v_cmp_le_u32_e32 vcc, s60, v18
	v_mov_b32_e32 v37, 0
	s_and_saveexec_b64 s[22:23], s[18:19]
	s_cbranch_execz .LBB85_31
; %bb.33:                               ;   in Loop: Header=BB85_32 Depth=2
	v_lshlrev_b64 v[38:39], 2, v[10:11]
	v_mov_b32_e32 v37, s8
	v_add_co_u32_e64 v38, s[18:19], s33, v38
	v_addc_co_u32_e64 v39, s[18:19], v37, v39, s[18:19]
	global_load_dword v37, v[38:39], off
	s_branch .LBB85_31
.LBB85_34:                              ;   in Loop: Header=BB85_6 Depth=1
	s_or_b64 exec, exec, s[16:17]
	s_waitcnt lgkmcnt(0)
	s_barrier
	s_mov_b64 s[16:17], exec
	v_readlane_b32 s4, v54, 14
	v_readlane_b32 s5, v54, 15
	s_and_b64 s[4:5], s[16:17], s[4:5]
	s_mov_b64 exec, s[4:5]
	s_cbranch_execz .LBB85_36
; %bb.35:                               ;   in Loop: Header=BB85_6 Depth=1
	s_waitcnt vmcnt(0)
	v_mov_b32_e32 v2, s60
	ds_write_b32 v11, v2 offset:4096
.LBB85_36:                              ;   in Loop: Header=BB85_6 Depth=1
	s_or_b64 exec, exec, s[16:17]
	s_mov_b64 s[18:19], -1
	s_waitcnt lgkmcnt(0)
	s_barrier
                                        ; implicit-def: $sgpr4
.LBB85_37:                              ;   in Loop: Header=BB85_6 Depth=1
	s_and_b64 vcc, exec, s[18:19]
	s_cbranch_vccz .LBB85_39
; %bb.38:                               ;   in Loop: Header=BB85_6 Depth=1
	s_waitcnt vmcnt(0)
	ds_read_b32 v2, v11 offset:4096
	s_waitcnt lgkmcnt(0)
	v_readfirstlane_b32 s4, v2
.LBB85_39:                              ;   in Loop: Header=BB85_6 Depth=1
	s_cmp_lt_i32 s4, 1
	s_cbranch_scc0 .LBB85_51
; %bb.40:                               ;   in Loop: Header=BB85_6 Depth=1
	s_waitcnt vmcnt(0)
	v_mov_b32_e32 v2, 0
	s_mov_b32 s5, 0
	v_mov_b32_e32 v3, 0
	v_mov_b32_e32 v4, v2
	;; [unrolled: 1-line block ×3, first 2 shown]
	s_mov_b64 s[48:49], exec
	v_readlane_b32 s10, v54, 47
	v_readlane_b32 s11, v54, 48
	s_and_b64 s[10:11], s[48:49], s[10:11]
	s_mov_b64 exec, s[10:11]
	s_cbranch_execz .LBB85_44
; %bb.41:                               ;   in Loop: Header=BB85_6 Depth=1
	s_and_b32 s10, s7, 0xfe
	s_mov_b64 s[50:51], 0
	s_mov_b32 s11, 0
	s_mov_b32 s16, 0
	;; [unrolled: 1-line block ×4, first 2 shown]
	v_mov_b32_e32 v17, v20
.LBB85_42:                              ;   Parent Loop BB85_6 Depth=1
                                        ; =>  This Inner Loop Header: Depth=2
	v_add_u32_e32 v10, s5, v28
	v_lshlrev_b64 v[2:3], 2, v[10:11]
	v_mov_b32_e32 v18, s8
	v_add_u32_e32 v10, s5, v25
	v_add_co_u32_e64 v2, s[18:19], s33, v2
	v_lshlrev_b64 v[4:5], 2, v[10:11]
	v_addc_co_u32_e64 v3, s[18:19], v18, v3, s[18:19]
	v_add_u32_e32 v10, s5, v26
	global_load_dword v37, v[2:3], off
	v_add_co_u32_e64 v2, s[18:19], s33, v4
	v_lshlrev_b64 v[38:39], 2, v[10:11]
	v_add_u32_e32 v10, s5, v27
	v_addc_co_u32_e64 v3, s[18:19], v18, v5, s[18:19]
	v_lshlrev_b64 v[4:5], 2, v[10:11]
	global_load_dword v10, v[2:3], off
	v_add_co_u32_e64 v2, s[18:19], s33, v38
	v_addc_co_u32_e64 v3, s[18:19], v18, v39, s[18:19]
	global_load_dword v38, v[2:3], off
	v_add_co_u32_e64 v2, s[18:19], s33, v4
	v_addc_co_u32_e64 v3, s[18:19], v18, v5, s[18:19]
	global_load_dword v2, v[2:3], off
	v_add_u32_e32 v17, s77, v17
	v_cmp_le_u32_e32 vcc, s79, v17
	s_add_i32 s5, s5, s13
	s_waitcnt vmcnt(3)
	v_cmp_lt_i32_e64 s[18:19], -1, v37
	v_cndmask_b32_e64 v3, -1, v32, s[18:19]
	v_xor_b32_e32 v3, v3, v37
	s_waitcnt vmcnt(2)
	v_cmp_lt_i32_e64 s[18:19], -1, v10
	v_cndmask_b32_e64 v4, -1, v32, s[18:19]
	v_cmp_o_f32_e64 s[18:19], v37, v37
	v_cndmask_b32_e64 v3, -1, v3, s[18:19]
	v_xor_b32_e32 v4, v4, v10
	s_waitcnt vmcnt(1)
	v_cmp_lt_i32_e64 s[18:19], -1, v38
	v_cndmask_b32_e64 v5, -1, v32, s[18:19]
	v_cmp_o_f32_e64 s[18:19], v10, v10
	v_cndmask_b32_e64 v4, -1, v4, s[18:19]
	v_xor_b32_e32 v5, v5, v38
	s_waitcnt vmcnt(0)
	v_cmp_lt_i32_e64 s[18:19], -1, v2
	v_cndmask_b32_e64 v10, -1, v32, s[18:19]
	v_and_b32_e32 v18, v3, v34
	v_bfe_u32 v3, v3, s10, 2
	v_cmp_o_f32_e64 s[18:19], v38, v38
	v_cndmask_b32_e64 v5, -1, v5, s[18:19]
	v_cmp_eq_u32_e64 s[18:19], v18, v35
	v_cmp_eq_u32_e64 s[20:21], 0, v3
	v_and_b32_e32 v18, v4, v34
	v_bfe_u32 v4, v4, s10, 2
	v_cmp_eq_u32_e64 s[22:23], 1, v3
	s_and_b64 s[20:21], s[18:19], s[20:21]
	v_xor_b32_e32 v10, v10, v2
	v_cmp_eq_u32_e64 s[24:25], 2, v3
	v_cmp_eq_u32_e64 s[26:27], 3, v3
	v_cmp_o_f32_e64 s[28:29], v2, v2
	v_cmp_eq_u32_e64 s[30:31], 0, v4
	v_cmp_eq_u32_e64 s[34:35], 1, v4
	;; [unrolled: 1-line block ×4, first 2 shown]
	v_cndmask_b32_e64 v4, 0, 1, s[20:21]
	s_and_b64 s[20:21], s[18:19], s[22:23]
	v_cndmask_b32_e64 v2, -1, v10, s[28:29]
	v_cmp_eq_u32_e64 s[28:29], v18, v35
	v_and_b32_e32 v3, v5, v34
	v_bfe_u32 v5, v5, s10, 2
	v_cndmask_b32_e64 v10, 0, 1, s[20:21]
	s_and_b64 s[20:21], s[18:19], s[24:25]
	s_and_b64 s[18:19], s[18:19], s[26:27]
	v_cndmask_b32_e64 v18, 0, 1, s[20:21]
	v_cndmask_b32_e64 v37, 0, 1, s[18:19]
	v_cmp_eq_u32_e64 s[18:19], v3, v35
	v_and_b32_e32 v3, v2, v34
	v_bfe_u32 v2, v2, s10, 2
	v_cmp_eq_u32_e64 s[20:21], 0, v5
	s_and_b64 s[30:31], s[28:29], s[30:31]
	s_and_b64 s[34:35], s[28:29], s[34:35]
	;; [unrolled: 1-line block ×4, first 2 shown]
	v_cmp_eq_u32_e64 s[22:23], 1, v5
	v_cmp_eq_u32_e64 s[24:25], 2, v5
	;; [unrolled: 1-line block ×3, first 2 shown]
	v_cndmask_b32_e64 v5, 0, 1, s[34:35]
	v_cmp_ne_u32_e64 s[34:35], 0, v18
	v_cndmask_b32_e64 v18, 0, 1, s[28:29]
	v_cmp_eq_u32_e64 s[28:29], v3, v35
	v_cmp_eq_u32_e64 s[38:39], 0, v2
	s_and_b64 s[20:21], s[18:19], s[20:21]
	v_cmp_eq_u32_e64 s[42:43], 1, v2
	v_cmp_eq_u32_e64 s[44:45], 2, v2
	;; [unrolled: 1-line block ×3, first 2 shown]
	v_cndmask_b32_e64 v2, 0, 1, s[20:21]
	s_and_b64 s[22:23], s[18:19], s[22:23]
	s_and_b64 s[24:25], s[18:19], s[24:25]
	s_and_b64 s[18:19], s[18:19], s[26:27]
	s_and_b64 s[26:27], s[28:29], s[38:39]
	v_cmp_ne_u32_e64 s[40:41], 0, v4
	v_cndmask_b32_e64 v4, 0, 1, s[30:31]
	v_cmp_ne_u32_e64 s[30:31], 0, v10
	v_cndmask_b32_e64 v10, 0, 1, s[36:37]
	v_cmp_ne_u32_e64 s[36:37], 0, v37
	v_cmp_ne_u32_e64 s[20:21], 0, v5
	v_cndmask_b32_e64 v3, 0, 1, s[22:23]
	v_cndmask_b32_e64 v5, 0, 1, s[18:19]
	v_cmp_ne_u32_e64 s[18:19], 0, v2
	v_cndmask_b32_e64 v2, 0, 1, s[26:27]
	s_and_b64 s[26:27], s[28:29], s[42:43]
	s_bcnt1_i32_b64 s53, s[40:41]
	v_cmp_ne_u32_e64 s[40:41], 0, v4
	s_bcnt1_i32_b64 s30, s[30:31]
	s_bcnt1_i32_b64 s31, s[34:35]
	v_cmp_ne_u32_e64 s[22:23], 0, v10
	v_cndmask_b32_e64 v4, 0, 1, s[24:25]
	s_bcnt1_i32_b64 s34, s[36:37]
	s_bcnt1_i32_b64 s37, s[20:21]
	v_cmp_ne_u32_e64 s[20:21], 0, v3
	v_cndmask_b32_e64 v3, 0, 1, s[26:27]
	s_and_b64 s[26:27], s[28:29], s[44:45]
	v_cmp_ne_u32_e64 s[24:25], 0, v18
	s_add_i32 s30, s17, s30
	s_bcnt1_i32_b64 s38, s[22:23]
	v_cmp_ne_u32_e64 s[22:23], 0, v4
	v_cndmask_b32_e64 v4, 0, 1, s[26:27]
	s_add_i32 s26, s16, s31
	s_and_b64 s[16:17], s[28:29], s[46:47]
	s_bcnt1_i32_b64 s35, s[40:41]
	s_add_i32 s36, s52, s53
	s_bcnt1_i32_b64 s27, s[24:25]
	v_cmp_ne_u32_e64 s[24:25], 0, v5
	v_cndmask_b32_e64 v5, 0, 1, s[16:17]
	s_add_i32 s11, s11, s34
	s_bcnt1_i32_b64 s16, s[18:19]
	v_cmp_ne_u32_e64 s[18:19], 0, v2
	s_add_i32 s17, s36, s35
	s_bcnt1_i32_b64 s28, s[20:21]
	v_cmp_ne_u32_e64 s[20:21], 0, v3
	;; [unrolled: 3-line block ×4, first 2 shown]
	s_add_i32 s11, s11, s27
	s_bcnt1_i32_b64 s18, s[18:19]
	s_add_i32 s16, s17, s16
	s_bcnt1_i32_b64 s17, s[20:21]
	;; [unrolled: 2-line block ×4, first 2 shown]
	s_add_i32 s11, s11, s31
	s_add_i32 s52, s16, s18
	s_add_i32 s17, s19, s17
	s_add_i32 s16, s21, s20
	s_add_i32 s11, s11, s22
	s_or_b64 s[50:51], vcc, s[50:51]
	v_mov_b32_e32 v2, s52
	v_mov_b32_e32 v3, s17
	v_mov_b32_e32 v4, s16
	v_mov_b32_e32 v5, s11
	s_andn2_b64 exec, exec, s[50:51]
	s_cbranch_execnz .LBB85_42
; %bb.43:                               ;   in Loop: Header=BB85_6 Depth=1
	s_or_b64 exec, exec, s[50:51]
.LBB85_44:                              ;   in Loop: Header=BB85_6 Depth=1
	s_or_b64 exec, exec, s[48:49]
	v_mov_b32_e32 v17, 0
	s_and_saveexec_b64 s[16:17], s[14:15]
	s_cbranch_execz .LBB85_46
; %bb.45:                               ;   in Loop: Header=BB85_6 Depth=1
	global_load_dword v17, v[14:15], off
.LBB85_46:                              ;   in Loop: Header=BB85_6 Depth=1
	s_or_b64 exec, exec, s[16:17]
	s_mov_b64 s[16:17], 0
	s_mov_b64 s[80:81], 0
	s_and_saveexec_b64 s[20:21], s[14:15]
	s_cbranch_execz .LBB85_53
; %bb.47:                               ;   in Loop: Header=BB85_6 Depth=1
	s_and_b32 s5, s7, 0xfe
	s_mov_b64 s[22:23], 0
	v_mov_b32_e32 v10, v29
	v_mov_b32_e32 v18, v24
	s_branch .LBB85_49
.LBB85_48:                              ;   in Loop: Header=BB85_49 Depth=2
	s_or_b64 exec, exec, s[24:25]
	s_and_b64 s[10:11], exec, vcc
	s_waitcnt vmcnt(0)
	v_cmp_lt_i32_e32 vcc, -1, v17
	v_cndmask_b32_e32 v38, -1, v32, vcc
	v_xor_b32_e32 v38, v38, v17
	v_cmp_o_f32_e32 vcc, v17, v17
	v_cndmask_b32_e32 v17, -1, v38, vcc
	v_and_b32_e32 v38, v17, v34
	v_bfe_u32 v17, v17, s5, 2
	s_or_b64 s[22:23], s[10:11], s[22:23]
	v_cmp_eq_u32_e32 vcc, v38, v35
	v_cmp_eq_u32_e64 s[18:19], 0, v17
	s_and_b64 s[10:11], vcc, s[18:19]
	v_cndmask_b32_e64 v38, 0, 1, s[10:11]
	v_cmp_ne_u32_e64 s[18:19], 0, v38
	s_bcnt1_i32_b64 s10, s[18:19]
	v_cmp_eq_u32_e64 s[18:19], 1, v17
	v_add_u32_e32 v2, s10, v2
	s_and_b64 s[10:11], vcc, s[18:19]
	v_cndmask_b32_e64 v38, 0, 1, s[10:11]
	v_cmp_ne_u32_e64 s[18:19], 0, v38
	s_bcnt1_i32_b64 s10, s[18:19]
	v_cmp_eq_u32_e64 s[18:19], 2, v17
	v_add_u32_e32 v3, s10, v3
	s_and_b64 s[10:11], vcc, s[18:19]
	v_cndmask_b32_e64 v38, 0, 1, s[10:11]
	v_cmp_ne_u32_e64 s[18:19], 0, v38
	s_bcnt1_i32_b64 s10, s[18:19]
	v_cmp_eq_u32_e64 s[18:19], 3, v17
	v_add_u32_e32 v4, s10, v4
	s_and_b64 s[10:11], vcc, s[18:19]
	v_cndmask_b32_e64 v17, 0, 1, s[10:11]
	v_cmp_ne_u32_e32 vcc, 0, v17
	s_bcnt1_i32_b64 s10, vcc
	v_add_u32_e32 v5, s10, v5
	v_add_u32_e32 v10, s76, v10
	v_mov_b32_e32 v17, v37
	s_andn2_b64 exec, exec, s[22:23]
	s_cbranch_execz .LBB85_52
.LBB85_49:                              ;   Parent Loop BB85_6 Depth=1
                                        ; =>  This Inner Loop Header: Depth=2
	v_add_u32_e32 v18, s9, v18
	v_cmp_gt_u32_e64 s[18:19], s60, v18
	v_cmp_le_u32_e32 vcc, s60, v18
	v_mov_b32_e32 v37, 0
	s_and_saveexec_b64 s[24:25], s[18:19]
	s_cbranch_execz .LBB85_48
; %bb.50:                               ;   in Loop: Header=BB85_49 Depth=2
	v_lshlrev_b64 v[38:39], 2, v[10:11]
	v_mov_b32_e32 v37, s8
	v_add_co_u32_e64 v38, s[18:19], s33, v38
	v_addc_co_u32_e64 v39, s[18:19], v37, v39, s[18:19]
	global_load_dword v37, v[38:39], off
	s_branch .LBB85_48
.LBB85_51:                              ;   in Loop: Header=BB85_6 Depth=1
	s_mov_b64 s[80:81], 0
                                        ; implicit-def: $vgpr5
	s_cbranch_execnz .LBB85_54
	s_branch .LBB85_63
.LBB85_52:                              ;   in Loop: Header=BB85_6 Depth=1
	s_or_b64 exec, exec, s[22:23]
	s_mov_b64 s[80:81], exec
.LBB85_53:                              ;   in Loop: Header=BB85_6 Depth=1
	s_or_b64 exec, exec, s[20:21]
	s_and_b64 vcc, exec, s[16:17]
	s_cbranch_vccz .LBB85_63
.LBB85_54:                              ;   in Loop: Header=BB85_6 Depth=1
	v_readlane_b32 s5, v54, 46
	s_mul_hi_u32 s5, s4, s5
	s_mul_i32 s5, s5, s77
	s_sub_i32 s5, s4, s5
	s_sub_i32 s10, s5, s77
	s_cmp_ge_u32 s5, s77
	s_cselect_b32 s5, s10, s5
	s_sub_i32 s10, s5, s77
	s_cmp_ge_u32 s5, s77
	s_cselect_b32 s5, s10, s5
	s_sub_i32 s5, s4, s5
	v_cmp_gt_u32_e32 vcc, s5, v20
	s_mov_b32 s11, 0
	s_waitcnt vmcnt(0)
	v_mov_b32_e32 v2, 0
	v_mov_b32_e32 v3, 0
	;; [unrolled: 1-line block ×4, first 2 shown]
	s_and_saveexec_b64 s[82:83], vcc
	s_cbranch_execz .LBB85_58
; %bb.55:                               ;   in Loop: Header=BB85_6 Depth=1
	s_and_b32 s10, s7, 0xfe
	s_mov_b64 s[16:17], 0
	v_mov_b32_e32 v10, v30
	s_mov_b32 s62, 0
	s_mov_b32 s63, 0
	;; [unrolled: 1-line block ×3, first 2 shown]
	v_mov_b32_e32 v17, v20
.LBB85_56:                              ;   Parent Loop BB85_6 Depth=1
                                        ; =>  This Inner Loop Header: Depth=2
	ds_read_b128 v[2:5], v10
	v_add_u32_e32 v17, s77, v17
	v_cmp_le_u32_e32 vcc, s5, v17
	v_add_u32_e32 v10, s6, v10
	s_waitcnt lgkmcnt(0)
	v_cmp_lt_i32_e64 s[18:19], -1, v2
	v_cndmask_b32_e64 v18, -1, v32, s[18:19]
	v_cmp_lt_i32_e64 s[18:19], -1, v3
	v_cndmask_b32_e64 v37, -1, v32, s[18:19]
	;; [unrolled: 2-line block ×4, first 2 shown]
	v_xor_b32_e32 v37, v37, v3
	v_cmp_o_f32_e64 s[18:19], v3, v3
	v_xor_b32_e32 v3, v38, v4
	v_cmp_o_f32_e64 s[20:21], v4, v4
	;; [unrolled: 2-line block ×4, first 2 shown]
	v_cndmask_b32_e64 v2, -1, v5, s[24:25]
	v_cndmask_b32_e64 v5, -1, v37, s[18:19]
	v_and_b32_e32 v18, v2, v34
	v_bfe_u32 v2, v2, s10, 2
	v_cndmask_b32_e64 v3, -1, v3, s[20:21]
	v_and_b32_e32 v37, v5, v34
	v_bfe_u32 v5, v5, s10, 2
	v_cmp_eq_u32_e64 s[18:19], v18, v35
	v_cmp_eq_u32_e64 s[26:27], 0, v2
	v_cndmask_b32_e64 v4, -1, v4, s[22:23]
	v_and_b32_e32 v38, v3, v34
	v_bfe_u32 v3, v3, s10, 2
	v_cmp_eq_u32_e64 s[20:21], v37, v35
	v_cmp_eq_u32_e64 s[28:29], 0, v5
	s_and_b64 s[26:27], s[18:19], s[26:27]
	v_and_b32_e32 v39, v4, v34
	v_bfe_u32 v4, v4, s10, 2
	v_cmp_eq_u32_e64 s[22:23], v38, v35
	v_cmp_eq_u32_e64 s[30:31], 0, v3
	;; [unrolled: 1-line block ×5, first 2 shown]
	v_cndmask_b32_e64 v2, 0, 1, s[26:27]
	s_and_b64 s[26:27], s[20:21], s[28:29]
	v_cmp_eq_u32_e64 s[24:25], v39, v35
	v_cmp_eq_u32_e64 s[34:35], 0, v4
	;; [unrolled: 1-line block ×5, first 2 shown]
	v_cndmask_b32_e64 v3, 0, 1, s[26:27]
	s_and_b64 s[26:27], s[22:23], s[30:31]
	v_cmp_eq_u32_e64 s[42:43], 1, v4
	v_cmp_eq_u32_e64 s[50:51], 2, v4
	;; [unrolled: 1-line block ×3, first 2 shown]
	v_cndmask_b32_e64 v4, 0, 1, s[26:27]
	s_and_b64 s[26:27], s[24:25], s[34:35]
	v_cmp_eq_u32_e64 s[38:39], 1, v5
	v_cmp_eq_u32_e64 s[46:47], 2, v5
	;; [unrolled: 1-line block ×3, first 2 shown]
	v_cndmask_b32_e64 v5, 0, 1, s[26:27]
	s_and_b64 s[26:27], s[18:19], s[36:37]
	v_cndmask_b32_e64 v18, 0, 1, s[26:27]
	s_and_b64 s[26:27], s[20:21], s[38:39]
	;; [unrolled: 2-line block ×5, first 2 shown]
	s_and_b64 s[18:19], s[18:19], s[52:53]
	v_cndmask_b32_e64 v40, 0, 1, s[26:27]
	s_and_b64 s[26:27], s[20:21], s[46:47]
	v_cndmask_b32_e64 v44, 0, 1, s[18:19]
	;; [unrolled: 2-line block ×7, first 2 shown]
	v_cndmask_b32_e64 v47, 0, 1, s[18:19]
	v_cmp_ne_u32_e64 s[18:19], 0, v2
	v_cmp_ne_u32_e64 s[20:21], 0, v3
	;; [unrolled: 1-line block ×11, first 2 shown]
	s_bcnt1_i32_b64 s18, s[18:19]
	s_bcnt1_i32_b64 s19, s[20:21]
	;; [unrolled: 1-line block ×8, first 2 shown]
	v_cmp_ne_u32_e64 s[34:35], 0, v39
	v_cmp_ne_u32_e64 s[40:41], 0, v42
	;; [unrolled: 1-line block ×3, first 2 shown]
	s_bcnt1_i32_b64 s23, s[28:29]
	s_bcnt1_i32_b64 s27, s[38:39]
	s_bcnt1_i32_b64 s31, s[46:47]
	s_add_i32 s18, s72, s18
	s_add_i32 s22, s63, s22
	;; [unrolled: 1-line block ×4, first 2 shown]
	v_cmp_ne_u32_e64 s[42:43], 0, v43
	v_cmp_ne_u32_e64 s[50:51], 0, v47
	s_bcnt1_i32_b64 s25, s[34:35]
	s_bcnt1_i32_b64 s28, s[40:41]
	;; [unrolled: 1-line block ×3, first 2 shown]
	s_add_i32 s18, s18, s19
	s_add_i32 s19, s22, s23
	;; [unrolled: 1-line block ×4, first 2 shown]
	s_bcnt1_i32_b64 s29, s[42:43]
	s_bcnt1_i32_b64 s35, s[50:51]
	s_add_i32 s18, s18, s20
	s_add_i32 s19, s19, s24
	;; [unrolled: 1-line block ×8, first 2 shown]
	s_or_b64 s[16:17], vcc, s[16:17]
	v_mov_b32_e32 v2, s72
	v_mov_b32_e32 v3, s63
	;; [unrolled: 1-line block ×4, first 2 shown]
	s_andn2_b64 exec, exec, s[16:17]
	s_cbranch_execnz .LBB85_56
; %bb.57:                               ;   in Loop: Header=BB85_6 Depth=1
	s_or_b64 exec, exec, s[16:17]
.LBB85_58:                              ;   in Loop: Header=BB85_6 Depth=1
	s_or_b64 exec, exec, s[82:83]
	v_add_u32_e32 v10, s5, v0
	v_cmp_gt_u32_e32 vcc, s4, v10
	s_and_saveexec_b64 s[16:17], vcc
	s_cbranch_execz .LBB85_62
; %bb.59:                               ;   in Loop: Header=BB85_6 Depth=1
	s_and_b32 s5, s7, 0xfe
	v_lshlrev_b32_e32 v17, 2, v10
	s_mov_b64 s[28:29], 0
.LBB85_60:                              ;   Parent Loop BB85_6 Depth=1
                                        ; =>  This Inner Loop Header: Depth=2
	ds_read_b32 v18, v17
	v_add_u32_e32 v10, s9, v10
	v_cmp_le_u32_e32 vcc, s4, v10
	v_add_u32_e32 v17, s77, v17
	s_waitcnt lgkmcnt(0)
	v_cmp_lt_i32_e64 s[18:19], -1, v18
	v_cndmask_b32_e64 v37, -1, v32, s[18:19]
	v_xor_b32_e32 v37, v37, v18
	v_cmp_o_f32_e64 s[18:19], v18, v18
	v_cndmask_b32_e64 v18, -1, v37, s[18:19]
	v_and_b32_e32 v37, v18, v34
	v_bfe_u32 v18, v18, s5, 2
	v_cmp_eq_u32_e64 s[18:19], v37, v35
	v_cmp_eq_u32_e64 s[20:21], 0, v18
	;; [unrolled: 1-line block ×3, first 2 shown]
	s_and_b64 s[10:11], s[18:19], s[20:21]
	v_cmp_eq_u32_e64 s[24:25], 2, v18
	v_cmp_eq_u32_e64 s[26:27], 3, v18
	v_cndmask_b32_e64 v18, 0, 1, s[10:11]
	s_and_b64 s[10:11], s[18:19], s[22:23]
	v_cndmask_b32_e64 v37, 0, 1, s[10:11]
	s_and_b64 s[10:11], s[18:19], s[24:25]
	;; [unrolled: 2-line block ×3, first 2 shown]
	v_cndmask_b32_e64 v39, 0, 1, s[10:11]
	v_cmp_ne_u32_e64 s[18:19], 0, v18
	v_cmp_ne_u32_e64 s[20:21], 0, v37
	;; [unrolled: 1-line block ×4, first 2 shown]
	s_bcnt1_i32_b64 s10, s[18:19]
	s_bcnt1_i32_b64 s11, s[20:21]
	s_bcnt1_i32_b64 s18, s[22:23]
	s_bcnt1_i32_b64 s19, s[24:25]
	v_add_u32_e32 v2, s10, v2
	v_add_u32_e32 v3, s11, v3
	;; [unrolled: 1-line block ×3, first 2 shown]
	s_or_b64 s[28:29], vcc, s[28:29]
	v_add_u32_e32 v5, s19, v5
	s_andn2_b64 exec, exec, s[28:29]
	s_cbranch_execnz .LBB85_60
; %bb.61:                               ;   in Loop: Header=BB85_6 Depth=1
	s_or_b64 exec, exec, s[28:29]
	s_or_b64 s[80:81], s[80:81], exec
.LBB85_62:                              ;   in Loop: Header=BB85_6 Depth=1
	s_or_b64 exec, exec, s[16:17]
.LBB85_63:                              ;   in Loop: Header=BB85_6 Depth=1
	s_and_saveexec_b64 s[16:17], s[80:81]
	s_or_b64 exec, exec, s[16:17]
	s_lshl_b32 s4, s78, 6
	s_and_saveexec_b64 s[16:17], s[0:1]
	s_cbranch_execz .LBB85_65
; %bb.64:                               ;   in Loop: Header=BB85_6 Depth=1
	v_or_b32_e32 v10, s4, v22
	v_lshlrev_b32_e32 v10, 2, v10
	s_waitcnt vmcnt(0)
	ds_write_b128 v10, v[2:5] offset:3072
.LBB85_65:                              ;   in Loop: Header=BB85_6 Depth=1
	s_or_b64 exec, exec, s[16:17]
	s_waitcnt lgkmcnt(0)
	s_barrier
	s_and_saveexec_b64 s[16:17], s[74:75]
	s_cbranch_execz .LBB85_79
; %bb.66:                               ;   in Loop: Header=BB85_6 Depth=1
	v_readlane_b32 s10, v54, 25
	v_readlane_b32 s11, v54, 26
	v_add_u32_e32 v4, s4, v1
	s_andn2_b64 vcc, exec, s[10:11]
	s_waitcnt vmcnt(0)
	v_mov_b32_e32 v2, 0
	s_cbranch_vccnz .LBB85_78
; %bb.67:                               ;   in Loop: Header=BB85_6 Depth=1
	v_readlane_b32 s10, v54, 30
	v_readlane_b32 s11, v54, 31
	s_mov_b32 s5, 0
	s_and_b64 vcc, exec, s[10:11]
	v_mov_b32_e32 v2, 0
	s_cbranch_vccz .LBB85_71
; %bb.68:                               ;   in Loop: Header=BB85_6 Depth=1
	v_readlane_b32 s10, v54, 36
	v_readlane_b32 s18, v54, 17
	;; [unrolled: 1-line block ×3, first 2 shown]
	v_lshl_add_u32 v5, v4, 2, v33
	v_readlane_b32 s19, v54, 18
	s_andn2_b64 vcc, exec, s[10:11]
	s_cbranch_vccnz .LBB85_72
; %bb.69:                               ;   in Loop: Header=BB85_6 Depth=1
	v_writelane_b32 v54, s18, 17
	v_writelane_b32 v54, s19, 18
	s_mov_b32 s19, 1
	s_mov_b32 s18, 0
	v_mov_b32_e32 v2, 0
	v_readlane_b32 s5, v54, 38
	v_mov_b32_e32 v3, 0
.LBB85_70:                              ;   Parent Loop BB85_6 Depth=1
                                        ; =>  This Inner Loop Header: Depth=2
	v_lshl_add_u32 v10, s18, 4, v5
	v_lshl_add_u32 v17, s19, 4, v5
	ds_read2_b32 v[38:39], v10 offset1:8
	ds_read2_b32 v[40:41], v17 offset1:8
	ds_read2_b32 v[42:43], v10 offset0:16 offset1:24
	ds_read2_b32 v[44:45], v17 offset0:16 offset1:24
	ds_read2_b32 v[46:47], v10 offset0:32 offset1:40
	ds_read2_b32 v[48:49], v17 offset0:32 offset1:40
	ds_read2_b32 v[50:51], v10 offset0:48 offset1:56
	ds_read2_b32 v[52:53], v17 offset0:48 offset1:56
	s_waitcnt lgkmcnt(7)
	v_add3_u32 v2, v38, v2, v39
	s_waitcnt lgkmcnt(6)
	v_add3_u32 v3, v40, v3, v41
	;; [unrolled: 2-line block ×3, first 2 shown]
	v_add3_u32 v2, v42, v2, v43
	s_add_i32 s19, s19, 16
	s_add_i32 s18, s18, 16
	s_add_i32 s5, s5, -8
	s_waitcnt lgkmcnt(3)
	v_add3_u32 v2, v46, v2, v47
	s_waitcnt lgkmcnt(2)
	v_add3_u32 v3, v48, v3, v49
	s_cmp_lg_u32 s5, 0
	s_waitcnt lgkmcnt(0)
	v_add3_u32 v3, v52, v3, v53
	v_add3_u32 v2, v50, v2, v51
	s_cbranch_scc1 .LBB85_70
	s_branch .LBB85_73
.LBB85_71:                              ;   in Loop: Header=BB85_6 Depth=1
	s_cbranch_execnz .LBB85_76
	s_branch .LBB85_78
.LBB85_72:                              ;   in Loop: Header=BB85_6 Depth=1
	s_mov_b32 s10, s18
	s_mov_b32 s19, s18
	v_writelane_b32 v54, s10, 17
	v_pk_mov_b32 v[2:3], s[18:19], s[18:19] op_sel:[0,1]
	s_mov_b32 s19, 1
	v_writelane_b32 v54, s11, 18
.LBB85_73:                              ;   in Loop: Header=BB85_6 Depth=1
	v_readlane_b32 s10, v54, 40
	v_readlane_b32 s11, v54, 41
	s_andn2_b64 vcc, exec, s[10:11]
	v_readlane_b32 s5, v54, 39
	s_cbranch_vccnz .LBB85_75
.LBB85_74:                              ;   Parent Loop BB85_6 Depth=1
                                        ; =>  This Inner Loop Header: Depth=2
	v_lshl_add_u32 v10, s18, 4, v5
	v_lshl_add_u32 v17, s19, 4, v5
	ds_read_b32 v17, v17
	ds_read_b32 v10, v10
	s_add_i32 s19, s19, 2
	s_add_i32 s18, s18, 2
	s_add_i32 s5, s5, -1
	s_cmp_lg_u32 s5, 0
	s_waitcnt lgkmcnt(1)
	v_add_u32_e32 v3, v17, v3
	s_waitcnt lgkmcnt(0)
	v_add_u32_e32 v2, v10, v2
	s_cbranch_scc1 .LBB85_74
.LBB85_75:                              ;   in Loop: Header=BB85_6 Depth=1
	v_readlane_b32 s18, v54, 44
	v_add_u32_e32 v2, v2, v3
	v_readlane_b32 s5, v54, 43
	v_readlane_b32 s19, v54, 45
	s_and_b64 vcc, exec, s[18:19]
	s_cbranch_vccz .LBB85_78
.LBB85_76:                              ;   in Loop: Header=BB85_6 Depth=1
	s_lshl_b32 s10, s78, 8
	s_lshl_b32 s11, s5, 4
	s_add_i32 s10, s10, s11
	v_add_u32_e32 v3, s10, v31
	v_readlane_b32 s10, v54, 42
	s_sub_i32 s5, s10, s5
.LBB85_77:                              ;   Parent Loop BB85_6 Depth=1
                                        ; =>  This Inner Loop Header: Depth=2
	ds_read_b32 v5, v3
	s_add_i32 s5, s5, -1
	v_add_u32_e32 v3, 16, v3
	s_cmp_eq_u32 s5, 0
	s_waitcnt lgkmcnt(0)
	v_add_u32_e32 v2, v5, v2
	s_cbranch_scc0 .LBB85_77
.LBB85_78:                              ;   in Loop: Header=BB85_6 Depth=1
	v_lshlrev_b32_e32 v3, 2, v4
	ds_write_b32 v3, v2 offset:3072
.LBB85_79:                              ;   in Loop: Header=BB85_6 Depth=1
	s_or_b64 exec, exec, s[16:17]
	s_lshl_b32 s4, s4, 2
	s_waitcnt vmcnt(0)
	v_mov_b32_e32 v2, s4
	s_waitcnt lgkmcnt(0)
	s_barrier
	ds_read_b128 v[2:5], v2 offset:3072
	s_and_b32 s10, s7, 0xfe
	v_readlane_b32 s16, v54, 21
	s_lshl_b32 s72, 3, s10
	v_readlane_b32 s17, v54, 22
	s_waitcnt lgkmcnt(0)
	v_readfirstlane_b32 s73, v2
	v_readfirstlane_b32 s4, v3
	;; [unrolled: 1-line block ×4, first 2 shown]
	s_not_b32 s5, s72
	s_andn2_b64 vcc, exec, s[16:17]
	v_cmp_eq_u32_e64 s[18:19], 1, v36
	s_cbranch_vccnz .LBB85_92
; %bb.80:                               ;   in Loop: Header=BB85_6 Depth=1
	s_cmp_eq_u32 s73, 1
	s_cselect_b64 s[16:17], -1, 0
	s_and_b64 s[36:37], s[16:17], s[18:19]
	s_mov_b64 s[38:39], -1
	v_mov_b32_e32 v4, v35
	v_mov_b32_e32 v5, v34
	;; [unrolled: 1-line block ×3, first 2 shown]
                                        ; implicit-def: $sgpr22_sgpr23
                                        ; implicit-def: $sgpr28_sgpr29
                                        ; implicit-def: $sgpr26_sgpr27
	s_and_saveexec_b64 s[16:17], s[36:37]
	s_cbranch_execz .LBB85_108
; %bb.81:                               ;   in Loop: Header=BB85_6 Depth=1
	ds_read_b32 v2, v11 offset:4096
	s_waitcnt lgkmcnt(0)
	s_barrier
	v_readfirstlane_b32 s28, v2
	s_mov_b64 s[20:21], exec
	v_readlane_b32 s22, v54, 34
	v_readlane_b32 s23, v54, 35
	s_and_b64 s[22:23], s[20:21], s[22:23]
	s_mov_b64 exec, s[22:23]
	s_cbranch_execz .LBB85_83
; %bb.82:                               ;   in Loop: Header=BB85_6 Depth=1
	ds_write_b32 v23, v11
.LBB85_83:                              ;   in Loop: Header=BB85_6 Depth=1
	s_or_b64 exec, exec, s[20:21]
	v_and_b32_e32 v4, s5, v35
	v_or_b32_e32 v5, s72, v34
	s_cmp_eq_u32 s28, 0
	s_waitcnt lgkmcnt(0)
	s_barrier
	s_cbranch_scc1 .LBB85_94
; %bb.84:                               ;   in Loop: Header=BB85_6 Depth=1
	v_readlane_b32 s20, v54, 27
	s_add_i32 s20, s28, s20
	v_readlane_b32 s21, v54, 49
	s_mul_hi_u32 s21, s20, s21
	s_mul_i32 s21, s21, s9
	s_sub_i32 s21, s20, s21
	s_sub_i32 s22, s21, s9
	s_cmp_ge_u32 s21, s9
	s_cselect_b32 s21, s22, s21
	s_sub_i32 s22, s21, s9
	s_cmp_ge_u32 s21, s9
	s_cselect_b32 s21, s22, s21
	s_sub_i32 s29, s20, s21
	v_cmp_gt_u32_e32 vcc, s29, v0
	s_mov_b64 s[20:21], 0
                                        ; implicit-def: $vgpr3
	s_and_saveexec_b64 s[22:23], vcc
	s_cbranch_execz .LBB85_96
; %bb.85:                               ;   in Loop: Header=BB85_6 Depth=1
	s_mov_b64 s[24:25], 0
	v_mov_b32_e32 v10, v20
	v_mov_b32_e32 v18, v0
                                        ; implicit-def: $sgpr26_sgpr27
	s_branch .LBB85_87
.LBB85_86:                              ;   in Loop: Header=BB85_87 Depth=2
	s_or_b64 exec, exec, s[20:21]
	s_waitcnt lgkmcnt(0)
	s_barrier
	ds_read_b64 v[2:3], v11 offset:3072
	v_add_u32_e32 v18, s9, v18
	v_cmp_le_u32_e64 s[20:21], s29, v18
	v_add_u32_e32 v10, s77, v10
	s_waitcnt lgkmcnt(0)
	v_cmp_neq_f32_e32 vcc, 0, v2
	s_or_b64 s[20:21], s[20:21], vcc
	s_and_b64 s[20:21], exec, s[20:21]
	s_or_b64 s[24:25], s[20:21], s[24:25]
	s_andn2_b64 s[20:21], s[26:27], exec
	s_and_b64 s[26:27], vcc, exec
	s_or_b64 s[26:27], s[20:21], s[26:27]
	s_barrier
	s_andn2_b64 exec, exec, s[24:25]
	s_cbranch_execz .LBB85_95
.LBB85_87:                              ;   Parent Loop BB85_6 Depth=1
                                        ; =>  This Inner Loop Header: Depth=2
	v_cmp_gt_u32_e32 vcc, s28, v18
	v_mov_b32_e32 v17, 0
	s_and_saveexec_b64 s[20:21], vcc
	s_cbranch_execz .LBB85_89
; %bb.88:                               ;   in Loop: Header=BB85_87 Depth=2
	ds_read_b32 v17, v10
.LBB85_89:                              ;   in Loop: Header=BB85_87 Depth=2
	s_or_b64 exec, exec, s[20:21]
	s_and_saveexec_b64 s[20:21], vcc
	s_cbranch_execz .LBB85_86
; %bb.90:                               ;   in Loop: Header=BB85_87 Depth=2
	s_waitcnt lgkmcnt(0)
	v_cmp_lt_i32_e32 vcc, -1, v17
	v_cndmask_b32_e32 v2, -1, v32, vcc
	v_xor_b32_e32 v2, v2, v17
	v_cmp_o_f32_e32 vcc, v17, v17
	v_cndmask_b32_e32 v2, -1, v2, vcc
	v_and_b32_e32 v2, v2, v5
	v_cmp_eq_u32_e32 vcc, v2, v4
	s_and_b64 exec, exec, vcc
	s_cbranch_execz .LBB85_86
; %bb.91:                               ;   in Loop: Header=BB85_87 Depth=2
	ds_write_b64 v11, v[16:17] offset:3072
	s_branch .LBB85_86
.LBB85_92:                              ;   in Loop: Header=BB85_6 Depth=1
	s_mov_b64 s[24:25], 0
	s_mov_b64 s[20:21], 0
                                        ; implicit-def: $sgpr26_sgpr27
                                        ; implicit-def: $sgpr28_sgpr29
                                        ; implicit-def: $sgpr22_sgpr23
                                        ; implicit-def: $vgpr2
                                        ; implicit-def: $vgpr37
                                        ; implicit-def: $vgpr4
                                        ; implicit-def: $vgpr5
                                        ; implicit-def: $vgpr3
	s_cbranch_execnz .LBB85_244
.LBB85_93:                              ;   in Loop: Header=BB85_6 Depth=1
	s_mov_b64 s[30:31], s[22:23]
	s_mov_b64 s[34:35], s[22:23]
	s_and_saveexec_b64 s[16:17], s[24:25]
	s_cbranch_execnz .LBB85_406
	s_branch .LBB85_407
.LBB85_94:                              ;   in Loop: Header=BB85_6 Depth=1
	s_mov_b64 s[22:23], -1
	s_mov_b64 s[20:21], 0
                                        ; implicit-def: $sgpr26_sgpr27
                                        ; implicit-def: $vgpr3
	s_mov_b64 s[28:29], s[22:23]
	s_cbranch_execnz .LBB85_97
	s_branch .LBB85_107
.LBB85_95:                              ;   in Loop: Header=BB85_6 Depth=1
	s_or_b64 exec, exec, s[24:25]
	s_and_b64 s[20:21], s[26:27], exec
.LBB85_96:                              ;   in Loop: Header=BB85_6 Depth=1
	s_or_b64 exec, exec, s[22:23]
	s_mov_b64 s[26:27], -1
	s_mov_b64 s[22:23], 0
	s_mov_b64 s[28:29], s[22:23]
	s_branch .LBB85_107
.LBB85_97:                              ;   in Loop: Header=BB85_6 Depth=1
	s_mov_b64 s[20:21], 0
                                        ; implicit-def: $vgpr3
	s_mov_b64 s[22:23], exec
	v_readlane_b32 s24, v54, 50
	v_readlane_b32 s25, v54, 51
	s_and_b64 s[24:25], s[22:23], s[24:25]
	s_mov_b64 exec, s[24:25]
	s_cbranch_execz .LBB85_106
; %bb.98:                               ;   in Loop: Header=BB85_6 Depth=1
	s_mov_b64 s[24:25], 0
	v_mov_b32_e32 v10, v12
	v_mov_b32_e32 v18, v0
                                        ; implicit-def: $sgpr26_sgpr27
	s_branch .LBB85_100
.LBB85_99:                              ;   in Loop: Header=BB85_100 Depth=2
	s_or_b64 exec, exec, s[20:21]
	s_waitcnt lgkmcnt(0)
	s_barrier
	ds_read_b64 v[2:3], v11 offset:3072
	v_add_u32_e32 v18, s9, v18
	v_cmp_le_u32_e64 s[20:21], s12, v18
	v_add_u32_e32 v10, s76, v10
	s_waitcnt lgkmcnt(0)
	v_cmp_neq_f32_e32 vcc, 0, v2
	s_or_b64 s[20:21], s[20:21], vcc
	s_and_b64 s[20:21], exec, s[20:21]
	s_or_b64 s[24:25], s[20:21], s[24:25]
	s_andn2_b64 s[20:21], s[26:27], exec
	s_and_b64 s[26:27], vcc, exec
	s_or_b64 s[26:27], s[20:21], s[26:27]
	s_barrier
	s_andn2_b64 exec, exec, s[24:25]
	s_cbranch_execz .LBB85_105
.LBB85_100:                             ;   Parent Loop BB85_6 Depth=1
                                        ; =>  This Inner Loop Header: Depth=2
	v_cmp_gt_u32_e32 vcc, s60, v18
	s_waitcnt vmcnt(0)
	v_mov_b32_e32 v17, 0
	s_and_saveexec_b64 s[28:29], vcc
	s_cbranch_execz .LBB85_102
; %bb.101:                              ;   in Loop: Header=BB85_100 Depth=2
	v_lshlrev_b64 v[2:3], 2, v[10:11]
	v_mov_b32_e32 v17, s8
	v_add_co_u32_e64 v2, s[20:21], s33, v2
	v_addc_co_u32_e64 v3, s[20:21], v17, v3, s[20:21]
	global_load_dword v17, v[2:3], off
.LBB85_102:                             ;   in Loop: Header=BB85_100 Depth=2
	s_or_b64 exec, exec, s[28:29]
	s_and_saveexec_b64 s[20:21], vcc
	s_cbranch_execz .LBB85_99
; %bb.103:                              ;   in Loop: Header=BB85_100 Depth=2
	s_waitcnt vmcnt(0)
	v_cmp_lt_i32_e32 vcc, -1, v17
	v_cndmask_b32_e32 v2, -1, v32, vcc
	v_xor_b32_e32 v2, v2, v17
	v_cmp_o_f32_e32 vcc, v17, v17
	v_cndmask_b32_e32 v2, -1, v2, vcc
	v_and_b32_e32 v2, v2, v5
	v_cmp_eq_u32_e32 vcc, v2, v4
	s_and_b64 exec, exec, vcc
	s_cbranch_execz .LBB85_99
; %bb.104:                              ;   in Loop: Header=BB85_100 Depth=2
	ds_write_b64 v11, v[16:17] offset:3072
	s_branch .LBB85_99
.LBB85_105:                             ;   in Loop: Header=BB85_6 Depth=1
	s_or_b64 exec, exec, s[24:25]
	s_and_b64 s[20:21], s[26:27], exec
.LBB85_106:                             ;   in Loop: Header=BB85_6 Depth=1
	s_or_b64 exec, exec, s[22:23]
	s_mov_b64 s[28:29], -1
	s_mov_b64 s[22:23], 0
	s_mov_b64 s[26:27], 0
.LBB85_107:                             ;   in Loop: Header=BB85_6 Depth=1
	s_orn2_b64 s[38:39], s[20:21], exec
.LBB85_108:                             ;   in Loop: Header=BB85_6 Depth=1
	s_or_b64 exec, exec, s[16:17]
	s_mov_b64 s[30:31], 0
	s_mov_b64 s[24:25], 0
	;; [unrolled: 1-line block ×3, first 2 shown]
                                        ; implicit-def: $vgpr2
                                        ; implicit-def: $vgpr37
	s_and_saveexec_b64 s[34:35], s[38:39]
	s_cbranch_execz .LBB85_243
; %bb.109:                              ;   in Loop: Header=BB85_6 Depth=1
	s_xor_b64 s[24:25], s[36:37], -1
	v_mov_b32_e32 v37, 1
	v_mov_b32_e32 v2, 1
	s_and_saveexec_b64 s[16:17], s[24:25]
	s_cbranch_execz .LBB85_119
; %bb.110:                              ;   in Loop: Header=BB85_6 Depth=1
	v_cmp_ge_u32_e32 vcc, s73, v36
                                        ; implicit-def: $sgpr36
                                        ; implicit-def: $sgpr20_sgpr21
	s_and_saveexec_b64 s[24:25], vcc
	s_xor_b64 s[24:25], exec, s[24:25]
	s_cbranch_execz .LBB85_116
; %bb.111:                              ;   in Loop: Header=BB85_6 Depth=1
	ds_read_b32 v2, v11 offset:4096
	s_waitcnt lgkmcnt(0)
	v_cmp_ne_u32_e32 vcc, 0, v2
	s_cbranch_vccnz .LBB85_115
; %bb.112:                              ;   in Loop: Header=BB85_6 Depth=1
	s_mov_b64 s[20:21], exec
	v_readlane_b32 s36, v54, 14
	v_readlane_b32 s37, v54, 15
	s_and_b64 s[36:37], s[20:21], s[36:37]
	s_mov_b64 exec, s[36:37]
	s_cbranch_execz .LBB85_114
; %bb.113:                              ;   in Loop: Header=BB85_6 Depth=1
	v_mov_b32_e32 v2, s73
	ds_write_b32 v11, v2 offset:4100
.LBB85_114:                             ;   in Loop: Header=BB85_6 Depth=1
	s_or_b64 exec, exec, s[20:21]
	s_waitcnt lgkmcnt(0)
	s_barrier
.LBB85_115:                             ;   in Loop: Header=BB85_6 Depth=1
	v_and_b32_e32 v4, s5, v4
	v_or_b32_e32 v5, s72, v5
	s_mov_b64 s[20:21], 0
	s_mov_b32 s36, 8
.LBB85_116:                             ;   in Loop: Header=BB85_6 Depth=1
	s_or_saveexec_b64 s[24:25], s[24:25]
	v_mov_b32_e32 v2, s36
	v_mov_b32_e32 v37, v36
	s_xor_b64 exec, exec, s[24:25]
; %bb.117:                              ;   in Loop: Header=BB85_6 Depth=1
	v_subrev_u32_e32 v37, s73, v36
	v_mov_b32_e32 v2, 0
	s_or_b64 s[20:21], s[20:21], exec
; %bb.118:                              ;   in Loop: Header=BB85_6 Depth=1
	s_or_b64 exec, exec, s[24:25]
	s_and_b64 s[20:21], s[20:21], exec
.LBB85_119:                             ;   in Loop: Header=BB85_6 Depth=1
	s_or_b64 exec, exec, s[16:17]
	s_mov_b64 s[38:39], -1
                                        ; implicit-def: $sgpr16_sgpr17
                                        ; implicit-def: $sgpr36_sgpr37
                                        ; implicit-def: $sgpr42_sgpr43
	s_and_saveexec_b64 s[24:25], s[20:21]
	s_xor_b64 s[24:25], exec, s[24:25]
	s_cbranch_execz .LBB85_240
; %bb.120:                              ;   in Loop: Header=BB85_6 Depth=1
	s_cmp_eq_u32 s4, 1
	s_cselect_b64 s[16:17], -1, 0
	v_cmp_eq_u32_e32 vcc, 1, v37
	s_and_b64 s[44:45], s[16:17], vcc
	s_mov_b64 s[46:47], -1
                                        ; implicit-def: $sgpr36_sgpr37
                                        ; implicit-def: $sgpr40_sgpr41
                                        ; implicit-def: $sgpr38_sgpr39
	s_and_saveexec_b64 s[16:17], s[44:45]
	s_cbranch_execz .LBB85_146
; %bb.121:                              ;   in Loop: Header=BB85_6 Depth=1
	ds_read_b32 v2, v11 offset:4096
	s_waitcnt lgkmcnt(0)
	s_barrier
	v_readfirstlane_b32 s42, v2
	s_mov_b64 s[20:21], exec
	v_readlane_b32 s36, v54, 34
	v_readlane_b32 s37, v54, 35
	s_and_b64 s[36:37], s[20:21], s[36:37]
	s_mov_b64 exec, s[36:37]
	s_cbranch_execz .LBB85_123
; %bb.122:                              ;   in Loop: Header=BB85_6 Depth=1
	ds_write_b32 v23, v11
.LBB85_123:                             ;   in Loop: Header=BB85_6 Depth=1
	s_or_b64 exec, exec, s[20:21]
	v_and_b32_e32 v2, s5, v4
	v_lshl_or_b32 v4, 1, s10, v2
	v_or_b32_e32 v5, s72, v5
	s_cmp_eq_u32 s42, 0
	s_waitcnt lgkmcnt(0)
	s_barrier
	s_cbranch_scc1 .LBB85_132
; %bb.124:                              ;   in Loop: Header=BB85_6 Depth=1
	v_readlane_b32 s20, v54, 27
	s_add_i32 s20, s42, s20
	v_readlane_b32 s21, v54, 49
	s_mul_hi_u32 s21, s20, s21
	s_mul_i32 s21, s21, s9
	s_sub_i32 s21, s20, s21
	s_sub_i32 s36, s21, s9
	s_cmp_ge_u32 s21, s9
	s_cselect_b32 s21, s36, s21
	s_sub_i32 s36, s21, s9
	s_cmp_ge_u32 s21, s9
	s_cselect_b32 s21, s36, s21
	s_sub_i32 s43, s20, s21
	v_cmp_gt_u32_e32 vcc, s43, v0
	s_mov_b64 s[20:21], 0
                                        ; implicit-def: $vgpr3
	s_and_saveexec_b64 s[36:37], vcc
	s_cbranch_execz .LBB85_134
; %bb.125:                              ;   in Loop: Header=BB85_6 Depth=1
	s_mov_b64 s[38:39], 0
	v_mov_b32_e32 v10, v20
	v_mov_b32_e32 v18, v0
                                        ; implicit-def: $sgpr40_sgpr41
	s_branch .LBB85_127
.LBB85_126:                             ;   in Loop: Header=BB85_127 Depth=2
	s_or_b64 exec, exec, s[20:21]
	s_waitcnt lgkmcnt(0)
	s_barrier
	ds_read_b64 v[2:3], v11 offset:3072
	v_add_u32_e32 v18, s9, v18
	v_cmp_le_u32_e64 s[20:21], s43, v18
	v_add_u32_e32 v10, s77, v10
	s_waitcnt lgkmcnt(0)
	v_cmp_neq_f32_e32 vcc, 0, v2
	s_or_b64 s[20:21], s[20:21], vcc
	s_and_b64 s[20:21], exec, s[20:21]
	s_or_b64 s[38:39], s[20:21], s[38:39]
	s_andn2_b64 s[20:21], s[40:41], exec
	s_and_b64 s[40:41], vcc, exec
	s_or_b64 s[40:41], s[20:21], s[40:41]
	s_barrier
	s_andn2_b64 exec, exec, s[38:39]
	s_cbranch_execz .LBB85_133
.LBB85_127:                             ;   Parent Loop BB85_6 Depth=1
                                        ; =>  This Inner Loop Header: Depth=2
	v_cmp_gt_u32_e32 vcc, s42, v18
	s_waitcnt vmcnt(0)
	v_mov_b32_e32 v17, 0
	s_and_saveexec_b64 s[20:21], vcc
	s_cbranch_execz .LBB85_129
; %bb.128:                              ;   in Loop: Header=BB85_127 Depth=2
	ds_read_b32 v17, v10
.LBB85_129:                             ;   in Loop: Header=BB85_127 Depth=2
	s_or_b64 exec, exec, s[20:21]
	s_and_saveexec_b64 s[20:21], vcc
	s_cbranch_execz .LBB85_126
; %bb.130:                              ;   in Loop: Header=BB85_127 Depth=2
	s_waitcnt lgkmcnt(0)
	v_cmp_lt_i32_e32 vcc, -1, v17
	v_cndmask_b32_e32 v2, -1, v32, vcc
	v_xor_b32_e32 v2, v2, v17
	v_cmp_o_f32_e32 vcc, v17, v17
	v_cndmask_b32_e32 v2, -1, v2, vcc
	v_and_b32_e32 v2, v2, v5
	v_cmp_eq_u32_e32 vcc, v2, v4
	s_and_b64 exec, exec, vcc
	s_cbranch_execz .LBB85_126
; %bb.131:                              ;   in Loop: Header=BB85_127 Depth=2
	ds_write_b64 v11, v[16:17] offset:3072
	s_branch .LBB85_126
.LBB85_132:                             ;   in Loop: Header=BB85_6 Depth=1
	s_mov_b64 s[36:37], -1
	s_mov_b64 s[20:21], 0
                                        ; implicit-def: $sgpr38_sgpr39
                                        ; implicit-def: $vgpr3
	s_mov_b64 s[40:41], s[36:37]
	s_cbranch_execnz .LBB85_135
	s_branch .LBB85_145
.LBB85_133:                             ;   in Loop: Header=BB85_6 Depth=1
	s_or_b64 exec, exec, s[38:39]
	s_and_b64 s[20:21], s[40:41], exec
.LBB85_134:                             ;   in Loop: Header=BB85_6 Depth=1
	s_or_b64 exec, exec, s[36:37]
	s_mov_b64 s[38:39], -1
	s_mov_b64 s[36:37], 0
	s_mov_b64 s[40:41], s[36:37]
	s_branch .LBB85_145
.LBB85_135:                             ;   in Loop: Header=BB85_6 Depth=1
	s_mov_b64 s[20:21], 0
                                        ; implicit-def: $vgpr3
	s_mov_b64 s[36:37], exec
	v_readlane_b32 s38, v54, 50
	v_readlane_b32 s39, v54, 51
	s_and_b64 s[38:39], s[36:37], s[38:39]
	s_mov_b64 exec, s[38:39]
	s_cbranch_execz .LBB85_144
; %bb.136:                              ;   in Loop: Header=BB85_6 Depth=1
	s_mov_b64 s[38:39], 0
	v_mov_b32_e32 v10, v12
	v_mov_b32_e32 v18, v0
                                        ; implicit-def: $sgpr40_sgpr41
	s_branch .LBB85_138
.LBB85_137:                             ;   in Loop: Header=BB85_138 Depth=2
	s_or_b64 exec, exec, s[20:21]
	s_waitcnt lgkmcnt(0)
	s_barrier
	ds_read_b64 v[2:3], v11 offset:3072
	v_add_u32_e32 v18, s9, v18
	v_cmp_le_u32_e64 s[20:21], s12, v18
	v_add_u32_e32 v10, s76, v10
	s_waitcnt lgkmcnt(0)
	v_cmp_neq_f32_e32 vcc, 0, v2
	s_or_b64 s[20:21], s[20:21], vcc
	s_and_b64 s[20:21], exec, s[20:21]
	s_or_b64 s[38:39], s[20:21], s[38:39]
	s_andn2_b64 s[20:21], s[40:41], exec
	s_and_b64 s[40:41], vcc, exec
	s_or_b64 s[40:41], s[20:21], s[40:41]
	s_barrier
	s_andn2_b64 exec, exec, s[38:39]
	s_cbranch_execz .LBB85_143
.LBB85_138:                             ;   Parent Loop BB85_6 Depth=1
                                        ; =>  This Inner Loop Header: Depth=2
	v_cmp_gt_u32_e32 vcc, s60, v18
	s_waitcnt vmcnt(0)
	v_mov_b32_e32 v17, 0
	s_and_saveexec_b64 s[42:43], vcc
	s_cbranch_execz .LBB85_140
; %bb.139:                              ;   in Loop: Header=BB85_138 Depth=2
	v_lshlrev_b64 v[2:3], 2, v[10:11]
	v_mov_b32_e32 v17, s8
	v_add_co_u32_e64 v2, s[20:21], s33, v2
	v_addc_co_u32_e64 v3, s[20:21], v17, v3, s[20:21]
	global_load_dword v17, v[2:3], off
.LBB85_140:                             ;   in Loop: Header=BB85_138 Depth=2
	s_or_b64 exec, exec, s[42:43]
	s_and_saveexec_b64 s[20:21], vcc
	s_cbranch_execz .LBB85_137
; %bb.141:                              ;   in Loop: Header=BB85_138 Depth=2
	s_waitcnt vmcnt(0)
	v_cmp_lt_i32_e32 vcc, -1, v17
	v_cndmask_b32_e32 v2, -1, v32, vcc
	v_xor_b32_e32 v2, v2, v17
	v_cmp_o_f32_e32 vcc, v17, v17
	v_cndmask_b32_e32 v2, -1, v2, vcc
	v_and_b32_e32 v2, v2, v5
	v_cmp_eq_u32_e32 vcc, v2, v4
	s_and_b64 exec, exec, vcc
	s_cbranch_execz .LBB85_137
; %bb.142:                              ;   in Loop: Header=BB85_138 Depth=2
	ds_write_b64 v11, v[16:17] offset:3072
	s_branch .LBB85_137
.LBB85_143:                             ;   in Loop: Header=BB85_6 Depth=1
	s_or_b64 exec, exec, s[38:39]
	s_and_b64 s[20:21], s[40:41], exec
.LBB85_144:                             ;   in Loop: Header=BB85_6 Depth=1
	s_or_b64 exec, exec, s[36:37]
	s_mov_b64 s[40:41], -1
	s_mov_b64 s[36:37], 0
	s_mov_b64 s[38:39], 0
.LBB85_145:                             ;   in Loop: Header=BB85_6 Depth=1
	s_orn2_b64 s[46:47], s[20:21], exec
.LBB85_146:                             ;   in Loop: Header=BB85_6 Depth=1
	s_or_b64 exec, exec, s[16:17]
	s_mov_b64 s[20:21], 0
                                        ; implicit-def: $vgpr2
	s_and_saveexec_b64 s[42:43], s[46:47]
	s_cbranch_execz .LBB85_239
; %bb.147:                              ;   in Loop: Header=BB85_6 Depth=1
	s_xor_b64 s[20:21], s[44:45], -1
	s_mov_b64 s[48:49], 0
	v_mov_b32_e32 v18, 1
	v_mov_b32_e32 v2, 1
	s_and_saveexec_b64 s[16:17], s[20:21]
	s_cbranch_execz .LBB85_157
; %bb.148:                              ;   in Loop: Header=BB85_6 Depth=1
	v_cmp_ge_u32_e32 vcc, s4, v37
                                        ; implicit-def: $sgpr46
                                        ; implicit-def: $sgpr20_sgpr21
	s_and_saveexec_b64 s[44:45], vcc
	s_xor_b64 s[44:45], exec, s[44:45]
	s_cbranch_execz .LBB85_154
; %bb.149:                              ;   in Loop: Header=BB85_6 Depth=1
	ds_read_b32 v2, v11 offset:4096
	s_waitcnt lgkmcnt(0)
	v_cmp_ne_u32_e32 vcc, 0, v2
	s_cbranch_vccnz .LBB85_153
; %bb.150:                              ;   in Loop: Header=BB85_6 Depth=1
	s_mov_b64 s[20:21], exec
	v_readlane_b32 s46, v54, 14
	v_readlane_b32 s47, v54, 15
	s_and_b64 s[46:47], s[20:21], s[46:47]
	s_mov_b64 exec, s[46:47]
	s_cbranch_execz .LBB85_152
; %bb.151:                              ;   in Loop: Header=BB85_6 Depth=1
	v_mov_b32_e32 v2, s4
	ds_write_b32 v11, v2 offset:4100
.LBB85_152:                             ;   in Loop: Header=BB85_6 Depth=1
	s_or_b64 exec, exec, s[20:21]
	s_waitcnt lgkmcnt(0)
	s_barrier
.LBB85_153:                             ;   in Loop: Header=BB85_6 Depth=1
	v_and_b32_e32 v2, s5, v4
	v_lshl_or_b32 v4, 1, s10, v2
	v_or_b32_e32 v5, s72, v5
	s_mov_b64 s[20:21], 0
	s_mov_b32 s46, 8
.LBB85_154:                             ;   in Loop: Header=BB85_6 Depth=1
	s_or_saveexec_b64 s[44:45], s[44:45]
	v_mov_b32_e32 v2, s46
	s_xor_b64 exec, exec, s[44:45]
; %bb.155:                              ;   in Loop: Header=BB85_6 Depth=1
	v_subrev_u32_e32 v37, s4, v37
	v_mov_b32_e32 v2, 0
	s_or_b64 s[20:21], s[20:21], exec
; %bb.156:                              ;   in Loop: Header=BB85_6 Depth=1
	s_or_b64 exec, exec, s[44:45]
	s_and_b64 s[48:49], s[20:21], exec
	v_mov_b32_e32 v18, v37
.LBB85_157:                             ;   in Loop: Header=BB85_6 Depth=1
	s_or_b64 exec, exec, s[16:17]
	s_mov_b64 s[16:17], -1
                                        ; implicit-def: $sgpr20_sgpr21
                                        ; implicit-def: $sgpr46_sgpr47
                                        ; implicit-def: $sgpr52_sgpr53
	s_and_saveexec_b64 s[44:45], s[48:49]
	s_cbranch_execz .LBB85_238
; %bb.158:                              ;   in Loop: Header=BB85_6 Depth=1
	s_cmp_eq_u32 s11, 1
	s_cselect_b64 s[16:17], -1, 0
	v_cmp_eq_u32_e32 vcc, 1, v18
	s_and_b64 s[54:55], s[16:17], vcc
	s_mov_b64 s[20:21], -1
                                        ; implicit-def: $sgpr46_sgpr47
                                        ; implicit-def: $sgpr50_sgpr51
                                        ; implicit-def: $sgpr48_sgpr49
	s_and_saveexec_b64 s[16:17], s[54:55]
	s_cbranch_execz .LBB85_184
; %bb.159:                              ;   in Loop: Header=BB85_6 Depth=1
	ds_read_b32 v2, v11 offset:4096
	s_waitcnt lgkmcnt(0)
	s_barrier
	v_readfirstlane_b32 s52, v2
	s_mov_b64 s[20:21], exec
	v_readlane_b32 s46, v54, 34
	v_readlane_b32 s47, v54, 35
	s_and_b64 s[46:47], s[20:21], s[46:47]
	s_mov_b64 exec, s[46:47]
	s_cbranch_execz .LBB85_161
; %bb.160:                              ;   in Loop: Header=BB85_6 Depth=1
	ds_write_b32 v23, v11
.LBB85_161:                             ;   in Loop: Header=BB85_6 Depth=1
	s_or_b64 exec, exec, s[20:21]
	v_and_b32_e32 v2, s5, v4
	v_lshl_or_b32 v4, 2, s10, v2
	v_or_b32_e32 v5, s72, v5
	s_cmp_eq_u32 s52, 0
	s_waitcnt lgkmcnt(0)
	s_barrier
	s_cbranch_scc1 .LBB85_170
; %bb.162:                              ;   in Loop: Header=BB85_6 Depth=1
	v_readlane_b32 s20, v54, 27
	s_add_i32 s20, s52, s20
	v_readlane_b32 s21, v54, 49
	s_mul_hi_u32 s21, s20, s21
	s_mul_i32 s21, s21, s9
	s_sub_i32 s21, s20, s21
	s_sub_i32 s46, s21, s9
	s_cmp_ge_u32 s21, s9
	s_cselect_b32 s21, s46, s21
	s_sub_i32 s46, s21, s9
	s_cmp_ge_u32 s21, s9
	s_cselect_b32 s21, s46, s21
	s_sub_i32 s53, s20, s21
	v_cmp_gt_u32_e32 vcc, s53, v0
	s_mov_b64 s[20:21], 0
                                        ; implicit-def: $vgpr3
	s_and_saveexec_b64 s[46:47], vcc
	s_cbranch_execz .LBB85_172
; %bb.163:                              ;   in Loop: Header=BB85_6 Depth=1
	s_mov_b64 s[48:49], 0
	v_mov_b32_e32 v10, v20
	v_mov_b32_e32 v37, v0
                                        ; implicit-def: $sgpr50_sgpr51
	s_branch .LBB85_165
.LBB85_164:                             ;   in Loop: Header=BB85_165 Depth=2
	s_or_b64 exec, exec, s[20:21]
	s_waitcnt lgkmcnt(0)
	s_barrier
	ds_read_b64 v[2:3], v11 offset:3072
	v_add_u32_e32 v37, s9, v37
	v_cmp_le_u32_e64 s[20:21], s53, v37
	v_add_u32_e32 v10, s77, v10
	s_waitcnt lgkmcnt(0)
	v_cmp_neq_f32_e32 vcc, 0, v2
	s_or_b64 s[20:21], s[20:21], vcc
	s_and_b64 s[20:21], exec, s[20:21]
	s_or_b64 s[48:49], s[20:21], s[48:49]
	s_andn2_b64 s[20:21], s[50:51], exec
	s_and_b64 s[50:51], vcc, exec
	s_or_b64 s[50:51], s[20:21], s[50:51]
	s_barrier
	s_andn2_b64 exec, exec, s[48:49]
	s_cbranch_execz .LBB85_171
.LBB85_165:                             ;   Parent Loop BB85_6 Depth=1
                                        ; =>  This Inner Loop Header: Depth=2
	v_cmp_gt_u32_e32 vcc, s52, v37
	s_waitcnt vmcnt(0)
	v_mov_b32_e32 v17, 0
	s_and_saveexec_b64 s[20:21], vcc
	s_cbranch_execz .LBB85_167
; %bb.166:                              ;   in Loop: Header=BB85_165 Depth=2
	ds_read_b32 v17, v10
.LBB85_167:                             ;   in Loop: Header=BB85_165 Depth=2
	s_or_b64 exec, exec, s[20:21]
	s_and_saveexec_b64 s[20:21], vcc
	s_cbranch_execz .LBB85_164
; %bb.168:                              ;   in Loop: Header=BB85_165 Depth=2
	s_waitcnt lgkmcnt(0)
	v_cmp_lt_i32_e32 vcc, -1, v17
	v_cndmask_b32_e32 v2, -1, v32, vcc
	v_xor_b32_e32 v2, v2, v17
	v_cmp_o_f32_e32 vcc, v17, v17
	v_cndmask_b32_e32 v2, -1, v2, vcc
	v_and_b32_e32 v2, v2, v5
	v_cmp_eq_u32_e32 vcc, v2, v4
	s_and_b64 exec, exec, vcc
	s_cbranch_execz .LBB85_164
; %bb.169:                              ;   in Loop: Header=BB85_165 Depth=2
	ds_write_b64 v11, v[16:17] offset:3072
	s_branch .LBB85_164
.LBB85_170:                             ;   in Loop: Header=BB85_6 Depth=1
	s_mov_b64 s[46:47], -1
	s_mov_b64 s[20:21], 0
                                        ; implicit-def: $sgpr48_sgpr49
                                        ; implicit-def: $vgpr3
	s_mov_b64 s[50:51], s[46:47]
	s_cbranch_execnz .LBB85_173
	s_branch .LBB85_183
.LBB85_171:                             ;   in Loop: Header=BB85_6 Depth=1
	s_or_b64 exec, exec, s[48:49]
	s_and_b64 s[20:21], s[50:51], exec
.LBB85_172:                             ;   in Loop: Header=BB85_6 Depth=1
	s_or_b64 exec, exec, s[46:47]
	s_mov_b64 s[48:49], -1
	s_mov_b64 s[46:47], 0
	s_mov_b64 s[50:51], s[46:47]
	s_branch .LBB85_183
.LBB85_173:                             ;   in Loop: Header=BB85_6 Depth=1
	s_mov_b64 s[20:21], 0
                                        ; implicit-def: $vgpr3
	s_mov_b64 s[46:47], exec
	v_readlane_b32 s48, v54, 50
	v_readlane_b32 s49, v54, 51
	s_and_b64 s[48:49], s[46:47], s[48:49]
	s_mov_b64 exec, s[48:49]
	s_cbranch_execz .LBB85_182
; %bb.174:                              ;   in Loop: Header=BB85_6 Depth=1
	s_mov_b64 s[48:49], 0
	v_mov_b32_e32 v10, v12
	v_mov_b32_e32 v37, v0
                                        ; implicit-def: $sgpr50_sgpr51
	s_branch .LBB85_176
.LBB85_175:                             ;   in Loop: Header=BB85_176 Depth=2
	s_or_b64 exec, exec, s[20:21]
	s_waitcnt lgkmcnt(0)
	s_barrier
	ds_read_b64 v[2:3], v11 offset:3072
	v_add_u32_e32 v37, s9, v37
	v_cmp_le_u32_e64 s[20:21], s12, v37
	v_add_u32_e32 v10, s76, v10
	s_waitcnt lgkmcnt(0)
	v_cmp_neq_f32_e32 vcc, 0, v2
	s_or_b64 s[20:21], s[20:21], vcc
	s_and_b64 s[20:21], exec, s[20:21]
	s_or_b64 s[48:49], s[20:21], s[48:49]
	s_andn2_b64 s[20:21], s[50:51], exec
	s_and_b64 s[50:51], vcc, exec
	s_or_b64 s[50:51], s[20:21], s[50:51]
	s_barrier
	s_andn2_b64 exec, exec, s[48:49]
	s_cbranch_execz .LBB85_181
.LBB85_176:                             ;   Parent Loop BB85_6 Depth=1
                                        ; =>  This Inner Loop Header: Depth=2
	v_cmp_gt_u32_e32 vcc, s60, v37
	s_waitcnt vmcnt(0)
	v_mov_b32_e32 v17, 0
	s_and_saveexec_b64 s[52:53], vcc
	s_cbranch_execz .LBB85_178
; %bb.177:                              ;   in Loop: Header=BB85_176 Depth=2
	v_lshlrev_b64 v[2:3], 2, v[10:11]
	v_mov_b32_e32 v17, s8
	v_add_co_u32_e64 v2, s[20:21], s33, v2
	v_addc_co_u32_e64 v3, s[20:21], v17, v3, s[20:21]
	global_load_dword v17, v[2:3], off
.LBB85_178:                             ;   in Loop: Header=BB85_176 Depth=2
	s_or_b64 exec, exec, s[52:53]
	s_and_saveexec_b64 s[20:21], vcc
	s_cbranch_execz .LBB85_175
; %bb.179:                              ;   in Loop: Header=BB85_176 Depth=2
	s_waitcnt vmcnt(0)
	v_cmp_lt_i32_e32 vcc, -1, v17
	v_cndmask_b32_e32 v2, -1, v32, vcc
	v_xor_b32_e32 v2, v2, v17
	v_cmp_o_f32_e32 vcc, v17, v17
	v_cndmask_b32_e32 v2, -1, v2, vcc
	v_and_b32_e32 v2, v2, v5
	v_cmp_eq_u32_e32 vcc, v2, v4
	s_and_b64 exec, exec, vcc
	s_cbranch_execz .LBB85_175
; %bb.180:                              ;   in Loop: Header=BB85_176 Depth=2
	ds_write_b64 v11, v[16:17] offset:3072
	s_branch .LBB85_175
.LBB85_181:                             ;   in Loop: Header=BB85_6 Depth=1
	s_or_b64 exec, exec, s[48:49]
	s_and_b64 s[20:21], s[50:51], exec
.LBB85_182:                             ;   in Loop: Header=BB85_6 Depth=1
	s_or_b64 exec, exec, s[46:47]
	s_mov_b64 s[50:51], -1
	s_mov_b64 s[46:47], 0
	s_mov_b64 s[48:49], 0
.LBB85_183:                             ;   in Loop: Header=BB85_6 Depth=1
	s_orn2_b64 s[20:21], s[20:21], exec
.LBB85_184:                             ;   in Loop: Header=BB85_6 Depth=1
	s_or_b64 exec, exec, s[16:17]
	s_mov_b64 s[16:17], 0
                                        ; implicit-def: $vgpr2
	s_and_saveexec_b64 s[52:53], s[20:21]
	s_cbranch_execz .LBB85_237
; %bb.185:                              ;   in Loop: Header=BB85_6 Depth=1
	s_xor_b64 s[20:21], s[54:55], -1
	s_mov_b64 s[56:57], 0
	v_mov_b32_e32 v37, 1
	v_mov_b32_e32 v2, 1
	s_and_saveexec_b64 s[16:17], s[20:21]
	s_cbranch_execz .LBB85_195
; %bb.186:                              ;   in Loop: Header=BB85_6 Depth=1
	v_cmp_ge_u32_e32 vcc, s11, v18
                                        ; implicit-def: $sgpr56
                                        ; implicit-def: $sgpr20_sgpr21
	s_and_saveexec_b64 s[54:55], vcc
	s_xor_b64 s[54:55], exec, s[54:55]
	s_cbranch_execz .LBB85_192
; %bb.187:                              ;   in Loop: Header=BB85_6 Depth=1
	ds_read_b32 v2, v11 offset:4096
	s_waitcnt lgkmcnt(0)
	v_cmp_ne_u32_e32 vcc, 0, v2
	s_cbranch_vccnz .LBB85_191
; %bb.188:                              ;   in Loop: Header=BB85_6 Depth=1
	s_mov_b64 s[20:21], exec
	v_readlane_b32 s56, v54, 14
	v_readlane_b32 s57, v54, 15
	s_and_b64 s[56:57], s[20:21], s[56:57]
	s_mov_b64 exec, s[56:57]
	s_cbranch_execz .LBB85_190
; %bb.189:                              ;   in Loop: Header=BB85_6 Depth=1
	v_mov_b32_e32 v2, s11
	ds_write_b32 v11, v2 offset:4100
.LBB85_190:                             ;   in Loop: Header=BB85_6 Depth=1
	s_or_b64 exec, exec, s[20:21]
	s_waitcnt lgkmcnt(0)
	s_barrier
.LBB85_191:                             ;   in Loop: Header=BB85_6 Depth=1
	v_and_b32_e32 v2, s5, v4
	v_lshl_or_b32 v4, 2, s10, v2
	v_or_b32_e32 v5, s72, v5
	s_mov_b64 s[20:21], 0
	s_mov_b32 s56, 8
.LBB85_192:                             ;   in Loop: Header=BB85_6 Depth=1
	s_or_saveexec_b64 s[54:55], s[54:55]
	v_mov_b32_e32 v2, s56
	s_xor_b64 exec, exec, s[54:55]
; %bb.193:                              ;   in Loop: Header=BB85_6 Depth=1
	v_subrev_u32_e32 v18, s11, v18
	v_mov_b32_e32 v2, 0
	s_or_b64 s[20:21], s[20:21], exec
; %bb.194:                              ;   in Loop: Header=BB85_6 Depth=1
	s_or_b64 exec, exec, s[54:55]
	s_and_b64 s[56:57], s[20:21], exec
	v_mov_b32_e32 v37, v18
.LBB85_195:                             ;   in Loop: Header=BB85_6 Depth=1
	s_or_b64 exec, exec, s[16:17]
	s_mov_b64 s[16:17], -1
                                        ; implicit-def: $sgpr20_sgpr21
                                        ; implicit-def: $sgpr80_sgpr81
                                        ; implicit-def: $sgpr58_sgpr59
	s_and_saveexec_b64 s[54:55], s[56:57]
	s_cbranch_execz .LBB85_236
; %bb.196:                              ;   in Loop: Header=BB85_6 Depth=1
	s_cmp_eq_u32 s62, 1
	s_cselect_b64 s[16:17], -1, 0
	v_cmp_eq_u32_e32 vcc, 1, v37
	s_mov_b64 s[82:83], -1
	s_and_b64 s[56:57], s[16:17], vcc
                                        ; implicit-def: $sgpr20_sgpr21
                                        ; implicit-def: $sgpr80_sgpr81
                                        ; implicit-def: $sgpr58_sgpr59
	s_mov_b64 s[16:17], exec
	v_writelane_b32 v54, s56, 53
	v_writelane_b32 v54, s57, 54
	s_and_b64 s[56:57], s[16:17], s[56:57]
	s_mov_b64 exec, s[56:57]
	s_cbranch_execz .LBB85_223
; %bb.197:                              ;   in Loop: Header=BB85_6 Depth=1
	ds_read_b32 v2, v11 offset:4096
	s_waitcnt lgkmcnt(0)
	s_barrier
	v_readfirstlane_b32 s63, v2
	s_mov_b64 s[20:21], exec
	v_readlane_b32 s56, v54, 34
	v_readlane_b32 s57, v54, 35
	s_and_b64 s[56:57], s[20:21], s[56:57]
	s_mov_b64 exec, s[56:57]
	s_cbranch_execz .LBB85_199
; %bb.198:                              ;   in Loop: Header=BB85_6 Depth=1
	ds_write_b32 v23, v11
.LBB85_199:                             ;   in Loop: Header=BB85_6 Depth=1
	s_or_b64 exec, exec, s[20:21]
	v_or_b32_e32 v4, s72, v4
	v_or_b32_e32 v5, s72, v5
	s_cmp_eq_u32 s63, 0
	s_waitcnt lgkmcnt(0)
	s_barrier
	s_cbranch_scc1 .LBB85_208
; %bb.200:                              ;   in Loop: Header=BB85_6 Depth=1
	v_readlane_b32 s20, v54, 27
	s_add_i32 s20, s63, s20
	v_readlane_b32 s21, v54, 49
	s_mul_hi_u32 s21, s20, s21
	s_mul_i32 s21, s21, s9
	s_sub_i32 s21, s20, s21
	s_sub_i32 s56, s21, s9
	s_cmp_ge_u32 s21, s9
	s_cselect_b32 s21, s56, s21
	s_sub_i32 s56, s21, s9
	s_cmp_ge_u32 s21, s9
	s_cselect_b32 s21, s56, s21
	s_sub_i32 s56, s20, s21
	s_mov_b64 s[82:83], 0
	v_cmp_gt_u32_e32 vcc, s56, v0
                                        ; implicit-def: $vgpr3
	s_mov_b64 s[20:21], exec
	v_writelane_b32 v54, s20, 55
	v_writelane_b32 v54, s21, 56
	s_and_b64 s[20:21], s[20:21], vcc
	s_mov_b64 exec, s[20:21]
	s_cbranch_execz .LBB85_210
; %bb.201:                              ;   in Loop: Header=BB85_6 Depth=1
	s_mov_b64 s[80:81], 0
	v_mov_b32_e32 v10, v20
	v_mov_b32_e32 v18, v0
                                        ; implicit-def: $sgpr82_sgpr83
	s_branch .LBB85_203
.LBB85_202:                             ;   in Loop: Header=BB85_203 Depth=2
	s_or_b64 exec, exec, s[20:21]
	s_waitcnt lgkmcnt(0)
	s_barrier
	ds_read_b64 v[2:3], v11 offset:3072
	v_add_u32_e32 v18, s9, v18
	v_cmp_le_u32_e64 s[20:21], s56, v18
	v_add_u32_e32 v10, s77, v10
	s_waitcnt lgkmcnt(0)
	v_cmp_neq_f32_e32 vcc, 0, v2
	s_or_b64 s[20:21], s[20:21], vcc
	s_and_b64 s[20:21], exec, s[20:21]
	s_or_b64 s[80:81], s[20:21], s[80:81]
	s_andn2_b64 s[20:21], s[82:83], exec
	s_and_b64 s[58:59], vcc, exec
	s_or_b64 s[82:83], s[20:21], s[58:59]
	s_barrier
	s_andn2_b64 exec, exec, s[80:81]
	s_cbranch_execz .LBB85_209
.LBB85_203:                             ;   Parent Loop BB85_6 Depth=1
                                        ; =>  This Inner Loop Header: Depth=2
	v_cmp_gt_u32_e32 vcc, s63, v18
	s_waitcnt vmcnt(0)
	v_mov_b32_e32 v17, 0
	s_and_saveexec_b64 s[20:21], vcc
	s_cbranch_execz .LBB85_205
; %bb.204:                              ;   in Loop: Header=BB85_203 Depth=2
	ds_read_b32 v17, v10
.LBB85_205:                             ;   in Loop: Header=BB85_203 Depth=2
	s_or_b64 exec, exec, s[20:21]
	s_and_saveexec_b64 s[20:21], vcc
	s_cbranch_execz .LBB85_202
; %bb.206:                              ;   in Loop: Header=BB85_203 Depth=2
	s_waitcnt lgkmcnt(0)
	v_cmp_lt_i32_e32 vcc, -1, v17
	v_cndmask_b32_e32 v2, -1, v32, vcc
	v_xor_b32_e32 v2, v2, v17
	v_cmp_o_f32_e32 vcc, v17, v17
	v_cndmask_b32_e32 v2, -1, v2, vcc
	v_and_b32_e32 v2, v2, v5
	v_cmp_eq_u32_e32 vcc, v2, v4
	s_and_b64 exec, exec, vcc
	s_cbranch_execz .LBB85_202
; %bb.207:                              ;   in Loop: Header=BB85_203 Depth=2
	ds_write_b64 v11, v[16:17] offset:3072
	s_branch .LBB85_202
.LBB85_208:                             ;   in Loop: Header=BB85_6 Depth=1
	s_mov_b64 s[20:21], -1
	s_mov_b64 s[82:83], 0
                                        ; implicit-def: $sgpr58_sgpr59
                                        ; implicit-def: $vgpr3
	s_branch .LBB85_211
.LBB85_209:                             ;   in Loop: Header=BB85_6 Depth=1
	s_or_b64 exec, exec, s[80:81]
	s_and_b64 s[82:83], s[82:83], exec
.LBB85_210:                             ;   in Loop: Header=BB85_6 Depth=1
	v_readlane_b32 s20, v54, 55
	v_readlane_b32 s21, v54, 56
	s_or_b64 exec, exec, s[20:21]
	s_mov_b64 s[58:59], -1
	s_mov_b64 s[20:21], 0
.LBB85_211:                             ;   in Loop: Header=BB85_6 Depth=1
	s_and_b64 vcc, exec, s[20:21]
	s_mov_b64 s[80:81], s[20:21]
	s_cbranch_vccz .LBB85_222
; %bb.212:                              ;   in Loop: Header=BB85_6 Depth=1
	s_mov_b64 s[82:83], 0
                                        ; implicit-def: $vgpr3
	s_mov_b64 s[56:57], exec
	v_readlane_b32 s20, v54, 50
	v_readlane_b32 s21, v54, 51
	v_writelane_b32 v54, s56, 57
	s_and_b64 s[20:21], s[56:57], s[20:21]
	v_writelane_b32 v54, s57, 58
	s_mov_b64 exec, s[20:21]
	s_cbranch_execz .LBB85_221
; %bb.213:                              ;   in Loop: Header=BB85_6 Depth=1
	s_mov_b64 s[80:81], 0
	v_mov_b32_e32 v10, v12
	v_mov_b32_e32 v18, v0
                                        ; implicit-def: $sgpr82_sgpr83
	s_branch .LBB85_215
.LBB85_214:                             ;   in Loop: Header=BB85_215 Depth=2
	s_or_b64 exec, exec, s[20:21]
	s_waitcnt lgkmcnt(0)
	s_barrier
	ds_read_b64 v[2:3], v11 offset:3072
	v_add_u32_e32 v18, s9, v18
	v_cmp_le_u32_e64 s[20:21], s12, v18
	v_add_u32_e32 v10, s76, v10
	s_waitcnt lgkmcnt(0)
	v_cmp_neq_f32_e32 vcc, 0, v2
	s_or_b64 s[20:21], s[20:21], vcc
	s_and_b64 s[20:21], exec, s[20:21]
	s_or_b64 s[80:81], s[20:21], s[80:81]
	s_andn2_b64 s[20:21], s[82:83], exec
	s_and_b64 s[56:57], vcc, exec
	s_or_b64 s[82:83], s[20:21], s[56:57]
	s_barrier
	s_andn2_b64 exec, exec, s[80:81]
	s_cbranch_execz .LBB85_220
.LBB85_215:                             ;   Parent Loop BB85_6 Depth=1
                                        ; =>  This Inner Loop Header: Depth=2
	v_cmp_gt_u32_e32 vcc, s60, v18
	s_waitcnt vmcnt(0)
	v_mov_b32_e32 v17, 0
	s_and_saveexec_b64 s[58:59], vcc
	s_cbranch_execz .LBB85_217
; %bb.216:                              ;   in Loop: Header=BB85_215 Depth=2
	v_lshlrev_b64 v[2:3], 2, v[10:11]
	v_mov_b32_e32 v17, s8
	v_add_co_u32_e64 v2, s[20:21], s33, v2
	v_addc_co_u32_e64 v3, s[20:21], v17, v3, s[20:21]
	global_load_dword v17, v[2:3], off
.LBB85_217:                             ;   in Loop: Header=BB85_215 Depth=2
	s_or_b64 exec, exec, s[58:59]
	s_and_saveexec_b64 s[20:21], vcc
	s_cbranch_execz .LBB85_214
; %bb.218:                              ;   in Loop: Header=BB85_215 Depth=2
	s_waitcnt vmcnt(0)
	v_cmp_lt_i32_e32 vcc, -1, v17
	v_cndmask_b32_e32 v2, -1, v32, vcc
	v_xor_b32_e32 v2, v2, v17
	v_cmp_o_f32_e32 vcc, v17, v17
	v_cndmask_b32_e32 v2, -1, v2, vcc
	v_and_b32_e32 v2, v2, v5
	v_cmp_eq_u32_e32 vcc, v2, v4
	s_and_b64 exec, exec, vcc
	s_cbranch_execz .LBB85_214
; %bb.219:                              ;   in Loop: Header=BB85_215 Depth=2
	ds_write_b64 v11, v[16:17] offset:3072
	s_branch .LBB85_214
.LBB85_220:                             ;   in Loop: Header=BB85_6 Depth=1
	s_or_b64 exec, exec, s[80:81]
	s_and_b64 s[82:83], s[82:83], exec
.LBB85_221:                             ;   in Loop: Header=BB85_6 Depth=1
	v_readlane_b32 s20, v54, 57
	v_readlane_b32 s21, v54, 58
	s_or_b64 exec, exec, s[20:21]
	s_mov_b64 s[80:81], -1
	s_mov_b64 s[20:21], 0
	s_mov_b64 s[58:59], 0
.LBB85_222:                             ;   in Loop: Header=BB85_6 Depth=1
	s_orn2_b64 s[82:83], s[82:83], exec
.LBB85_223:                             ;   in Loop: Header=BB85_6 Depth=1
	s_or_b64 exec, exec, s[16:17]
	s_mov_b64 vcc, 0
                                        ; implicit-def: $vgpr2
                                        ; implicit-def: $vgpr10
	s_and_saveexec_b64 s[16:17], s[82:83]
	s_cbranch_execz .LBB85_235
; %bb.224:                              ;   in Loop: Header=BB85_6 Depth=1
	v_readlane_b32 s56, v54, 53
	v_readlane_b32 s57, v54, 54
	s_xor_b64 s[82:83], s[56:57], -1
	v_mov_b32_e32 v2, 1
	v_mov_b32_e32 v10, 1
	s_and_saveexec_b64 s[56:57], s[82:83]
	s_cbranch_execz .LBB85_234
; %bb.225:                              ;   in Loop: Header=BB85_6 Depth=1
	v_cmp_ge_u32_e32 vcc, s62, v37
                                        ; implicit-def: $sgpr63
	s_and_saveexec_b64 s[82:83], vcc
	s_xor_b64 s[82:83], exec, s[82:83]
	s_cbranch_execz .LBB85_231
; %bb.226:                              ;   in Loop: Header=BB85_6 Depth=1
	ds_read_b32 v2, v11 offset:4096
	s_waitcnt lgkmcnt(0)
	v_cmp_ne_u32_e32 vcc, 0, v2
	s_cbranch_vccnz .LBB85_230
; %bb.227:                              ;   in Loop: Header=BB85_6 Depth=1
	v_writelane_b32 v54, s82, 59
	v_writelane_b32 v54, s83, 60
	s_mov_b64 s[82:83], exec
	v_writelane_b32 v54, s82, 61
	v_writelane_b32 v54, s83, 62
	v_readlane_b32 vcc_lo, v54, 14
	v_readlane_b32 s82, v54, 61
	v_readlane_b32 vcc_hi, v54, 15
	v_readlane_b32 s83, v54, 62
	s_and_b64 vcc, s[82:83], vcc
	s_mov_b64 exec, vcc
	s_cbranch_execz .LBB85_229
; %bb.228:                              ;   in Loop: Header=BB85_6 Depth=1
	v_mov_b32_e32 v2, s62
	ds_write_b32 v11, v2 offset:4100
.LBB85_229:                             ;   in Loop: Header=BB85_6 Depth=1
	v_readlane_b32 vcc_lo, v54, 61
	v_readlane_b32 vcc_hi, v54, 62
	s_or_b64 exec, exec, vcc
	v_readlane_b32 s82, v54, 59
	v_readlane_b32 s83, v54, 60
	s_waitcnt lgkmcnt(0)
	s_barrier
.LBB85_230:                             ;   in Loop: Header=BB85_6 Depth=1
	v_or_b32_e32 v4, s72, v4
	v_or_b32_e32 v5, s72, v5
	s_mov_b32 s63, 8
.LBB85_231:                             ;   in Loop: Header=BB85_6 Depth=1
	s_or_saveexec_b64 s[82:83], s[82:83]
	v_mov_b32_e32 v2, s63
	s_xor_b64 exec, exec, s[82:83]
; %bb.232:                              ;   in Loop: Header=BB85_6 Depth=1
	v_subrev_u32_e32 v37, s62, v37
	v_mov_b32_e32 v2, 8
; %bb.233:                              ;   in Loop: Header=BB85_6 Depth=1
	s_or_b64 exec, exec, s[82:83]
	v_mov_b32_e32 v10, v37
.LBB85_234:                             ;   in Loop: Header=BB85_6 Depth=1
	s_or_b64 exec, exec, s[56:57]
	s_mov_b64 vcc, exec
.LBB85_235:                             ;   in Loop: Header=BB85_6 Depth=1
	s_or_b64 exec, exec, s[16:17]
	s_orn2_b64 s[16:17], vcc, exec
	v_mov_b32_e32 v37, v10
.LBB85_236:                             ;   in Loop: Header=BB85_6 Depth=1
	s_or_b64 exec, exec, s[54:55]
	s_andn2_b64 s[46:47], s[46:47], exec
	s_and_b64 s[20:21], s[20:21], exec
	s_or_b64 s[46:47], s[46:47], s[20:21]
	s_andn2_b64 s[20:21], s[50:51], exec
	s_and_b64 s[50:51], s[80:81], exec
	s_or_b64 s[50:51], s[20:21], s[50:51]
	s_andn2_b64 s[20:21], s[48:49], exec
	s_and_b64 s[48:49], s[58:59], exec
	s_or_b64 s[48:49], s[20:21], s[48:49]
	s_and_b64 s[16:17], s[16:17], exec
	v_mov_b32_e32 v18, v37
.LBB85_237:                             ;   in Loop: Header=BB85_6 Depth=1
	s_or_b64 exec, exec, s[52:53]
	s_and_b64 s[52:53], s[46:47], exec
	s_and_b64 s[46:47], s[50:51], exec
	;; [unrolled: 1-line block ×3, first 2 shown]
	s_orn2_b64 s[16:17], s[16:17], exec
.LBB85_238:                             ;   in Loop: Header=BB85_6 Depth=1
	s_or_b64 exec, exec, s[44:45]
	s_andn2_b64 s[36:37], s[36:37], exec
	s_and_b64 s[44:45], s[52:53], exec
	s_or_b64 s[36:37], s[36:37], s[44:45]
	s_andn2_b64 s[40:41], s[40:41], exec
	s_and_b64 s[44:45], s[46:47], exec
	s_andn2_b64 s[38:39], s[38:39], exec
	s_and_b64 s[20:21], s[20:21], exec
	s_or_b64 s[40:41], s[40:41], s[44:45]
	s_or_b64 s[38:39], s[38:39], s[20:21]
	s_and_b64 s[20:21], s[16:17], exec
	v_mov_b32_e32 v37, v18
.LBB85_239:                             ;   in Loop: Header=BB85_6 Depth=1
	s_or_b64 exec, exec, s[42:43]
	s_and_b64 s[42:43], s[36:37], exec
	s_and_b64 s[36:37], s[40:41], exec
	;; [unrolled: 1-line block ×3, first 2 shown]
	s_orn2_b64 s[38:39], s[20:21], exec
.LBB85_240:                             ;   in Loop: Header=BB85_6 Depth=1
	s_or_b64 exec, exec, s[24:25]
	s_mov_b64 s[24:25], 0
	s_mov_b64 s[20:21], 0
	s_and_saveexec_b64 s[40:41], s[38:39]
	s_xor_b64 s[38:39], exec, s[40:41]
; %bb.241:                              ;   in Loop: Header=BB85_6 Depth=1
	v_cmp_eq_u32_e32 vcc, 8, v2
	v_cmp_ne_u32_e64 s[20:21], 8, v2
	s_andn2_b64 s[42:43], s[42:43], exec
	s_andn2_b64 s[36:37], s[36:37], exec
	;; [unrolled: 1-line block ×3, first 2 shown]
	s_and_b64 s[20:21], s[20:21], exec
	s_and_b64 s[24:25], vcc, exec
; %bb.242:                              ;   in Loop: Header=BB85_6 Depth=1
	s_or_b64 exec, exec, s[38:39]
	s_andn2_b64 s[22:23], s[22:23], exec
	s_and_b64 s[38:39], s[42:43], exec
	s_andn2_b64 s[28:29], s[28:29], exec
	s_and_b64 s[36:37], s[36:37], exec
	;; [unrolled: 2-line block ×3, first 2 shown]
	s_or_b64 s[22:23], s[22:23], s[38:39]
	s_or_b64 s[28:29], s[28:29], s[36:37]
	;; [unrolled: 1-line block ×3, first 2 shown]
	s_and_b64 s[20:21], s[20:21], exec
	s_and_b64 s[24:25], s[24:25], exec
.LBB85_243:                             ;   in Loop: Header=BB85_6 Depth=1
	s_or_b64 exec, exec, s[34:35]
	s_and_b64 vcc, exec, s[30:31]
	s_cbranch_vccz .LBB85_93
.LBB85_244:                             ;   in Loop: Header=BB85_6 Depth=1
	s_cmp_eq_u32 s62, 1
	s_cselect_b64 s[16:17], -1, 0
	s_and_b64 s[28:29], s[16:17], s[18:19]
	s_mov_b64 s[18:19], -1
                                        ; implicit-def: $sgpr30_sgpr31
                                        ; implicit-def: $sgpr34_sgpr35
                                        ; implicit-def: $sgpr22_sgpr23
	s_and_saveexec_b64 s[16:17], s[28:29]
	s_cbranch_execz .LBB85_270
; %bb.245:                              ;   in Loop: Header=BB85_6 Depth=1
	ds_read_b32 v2, v11 offset:4096
	s_waitcnt lgkmcnt(0)
	s_barrier
	v_readfirstlane_b32 s34, v2
	s_mov_b64 s[18:19], exec
	v_readlane_b32 s22, v54, 34
	v_readlane_b32 s23, v54, 35
	s_and_b64 s[22:23], s[18:19], s[22:23]
	s_mov_b64 exec, s[22:23]
	s_cbranch_execz .LBB85_247
; %bb.246:                              ;   in Loop: Header=BB85_6 Depth=1
	ds_write_b32 v23, v11
.LBB85_247:                             ;   in Loop: Header=BB85_6 Depth=1
	s_or_b64 exec, exec, s[18:19]
	v_or_b32_e32 v35, s72, v35
	v_or_b32_e32 v34, s72, v34
	s_cmp_eq_u32 s34, 0
	s_waitcnt lgkmcnt(0)
	s_barrier
	s_cbranch_scc1 .LBB85_256
; %bb.248:                              ;   in Loop: Header=BB85_6 Depth=1
	v_readlane_b32 s18, v54, 27
	s_add_i32 s18, s34, s18
	v_readlane_b32 s19, v54, 49
	s_mul_hi_u32 s19, s18, s19
	s_mul_i32 s19, s19, s9
	s_sub_i32 s19, s18, s19
	s_sub_i32 s22, s19, s9
	s_cmp_ge_u32 s19, s9
	s_cselect_b32 s19, s22, s19
	s_sub_i32 s22, s19, s9
	s_cmp_ge_u32 s19, s9
	s_cselect_b32 s19, s22, s19
	s_sub_i32 s35, s18, s19
	v_cmp_gt_u32_e32 vcc, s35, v0
	s_mov_b64 s[18:19], 0
                                        ; implicit-def: $vgpr19
	s_and_saveexec_b64 s[22:23], vcc
	s_cbranch_execz .LBB85_258
; %bb.249:                              ;   in Loop: Header=BB85_6 Depth=1
	s_mov_b64 s[26:27], 0
	v_mov_b32_e32 v2, v20
	v_mov_b32_e32 v3, v0
                                        ; implicit-def: $sgpr30_sgpr31
	s_branch .LBB85_251
.LBB85_250:                             ;   in Loop: Header=BB85_251 Depth=2
	s_or_b64 exec, exec, s[18:19]
	s_waitcnt lgkmcnt(0)
	s_barrier
	ds_read_b64 v[18:19], v11 offset:3072
	v_add_u32_e32 v3, s9, v3
	v_cmp_le_u32_e64 s[18:19], s35, v3
	v_add_u32_e32 v2, s77, v2
	s_waitcnt lgkmcnt(0)
	v_cmp_neq_f32_e32 vcc, 0, v18
	s_or_b64 s[18:19], s[18:19], vcc
	s_and_b64 s[18:19], exec, s[18:19]
	s_or_b64 s[26:27], s[18:19], s[26:27]
	s_andn2_b64 s[18:19], s[30:31], exec
	s_and_b64 s[30:31], vcc, exec
	s_or_b64 s[30:31], s[18:19], s[30:31]
	s_barrier
	s_andn2_b64 exec, exec, s[26:27]
	s_cbranch_execz .LBB85_257
.LBB85_251:                             ;   Parent Loop BB85_6 Depth=1
                                        ; =>  This Inner Loop Header: Depth=2
	v_cmp_gt_u32_e32 vcc, s34, v3
	s_waitcnt vmcnt(0)
	v_mov_b32_e32 v17, 0
	s_and_saveexec_b64 s[18:19], vcc
	s_cbranch_execz .LBB85_253
; %bb.252:                              ;   in Loop: Header=BB85_251 Depth=2
	ds_read_b32 v17, v2
.LBB85_253:                             ;   in Loop: Header=BB85_251 Depth=2
	s_or_b64 exec, exec, s[18:19]
	s_and_saveexec_b64 s[18:19], vcc
	s_cbranch_execz .LBB85_250
; %bb.254:                              ;   in Loop: Header=BB85_251 Depth=2
	s_waitcnt lgkmcnt(0)
	v_cmp_lt_i32_e32 vcc, -1, v17
	v_cndmask_b32_e32 v4, -1, v32, vcc
	v_xor_b32_e32 v4, v4, v17
	v_cmp_o_f32_e32 vcc, v17, v17
	v_cndmask_b32_e32 v4, -1, v4, vcc
	v_and_b32_e32 v4, v4, v34
	v_cmp_eq_u32_e32 vcc, v4, v35
	s_and_b64 exec, exec, vcc
	s_cbranch_execz .LBB85_250
; %bb.255:                              ;   in Loop: Header=BB85_251 Depth=2
	ds_write_b64 v11, v[16:17] offset:3072
	s_branch .LBB85_250
.LBB85_256:                             ;   in Loop: Header=BB85_6 Depth=1
	s_mov_b64 s[30:31], -1
	s_mov_b64 s[18:19], 0
                                        ; implicit-def: $sgpr34_sgpr35
                                        ; implicit-def: $vgpr19
	s_mov_b64 s[22:23], s[30:31]
	s_cbranch_execnz .LBB85_259
	s_branch .LBB85_269
.LBB85_257:                             ;   in Loop: Header=BB85_6 Depth=1
	s_or_b64 exec, exec, s[26:27]
	s_and_b64 s[18:19], s[30:31], exec
.LBB85_258:                             ;   in Loop: Header=BB85_6 Depth=1
	s_or_b64 exec, exec, s[22:23]
	s_mov_b64 s[30:31], 0
	s_mov_b64 s[34:35], -1
	s_mov_b64 s[22:23], s[30:31]
	s_branch .LBB85_269
.LBB85_259:                             ;   in Loop: Header=BB85_6 Depth=1
	s_mov_b64 s[18:19], 0
                                        ; implicit-def: $vgpr19
	s_mov_b64 s[22:23], exec
	v_readlane_b32 s26, v54, 50
	v_readlane_b32 s27, v54, 51
	s_and_b64 s[26:27], s[22:23], s[26:27]
	s_mov_b64 exec, s[26:27]
	s_cbranch_execz .LBB85_268
; %bb.260:                              ;   in Loop: Header=BB85_6 Depth=1
	s_mov_b64 s[26:27], 0
	v_mov_b32_e32 v10, v12
	v_mov_b32_e32 v2, v0
                                        ; implicit-def: $sgpr30_sgpr31
	s_branch .LBB85_262
.LBB85_261:                             ;   in Loop: Header=BB85_262 Depth=2
	s_or_b64 exec, exec, s[18:19]
	s_waitcnt lgkmcnt(0)
	s_barrier
	ds_read_b64 v[18:19], v11 offset:3072
	v_add_u32_e32 v2, s9, v2
	v_cmp_le_u32_e64 s[18:19], s12, v2
	v_add_u32_e32 v10, s76, v10
	s_waitcnt lgkmcnt(0)
	v_cmp_neq_f32_e32 vcc, 0, v18
	s_or_b64 s[18:19], s[18:19], vcc
	s_and_b64 s[18:19], exec, s[18:19]
	s_or_b64 s[26:27], s[18:19], s[26:27]
	s_andn2_b64 s[18:19], s[30:31], exec
	s_and_b64 s[30:31], vcc, exec
	s_or_b64 s[30:31], s[18:19], s[30:31]
	s_barrier
	s_andn2_b64 exec, exec, s[26:27]
	s_cbranch_execz .LBB85_267
.LBB85_262:                             ;   Parent Loop BB85_6 Depth=1
                                        ; =>  This Inner Loop Header: Depth=2
	v_cmp_gt_u32_e32 vcc, s60, v2
	s_waitcnt vmcnt(0)
	v_mov_b32_e32 v17, 0
	s_and_saveexec_b64 s[34:35], vcc
	s_cbranch_execz .LBB85_264
; %bb.263:                              ;   in Loop: Header=BB85_262 Depth=2
	v_lshlrev_b64 v[4:5], 2, v[10:11]
	v_mov_b32_e32 v3, s8
	v_add_co_u32_e64 v4, s[18:19], s33, v4
	v_addc_co_u32_e64 v5, s[18:19], v3, v5, s[18:19]
	global_load_dword v17, v[4:5], off
.LBB85_264:                             ;   in Loop: Header=BB85_262 Depth=2
	s_or_b64 exec, exec, s[34:35]
	s_and_saveexec_b64 s[18:19], vcc
	s_cbranch_execz .LBB85_261
; %bb.265:                              ;   in Loop: Header=BB85_262 Depth=2
	s_waitcnt vmcnt(0)
	v_cmp_lt_i32_e32 vcc, -1, v17
	v_cndmask_b32_e32 v3, -1, v32, vcc
	v_xor_b32_e32 v3, v3, v17
	v_cmp_o_f32_e32 vcc, v17, v17
	v_cndmask_b32_e32 v3, -1, v3, vcc
	v_and_b32_e32 v3, v3, v34
	v_cmp_eq_u32_e32 vcc, v3, v35
	s_and_b64 exec, exec, vcc
	s_cbranch_execz .LBB85_261
; %bb.266:                              ;   in Loop: Header=BB85_262 Depth=2
	ds_write_b64 v11, v[16:17] offset:3072
	s_branch .LBB85_261
.LBB85_267:                             ;   in Loop: Header=BB85_6 Depth=1
	s_or_b64 exec, exec, s[26:27]
	s_and_b64 s[18:19], s[30:31], exec
.LBB85_268:                             ;   in Loop: Header=BB85_6 Depth=1
	s_or_b64 exec, exec, s[22:23]
	s_mov_b64 s[34:35], 0
	s_mov_b64 s[30:31], -1
	s_mov_b64 s[22:23], 0
.LBB85_269:                             ;   in Loop: Header=BB85_6 Depth=1
	s_orn2_b64 s[18:19], s[18:19], exec
.LBB85_270:                             ;   in Loop: Header=BB85_6 Depth=1
	s_or_b64 exec, exec, s[16:17]
                                        ; implicit-def: $vgpr2
                                        ; implicit-def: $vgpr37
                                        ; implicit-def: $vgpr4
                                        ; implicit-def: $vgpr5
                                        ; implicit-def: $vgpr3
	s_and_saveexec_b64 s[26:27], s[18:19]
	s_cbranch_execz .LBB85_405
; %bb.271:                              ;   in Loop: Header=BB85_6 Depth=1
	s_xor_b64 s[28:29], s[28:29], -1
	s_mov_b64 s[18:19], 0
	v_mov_b32_e32 v37, 1
	v_mov_b32_e32 v2, 1
	s_and_saveexec_b64 s[16:17], s[28:29]
	s_cbranch_execz .LBB85_281
; %bb.272:                              ;   in Loop: Header=BB85_6 Depth=1
	v_cmp_ge_u32_e32 vcc, s62, v36
                                        ; implicit-def: $sgpr36
                                        ; implicit-def: $sgpr18_sgpr19
	s_and_saveexec_b64 s[28:29], vcc
	s_xor_b64 s[28:29], exec, s[28:29]
	s_cbranch_execz .LBB85_278
; %bb.273:                              ;   in Loop: Header=BB85_6 Depth=1
	ds_read_b32 v2, v11 offset:4096
	s_waitcnt lgkmcnt(0)
	v_cmp_ne_u32_e32 vcc, 0, v2
	s_cbranch_vccnz .LBB85_277
; %bb.274:                              ;   in Loop: Header=BB85_6 Depth=1
	s_mov_b64 s[18:19], exec
	v_readlane_b32 s36, v54, 14
	v_readlane_b32 s37, v54, 15
	s_and_b64 s[36:37], s[18:19], s[36:37]
	s_mov_b64 exec, s[36:37]
	s_cbranch_execz .LBB85_276
; %bb.275:                              ;   in Loop: Header=BB85_6 Depth=1
	v_mov_b32_e32 v2, s62
	ds_write_b32 v11, v2 offset:4100
.LBB85_276:                             ;   in Loop: Header=BB85_6 Depth=1
	s_or_b64 exec, exec, s[18:19]
	s_waitcnt lgkmcnt(0)
	s_barrier
.LBB85_277:                             ;   in Loop: Header=BB85_6 Depth=1
	v_or_b32_e32 v35, s72, v35
	v_or_b32_e32 v34, s72, v34
	s_mov_b64 s[18:19], 0
	s_mov_b32 s36, 5
.LBB85_278:                             ;   in Loop: Header=BB85_6 Depth=1
	s_or_saveexec_b64 s[28:29], s[28:29]
	v_mov_b32_e32 v2, s36
	s_xor_b64 exec, exec, s[28:29]
; %bb.279:                              ;   in Loop: Header=BB85_6 Depth=1
	v_subrev_u32_e32 v36, s62, v36
	v_mov_b32_e32 v2, 0
	s_or_b64 s[18:19], s[18:19], exec
; %bb.280:                              ;   in Loop: Header=BB85_6 Depth=1
	s_or_b64 exec, exec, s[28:29]
	s_and_b64 s[18:19], s[18:19], exec
	v_mov_b32_e32 v37, v36
.LBB85_281:                             ;   in Loop: Header=BB85_6 Depth=1
	s_or_b64 exec, exec, s[16:17]
	s_mov_b64 s[38:39], -1
                                        ; implicit-def: $sgpr16_sgpr17
                                        ; implicit-def: $sgpr36_sgpr37
                                        ; implicit-def: $sgpr42_sgpr43
	s_and_saveexec_b64 s[28:29], s[18:19]
	s_xor_b64 s[28:29], exec, s[28:29]
	s_cbranch_execz .LBB85_402
; %bb.282:                              ;   in Loop: Header=BB85_6 Depth=1
	s_cmp_eq_u32 s11, 1
	s_cselect_b64 s[16:17], -1, 0
	v_cmp_eq_u32_e32 vcc, 1, v37
	s_and_b64 s[44:45], s[16:17], vcc
	s_mov_b64 s[46:47], -1
                                        ; implicit-def: $sgpr36_sgpr37
                                        ; implicit-def: $sgpr38_sgpr39
                                        ; implicit-def: $sgpr40_sgpr41
	s_and_saveexec_b64 s[16:17], s[44:45]
	s_cbranch_execz .LBB85_308
; %bb.283:                              ;   in Loop: Header=BB85_6 Depth=1
	ds_read_b32 v2, v11 offset:4096
	s_waitcnt lgkmcnt(0)
	s_barrier
	v_readfirstlane_b32 s42, v2
	s_mov_b64 s[18:19], exec
	v_readlane_b32 s36, v54, 34
	v_readlane_b32 s37, v54, 35
	s_and_b64 s[36:37], s[18:19], s[36:37]
	s_mov_b64 exec, s[36:37]
	s_cbranch_execz .LBB85_285
; %bb.284:                              ;   in Loop: Header=BB85_6 Depth=1
	ds_write_b32 v23, v11
.LBB85_285:                             ;   in Loop: Header=BB85_6 Depth=1
	s_or_b64 exec, exec, s[18:19]
	v_and_b32_e32 v2, s5, v35
	v_lshl_or_b32 v35, 2, s10, v2
	v_or_b32_e32 v34, s72, v34
	s_cmp_eq_u32 s42, 0
	s_waitcnt lgkmcnt(0)
	s_barrier
	s_cbranch_scc1 .LBB85_294
; %bb.286:                              ;   in Loop: Header=BB85_6 Depth=1
	v_readlane_b32 s18, v54, 27
	s_add_i32 s18, s42, s18
	v_readlane_b32 s19, v54, 49
	s_mul_hi_u32 s19, s18, s19
	s_mul_i32 s19, s19, s9
	s_sub_i32 s19, s18, s19
	s_sub_i32 s36, s19, s9
	s_cmp_ge_u32 s19, s9
	s_cselect_b32 s19, s36, s19
	s_sub_i32 s36, s19, s9
	s_cmp_ge_u32 s19, s9
	s_cselect_b32 s19, s36, s19
	s_sub_i32 s43, s18, s19
	v_cmp_gt_u32_e32 vcc, s43, v0
	s_mov_b64 s[18:19], 0
                                        ; implicit-def: $vgpr19
	s_and_saveexec_b64 s[36:37], vcc
	s_cbranch_execz .LBB85_296
; %bb.287:                              ;   in Loop: Header=BB85_6 Depth=1
	s_mov_b64 s[38:39], 0
	v_mov_b32_e32 v2, v20
	v_mov_b32_e32 v3, v0
                                        ; implicit-def: $sgpr40_sgpr41
	s_branch .LBB85_289
.LBB85_288:                             ;   in Loop: Header=BB85_289 Depth=2
	s_or_b64 exec, exec, s[18:19]
	s_waitcnt lgkmcnt(0)
	s_barrier
	ds_read_b64 v[18:19], v11 offset:3072
	v_add_u32_e32 v3, s9, v3
	v_cmp_le_u32_e64 s[18:19], s43, v3
	v_add_u32_e32 v2, s77, v2
	s_waitcnt lgkmcnt(0)
	v_cmp_neq_f32_e32 vcc, 0, v18
	s_or_b64 s[18:19], s[18:19], vcc
	s_and_b64 s[18:19], exec, s[18:19]
	s_or_b64 s[38:39], s[18:19], s[38:39]
	s_andn2_b64 s[18:19], s[40:41], exec
	s_and_b64 s[40:41], vcc, exec
	s_or_b64 s[40:41], s[18:19], s[40:41]
	s_barrier
	s_andn2_b64 exec, exec, s[38:39]
	s_cbranch_execz .LBB85_295
.LBB85_289:                             ;   Parent Loop BB85_6 Depth=1
                                        ; =>  This Inner Loop Header: Depth=2
	v_cmp_gt_u32_e32 vcc, s42, v3
	s_waitcnt vmcnt(0)
	v_mov_b32_e32 v17, 0
	s_and_saveexec_b64 s[18:19], vcc
	s_cbranch_execz .LBB85_291
; %bb.290:                              ;   in Loop: Header=BB85_289 Depth=2
	ds_read_b32 v17, v2
.LBB85_291:                             ;   in Loop: Header=BB85_289 Depth=2
	s_or_b64 exec, exec, s[18:19]
	s_and_saveexec_b64 s[18:19], vcc
	s_cbranch_execz .LBB85_288
; %bb.292:                              ;   in Loop: Header=BB85_289 Depth=2
	s_waitcnt lgkmcnt(0)
	v_cmp_lt_i32_e32 vcc, -1, v17
	v_cndmask_b32_e32 v4, -1, v32, vcc
	v_xor_b32_e32 v4, v4, v17
	v_cmp_o_f32_e32 vcc, v17, v17
	v_cndmask_b32_e32 v4, -1, v4, vcc
	v_and_b32_e32 v4, v4, v34
	v_cmp_eq_u32_e32 vcc, v4, v35
	s_and_b64 exec, exec, vcc
	s_cbranch_execz .LBB85_288
; %bb.293:                              ;   in Loop: Header=BB85_289 Depth=2
	ds_write_b64 v11, v[16:17] offset:3072
	s_branch .LBB85_288
.LBB85_294:                             ;   in Loop: Header=BB85_6 Depth=1
	s_mov_b64 s[36:37], -1
	s_mov_b64 s[18:19], 0
                                        ; implicit-def: $sgpr38_sgpr39
                                        ; implicit-def: $vgpr19
	s_mov_b64 s[40:41], s[36:37]
	s_cbranch_execnz .LBB85_297
	s_branch .LBB85_307
.LBB85_295:                             ;   in Loop: Header=BB85_6 Depth=1
	s_or_b64 exec, exec, s[38:39]
	s_and_b64 s[18:19], s[40:41], exec
.LBB85_296:                             ;   in Loop: Header=BB85_6 Depth=1
	s_or_b64 exec, exec, s[36:37]
	s_mov_b64 s[36:37], 0
	s_mov_b64 s[38:39], -1
	s_mov_b64 s[40:41], s[36:37]
	s_branch .LBB85_307
.LBB85_297:                             ;   in Loop: Header=BB85_6 Depth=1
	s_mov_b64 s[18:19], 0
                                        ; implicit-def: $vgpr19
	s_mov_b64 s[36:37], exec
	v_readlane_b32 s38, v54, 50
	v_readlane_b32 s39, v54, 51
	s_and_b64 s[38:39], s[36:37], s[38:39]
	s_mov_b64 exec, s[38:39]
	s_cbranch_execz .LBB85_306
; %bb.298:                              ;   in Loop: Header=BB85_6 Depth=1
	s_mov_b64 s[38:39], 0
	v_mov_b32_e32 v10, v12
	v_mov_b32_e32 v2, v0
                                        ; implicit-def: $sgpr40_sgpr41
	s_branch .LBB85_300
.LBB85_299:                             ;   in Loop: Header=BB85_300 Depth=2
	s_or_b64 exec, exec, s[18:19]
	s_waitcnt lgkmcnt(0)
	s_barrier
	ds_read_b64 v[18:19], v11 offset:3072
	v_add_u32_e32 v2, s9, v2
	v_cmp_le_u32_e64 s[18:19], s12, v2
	v_add_u32_e32 v10, s76, v10
	s_waitcnt lgkmcnt(0)
	v_cmp_neq_f32_e32 vcc, 0, v18
	s_or_b64 s[18:19], s[18:19], vcc
	s_and_b64 s[18:19], exec, s[18:19]
	s_or_b64 s[38:39], s[18:19], s[38:39]
	s_andn2_b64 s[18:19], s[40:41], exec
	s_and_b64 s[40:41], vcc, exec
	s_or_b64 s[40:41], s[18:19], s[40:41]
	s_barrier
	s_andn2_b64 exec, exec, s[38:39]
	s_cbranch_execz .LBB85_305
.LBB85_300:                             ;   Parent Loop BB85_6 Depth=1
                                        ; =>  This Inner Loop Header: Depth=2
	v_cmp_gt_u32_e32 vcc, s60, v2
	s_waitcnt vmcnt(0)
	v_mov_b32_e32 v17, 0
	s_and_saveexec_b64 s[42:43], vcc
	s_cbranch_execz .LBB85_302
; %bb.301:                              ;   in Loop: Header=BB85_300 Depth=2
	v_lshlrev_b64 v[4:5], 2, v[10:11]
	v_mov_b32_e32 v3, s8
	v_add_co_u32_e64 v4, s[18:19], s33, v4
	v_addc_co_u32_e64 v5, s[18:19], v3, v5, s[18:19]
	global_load_dword v17, v[4:5], off
.LBB85_302:                             ;   in Loop: Header=BB85_300 Depth=2
	s_or_b64 exec, exec, s[42:43]
	s_and_saveexec_b64 s[18:19], vcc
	s_cbranch_execz .LBB85_299
; %bb.303:                              ;   in Loop: Header=BB85_300 Depth=2
	s_waitcnt vmcnt(0)
	v_cmp_lt_i32_e32 vcc, -1, v17
	v_cndmask_b32_e32 v3, -1, v32, vcc
	v_xor_b32_e32 v3, v3, v17
	v_cmp_o_f32_e32 vcc, v17, v17
	v_cndmask_b32_e32 v3, -1, v3, vcc
	v_and_b32_e32 v3, v3, v34
	v_cmp_eq_u32_e32 vcc, v3, v35
	s_and_b64 exec, exec, vcc
	s_cbranch_execz .LBB85_299
; %bb.304:                              ;   in Loop: Header=BB85_300 Depth=2
	ds_write_b64 v11, v[16:17] offset:3072
	s_branch .LBB85_299
.LBB85_305:                             ;   in Loop: Header=BB85_6 Depth=1
	s_or_b64 exec, exec, s[38:39]
	s_and_b64 s[18:19], s[40:41], exec
.LBB85_306:                             ;   in Loop: Header=BB85_6 Depth=1
	s_or_b64 exec, exec, s[36:37]
	s_mov_b64 s[38:39], 0
	s_mov_b64 s[36:37], -1
	s_mov_b64 s[40:41], 0
.LBB85_307:                             ;   in Loop: Header=BB85_6 Depth=1
	s_orn2_b64 s[46:47], s[18:19], exec
.LBB85_308:                             ;   in Loop: Header=BB85_6 Depth=1
	s_or_b64 exec, exec, s[16:17]
	s_mov_b64 s[18:19], 0
                                        ; implicit-def: $vgpr2
	s_and_saveexec_b64 s[42:43], s[46:47]
	s_cbranch_execz .LBB85_401
; %bb.309:                              ;   in Loop: Header=BB85_6 Depth=1
	s_xor_b64 s[18:19], s[44:45], -1
	s_mov_b64 s[48:49], 0
	v_mov_b32_e32 v3, 1
	v_mov_b32_e32 v2, 1
	s_and_saveexec_b64 s[16:17], s[18:19]
	s_cbranch_execz .LBB85_319
; %bb.310:                              ;   in Loop: Header=BB85_6 Depth=1
	v_cmp_ge_u32_e32 vcc, s11, v37
                                        ; implicit-def: $sgpr46
                                        ; implicit-def: $sgpr18_sgpr19
	s_and_saveexec_b64 s[44:45], vcc
	s_xor_b64 s[44:45], exec, s[44:45]
	s_cbranch_execz .LBB85_316
; %bb.311:                              ;   in Loop: Header=BB85_6 Depth=1
	ds_read_b32 v2, v11 offset:4096
	s_waitcnt lgkmcnt(0)
	v_cmp_ne_u32_e32 vcc, 0, v2
	s_cbranch_vccnz .LBB85_315
; %bb.312:                              ;   in Loop: Header=BB85_6 Depth=1
	s_mov_b64 s[18:19], exec
	v_readlane_b32 s46, v54, 14
	v_readlane_b32 s47, v54, 15
	s_and_b64 s[46:47], s[18:19], s[46:47]
	s_mov_b64 exec, s[46:47]
	s_cbranch_execz .LBB85_314
; %bb.313:                              ;   in Loop: Header=BB85_6 Depth=1
	v_mov_b32_e32 v2, s11
	ds_write_b32 v11, v2 offset:4100
.LBB85_314:                             ;   in Loop: Header=BB85_6 Depth=1
	s_or_b64 exec, exec, s[18:19]
	s_waitcnt lgkmcnt(0)
	s_barrier
.LBB85_315:                             ;   in Loop: Header=BB85_6 Depth=1
	v_and_b32_e32 v2, s5, v35
	v_lshl_or_b32 v35, 2, s10, v2
	v_or_b32_e32 v34, s72, v34
	s_mov_b64 s[18:19], 0
	s_mov_b32 s46, 5
.LBB85_316:                             ;   in Loop: Header=BB85_6 Depth=1
	s_or_saveexec_b64 s[44:45], s[44:45]
	v_mov_b32_e32 v2, s46
	s_xor_b64 exec, exec, s[44:45]
; %bb.317:                              ;   in Loop: Header=BB85_6 Depth=1
	v_subrev_u32_e32 v37, s11, v37
	v_mov_b32_e32 v2, 0
	s_or_b64 s[18:19], s[18:19], exec
; %bb.318:                              ;   in Loop: Header=BB85_6 Depth=1
	s_or_b64 exec, exec, s[44:45]
	s_and_b64 s[48:49], s[18:19], exec
	v_mov_b32_e32 v3, v37
.LBB85_319:                             ;   in Loop: Header=BB85_6 Depth=1
	s_or_b64 exec, exec, s[16:17]
	s_mov_b64 s[16:17], -1
                                        ; implicit-def: $sgpr18_sgpr19
                                        ; implicit-def: $sgpr46_sgpr47
                                        ; implicit-def: $sgpr52_sgpr53
	s_and_saveexec_b64 s[44:45], s[48:49]
	s_cbranch_execz .LBB85_400
; %bb.320:                              ;   in Loop: Header=BB85_6 Depth=1
	s_cmp_eq_u32 s4, 1
	s_cselect_b64 s[16:17], -1, 0
	v_cmp_eq_u32_e32 vcc, 1, v3
	s_and_b64 s[54:55], s[16:17], vcc
	s_mov_b64 s[18:19], -1
                                        ; implicit-def: $sgpr46_sgpr47
                                        ; implicit-def: $sgpr48_sgpr49
                                        ; implicit-def: $sgpr50_sgpr51
	s_and_saveexec_b64 s[16:17], s[54:55]
	s_cbranch_execz .LBB85_346
; %bb.321:                              ;   in Loop: Header=BB85_6 Depth=1
	ds_read_b32 v2, v11 offset:4096
	s_waitcnt lgkmcnt(0)
	s_barrier
	v_readfirstlane_b32 s11, v2
	s_mov_b64 s[18:19], exec
	v_readlane_b32 s46, v54, 34
	v_readlane_b32 s47, v54, 35
	s_and_b64 s[46:47], s[18:19], s[46:47]
	s_mov_b64 exec, s[46:47]
	s_cbranch_execz .LBB85_323
; %bb.322:                              ;   in Loop: Header=BB85_6 Depth=1
	ds_write_b32 v23, v11
.LBB85_323:                             ;   in Loop: Header=BB85_6 Depth=1
	s_or_b64 exec, exec, s[18:19]
	v_and_b32_e32 v2, s5, v35
	v_lshl_or_b32 v35, 1, s10, v2
	v_or_b32_e32 v34, s72, v34
	s_cmp_eq_u32 s11, 0
	s_waitcnt lgkmcnt(0)
	s_barrier
	s_cbranch_scc1 .LBB85_332
; %bb.324:                              ;   in Loop: Header=BB85_6 Depth=1
	v_readlane_b32 s18, v54, 27
	s_add_i32 s18, s11, s18
	v_readlane_b32 s19, v54, 49
	s_mul_hi_u32 s19, s18, s19
	s_mul_i32 s19, s19, s9
	s_sub_i32 s19, s18, s19
	s_sub_i32 s46, s19, s9
	s_cmp_ge_u32 s19, s9
	s_cselect_b32 s19, s46, s19
	s_sub_i32 s46, s19, s9
	s_cmp_ge_u32 s19, s9
	s_cselect_b32 s19, s46, s19
	s_sub_i32 s52, s18, s19
	v_cmp_gt_u32_e32 vcc, s52, v0
	s_mov_b64 s[18:19], 0
                                        ; implicit-def: $vgpr19
	s_and_saveexec_b64 s[46:47], vcc
	s_cbranch_execz .LBB85_334
; %bb.325:                              ;   in Loop: Header=BB85_6 Depth=1
	s_mov_b64 s[48:49], 0
	v_mov_b32_e32 v2, v20
	v_mov_b32_e32 v4, v0
                                        ; implicit-def: $sgpr50_sgpr51
	s_branch .LBB85_327
.LBB85_326:                             ;   in Loop: Header=BB85_327 Depth=2
	s_or_b64 exec, exec, s[18:19]
	s_waitcnt lgkmcnt(0)
	s_barrier
	ds_read_b64 v[18:19], v11 offset:3072
	v_add_u32_e32 v4, s9, v4
	v_cmp_le_u32_e64 s[18:19], s52, v4
	v_add_u32_e32 v2, s77, v2
	s_waitcnt lgkmcnt(0)
	v_cmp_neq_f32_e32 vcc, 0, v18
	s_or_b64 s[18:19], s[18:19], vcc
	s_and_b64 s[18:19], exec, s[18:19]
	s_or_b64 s[48:49], s[18:19], s[48:49]
	s_andn2_b64 s[18:19], s[50:51], exec
	s_and_b64 s[50:51], vcc, exec
	s_or_b64 s[50:51], s[18:19], s[50:51]
	s_barrier
	s_andn2_b64 exec, exec, s[48:49]
	s_cbranch_execz .LBB85_333
.LBB85_327:                             ;   Parent Loop BB85_6 Depth=1
                                        ; =>  This Inner Loop Header: Depth=2
	v_cmp_gt_u32_e32 vcc, s11, v4
	s_waitcnt vmcnt(0)
	v_mov_b32_e32 v17, 0
	s_and_saveexec_b64 s[18:19], vcc
	s_cbranch_execz .LBB85_329
; %bb.328:                              ;   in Loop: Header=BB85_327 Depth=2
	ds_read_b32 v17, v2
.LBB85_329:                             ;   in Loop: Header=BB85_327 Depth=2
	s_or_b64 exec, exec, s[18:19]
	s_and_saveexec_b64 s[18:19], vcc
	s_cbranch_execz .LBB85_326
; %bb.330:                              ;   in Loop: Header=BB85_327 Depth=2
	s_waitcnt lgkmcnt(0)
	v_cmp_lt_i32_e32 vcc, -1, v17
	v_cndmask_b32_e32 v5, -1, v32, vcc
	v_xor_b32_e32 v5, v5, v17
	v_cmp_o_f32_e32 vcc, v17, v17
	v_cndmask_b32_e32 v5, -1, v5, vcc
	v_and_b32_e32 v5, v5, v34
	v_cmp_eq_u32_e32 vcc, v5, v35
	s_and_b64 exec, exec, vcc
	s_cbranch_execz .LBB85_326
; %bb.331:                              ;   in Loop: Header=BB85_327 Depth=2
	ds_write_b64 v11, v[16:17] offset:3072
	s_branch .LBB85_326
.LBB85_332:                             ;   in Loop: Header=BB85_6 Depth=1
	s_mov_b64 s[46:47], -1
	s_mov_b64 s[18:19], 0
                                        ; implicit-def: $sgpr48_sgpr49
                                        ; implicit-def: $vgpr19
	s_mov_b64 s[50:51], s[46:47]
	s_cbranch_execnz .LBB85_335
	s_branch .LBB85_345
.LBB85_333:                             ;   in Loop: Header=BB85_6 Depth=1
	s_or_b64 exec, exec, s[48:49]
	s_and_b64 s[18:19], s[50:51], exec
.LBB85_334:                             ;   in Loop: Header=BB85_6 Depth=1
	s_or_b64 exec, exec, s[46:47]
	s_mov_b64 s[46:47], 0
	s_mov_b64 s[48:49], -1
	s_mov_b64 s[50:51], s[46:47]
	s_branch .LBB85_345
.LBB85_335:                             ;   in Loop: Header=BB85_6 Depth=1
	s_mov_b64 s[18:19], 0
                                        ; implicit-def: $vgpr19
	s_mov_b64 s[46:47], exec
	v_readlane_b32 s48, v54, 50
	v_readlane_b32 s49, v54, 51
	s_and_b64 s[48:49], s[46:47], s[48:49]
	s_mov_b64 exec, s[48:49]
	s_cbranch_execz .LBB85_344
; %bb.336:                              ;   in Loop: Header=BB85_6 Depth=1
	s_mov_b64 s[48:49], 0
	v_mov_b32_e32 v10, v12
	v_mov_b32_e32 v2, v0
                                        ; implicit-def: $sgpr50_sgpr51
	s_branch .LBB85_338
.LBB85_337:                             ;   in Loop: Header=BB85_338 Depth=2
	s_or_b64 exec, exec, s[18:19]
	s_waitcnt lgkmcnt(0)
	s_barrier
	ds_read_b64 v[18:19], v11 offset:3072
	v_add_u32_e32 v2, s9, v2
	v_cmp_le_u32_e64 s[18:19], s12, v2
	v_add_u32_e32 v10, s76, v10
	s_waitcnt lgkmcnt(0)
	v_cmp_neq_f32_e32 vcc, 0, v18
	s_or_b64 s[18:19], s[18:19], vcc
	s_and_b64 s[18:19], exec, s[18:19]
	s_or_b64 s[48:49], s[18:19], s[48:49]
	s_andn2_b64 s[18:19], s[50:51], exec
	s_and_b64 s[50:51], vcc, exec
	s_or_b64 s[50:51], s[18:19], s[50:51]
	s_barrier
	s_andn2_b64 exec, exec, s[48:49]
	s_cbranch_execz .LBB85_343
.LBB85_338:                             ;   Parent Loop BB85_6 Depth=1
                                        ; =>  This Inner Loop Header: Depth=2
	v_cmp_gt_u32_e32 vcc, s60, v2
	s_waitcnt vmcnt(0)
	v_mov_b32_e32 v17, 0
	s_and_saveexec_b64 s[52:53], vcc
	s_cbranch_execz .LBB85_340
; %bb.339:                              ;   in Loop: Header=BB85_338 Depth=2
	v_lshlrev_b64 v[4:5], 2, v[10:11]
	v_mov_b32_e32 v17, s8
	v_add_co_u32_e64 v4, s[18:19], s33, v4
	v_addc_co_u32_e64 v5, s[18:19], v17, v5, s[18:19]
	global_load_dword v17, v[4:5], off
.LBB85_340:                             ;   in Loop: Header=BB85_338 Depth=2
	s_or_b64 exec, exec, s[52:53]
	s_and_saveexec_b64 s[18:19], vcc
	s_cbranch_execz .LBB85_337
; %bb.341:                              ;   in Loop: Header=BB85_338 Depth=2
	s_waitcnt vmcnt(0)
	v_cmp_lt_i32_e32 vcc, -1, v17
	v_cndmask_b32_e32 v4, -1, v32, vcc
	v_xor_b32_e32 v4, v4, v17
	v_cmp_o_f32_e32 vcc, v17, v17
	v_cndmask_b32_e32 v4, -1, v4, vcc
	v_and_b32_e32 v4, v4, v34
	v_cmp_eq_u32_e32 vcc, v4, v35
	s_and_b64 exec, exec, vcc
	s_cbranch_execz .LBB85_337
; %bb.342:                              ;   in Loop: Header=BB85_338 Depth=2
	ds_write_b64 v11, v[16:17] offset:3072
	s_branch .LBB85_337
.LBB85_343:                             ;   in Loop: Header=BB85_6 Depth=1
	s_or_b64 exec, exec, s[48:49]
	s_and_b64 s[18:19], s[50:51], exec
.LBB85_344:                             ;   in Loop: Header=BB85_6 Depth=1
	s_or_b64 exec, exec, s[46:47]
	s_mov_b64 s[48:49], 0
	s_mov_b64 s[46:47], -1
	s_mov_b64 s[50:51], 0
.LBB85_345:                             ;   in Loop: Header=BB85_6 Depth=1
	s_orn2_b64 s[18:19], s[18:19], exec
.LBB85_346:                             ;   in Loop: Header=BB85_6 Depth=1
	s_or_b64 exec, exec, s[16:17]
	s_mov_b64 s[16:17], 0
                                        ; implicit-def: $vgpr2
	s_and_saveexec_b64 s[52:53], s[18:19]
	s_cbranch_execz .LBB85_399
; %bb.347:                              ;   in Loop: Header=BB85_6 Depth=1
	s_xor_b64 s[18:19], s[54:55], -1
	s_mov_b64 s[56:57], 0
	v_mov_b32_e32 v4, 1
	v_mov_b32_e32 v2, 1
	s_and_saveexec_b64 s[16:17], s[18:19]
	s_cbranch_execz .LBB85_357
; %bb.348:                              ;   in Loop: Header=BB85_6 Depth=1
	v_cmp_ge_u32_e32 vcc, s4, v3
                                        ; implicit-def: $sgpr11
                                        ; implicit-def: $sgpr18_sgpr19
	s_and_saveexec_b64 s[54:55], vcc
	s_xor_b64 s[54:55], exec, s[54:55]
	s_cbranch_execz .LBB85_354
; %bb.349:                              ;   in Loop: Header=BB85_6 Depth=1
	ds_read_b32 v2, v11 offset:4096
	s_waitcnt lgkmcnt(0)
	v_cmp_ne_u32_e32 vcc, 0, v2
	s_cbranch_vccnz .LBB85_353
; %bb.350:                              ;   in Loop: Header=BB85_6 Depth=1
	s_mov_b64 s[18:19], exec
	v_readlane_b32 s56, v54, 14
	v_readlane_b32 s57, v54, 15
	s_and_b64 s[56:57], s[18:19], s[56:57]
	s_mov_b64 exec, s[56:57]
	s_cbranch_execz .LBB85_352
; %bb.351:                              ;   in Loop: Header=BB85_6 Depth=1
	v_mov_b32_e32 v2, s4
	ds_write_b32 v11, v2 offset:4100
.LBB85_352:                             ;   in Loop: Header=BB85_6 Depth=1
	s_or_b64 exec, exec, s[18:19]
	s_waitcnt lgkmcnt(0)
	s_barrier
.LBB85_353:                             ;   in Loop: Header=BB85_6 Depth=1
	v_and_b32_e32 v2, s5, v35
	v_lshl_or_b32 v35, 1, s10, v2
	v_or_b32_e32 v34, s72, v34
	s_mov_b64 s[18:19], 0
	s_mov_b32 s11, 5
.LBB85_354:                             ;   in Loop: Header=BB85_6 Depth=1
	s_or_saveexec_b64 s[54:55], s[54:55]
	v_mov_b32_e32 v2, s11
	s_xor_b64 exec, exec, s[54:55]
; %bb.355:                              ;   in Loop: Header=BB85_6 Depth=1
	v_subrev_u32_e32 v3, s4, v3
	v_mov_b32_e32 v2, 0
	s_or_b64 s[18:19], s[18:19], exec
; %bb.356:                              ;   in Loop: Header=BB85_6 Depth=1
	s_or_b64 exec, exec, s[54:55]
	s_and_b64 s[56:57], s[18:19], exec
	v_mov_b32_e32 v4, v3
.LBB85_357:                             ;   in Loop: Header=BB85_6 Depth=1
	s_or_b64 exec, exec, s[16:17]
	s_mov_b64 s[16:17], -1
                                        ; implicit-def: $sgpr18_sgpr19
                                        ; implicit-def: $sgpr58_sgpr59
                                        ; implicit-def: $sgpr80_sgpr81
	s_and_saveexec_b64 s[54:55], s[56:57]
	s_cbranch_execz .LBB85_398
; %bb.358:                              ;   in Loop: Header=BB85_6 Depth=1
	s_cmp_eq_u32 s73, 1
	s_cselect_b64 s[10:11], -1, 0
	v_cmp_eq_u32_e32 vcc, 1, v4
	s_and_b64 s[56:57], s[10:11], vcc
	s_mov_b64 s[82:83], -1
                                        ; implicit-def: $sgpr18_sgpr19
                                        ; implicit-def: $sgpr58_sgpr59
                                        ; implicit-def: $sgpr80_sgpr81
	s_and_saveexec_b64 s[16:17], s[56:57]
	s_cbranch_execz .LBB85_385
; %bb.359:                              ;   in Loop: Header=BB85_6 Depth=1
	ds_read_b32 v2, v11 offset:4096
	s_waitcnt lgkmcnt(0)
	s_barrier
	v_readfirstlane_b32 s4, v2
	s_mov_b64 s[18:19], exec
	v_readlane_b32 s10, v54, 34
	v_readlane_b32 s11, v54, 35
	s_and_b64 s[10:11], s[18:19], s[10:11]
	s_mov_b64 exec, s[10:11]
	s_cbranch_execz .LBB85_361
; %bb.360:                              ;   in Loop: Header=BB85_6 Depth=1
	ds_write_b32 v23, v11
.LBB85_361:                             ;   in Loop: Header=BB85_6 Depth=1
	s_or_b64 exec, exec, s[18:19]
	v_and_b32_e32 v35, s5, v35
	v_or_b32_e32 v34, s72, v34
	s_cmp_eq_u32 s4, 0
	s_waitcnt lgkmcnt(0)
	s_barrier
	s_cbranch_scc1 .LBB85_370
; %bb.362:                              ;   in Loop: Header=BB85_6 Depth=1
	v_readlane_b32 s10, v54, 27
	s_add_i32 s10, s4, s10
	v_readlane_b32 s11, v54, 49
	s_mul_hi_u32 s11, s10, s11
	s_mul_i32 s11, s11, s9
	s_sub_i32 s11, s10, s11
	s_sub_i32 s18, s11, s9
	s_cmp_ge_u32 s11, s9
	s_cselect_b32 s11, s18, s11
	s_sub_i32 s18, s11, s9
	s_cmp_ge_u32 s11, s9
	s_cselect_b32 s11, s18, s11
	s_sub_i32 s10, s10, s11
	v_cmp_gt_u32_e32 vcc, s10, v0
	s_mov_b64 s[82:83], 0
                                        ; implicit-def: $vgpr19
	s_and_saveexec_b64 s[58:59], vcc
	s_cbranch_execz .LBB85_372
; %bb.363:                              ;   in Loop: Header=BB85_6 Depth=1
	s_mov_b64 s[80:81], 0
	v_mov_b32_e32 v2, v20
	v_mov_b32_e32 v3, v0
                                        ; implicit-def: $sgpr82_sgpr83
	s_branch .LBB85_365
.LBB85_364:                             ;   in Loop: Header=BB85_365 Depth=2
	s_or_b64 exec, exec, s[18:19]
	s_waitcnt lgkmcnt(0)
	s_barrier
	ds_read_b64 v[18:19], v11 offset:3072
	v_add_u32_e32 v3, s9, v3
	v_cmp_le_u32_e64 s[18:19], s10, v3
	v_add_u32_e32 v2, s77, v2
	s_waitcnt lgkmcnt(0)
	v_cmp_neq_f32_e32 vcc, 0, v18
	s_or_b64 s[18:19], s[18:19], vcc
	s_and_b64 s[18:19], exec, s[18:19]
	s_or_b64 s[80:81], s[18:19], s[80:81]
	s_andn2_b64 s[18:19], s[82:83], exec
	s_and_b64 s[62:63], vcc, exec
	s_or_b64 s[82:83], s[18:19], s[62:63]
	s_barrier
	s_andn2_b64 exec, exec, s[80:81]
	s_cbranch_execz .LBB85_371
.LBB85_365:                             ;   Parent Loop BB85_6 Depth=1
                                        ; =>  This Inner Loop Header: Depth=2
	v_cmp_gt_u32_e32 vcc, s4, v3
	s_waitcnt vmcnt(0)
	v_mov_b32_e32 v17, 0
	s_and_saveexec_b64 s[18:19], vcc
	s_cbranch_execz .LBB85_367
; %bb.366:                              ;   in Loop: Header=BB85_365 Depth=2
	ds_read_b32 v17, v2
.LBB85_367:                             ;   in Loop: Header=BB85_365 Depth=2
	s_or_b64 exec, exec, s[18:19]
	s_and_saveexec_b64 s[18:19], vcc
	s_cbranch_execz .LBB85_364
; %bb.368:                              ;   in Loop: Header=BB85_365 Depth=2
	s_waitcnt lgkmcnt(0)
	v_cmp_lt_i32_e32 vcc, -1, v17
	v_cndmask_b32_e32 v5, -1, v32, vcc
	v_xor_b32_e32 v5, v5, v17
	v_cmp_o_f32_e32 vcc, v17, v17
	v_cndmask_b32_e32 v5, -1, v5, vcc
	v_and_b32_e32 v5, v5, v34
	v_cmp_eq_u32_e32 vcc, v5, v35
	s_and_b64 exec, exec, vcc
	s_cbranch_execz .LBB85_364
; %bb.369:                              ;   in Loop: Header=BB85_365 Depth=2
	ds_write_b64 v11, v[16:17] offset:3072
	s_branch .LBB85_364
.LBB85_370:                             ;   in Loop: Header=BB85_6 Depth=1
	s_mov_b64 s[18:19], -1
	s_mov_b64 s[82:83], 0
                                        ; implicit-def: $sgpr58_sgpr59
                                        ; implicit-def: $vgpr19
	s_branch .LBB85_373
.LBB85_371:                             ;   in Loop: Header=BB85_6 Depth=1
	s_or_b64 exec, exec, s[80:81]
	s_and_b64 s[82:83], s[82:83], exec
.LBB85_372:                             ;   in Loop: Header=BB85_6 Depth=1
	s_or_b64 exec, exec, s[58:59]
	s_mov_b64 s[18:19], 0
	s_mov_b64 s[58:59], -1
.LBB85_373:                             ;   in Loop: Header=BB85_6 Depth=1
	s_and_b64 vcc, exec, s[18:19]
	s_mov_b64 s[80:81], s[18:19]
	s_cbranch_vccz .LBB85_384
; %bb.374:                              ;   in Loop: Header=BB85_6 Depth=1
	s_mov_b64 s[82:83], 0
                                        ; implicit-def: $vgpr19
	s_mov_b64 s[62:63], exec
	v_readlane_b32 s10, v54, 50
	v_readlane_b32 s11, v54, 51
	s_and_b64 s[10:11], s[62:63], s[10:11]
	s_mov_b64 exec, s[10:11]
	s_cbranch_execz .LBB85_383
; %bb.375:                              ;   in Loop: Header=BB85_6 Depth=1
	s_mov_b64 s[80:81], 0
	v_mov_b32_e32 v10, v12
	v_mov_b32_e32 v2, v0
                                        ; implicit-def: $sgpr82_sgpr83
	s_branch .LBB85_377
.LBB85_376:                             ;   in Loop: Header=BB85_377 Depth=2
	s_or_b64 exec, exec, s[18:19]
	s_waitcnt lgkmcnt(0)
	s_barrier
	ds_read_b64 v[18:19], v11 offset:3072
	v_add_u32_e32 v2, s9, v2
	v_cmp_le_u32_e64 s[18:19], s12, v2
	v_add_u32_e32 v10, s76, v10
	s_waitcnt lgkmcnt(0)
	v_cmp_neq_f32_e32 vcc, 0, v18
	s_or_b64 s[10:11], s[18:19], vcc
	s_and_b64 s[10:11], exec, s[10:11]
	s_or_b64 s[80:81], s[10:11], s[80:81]
	s_andn2_b64 s[10:11], s[82:83], exec
	s_and_b64 s[18:19], vcc, exec
	s_or_b64 s[82:83], s[10:11], s[18:19]
	s_barrier
	s_andn2_b64 exec, exec, s[80:81]
	s_cbranch_execz .LBB85_382
.LBB85_377:                             ;   Parent Loop BB85_6 Depth=1
                                        ; =>  This Inner Loop Header: Depth=2
	v_cmp_gt_u32_e32 vcc, s60, v2
	s_waitcnt vmcnt(0)
	v_mov_b32_e32 v17, 0
	s_and_saveexec_b64 s[58:59], vcc
	s_cbranch_execz .LBB85_379
; %bb.378:                              ;   in Loop: Header=BB85_377 Depth=2
	v_lshlrev_b64 v[18:19], 2, v[10:11]
	v_mov_b32_e32 v3, s8
	v_add_co_u32_e64 v18, s[18:19], s33, v18
	v_addc_co_u32_e64 v19, s[18:19], v3, v19, s[18:19]
	global_load_dword v17, v[18:19], off
.LBB85_379:                             ;   in Loop: Header=BB85_377 Depth=2
	s_or_b64 exec, exec, s[58:59]
	s_and_saveexec_b64 s[18:19], vcc
	s_cbranch_execz .LBB85_376
; %bb.380:                              ;   in Loop: Header=BB85_377 Depth=2
	s_waitcnt vmcnt(0)
	v_cmp_lt_i32_e32 vcc, -1, v17
	v_cndmask_b32_e32 v3, -1, v32, vcc
	v_xor_b32_e32 v3, v3, v17
	v_cmp_o_f32_e32 vcc, v17, v17
	v_cndmask_b32_e32 v3, -1, v3, vcc
	v_and_b32_e32 v3, v3, v34
	v_cmp_eq_u32_e32 vcc, v3, v35
	s_and_b64 exec, exec, vcc
	s_cbranch_execz .LBB85_376
; %bb.381:                              ;   in Loop: Header=BB85_377 Depth=2
	ds_write_b64 v11, v[16:17] offset:3072
	s_branch .LBB85_376
.LBB85_382:                             ;   in Loop: Header=BB85_6 Depth=1
	s_or_b64 exec, exec, s[80:81]
	s_and_b64 s[82:83], s[82:83], exec
.LBB85_383:                             ;   in Loop: Header=BB85_6 Depth=1
	s_or_b64 exec, exec, s[62:63]
	s_mov_b64 s[58:59], 0
	s_mov_b64 s[18:19], -1
	s_mov_b64 s[80:81], 0
.LBB85_384:                             ;   in Loop: Header=BB85_6 Depth=1
	s_orn2_b64 s[82:83], s[82:83], exec
.LBB85_385:                             ;   in Loop: Header=BB85_6 Depth=1
	s_or_b64 exec, exec, s[16:17]
	s_mov_b64 vcc, 0
                                        ; implicit-def: $vgpr2
                                        ; implicit-def: $vgpr3
	s_and_saveexec_b64 s[16:17], s[82:83]
	s_cbranch_execz .LBB85_397
; %bb.386:                              ;   in Loop: Header=BB85_6 Depth=1
	s_xor_b64 s[10:11], s[56:57], -1
	v_mov_b32_e32 v2, 1
	v_mov_b32_e32 v3, 1
	s_and_saveexec_b64 s[56:57], s[10:11]
	s_cbranch_execz .LBB85_396
; %bb.387:                              ;   in Loop: Header=BB85_6 Depth=1
	v_cmp_ge_u32_e32 vcc, s73, v4
                                        ; implicit-def: $sgpr4
	s_and_saveexec_b64 s[10:11], vcc
	s_xor_b64 s[82:83], exec, s[10:11]
	s_cbranch_execz .LBB85_393
; %bb.388:                              ;   in Loop: Header=BB85_6 Depth=1
	ds_read_b32 v2, v11 offset:4096
	s_waitcnt lgkmcnt(0)
	v_cmp_ne_u32_e32 vcc, 0, v2
	s_cbranch_vccnz .LBB85_392
; %bb.389:                              ;   in Loop: Header=BB85_6 Depth=1
	s_mov_b64 vcc, exec
	v_readlane_b32 s10, v54, 14
	v_readlane_b32 s11, v54, 15
	s_and_b64 s[10:11], vcc, s[10:11]
	s_mov_b64 exec, s[10:11]
	s_cbranch_execz .LBB85_391
; %bb.390:                              ;   in Loop: Header=BB85_6 Depth=1
	v_mov_b32_e32 v2, s73
	ds_write_b32 v11, v2 offset:4100
.LBB85_391:                             ;   in Loop: Header=BB85_6 Depth=1
	s_or_b64 exec, exec, vcc
	s_waitcnt lgkmcnt(0)
	s_barrier
.LBB85_392:                             ;   in Loop: Header=BB85_6 Depth=1
	v_and_b32_e32 v35, s5, v35
	v_or_b32_e32 v34, s72, v34
	s_mov_b32 s4, 5
.LBB85_393:                             ;   in Loop: Header=BB85_6 Depth=1
	s_or_saveexec_b64 s[82:83], s[82:83]
	v_mov_b32_e32 v2, s4
	s_xor_b64 exec, exec, s[82:83]
; %bb.394:                              ;   in Loop: Header=BB85_6 Depth=1
	v_subrev_u32_e32 v4, s73, v4
	v_mov_b32_e32 v2, 5
; %bb.395:                              ;   in Loop: Header=BB85_6 Depth=1
	s_or_b64 exec, exec, s[82:83]
	v_mov_b32_e32 v3, v4
.LBB85_396:                             ;   in Loop: Header=BB85_6 Depth=1
	s_or_b64 exec, exec, s[56:57]
	s_mov_b64 vcc, exec
.LBB85_397:                             ;   in Loop: Header=BB85_6 Depth=1
	s_or_b64 exec, exec, s[16:17]
	s_orn2_b64 s[16:17], vcc, exec
	v_mov_b32_e32 v4, v3
.LBB85_398:                             ;   in Loop: Header=BB85_6 Depth=1
	s_or_b64 exec, exec, s[54:55]
	s_andn2_b64 s[4:5], s[46:47], exec
	s_and_b64 s[10:11], s[18:19], exec
	s_or_b64 s[46:47], s[4:5], s[10:11]
	s_andn2_b64 s[4:5], s[48:49], exec
	s_and_b64 s[10:11], s[58:59], exec
	s_or_b64 s[48:49], s[4:5], s[10:11]
	;; [unrolled: 3-line block ×3, first 2 shown]
	s_and_b64 s[16:17], s[16:17], exec
	v_mov_b32_e32 v3, v4
.LBB85_399:                             ;   in Loop: Header=BB85_6 Depth=1
	s_or_b64 exec, exec, s[52:53]
	s_and_b64 s[52:53], s[46:47], exec
	s_and_b64 s[46:47], s[48:49], exec
	;; [unrolled: 1-line block ×3, first 2 shown]
	s_orn2_b64 s[16:17], s[16:17], exec
.LBB85_400:                             ;   in Loop: Header=BB85_6 Depth=1
	s_or_b64 exec, exec, s[44:45]
	s_andn2_b64 s[4:5], s[36:37], exec
	s_and_b64 s[10:11], s[52:53], exec
	s_or_b64 s[36:37], s[4:5], s[10:11]
	s_andn2_b64 s[4:5], s[38:39], exec
	s_and_b64 s[10:11], s[46:47], exec
	s_or_b64 s[38:39], s[4:5], s[10:11]
	;; [unrolled: 3-line block ×3, first 2 shown]
	s_and_b64 s[18:19], s[16:17], exec
	v_mov_b32_e32 v37, v3
.LBB85_401:                             ;   in Loop: Header=BB85_6 Depth=1
	s_or_b64 exec, exec, s[42:43]
	s_and_b64 s[42:43], s[36:37], exec
	s_and_b64 s[36:37], s[38:39], exec
	;; [unrolled: 1-line block ×3, first 2 shown]
	s_orn2_b64 s[38:39], s[18:19], exec
.LBB85_402:                             ;   in Loop: Header=BB85_6 Depth=1
	s_or_b64 exec, exec, s[28:29]
	s_mov_b64 s[18:19], s[24:25]
	s_mov_b64 s[28:29], s[20:21]
	s_and_saveexec_b64 s[40:41], s[38:39]
; %bb.403:                              ;   in Loop: Header=BB85_6 Depth=1
	v_cmp_ne_u32_e64 s[18:19], 5, v2
	v_cmp_eq_u32_e32 vcc, 5, v2
	s_andn2_b64 s[4:5], s[20:21], exec
	s_and_b64 s[10:11], s[18:19], exec
	s_or_b64 s[28:29], s[4:5], s[10:11]
	s_andn2_b64 s[4:5], s[24:25], exec
	s_and_b64 s[10:11], vcc, exec
	s_andn2_b64 s[42:43], s[42:43], exec
	s_andn2_b64 s[36:37], s[36:37], exec
	;; [unrolled: 1-line block ×3, first 2 shown]
	s_or_b64 s[18:19], s[4:5], s[10:11]
; %bb.404:                              ;   in Loop: Header=BB85_6 Depth=1
	s_or_b64 exec, exec, s[40:41]
	s_andn2_b64 s[4:5], s[30:31], exec
	s_and_b64 s[10:11], s[42:43], exec
	s_or_b64 s[30:31], s[4:5], s[10:11]
	s_andn2_b64 s[4:5], s[34:35], exec
	s_and_b64 s[10:11], s[36:37], exec
	s_or_b64 s[34:35], s[4:5], s[10:11]
	;; [unrolled: 3-line block ×5, first 2 shown]
	v_mov_b32_e32 v4, v35
	v_mov_b32_e32 v5, v34
	;; [unrolled: 1-line block ×3, first 2 shown]
.LBB85_405:                             ;   in Loop: Header=BB85_6 Depth=1
	s_or_b64 exec, exec, s[26:27]
	s_mov_b64 s[28:29], s[22:23]
	s_mov_b64 s[26:27], s[22:23]
	s_and_saveexec_b64 s[16:17], s[24:25]
.LBB85_406:                             ;   in Loop: Header=BB85_6 Depth=1
	v_mov_b32_e32 v2, 0
	s_andn2_b64 s[22:23], s[22:23], exec
	s_andn2_b64 s[30:31], s[30:31], exec
	;; [unrolled: 1-line block ×5, first 2 shown]
	s_or_b64 s[20:21], s[20:21], exec
.LBB85_407:                             ;   in Loop: Header=BB85_6 Depth=1
	s_or_b64 exec, exec, s[16:17]
	s_andn2_b64 s[4:5], s[88:89], exec
	s_and_b64 s[10:11], s[22:23], exec
	s_or_b64 s[88:89], s[4:5], s[10:11]
	s_andn2_b64 s[4:5], s[86:87], exec
	s_and_b64 s[10:11], s[30:31], exec
	s_or_b64 s[86:87], s[4:5], s[10:11]
	;; [unrolled: 3-line block ×4, first 2 shown]
	s_andn2_b64 s[4:5], s[70:71], exec
	s_and_b64 s[10:11], s[26:27], exec
	s_mov_b64 s[18:19], -1
	s_or_b64 s[70:71], s[4:5], s[10:11]
                                        ; implicit-def: $vgpr34
                                        ; implicit-def: $vgpr35
                                        ; implicit-def: $vgpr36
                                        ; implicit-def: $vgpr19
	s_and_saveexec_b64 s[4:5], s[20:21]
	s_xor_b64 s[16:17], exec, s[4:5]
	s_cbranch_execz .LBB85_5
; %bb.408:                              ;   in Loop: Header=BB85_6 Depth=1
	v_cmp_eq_u32_e32 vcc, 0, v2
	s_mov_b64 s[20:21], -1
	s_and_saveexec_b64 s[22:23], vcc
	s_cbranch_execz .LBB85_4
; %bb.409:                              ;   in Loop: Header=BB85_6 Depth=1
	s_xor_b32 s78, s78, 1
	s_add_i32 s10, s7, -2
	s_cmp_eq_u32 s7, 0
	s_cselect_b64 s[4:5], -1, 0
	s_xor_b64 s[20:21], exec, -1
	s_orn2_b64 s[18:19], s[4:5], exec
	s_mov_b32 s7, s10
	s_branch .LBB85_4
.LBB85_410:
	s_or_b64 exec, exec, s[90:91]
	s_xor_b64 s[16:17], s[68:69], -1
	s_xor_b64 s[20:21], s[66:67], -1
	;; [unrolled: 1-line block ×5, first 2 shown]
	s_mov_b64 s[12:13], 0
	s_and_saveexec_b64 s[6:7], s[4:5]
	s_xor_b64 s[10:11], exec, s[6:7]
	s_cbranch_execnz .LBB85_415
; %bb.411:
	s_andn2_saveexec_b64 s[0:1], s[10:11]
	s_cbranch_execnz .LBB85_434
.LBB85_412:
	s_or_b64 exec, exec, s[0:1]
	s_and_saveexec_b64 s[0:1], s[12:13]
.LBB85_413:
	; divergent unreachable
.LBB85_414:
	s_endpgm
.LBB85_415:
	s_mov_b64 s[14:15], 0
	s_and_saveexec_b64 s[4:5], s[18:19]
	s_xor_b64 s[12:13], exec, s[4:5]
	s_cbranch_execz .LBB85_432
; %bb.416:
	s_mov_b64 s[18:19], 0
	s_and_saveexec_b64 s[4:5], s[20:21]
	s_xor_b64 s[14:15], exec, s[4:5]
	s_cbranch_execz .LBB85_430
; %bb.417:
	s_and_saveexec_b64 s[4:5], s[16:17]
	s_xor_b64 s[16:17], exec, s[4:5]
	s_cbranch_execz .LBB85_428
; %bb.418:
	s_and_saveexec_b64 s[4:5], s[2:3]
	s_xor_b64 s[2:3], exec, s[4:5]
; %bb.419:
	v_bfrev_b32_e32 v1, 1
	v_cmp_lt_i32_e32 vcc, -1, v4
	v_cndmask_b32_e64 v1, v1, -1, vcc
	v_xor_b32_e32 v3, v1, v4
; %bb.420:
	s_or_b64 exec, exec, s[2:3]
	s_mov_b64 s[2:3], exec
	v_readlane_b32 s4, v54, 14
	v_readlane_b32 s5, v54, 15
	;; [unrolled: 1-line block ×3, first 2 shown]
	s_and_b64 s[4:5], s[2:3], s[4:5]
	v_readlane_b32 s35, v54, 20
	v_readlane_b32 s20, v54, 52
	s_mov_b64 exec, s[4:5]
	s_cbranch_execz .LBB85_422
; %bb.421:
	v_mov_b32_e32 v1, 0
	ds_write_b32 v1, v1 offset:4108
.LBB85_422:
	s_or_b64 exec, exec, s[2:3]
	v_mov_b32_e32 v11, 0
	s_waitcnt lgkmcnt(0)
	s_barrier
	s_mov_b64 s[2:3], exec
	v_readlane_b32 s4, v54, 32
	v_readlane_b32 s5, v54, 33
	s_and_b64 s[4:5], s[2:3], s[4:5]
	s_mov_b64 exec, s[4:5]
	s_cbranch_execz .LBB85_424
; %bb.423:
	global_load_dword v11, v[8:9], off
.LBB85_424:
	s_or_b64 exec, exec, s[2:3]
	v_readlane_b32 s5, v54, 10
	v_readlane_b32 s7, v54, 11
	s_mul_i32 s2, s7, s5
	v_readlane_b32 s6, v54, 16
	s_add_i32 s42, s60, 63
	s_sub_i32 s2, s6, s2
	s_andn2_b32 s42, s42, 63
	s_add_i32 s3, s7, 1
	s_sub_i32 s4, s2, s5
	s_cmp_ge_u32 s2, s5
	s_cselect_b32 s3, s3, s7
	s_cselect_b32 s2, s4, s2
	s_add_i32 s4, s3, 1
	s_cmp_ge_u32 s2, s5
	s_cselect_b32 s2, s4, s3
	s_mul_i32 s3, s2, s5
	v_readlane_b32 s4, v54, 2
	s_sub_i32 s3, s6, s3
	v_readlane_b32 s5, v54, 3
	s_mul_i32 s3, s3, s5
	s_mul_i32 s2, s2, s4
	v_readlane_b32 s7, v54, 12
	v_readlane_b32 s18, v54, 13
	s_add_i32 s2, s2, s3
	s_mul_i32 s3, s18, s7
	s_sub_i32 s3, s6, s3
	s_add_i32 s4, s18, 1
	s_sub_i32 s5, s3, s7
	s_cmp_ge_u32 s3, s7
	s_cselect_b32 s4, s4, s18
	s_cselect_b32 s3, s5, s3
	s_add_i32 s5, s4, 1
	s_cmp_ge_u32 s3, s7
	s_cselect_b32 s3, s5, s4
	s_mul_i32 s4, s3, s7
	s_sub_i32 s4, s6, s4
	v_readlane_b32 s6, v54, 4
	v_readlane_b32 s7, v54, 5
	s_mul_i32 s4, s4, s7
	s_mul_i32 s3, s3, s6
	s_add_i32 s4, s3, s4
	s_mov_b32 s3, 0
	s_lshl_b64 s[6:7], s[2:3], 2
	v_readlane_b32 s18, v54, 8
	v_readlane_b32 s19, v54, 9
	s_add_u32 s43, s18, s6
	s_mov_b32 s5, s3
	s_addc_u32 s44, s19, s7
	s_lshl_b64 s[2:3], s[4:5], 3
	v_readlane_b32 s4, v54, 0
	v_readlane_b32 s5, v54, 1
	s_add_u32 s45, s4, s2
	s_addc_u32 s46, s5, s3
	v_readlane_b32 s2, v54, 6
	v_readlane_b32 s3, v54, 7
	s_load_dword s47, s[2:3], 0x1c8
	s_load_dword s48, s[2:3], 0x2a8
	v_bfrev_b32_e32 v1, 1
	v_cmp_lt_i32_e32 vcc, -1, v3
	v_cndmask_b32_e32 v2, -1, v1, vcc
	v_xor_b32_e32 v2, v2, v3
	v_cmp_o_f32_e32 vcc, v3, v3
	v_add_u32_e32 v3, s9, v0
	v_cndmask_b32_e32 v12, -1, v2, vcc
	v_cmp_gt_u32_e32 vcc, s42, v0
	s_mov_b64 s[18:19], -1
	s_mov_b64 s[2:3], 0
	v_mul_lo_u32 v2, s20, v3
	s_mov_b64 s[4:5], 0
	s_and_saveexec_b64 s[30:31], vcc
	s_cbranch_execnz .LBB85_435
; %bb.425:
	s_or_b64 exec, exec, s[30:31]
	s_and_saveexec_b64 s[40:41], s[18:19]
	s_cbranch_execnz .LBB85_452
.LBB85_426:
	s_or_b64 exec, exec, s[40:41]
	s_and_saveexec_b64 s[0:1], s[4:5]
	s_xor_b64 s[0:1], exec, s[0:1]
	s_cbranch_execnz .LBB85_474
.LBB85_427:
	s_or_b64 exec, exec, s[0:1]
	s_and_b64 s[18:19], s[2:3], exec
.LBB85_428:
	s_andn2_saveexec_b64 s[0:1], s[16:17]
	s_cbranch_execnz .LBB85_477
.LBB85_429:
	s_or_b64 exec, exec, s[0:1]
	s_and_b64 s[18:19], s[18:19], exec
.LBB85_430:
	s_andn2_saveexec_b64 s[0:1], s[14:15]
	s_cbranch_execnz .LBB85_476
.LBB85_431:
	s_or_b64 exec, exec, s[0:1]
	s_and_b64 s[14:15], s[18:19], exec
.LBB85_432:
	s_andn2_saveexec_b64 s[0:1], s[12:13]
	s_cbranch_execnz .LBB85_475
.LBB85_433:
	s_or_b64 exec, exec, s[0:1]
	s_and_b64 s[12:13], s[14:15], exec
	s_andn2_saveexec_b64 s[0:1], s[10:11]
	s_cbranch_execz .LBB85_412
.LBB85_434:
	s_or_b64 s[12:13], s[12:13], exec
	s_trap 2
	s_or_b64 exec, exec, s[0:1]
	s_and_saveexec_b64 s[0:1], s[12:13]
	s_cbranch_execnz .LBB85_413
	s_branch .LBB85_414
.LBB85_435:
	v_mul_lo_u32 v4, s20, v3
	s_mov_b64 s[18:19], 0
	v_mov_b32_e32 v5, 0
	v_mov_b32_e32 v10, v0
                                        ; implicit-def: $sgpr20_sgpr21
                                        ; implicit-def: $vgpr14
	s_branch .LBB85_437
.LBB85_436:                             ;   in Loop: Header=BB85_437 Depth=1
	s_or_b64 exec, exec, s[22:23]
	s_xor_b64 s[6:7], s[26:27], -1
	s_and_b64 s[4:5], exec, s[4:5]
	s_or_b64 s[18:19], s[4:5], s[18:19]
	s_andn2_b64 s[4:5], s[20:21], exec
	s_and_b64 s[6:7], s[6:7], exec
	s_or_b64 s[20:21], s[4:5], s[6:7]
	s_waitcnt vmcnt(0)
	v_mov_b32_e32 v11, v15
	v_mov_b32_e32 v10, v3
	s_andn2_b64 exec, exec, s[18:19]
	s_cbranch_execz .LBB85_451
.LBB85_437:                             ; =>This Inner Loop Header: Depth=1
	v_add_u32_e32 v3, s9, v10
	v_cmp_gt_u32_e32 vcc, s60, v3
	v_mov_b32_e32 v15, 0
	s_and_saveexec_b64 s[4:5], vcc
	s_cbranch_execz .LBB85_439
; %bb.438:                              ;   in Loop: Header=BB85_437 Depth=1
	s_waitcnt vmcnt(0)
	v_lshlrev_b64 v[16:17], 2, v[4:5]
	v_mov_b32_e32 v15, s8
	v_add_co_u32_e32 v16, vcc, s33, v16
	v_addc_co_u32_e32 v17, vcc, v15, v17, vcc
	global_load_dword v15, v[16:17], off
.LBB85_439:                             ;   in Loop: Header=BB85_437 Depth=1
	s_or_b64 exec, exec, s[4:5]
	v_cmp_gt_u32_e32 vcc, s60, v10
	s_mov_b64 s[22:23], 0
	s_and_saveexec_b64 s[4:5], vcc
	s_cbranch_execz .LBB85_441
; %bb.440:                              ;   in Loop: Header=BB85_437 Depth=1
	s_waitcnt vmcnt(0)
	v_cmp_lt_i32_e32 vcc, -1, v11
	v_cndmask_b32_e32 v16, -1, v1, vcc
	v_xor_b32_e32 v16, v16, v11
	v_cmp_o_f32_e32 vcc, v11, v11
	v_cndmask_b32_e32 v16, -1, v16, vcc
	v_cmp_gt_u32_e32 vcc, v16, v12
	v_cndmask_b32_e64 v17, 0, 1, vcc
	v_cmp_lt_u32_e32 vcc, v16, v12
	v_cndmask_b32_e64 v16, 0, 1, vcc
	v_cndmask_b32_e64 v16, v16, v17, s[34:35]
	v_and_b32_e32 v16, 1, v16
	v_cmp_eq_u32_e32 vcc, 1, v16
	s_and_b64 s[22:23], vcc, exec
.LBB85_441:                             ;   in Loop: Header=BB85_437 Depth=1
	s_or_b64 exec, exec, s[4:5]
	v_cndmask_b32_e64 v16, 0, 1, s[22:23]
	v_cmp_ne_u32_e32 vcc, 0, v16
	s_cmp_lg_u64 vcc, 0
	s_cselect_b64 s[4:5], -1, 0
	s_and_b64 s[4:5], s[0:1], s[4:5]
	s_and_saveexec_b64 s[24:25], s[4:5]
	s_cbranch_execz .LBB85_445
; %bb.442:                              ;   in Loop: Header=BB85_437 Depth=1
	s_mov_b64 s[28:29], exec
	s_waitcnt lgkmcnt(0)
	v_mbcnt_lo_u32_b32 v14, s28, 0
	v_mbcnt_hi_u32_b32 v14, s29, v14
	s_bcnt1_i32_b64 s6, vcc
	v_cmp_eq_u32_e64 s[4:5], 0, v14
                                        ; implicit-def: $vgpr16
	s_and_saveexec_b64 s[26:27], s[4:5]
	s_cbranch_execz .LBB85_444
; %bb.443:                              ;   in Loop: Header=BB85_437 Depth=1
	s_bcnt1_i32_b64 s4, s[28:29]
	s_mul_i32 s4, s6, s4
	v_mov_b32_e32 v16, s4
	ds_add_rtn_u32 v16, v5, v16 offset:4108
.LBB85_444:                             ;   in Loop: Header=BB85_437 Depth=1
	s_or_b64 exec, exec, s[26:27]
	s_waitcnt lgkmcnt(0)
	v_readfirstlane_b32 s4, v16
	v_mov_b32_e32 v16, s4
	v_mad_u32_u24 v14, s6, v14, v16
.LBB85_445:                             ;   in Loop: Header=BB85_437 Depth=1
	s_or_b64 exec, exec, s[24:25]
	s_waitcnt lgkmcnt(0)
	ds_bpermute_b32 v14, v13, v14
	s_mov_b64 s[4:5], -1
	s_mov_b64 s[28:29], -1
                                        ; implicit-def: $sgpr26_sgpr27
	s_and_saveexec_b64 s[24:25], s[22:23]
	s_cbranch_execz .LBB85_449
; %bb.446:                              ;   in Loop: Header=BB85_437 Depth=1
	s_waitcnt vmcnt(0)
	v_and_b32_e32 v17, vcc_lo, v6
	v_and_b32_e32 v16, vcc_hi, v7
	v_bcnt_u32_b32 v17, v17, 0
	v_bcnt_u32_b32 v16, v16, v17
	s_waitcnt lgkmcnt(0)
	v_add_u32_e32 v16, v14, v16
	v_cmp_gt_u32_e32 vcc, s61, v16
	s_mov_b64 s[22:23], 0
	s_and_saveexec_b64 s[26:27], vcc
	s_cbranch_execz .LBB85_448
; %bb.447:                              ;   in Loop: Header=BB85_437 Depth=1
	v_mul_lo_u32 v18, v16, s47
	v_mov_b32_e32 v19, v5
	v_lshlrev_b64 v[18:19], 2, v[18:19]
	v_mov_b32_e32 v17, s44
	v_add_co_u32_e32 v18, vcc, s43, v18
	v_mul_lo_u32 v16, v16, s48
	v_addc_co_u32_e32 v19, vcc, v17, v19, vcc
	v_mov_b32_e32 v17, v5
	v_lshlrev_b64 v[16:17], 3, v[16:17]
	global_store_dword v[18:19], v11, off
	v_mov_b32_e32 v18, s46
	v_add_co_u32_e32 v16, vcc, s45, v16
	s_mov_b64 s[22:23], exec
	v_mov_b32_e32 v11, v5
	v_addc_co_u32_e32 v17, vcc, v18, v17, vcc
	global_store_dwordx2 v[16:17], v[10:11], off
.LBB85_448:                             ;   in Loop: Header=BB85_437 Depth=1
	s_or_b64 exec, exec, s[26:27]
	s_mov_b64 s[26:27], -1
	s_orn2_b64 s[28:29], s[22:23], exec
.LBB85_449:                             ;   in Loop: Header=BB85_437 Depth=1
	s_or_b64 exec, exec, s[24:25]
	s_and_saveexec_b64 s[22:23], s[28:29]
	s_cbranch_execz .LBB85_436
; %bb.450:                              ;   in Loop: Header=BB85_437 Depth=1
	v_cmp_le_u32_e32 vcc, s42, v3
	v_add_u32_e32 v4, s76, v4
	s_andn2_b64 s[26:27], s[26:27], exec
	s_orn2_b64 s[4:5], vcc, exec
	s_branch .LBB85_436
.LBB85_451:
	s_or_b64 exec, exec, s[18:19]
	s_mov_b64 s[4:5], exec
	s_orn2_b64 s[18:19], s[20:21], exec
	s_or_b64 exec, exec, s[30:31]
	s_and_saveexec_b64 s[40:41], s[18:19]
	s_cbranch_execz .LBB85_426
.LBB85_452:
	v_mov_b32_e32 v3, 0
	v_mov_b32_e32 v1, 0
	s_waitcnt lgkmcnt(0)
	s_barrier
	s_mov_b64 s[2:3], exec
	v_readlane_b32 s6, v54, 32
	v_readlane_b32 s7, v54, 33
	s_and_b64 s[6:7], s[2:3], s[6:7]
	s_mov_b64 exec, s[6:7]
	s_cbranch_execz .LBB85_454
; %bb.453:
	global_load_dword v1, v[8:9], off
.LBB85_454:
	s_or_b64 exec, exec, s[2:3]
	s_mov_b64 s[6:7], 0
	v_bfrev_b32_e32 v4, 1
                                        ; implicit-def: $sgpr18_sgpr19
                                        ; implicit-def: $sgpr20_sgpr21
                                        ; implicit-def: $sgpr22_sgpr23
                                        ; implicit-def: $vgpr5
	s_branch .LBB85_457
.LBB85_455:                             ;   in Loop: Header=BB85_457 Depth=1
	s_or_b64 exec, exec, s[28:29]
	s_andn2_b64 s[2:3], s[22:23], exec
	s_and_b64 s[22:23], s[34:35], exec
	s_or_b64 s[22:23], s[2:3], s[22:23]
	s_andn2_b64 s[2:3], s[20:21], exec
	s_and_b64 s[20:21], s[26:27], exec
	s_or_b64 s[20:21], s[2:3], s[20:21]
	v_mov_b32_e32 v0, v8
	v_mov_b32_e32 v1, v10
.LBB85_456:                             ;   in Loop: Header=BB85_457 Depth=1
	s_or_b64 exec, exec, s[24:25]
	s_xor_b64 s[2:3], s[22:23], -1
	s_and_b64 s[24:25], exec, s[20:21]
	s_or_b64 s[6:7], s[24:25], s[6:7]
	s_andn2_b64 s[18:19], s[18:19], exec
	s_and_b64 s[2:3], s[2:3], exec
	s_or_b64 s[18:19], s[18:19], s[2:3]
	s_andn2_b64 exec, exec, s[6:7]
	s_cbranch_execz .LBB85_472
.LBB85_457:                             ; =>This Inner Loop Header: Depth=1
	v_cmp_gt_u32_e32 vcc, s42, v0
	s_or_b64 s[22:23], s[22:23], exec
	s_or_b64 s[20:21], s[20:21], exec
	s_and_saveexec_b64 s[24:25], vcc
	s_cbranch_execz .LBB85_456
; %bb.458:                              ;   in Loop: Header=BB85_457 Depth=1
	v_add_u32_e32 v8, s9, v0
	v_cmp_gt_u32_e32 vcc, s60, v8
	v_mov_b32_e32 v9, 0
	s_and_saveexec_b64 s[2:3], vcc
	s_cbranch_execz .LBB85_460
; %bb.459:                              ;   in Loop: Header=BB85_457 Depth=1
	s_waitcnt vmcnt(0)
	v_lshlrev_b64 v[10:11], 2, v[2:3]
	v_mov_b32_e32 v9, s8
	v_add_co_u32_e32 v10, vcc, s33, v10
	v_addc_co_u32_e32 v11, vcc, v9, v11, vcc
	global_load_dword v9, v[10:11], off
.LBB85_460:                             ;   in Loop: Header=BB85_457 Depth=1
	s_or_b64 exec, exec, s[2:3]
	s_waitcnt vmcnt(0)
	v_cmp_lt_i32_e64 s[2:3], -1, v1
	v_cndmask_b32_e64 v10, -1, v4, s[2:3]
	v_xor_b32_e32 v10, v10, v1
	v_cmp_o_f32_e64 s[2:3], v1, v1
	v_cndmask_b32_e64 v10, -1, v10, s[2:3]
	v_cmp_gt_u32_e32 vcc, s60, v0
	v_cmp_eq_u32_e64 s[2:3], v10, v12
	s_and_b64 s[28:29], vcc, s[2:3]
	v_cndmask_b32_e64 v10, 0, 1, s[28:29]
	v_cmp_ne_u32_e32 vcc, 0, v10
	s_cmp_lg_u64 vcc, 0
	s_cselect_b64 s[2:3], -1, 0
	s_and_b64 s[2:3], s[0:1], s[2:3]
	s_and_saveexec_b64 s[26:27], s[2:3]
	s_cbranch_execz .LBB85_464
; %bb.461:                              ;   in Loop: Header=BB85_457 Depth=1
	s_mov_b64 s[34:35], exec
	v_mbcnt_lo_u32_b32 v5, s34, 0
	v_mbcnt_hi_u32_b32 v5, s35, v5
	s_bcnt1_i32_b64 s36, vcc
	v_cmp_eq_u32_e64 s[2:3], 0, v5
                                        ; implicit-def: $vgpr10
	s_and_saveexec_b64 s[30:31], s[2:3]
	s_cbranch_execz .LBB85_463
; %bb.462:                              ;   in Loop: Header=BB85_457 Depth=1
	s_bcnt1_i32_b64 s2, s[34:35]
	s_mul_i32 s2, s36, s2
	v_mov_b32_e32 v10, s2
	ds_add_rtn_u32 v10, v3, v10 offset:4108
.LBB85_463:                             ;   in Loop: Header=BB85_457 Depth=1
	s_or_b64 exec, exec, s[30:31]
	s_waitcnt lgkmcnt(0)
	v_readfirstlane_b32 s2, v10
	v_mov_b32_e32 v10, s2
	v_mad_u32_u24 v5, s36, v5, v10
.LBB85_464:                             ;   in Loop: Header=BB85_457 Depth=1
	s_or_b64 exec, exec, s[26:27]
	ds_bpermute_b32 v5, v13, v5
	s_cmp_eq_u64 vcc, 0
	s_cselect_b64 s[30:31], -1, 0
	s_mov_b64 s[26:27], -1
	s_mov_b64 s[34:35], -1
	s_waitcnt lgkmcnt(0)
	v_cmp_gt_u32_e64 s[2:3], s61, v5
	s_or_b64 s[2:3], s[30:31], s[2:3]
	v_cndmask_b32_e64 v10, v1, v9, s[2:3]
	s_and_b64 s[36:37], s[28:29], s[2:3]
	s_mov_b64 s[30:31], -1
	s_and_saveexec_b64 s[28:29], s[36:37]
	s_cbranch_execz .LBB85_470
; %bb.465:                              ;   in Loop: Header=BB85_457 Depth=1
	v_and_b32_e32 v11, vcc_lo, v6
	v_and_b32_e32 v10, vcc_hi, v7
	v_bcnt_u32_b32 v11, v11, 0
	v_bcnt_u32_b32 v10, v10, v11
	v_sub_u32_e32 v11, s61, v5
	v_cmp_le_u32_e64 s[30:31], v11, v10
	v_cmp_gt_u32_e32 vcc, v11, v10
	s_mov_b64 s[36:37], -1
	s_and_saveexec_b64 s[34:35], vcc
	s_cbranch_execz .LBB85_469
; %bb.466:                              ;   in Loop: Header=BB85_457 Depth=1
	v_add_u32_e32 v10, v5, v10
	v_cmp_gt_u32_e32 vcc, s61, v10
	s_mov_b64 s[38:39], s[30:31]
	s_and_saveexec_b64 s[36:37], vcc
	s_cbranch_execz .LBB85_468
; %bb.467:                              ;   in Loop: Header=BB85_457 Depth=1
	v_mul_lo_u32 v14, v10, s47
	v_mov_b32_e32 v15, v3
	v_lshlrev_b64 v[14:15], 2, v[14:15]
	v_mov_b32_e32 v11, s44
	v_add_co_u32_e32 v14, vcc, s43, v14
	v_mul_lo_u32 v10, v10, s48
	v_addc_co_u32_e32 v15, vcc, v11, v15, vcc
	v_mov_b32_e32 v11, v3
	v_lshlrev_b64 v[10:11], 3, v[10:11]
	global_store_dword v[14:15], v1, off
	v_mov_b32_e32 v14, s46
	v_add_co_u32_e32 v10, vcc, s45, v10
	v_mov_b32_e32 v1, v3
	v_addc_co_u32_e32 v11, vcc, v14, v11, vcc
	s_or_b64 s[38:39], s[30:31], exec
	global_store_dwordx2 v[10:11], v[0:1], off
.LBB85_468:                             ;   in Loop: Header=BB85_457 Depth=1
	s_or_b64 exec, exec, s[36:37]
	s_andn2_b64 s[30:31], s[30:31], exec
	s_and_b64 s[38:39], s[38:39], exec
	s_xor_b64 s[36:37], exec, -1
	s_or_b64 s[30:31], s[30:31], s[38:39]
.LBB85_469:                             ;   in Loop: Header=BB85_457 Depth=1
	s_or_b64 exec, exec, s[34:35]
	s_orn2_b64 s[34:35], s[36:37], exec
	s_or_b64 s[2:3], s[2:3], exec
	s_orn2_b64 s[30:31], s[30:31], exec
	v_mov_b32_e32 v10, v9
.LBB85_470:                             ;   in Loop: Header=BB85_457 Depth=1
	s_or_b64 exec, exec, s[28:29]
	s_and_saveexec_b64 s[28:29], s[30:31]
	s_cbranch_execz .LBB85_455
; %bb.471:                              ;   in Loop: Header=BB85_457 Depth=1
	s_xor_b64 s[2:3], s[2:3], -1
	v_add_u32_e32 v2, s76, v2
	s_or_b64 s[34:35], s[34:35], exec
	s_orn2_b64 s[26:27], s[2:3], exec
	s_branch .LBB85_455
.LBB85_472:
	s_or_b64 exec, exec, s[6:7]
	s_mov_b64 s[0:1], 0
	s_and_saveexec_b64 s[2:3], s[18:19]
	s_xor_b64 s[2:3], exec, s[2:3]
	s_cbranch_execnz .LBB85_478
.LBB85_473:
	s_or_b64 exec, exec, s[2:3]
	s_and_b64 s[2:3], s[0:1], exec
	s_andn2_b64 s[4:5], s[4:5], exec
	s_or_b64 exec, exec, s[40:41]
	s_and_saveexec_b64 s[0:1], s[4:5]
	s_xor_b64 s[0:1], exec, s[0:1]
	s_cbranch_execz .LBB85_427
.LBB85_474:
	s_or_b64 s[2:3], s[2:3], exec
	s_trap 2
	s_branch .LBB85_427
.LBB85_475:
	s_or_b64 s[14:15], s[14:15], exec
	s_trap 2
	s_branch .LBB85_433
.LBB85_476:
	s_or_b64 s[18:19], s[18:19], exec
	s_trap 2
	s_branch .LBB85_431
.LBB85_477:
	s_trap 2
	s_or_b64 s[18:19], s[18:19], exec
	s_branch .LBB85_429
.LBB85_478:
	s_mov_b64 s[0:1], exec
	s_trap 2
	s_branch .LBB85_473
	.section	.rodata,"a",@progbits
	.p2align	6, 0x0
	.amdhsa_kernel _ZN2at6native6sbtopk10gatherTopKIfjLi2ELb0EEEvNS_4cuda6detail10TensorInfoIKT_T0_EES8_S8_bS8_S8_NS5_IS6_S8_EES8_NS5_IlS8_EES8_PS6_
		.amdhsa_group_segment_fixed_size 4112
		.amdhsa_private_segment_fixed_size 0
		.amdhsa_kernarg_size 952
		.amdhsa_user_sgpr_count 6
		.amdhsa_user_sgpr_private_segment_buffer 1
		.amdhsa_user_sgpr_dispatch_ptr 0
		.amdhsa_user_sgpr_queue_ptr 0
		.amdhsa_user_sgpr_kernarg_segment_ptr 1
		.amdhsa_user_sgpr_dispatch_id 0
		.amdhsa_user_sgpr_flat_scratch_init 0
		.amdhsa_user_sgpr_kernarg_preload_length 0
		.amdhsa_user_sgpr_kernarg_preload_offset 0
		.amdhsa_user_sgpr_private_segment_size 0
		.amdhsa_uses_dynamic_stack 0
		.amdhsa_system_sgpr_private_segment_wavefront_offset 0
		.amdhsa_system_sgpr_workgroup_id_x 1
		.amdhsa_system_sgpr_workgroup_id_y 1
		.amdhsa_system_sgpr_workgroup_id_z 1
		.amdhsa_system_sgpr_workgroup_info 0
		.amdhsa_system_vgpr_workitem_id 0
		.amdhsa_next_free_vgpr 55
		.amdhsa_next_free_sgpr 96
		.amdhsa_accum_offset 56
		.amdhsa_reserve_vcc 1
		.amdhsa_reserve_flat_scratch 0
		.amdhsa_float_round_mode_32 0
		.amdhsa_float_round_mode_16_64 0
		.amdhsa_float_denorm_mode_32 3
		.amdhsa_float_denorm_mode_16_64 3
		.amdhsa_dx10_clamp 1
		.amdhsa_ieee_mode 1
		.amdhsa_fp16_overflow 0
		.amdhsa_tg_split 0
		.amdhsa_exception_fp_ieee_invalid_op 0
		.amdhsa_exception_fp_denorm_src 0
		.amdhsa_exception_fp_ieee_div_zero 0
		.amdhsa_exception_fp_ieee_overflow 0
		.amdhsa_exception_fp_ieee_underflow 0
		.amdhsa_exception_fp_ieee_inexact 0
		.amdhsa_exception_int_div_zero 0
	.end_amdhsa_kernel
	.section	.text._ZN2at6native6sbtopk10gatherTopKIfjLi2ELb0EEEvNS_4cuda6detail10TensorInfoIKT_T0_EES8_S8_bS8_S8_NS5_IS6_S8_EES8_NS5_IlS8_EES8_PS6_,"axG",@progbits,_ZN2at6native6sbtopk10gatherTopKIfjLi2ELb0EEEvNS_4cuda6detail10TensorInfoIKT_T0_EES8_S8_bS8_S8_NS5_IS6_S8_EES8_NS5_IlS8_EES8_PS6_,comdat
.Lfunc_end85:
	.size	_ZN2at6native6sbtopk10gatherTopKIfjLi2ELb0EEEvNS_4cuda6detail10TensorInfoIKT_T0_EES8_S8_bS8_S8_NS5_IS6_S8_EES8_NS5_IlS8_EES8_PS6_, .Lfunc_end85-_ZN2at6native6sbtopk10gatherTopKIfjLi2ELb0EEEvNS_4cuda6detail10TensorInfoIKT_T0_EES8_S8_bS8_S8_NS5_IS6_S8_EES8_NS5_IlS8_EES8_PS6_
                                        ; -- End function
	.section	.AMDGPU.csdata,"",@progbits
; Kernel info:
; codeLenInByte = 16496
; NumSgprs: 100
; NumVgprs: 55
; NumAgprs: 0
; TotalNumVgprs: 55
; ScratchSize: 0
; MemoryBound: 0
; FloatMode: 240
; IeeeMode: 1
; LDSByteSize: 4112 bytes/workgroup (compile time only)
; SGPRBlocks: 12
; VGPRBlocks: 6
; NumSGPRsForWavesPerEU: 100
; NumVGPRsForWavesPerEU: 55
; AccumOffset: 56
; Occupancy: 8
; WaveLimiterHint : 1
; COMPUTE_PGM_RSRC2:SCRATCH_EN: 0
; COMPUTE_PGM_RSRC2:USER_SGPR: 6
; COMPUTE_PGM_RSRC2:TRAP_HANDLER: 0
; COMPUTE_PGM_RSRC2:TGID_X_EN: 1
; COMPUTE_PGM_RSRC2:TGID_Y_EN: 1
; COMPUTE_PGM_RSRC2:TGID_Z_EN: 1
; COMPUTE_PGM_RSRC2:TIDIG_COMP_CNT: 0
; COMPUTE_PGM_RSRC3_GFX90A:ACCUM_OFFSET: 13
; COMPUTE_PGM_RSRC3_GFX90A:TG_SPLIT: 0
	.section	.text._ZN2at6native6mbtopk23computeBlockDigitCountsIfjjLi3EEEvNS_4cuda6detail10TensorInfoIKT_T0_EEjPjjS8_iijT1_PSB_Ps,"axG",@progbits,_ZN2at6native6mbtopk23computeBlockDigitCountsIfjjLi3EEEvNS_4cuda6detail10TensorInfoIKT_T0_EEjPjjS8_iijT1_PSB_Ps,comdat
	.protected	_ZN2at6native6mbtopk23computeBlockDigitCountsIfjjLi3EEEvNS_4cuda6detail10TensorInfoIKT_T0_EEjPjjS8_iijT1_PSB_Ps ; -- Begin function _ZN2at6native6mbtopk23computeBlockDigitCountsIfjjLi3EEEvNS_4cuda6detail10TensorInfoIKT_T0_EEjPjjS8_iijT1_PSB_Ps
	.globl	_ZN2at6native6mbtopk23computeBlockDigitCountsIfjjLi3EEEvNS_4cuda6detail10TensorInfoIKT_T0_EEjPjjS8_iijT1_PSB_Ps
	.p2align	8
	.type	_ZN2at6native6mbtopk23computeBlockDigitCountsIfjjLi3EEEvNS_4cuda6detail10TensorInfoIKT_T0_EEjPjjS8_iijT1_PSB_Ps,@function
_ZN2at6native6mbtopk23computeBlockDigitCountsIfjjLi3EEEvNS_4cuda6detail10TensorInfoIKT_T0_EEjPjjS8_iijT1_PSB_Ps: ; @_ZN2at6native6mbtopk23computeBlockDigitCountsIfjjLi3EEEvNS_4cuda6detail10TensorInfoIKT_T0_EEjPjjS8_iijT1_PSB_Ps
; %bb.0:
	s_load_dwordx2 s[10:11], s[4:5], 0xf8
	s_load_dwordx4 s[12:15], s[4:5], 0xe8
	s_load_dwordx2 s[0:1], s[4:5], 0x110
	s_waitcnt lgkmcnt(0)
	v_cvt_f32_u32_e32 v1, s10
	s_sub_i32 s2, 0, s10
	s_mul_i32 s1, s1, s8
	s_add_i32 s1, s1, s7
	v_rcp_iflag_f32_e32 v1, v1
	s_mul_i32 s18, s1, s0
	s_add_i32 s18, s18, s6
	s_mov_b32 s7, 0
	v_mul_f32_e32 v1, 0x4f7ffffe, v1
	v_cvt_u32_f32_e32 v1, v1
	v_readfirstlane_b32 s0, v1
	s_mul_i32 s2, s2, s0
	s_mul_hi_u32 s1, s0, s2
	s_add_i32 s0, s0, s1
	s_mul_hi_u32 s0, s18, s0
	s_mul_i32 s1, s0, s10
	s_sub_i32 s1, s18, s1
	s_add_i32 s2, s0, 1
	s_sub_i32 s3, s1, s10
	s_cmp_ge_u32 s1, s10
	s_cselect_b32 s0, s2, s0
	s_cselect_b32 s1, s3, s1
	s_add_i32 s2, s0, 1
	s_cmp_ge_u32 s1, s10
	s_cselect_b32 s6, s2, s0
	s_cmp_ge_u32 s6, s12
	s_cbranch_scc1 .LBB86_29
; %bb.1:
	s_load_dwordx2 s[8:9], s[4:5], 0xc
	s_load_dwordx4 s[0:3], s[4:5], 0x100
	s_lshl_b64 s[16:17], s[6:7], 2
	s_movk_i32 s7, 0x100
	v_cmp_gt_u32_e32 vcc, s7, v0
	s_waitcnt lgkmcnt(0)
	v_cvt_f32_u32_e32 v1, s9
	v_cvt_f32_u32_e32 v2, s8
	s_add_u32 s0, s0, s16
	s_addc_u32 s1, s1, s17
	v_rcp_iflag_f32_e32 v1, v1
	s_sub_i32 s12, 0, s9
	v_rcp_iflag_f32_e32 v2, v2
	v_mul_f32_e32 v1, 0x4f7ffffe, v1
	v_cvt_u32_f32_e32 v1, v1
	v_mul_f32_e32 v2, 0x4f7ffffe, v2
	v_cvt_u32_f32_e32 v2, v2
	v_readfirstlane_b32 s16, v1
	s_mul_i32 s12, s12, s16
	s_mul_hi_u32 s12, s16, s12
	s_add_i32 s16, s16, s12
	s_mul_hi_u32 s12, s6, s16
	s_mul_i32 s16, s12, s9
	s_sub_i32 s16, s6, s16
	s_add_i32 s17, s12, 1
	s_sub_i32 s19, s16, s9
	s_cmp_ge_u32 s16, s9
	s_cselect_b32 s12, s17, s12
	s_cselect_b32 s16, s19, s16
	s_add_i32 s17, s12, 1
	s_cmp_ge_u32 s16, s9
	v_readfirstlane_b32 s20, v2
	s_cselect_b32 s19, s17, s12
	v_lshlrev_b32_e32 v1, 2, v0
	s_and_saveexec_b64 s[16:17], vcc
	s_cbranch_execz .LBB86_3
; %bb.2:
	v_mov_b32_e32 v2, 0
	ds_write_b32 v1, v2
.LBB86_3:
	s_or_b64 exec, exec, s[16:17]
	s_load_dword s12, s[4:5], 0xd8
	s_mul_i32 s7, s6, s10
	s_sub_i32 s7, s18, s7
	s_add_i32 s17, s7, 1
	s_mul_i32 s7, s15, s7
	s_lshl_b32 s16, s7, 8
	s_waitcnt lgkmcnt(0)
	s_sub_i32 s7, s12, s16
	s_add_u32 s7, s7, 0xff
	s_addc_u32 s21, 0, 0
	v_mov_b32_e32 v2, s7
	v_alignbit_b32 v2, s21, v2, 8
	s_cmp_lt_u32 s17, s10
	v_readfirstlane_b32 s7, v2
	s_cselect_b32 s15, s15, s7
	s_cmp_lt_i32 s15, 1
	s_mov_b32 s7, 0
	s_barrier
	s_cbranch_scc1 .LBB86_25
; %bb.4:
	s_sub_i32 s10, 0, s8
	s_mul_i32 s10, s10, s20
	s_mul_hi_u32 s10, s20, s10
	s_add_i32 s10, s20, s10
	s_load_dwordx4 s[20:23], s[4:5], 0x6c
	s_load_dwordx2 s[24:25], s[4:5], 0x0
	s_mul_hi_u32 s4, s19, s10
	s_load_dword s10, s[0:1], 0x0
	s_mul_i32 s1, s4, s8
	s_mul_i32 s0, s19, s9
	s_sub_i32 s1, s19, s1
	s_sub_i32 s0, s6, s0
	s_add_i32 s5, s4, 1
	s_sub_i32 s6, s1, s8
	s_cmp_ge_u32 s1, s8
	s_cselect_b32 s4, s5, s4
	s_cselect_b32 s1, s6, s1
	s_add_i32 s5, s4, 1
	s_cmp_ge_u32 s1, s8
	s_cselect_b32 s1, s5, s4
	s_mul_i32 s4, s1, s8
	s_sub_i32 s4, s19, s4
	s_waitcnt lgkmcnt(0)
	s_mul_i32 s0, s0, s22
	s_mul_i32 s4, s4, s21
	s_add_i32 s0, s4, s0
	s_mul_i32 s1, s1, s20
	s_add_i32 s6, s0, s1
	s_lshl_b64 s[0:1], s[6:7], 2
	s_add_u32 s6, s24, s0
	s_addc_u32 s8, s25, s1
	s_and_b32 s9, s14, 0xff
	s_cmp_lt_u32 s15, 4
	s_cbranch_scc1 .LBB86_19
; %bb.5:
	v_add_u32_e32 v2, s16, v0
	v_add_u32_e32 v3, 0x200, v2
	v_add_u32_e32 v4, 0x300, v2
	v_mul_lo_u32 v6, s13, v3
	v_add_u32_e32 v3, 0x100, v2
	s_and_b32 s7, s15, 0x7ffffffc
	v_mul_lo_u32 v5, s13, v4
	s_lshl_b32 s14, s13, 10
	v_mul_lo_u32 v7, s13, v3
	v_mul_lo_u32 v8, s13, v2
	s_mov_b32 s17, 0
	v_mov_b32_e32 v3, 0
	v_mov_b32_e32 v9, 1
	v_bfrev_b32_e32 v10, 1
	s_mov_b32 s19, 0
	s_branch .LBB86_7
.LBB86_6:                               ;   in Loop: Header=BB86_7 Depth=1
	s_or_b64 exec, exec, s[4:5]
	s_add_i32 s19, s19, 4
	s_add_i32 s17, s17, s14
	s_cmp_eq_u32 s7, s19
	v_add_u32_e32 v4, 0x400, v4
	s_cbranch_scc1 .LBB86_19
.LBB86_7:                               ; =>This Inner Loop Header: Depth=1
	v_add_u32_e32 v2, 0xfffffd00, v4
	v_cmp_gt_u32_e64 s[0:1], s12, v2
	s_and_saveexec_b64 s[4:5], s[0:1]
	s_cbranch_execz .LBB86_10
; %bb.8:                                ;   in Loop: Header=BB86_7 Depth=1
	v_add_u32_e32 v2, s17, v8
	v_lshlrev_b64 v[12:13], 2, v[2:3]
	v_mov_b32_e32 v2, s8
	v_add_co_u32_e64 v12, s[0:1], s6, v12
	v_addc_co_u32_e64 v13, s[0:1], v2, v13, s[0:1]
	global_load_dword v2, v[12:13], off
	s_waitcnt vmcnt(0)
	v_cmp_lt_i32_e64 s[0:1], -1, v2
	v_cndmask_b32_e64 v11, -1, v10, s[0:1]
	v_xor_b32_e32 v11, v11, v2
	v_cmp_o_f32_e64 s[0:1], v2, v2
	v_cndmask_b32_e64 v2, -1, v11, s[0:1]
	v_xor_b32_e32 v11, s10, v2
	v_and_b32_e32 v11, s11, v11
	v_cmp_eq_u32_e64 s[0:1], 0, v11
	s_and_b64 exec, exec, s[0:1]
	s_cbranch_execz .LBB86_10
; %bb.9:                                ;   in Loop: Header=BB86_7 Depth=1
	v_bfe_u32 v2, v2, s9, 8
	v_lshlrev_b32_e32 v2, 2, v2
	ds_add_u32 v2, v9
.LBB86_10:                              ;   in Loop: Header=BB86_7 Depth=1
	s_or_b64 exec, exec, s[4:5]
	v_add_u32_e32 v2, 0xfffffe00, v4
	v_cmp_gt_u32_e64 s[0:1], s12, v2
	s_and_saveexec_b64 s[4:5], s[0:1]
	s_cbranch_execz .LBB86_13
; %bb.11:                               ;   in Loop: Header=BB86_7 Depth=1
	v_add_u32_e32 v2, s17, v7
	v_lshlrev_b64 v[12:13], 2, v[2:3]
	v_mov_b32_e32 v2, s8
	v_add_co_u32_e64 v12, s[0:1], s6, v12
	v_addc_co_u32_e64 v13, s[0:1], v2, v13, s[0:1]
	global_load_dword v2, v[12:13], off
	s_waitcnt vmcnt(0)
	v_cmp_lt_i32_e64 s[0:1], -1, v2
	v_cndmask_b32_e64 v11, -1, v10, s[0:1]
	v_xor_b32_e32 v11, v11, v2
	v_cmp_o_f32_e64 s[0:1], v2, v2
	v_cndmask_b32_e64 v2, -1, v11, s[0:1]
	v_xor_b32_e32 v11, s10, v2
	v_and_b32_e32 v11, s11, v11
	v_cmp_eq_u32_e64 s[0:1], 0, v11
	s_and_b64 exec, exec, s[0:1]
	s_cbranch_execz .LBB86_13
; %bb.12:                               ;   in Loop: Header=BB86_7 Depth=1
	v_bfe_u32 v2, v2, s9, 8
	v_lshlrev_b32_e32 v2, 2, v2
	ds_add_u32 v2, v9
.LBB86_13:                              ;   in Loop: Header=BB86_7 Depth=1
	s_or_b64 exec, exec, s[4:5]
	v_add_u32_e32 v2, 0xffffff00, v4
	v_cmp_gt_u32_e64 s[0:1], s12, v2
	s_and_saveexec_b64 s[4:5], s[0:1]
	s_cbranch_execz .LBB86_16
; %bb.14:                               ;   in Loop: Header=BB86_7 Depth=1
	v_add_u32_e32 v2, s17, v6
	v_lshlrev_b64 v[12:13], 2, v[2:3]
	v_mov_b32_e32 v2, s8
	v_add_co_u32_e64 v12, s[0:1], s6, v12
	v_addc_co_u32_e64 v13, s[0:1], v2, v13, s[0:1]
	global_load_dword v2, v[12:13], off
	s_waitcnt vmcnt(0)
	v_cmp_lt_i32_e64 s[0:1], -1, v2
	v_cndmask_b32_e64 v11, -1, v10, s[0:1]
	v_xor_b32_e32 v11, v11, v2
	v_cmp_o_f32_e64 s[0:1], v2, v2
	v_cndmask_b32_e64 v2, -1, v11, s[0:1]
	v_xor_b32_e32 v11, s10, v2
	v_and_b32_e32 v11, s11, v11
	v_cmp_eq_u32_e64 s[0:1], 0, v11
	s_and_b64 exec, exec, s[0:1]
	s_cbranch_execz .LBB86_16
; %bb.15:                               ;   in Loop: Header=BB86_7 Depth=1
	v_bfe_u32 v2, v2, s9, 8
	v_lshlrev_b32_e32 v2, 2, v2
	ds_add_u32 v2, v9
.LBB86_16:                              ;   in Loop: Header=BB86_7 Depth=1
	s_or_b64 exec, exec, s[4:5]
	v_cmp_gt_u32_e64 s[0:1], s12, v4
	s_and_saveexec_b64 s[4:5], s[0:1]
	s_cbranch_execz .LBB86_6
; %bb.17:                               ;   in Loop: Header=BB86_7 Depth=1
	v_add_u32_e32 v2, s17, v5
	v_lshlrev_b64 v[12:13], 2, v[2:3]
	v_mov_b32_e32 v2, s8
	v_add_co_u32_e64 v12, s[0:1], s6, v12
	v_addc_co_u32_e64 v13, s[0:1], v2, v13, s[0:1]
	global_load_dword v2, v[12:13], off
	s_waitcnt vmcnt(0)
	v_cmp_lt_i32_e64 s[0:1], -1, v2
	v_cndmask_b32_e64 v11, -1, v10, s[0:1]
	v_xor_b32_e32 v11, v11, v2
	v_cmp_o_f32_e64 s[0:1], v2, v2
	v_cndmask_b32_e64 v2, -1, v11, s[0:1]
	v_xor_b32_e32 v11, s10, v2
	v_and_b32_e32 v11, s11, v11
	v_cmp_eq_u32_e64 s[0:1], 0, v11
	s_and_b64 exec, exec, s[0:1]
	s_cbranch_execz .LBB86_6
; %bb.18:                               ;   in Loop: Header=BB86_7 Depth=1
	v_bfe_u32 v2, v2, s9, 8
	v_lshlrev_b32_e32 v2, 2, v2
	ds_add_u32 v2, v9
	s_branch .LBB86_6
.LBB86_19:
	s_and_b32 s14, s15, 3
	s_cmp_eq_u32 s14, 0
	s_cbranch_scc1 .LBB86_25
; %bb.20:
	s_lshl_b32 s0, s7, 8
	s_add_i32 s0, s0, s16
	v_add_u32_e32 v4, s0, v0
	v_mul_lo_u32 v2, s13, v4
	s_lshl_b32 s7, s13, 8
	v_mov_b32_e32 v3, 0
	v_mov_b32_e32 v5, 1
	v_bfrev_b32_e32 v6, 1
	s_branch .LBB86_22
.LBB86_21:                              ;   in Loop: Header=BB86_22 Depth=1
	s_or_b64 exec, exec, s[4:5]
	s_add_i32 s14, s14, -1
	v_add_u32_e32 v2, s7, v2
	s_cmp_lg_u32 s14, 0
	v_add_u32_e32 v4, 0x100, v4
	s_cbranch_scc0 .LBB86_25
.LBB86_22:                              ; =>This Inner Loop Header: Depth=1
	v_cmp_gt_u32_e64 s[0:1], s12, v4
	s_and_saveexec_b64 s[4:5], s[0:1]
	s_cbranch_execz .LBB86_21
; %bb.23:                               ;   in Loop: Header=BB86_22 Depth=1
	v_lshlrev_b64 v[8:9], 2, v[2:3]
	v_mov_b32_e32 v7, s8
	v_add_co_u32_e64 v8, s[0:1], s6, v8
	v_addc_co_u32_e64 v9, s[0:1], v7, v9, s[0:1]
	global_load_dword v7, v[8:9], off
	s_waitcnt vmcnt(0)
	v_cmp_lt_i32_e64 s[0:1], -1, v7
	v_cndmask_b32_e64 v8, -1, v6, s[0:1]
	v_xor_b32_e32 v8, v8, v7
	v_cmp_o_f32_e64 s[0:1], v7, v7
	v_cndmask_b32_e64 v7, -1, v8, s[0:1]
	v_xor_b32_e32 v8, s10, v7
	v_and_b32_e32 v8, s11, v8
	v_cmp_eq_u32_e64 s[0:1], 0, v8
	s_and_b64 exec, exec, s[0:1]
	s_cbranch_execz .LBB86_21
; %bb.24:                               ;   in Loop: Header=BB86_22 Depth=1
	v_bfe_u32 v7, v7, s9, 8
	v_lshlrev_b32_e32 v7, 2, v7
	ds_add_u32 v7, v5
	s_branch .LBB86_21
.LBB86_25:
	v_mov_b32_e32 v2, 0
	s_waitcnt lgkmcnt(0)
	s_barrier
	s_and_saveexec_b64 s[0:1], vcc
	s_cbranch_execz .LBB86_27
; %bb.26:
	ds_read_b32 v2, v1
.LBB86_27:
	s_or_b64 exec, exec, s[0:1]
	s_and_saveexec_b64 s[0:1], vcc
	s_cbranch_execz .LBB86_29
; %bb.28:
	v_lshl_or_b32 v0, s18, 8, v0
	v_mov_b32_e32 v1, 0
	v_lshlrev_b64 v[0:1], 1, v[0:1]
	v_mov_b32_e32 v3, s3
	v_add_co_u32_e32 v0, vcc, s2, v0
	v_addc_co_u32_e32 v1, vcc, v3, v1, vcc
	s_waitcnt lgkmcnt(0)
	global_store_short v[0:1], v2, off
.LBB86_29:
	s_endpgm
	.section	.rodata,"a",@progbits
	.p2align	6, 0x0
	.amdhsa_kernel _ZN2at6native6mbtopk23computeBlockDigitCountsIfjjLi3EEEvNS_4cuda6detail10TensorInfoIKT_T0_EEjPjjS8_iijT1_PSB_Ps
		.amdhsa_group_segment_fixed_size 1024
		.amdhsa_private_segment_fixed_size 0
		.amdhsa_kernarg_size 528
		.amdhsa_user_sgpr_count 6
		.amdhsa_user_sgpr_private_segment_buffer 1
		.amdhsa_user_sgpr_dispatch_ptr 0
		.amdhsa_user_sgpr_queue_ptr 0
		.amdhsa_user_sgpr_kernarg_segment_ptr 1
		.amdhsa_user_sgpr_dispatch_id 0
		.amdhsa_user_sgpr_flat_scratch_init 0
		.amdhsa_user_sgpr_kernarg_preload_length 0
		.amdhsa_user_sgpr_kernarg_preload_offset 0
		.amdhsa_user_sgpr_private_segment_size 0
		.amdhsa_uses_dynamic_stack 0
		.amdhsa_system_sgpr_private_segment_wavefront_offset 0
		.amdhsa_system_sgpr_workgroup_id_x 1
		.amdhsa_system_sgpr_workgroup_id_y 1
		.amdhsa_system_sgpr_workgroup_id_z 1
		.amdhsa_system_sgpr_workgroup_info 0
		.amdhsa_system_vgpr_workitem_id 0
		.amdhsa_next_free_vgpr 14
		.amdhsa_next_free_sgpr 26
		.amdhsa_accum_offset 16
		.amdhsa_reserve_vcc 1
		.amdhsa_reserve_flat_scratch 0
		.amdhsa_float_round_mode_32 0
		.amdhsa_float_round_mode_16_64 0
		.amdhsa_float_denorm_mode_32 3
		.amdhsa_float_denorm_mode_16_64 3
		.amdhsa_dx10_clamp 1
		.amdhsa_ieee_mode 1
		.amdhsa_fp16_overflow 0
		.amdhsa_tg_split 0
		.amdhsa_exception_fp_ieee_invalid_op 0
		.amdhsa_exception_fp_denorm_src 0
		.amdhsa_exception_fp_ieee_div_zero 0
		.amdhsa_exception_fp_ieee_overflow 0
		.amdhsa_exception_fp_ieee_underflow 0
		.amdhsa_exception_fp_ieee_inexact 0
		.amdhsa_exception_int_div_zero 0
	.end_amdhsa_kernel
	.section	.text._ZN2at6native6mbtopk23computeBlockDigitCountsIfjjLi3EEEvNS_4cuda6detail10TensorInfoIKT_T0_EEjPjjS8_iijT1_PSB_Ps,"axG",@progbits,_ZN2at6native6mbtopk23computeBlockDigitCountsIfjjLi3EEEvNS_4cuda6detail10TensorInfoIKT_T0_EEjPjjS8_iijT1_PSB_Ps,comdat
.Lfunc_end86:
	.size	_ZN2at6native6mbtopk23computeBlockDigitCountsIfjjLi3EEEvNS_4cuda6detail10TensorInfoIKT_T0_EEjPjjS8_iijT1_PSB_Ps, .Lfunc_end86-_ZN2at6native6mbtopk23computeBlockDigitCountsIfjjLi3EEEvNS_4cuda6detail10TensorInfoIKT_T0_EEjPjjS8_iijT1_PSB_Ps
                                        ; -- End function
	.section	.AMDGPU.csdata,"",@progbits
; Kernel info:
; codeLenInByte = 1588
; NumSgprs: 30
; NumVgprs: 14
; NumAgprs: 0
; TotalNumVgprs: 14
; ScratchSize: 0
; MemoryBound: 0
; FloatMode: 240
; IeeeMode: 1
; LDSByteSize: 1024 bytes/workgroup (compile time only)
; SGPRBlocks: 3
; VGPRBlocks: 1
; NumSGPRsForWavesPerEU: 30
; NumVGPRsForWavesPerEU: 14
; AccumOffset: 16
; Occupancy: 8
; WaveLimiterHint : 1
; COMPUTE_PGM_RSRC2:SCRATCH_EN: 0
; COMPUTE_PGM_RSRC2:USER_SGPR: 6
; COMPUTE_PGM_RSRC2:TRAP_HANDLER: 0
; COMPUTE_PGM_RSRC2:TGID_X_EN: 1
; COMPUTE_PGM_RSRC2:TGID_Y_EN: 1
; COMPUTE_PGM_RSRC2:TGID_Z_EN: 1
; COMPUTE_PGM_RSRC2:TIDIG_COMP_CNT: 0
; COMPUTE_PGM_RSRC3_GFX90A:ACCUM_OFFSET: 3
; COMPUTE_PGM_RSRC3_GFX90A:TG_SPLIT: 0
	.section	.text._ZN2at6native6mbtopk10gatherTopKIfjLi3EEEvNS_4cuda6detail10TensorInfoIKT_T0_EES8_S8_bjS8_NS5_IS6_S8_EES8_NS5_IlS8_EES8_jjPS6_PjSD_j,"axG",@progbits,_ZN2at6native6mbtopk10gatherTopKIfjLi3EEEvNS_4cuda6detail10TensorInfoIKT_T0_EES8_S8_bjS8_NS5_IS6_S8_EES8_NS5_IlS8_EES8_jjPS6_PjSD_j,comdat
	.protected	_ZN2at6native6mbtopk10gatherTopKIfjLi3EEEvNS_4cuda6detail10TensorInfoIKT_T0_EES8_S8_bjS8_NS5_IS6_S8_EES8_NS5_IlS8_EES8_jjPS6_PjSD_j ; -- Begin function _ZN2at6native6mbtopk10gatherTopKIfjLi3EEEvNS_4cuda6detail10TensorInfoIKT_T0_EES8_S8_bjS8_NS5_IS6_S8_EES8_NS5_IlS8_EES8_jjPS6_PjSD_j
	.globl	_ZN2at6native6mbtopk10gatherTopKIfjLi3EEEvNS_4cuda6detail10TensorInfoIKT_T0_EES8_S8_bjS8_NS5_IS6_S8_EES8_NS5_IlS8_EES8_jjPS6_PjSD_j
	.p2align	8
	.type	_ZN2at6native6mbtopk10gatherTopKIfjLi3EEEvNS_4cuda6detail10TensorInfoIKT_T0_EES8_S8_bjS8_NS5_IS6_S8_EES8_NS5_IlS8_EES8_jjPS6_PjSD_j,@function
_ZN2at6native6mbtopk10gatherTopKIfjLi3EEEvNS_4cuda6detail10TensorInfoIKT_T0_EES8_S8_bjS8_NS5_IS6_S8_EES8_NS5_IlS8_EES8_jjPS6_PjSD_j: ; @_ZN2at6native6mbtopk10gatherTopKIfjLi3EEEvNS_4cuda6detail10TensorInfoIKT_T0_EES8_S8_bjS8_NS5_IS6_S8_EES8_NS5_IlS8_EES8_jjPS6_PjSD_j
; %bb.0:
	s_load_dwordx2 s[0:1], s[4:5], 0x2d8
	s_load_dword s2, s[4:5], 0x2d0
	s_waitcnt lgkmcnt(0)
	s_mul_i32 s1, s1, s8
	s_add_i32 s1, s1, s7
	s_mul_i32 s0, s1, s0
	s_add_i32 s0, s0, s6
	s_cmp_ge_u32 s0, s2
	s_cbranch_scc1 .LBB87_40
; %bb.1:
	s_load_dwordx8 s[8:15], s[4:5], 0x2a8
	s_load_dwordx4 s[16:19], s[4:5], 0x23c
	s_load_dwordx2 s[38:39], s[4:5], 0x1dc
	s_load_dwordx2 s[6:7], s[4:5], 0x1d0
	s_load_dwordx4 s[20:23], s[4:5], 0x15c
	s_load_dwordx2 s[40:41], s[4:5], 0xfc
	s_load_dwordx2 s[34:35], s[4:5], 0xf0
	s_load_dwordx4 s[24:27], s[4:5], 0x6c
	s_load_dwordx2 s[36:37], s[4:5], 0x0
	s_load_dwordx2 s[44:45], s[4:5], 0xc
	s_mov_b32 s43, 0
	s_waitcnt lgkmcnt(0)
	v_cvt_f32_u32_e32 v1, s10
	s_sub_i32 s1, 0, s10
	v_cvt_f32_u32_e32 v2, s45
	v_rcp_iflag_f32_e32 v1, v1
	v_mul_f32_e32 v1, 0x4f7ffffe, v1
	v_cvt_u32_f32_e32 v1, v1
	v_readfirstlane_b32 s2, v1
	s_mul_i32 s1, s1, s2
	s_mul_hi_u32 s1, s2, s1
	s_add_i32 s2, s2, s1
	v_rcp_iflag_f32_e32 v1, v2
	s_mul_hi_u32 s1, s0, s2
	s_mul_i32 s2, s1, s10
	s_sub_i32 s2, s0, s2
	s_add_i32 s3, s1, 1
	s_sub_i32 s11, s2, s10
	v_mul_f32_e32 v1, 0x4f7ffffe, v1
	s_cmp_ge_u32 s2, s10
	v_cvt_u32_f32_e32 v1, v1
	s_cselect_b32 s1, s3, s1
	s_cselect_b32 s2, s11, s2
	s_add_i32 s3, s1, 1
	s_cmp_ge_u32 s2, s10
	s_cselect_b32 s42, s3, s1
	v_readfirstlane_b32 s1, v1
	v_cvt_f32_u32_e32 v1, s44
	s_mul_i32 s28, s42, s10
	s_sub_i32 s11, s0, s28
	s_sub_i32 s0, 0, s45
	s_mul_i32 s0, s0, s1
	s_mul_hi_u32 s0, s1, s0
	v_rcp_iflag_f32_e32 v1, v1
	s_add_i32 s1, s1, s0
	v_cvt_f32_u32_e32 v2, s41
	s_mul_hi_u32 s0, s42, s1
	s_mul_i32 s1, s0, s45
	s_sub_i32 s1, s42, s1
	v_mul_f32_e32 v1, 0x4f7ffffe, v1
	s_add_i32 s2, s0, 1
	s_sub_i32 s3, s1, s45
	v_cvt_u32_f32_e32 v1, v1
	v_rcp_iflag_f32_e32 v2, v2
	s_cmp_ge_u32 s1, s45
	s_cselect_b32 s0, s2, s0
	s_cselect_b32 s1, s3, s1
	s_add_i32 s2, s0, 1
	s_cmp_ge_u32 s1, s45
	v_readfirstlane_b32 s1, v1
	v_mul_f32_e32 v1, 0x4f7ffffe, v2
	s_cselect_b32 s19, s2, s0
	s_sub_i32 s0, 0, s44
	v_cvt_u32_f32_e32 v1, v1
	s_mul_i32 s0, s0, s1
	s_mul_hi_u32 s0, s1, s0
	s_add_i32 s1, s1, s0
	s_mul_hi_u32 s23, s19, s1
	v_readfirstlane_b32 s1, v1
	v_cvt_f32_u32_e32 v1, s40
	s_sub_i32 s0, 0, s41
	s_mul_i32 s0, s0, s1
	s_mul_hi_u32 s0, s1, s0
	v_rcp_iflag_f32_e32 v1, v1
	s_add_i32 s1, s1, s0
	v_cvt_f32_u32_e32 v2, s39
	s_mul_hi_u32 s0, s42, s1
	s_mul_i32 s1, s0, s41
	s_sub_i32 s1, s42, s1
	v_mul_f32_e32 v1, 0x4f7ffffe, v1
	s_add_i32 s2, s0, 1
	s_sub_i32 s3, s1, s41
	v_cvt_u32_f32_e32 v1, v1
	v_rcp_iflag_f32_e32 v2, v2
	s_cmp_ge_u32 s1, s41
	s_cselect_b32 s0, s2, s0
	s_cselect_b32 s1, s3, s1
	s_add_i32 s2, s0, 1
	s_cmp_ge_u32 s1, s41
	v_readfirstlane_b32 s1, v1
	v_mul_f32_e32 v1, 0x4f7ffffe, v2
	v_cvt_u32_f32_e32 v1, v1
	s_cselect_b32 s27, s2, s0
	s_sub_i32 s0, 0, s40
	s_mul_i32 s0, s0, s1
	s_mul_hi_u32 s0, s1, s0
	s_add_i32 s2, s1, s0
	v_readfirstlane_b32 s1, v1
	v_cvt_f32_u32_e32 v1, s38
	s_sub_i32 s0, 0, s39
	s_mul_i32 s0, s0, s1
	s_mul_hi_u32 s0, s1, s0
	s_add_i32 s1, s1, s0
	v_rcp_iflag_f32_e32 v1, v1
	s_mul_hi_u32 s0, s42, s1
	s_mul_i32 s1, s0, s39
	s_sub_i32 s1, s42, s1
	s_add_i32 s3, s0, 1
	s_sub_i32 s29, s1, s39
	v_mul_f32_e32 v1, 0x4f7ffffe, v1
	s_cmp_ge_u32 s1, s39
	v_cvt_u32_f32_e32 v1, v1
	s_cselect_b32 s0, s3, s0
	s_cselect_b32 s1, s29, s1
	s_add_i32 s3, s0, 1
	s_cmp_ge_u32 s1, s39
	s_cselect_b32 s52, s3, s0
	s_sub_i32 s0, 0, s38
	v_readfirstlane_b32 s1, v1
	s_mul_i32 s0, s0, s1
	s_mul_hi_u32 s0, s1, s0
	s_add_i32 s3, s1, s0
	s_lshl_b64 s[0:1], s[42:43], 2
	s_add_u32 s0, s12, s0
	s_addc_u32 s1, s13, s1
	s_load_dword s33, s[0:1], 0x0
	s_mul_hi_u32 s54, s27, s2
	s_mul_hi_u32 s53, s52, s3
	v_cmp_ne_u32_e64 s[0:1], 0, v0
	v_cmp_eq_u32_e64 s[2:3], 0, v0
	s_and_saveexec_b64 s[12:13], s[2:3]
	s_cbranch_execz .LBB87_17
; %bb.2:
	s_load_dwordx2 s[46:47], s[4:5], 0x2c8
	s_mov_b32 s29, s43
	s_lshl_b64 s[48:49], s[28:29], 2
	s_add_u32 s28, s14, s48
	s_addc_u32 s29, s15, s49
	s_waitcnt lgkmcnt(0)
	s_add_u32 s30, s46, s48
	s_addc_u32 s31, s47, s49
	s_cmp_lt_u32 s10, 4
	s_cbranch_scc1 .LBB87_14
; %bb.3:
	s_mov_b32 s55, s43
	s_mov_b32 s56, s43
	;; [unrolled: 1-line block ×3, first 2 shown]
.LBB87_4:                               ; =>This Inner Loop Header: Depth=1
	s_add_u32 s28, s14, s48
	s_addc_u32 s29, s15, s49
	s_load_dwordx4 s[28:31], s[28:29], 0x0
	s_add_u32 s50, s46, s48
	s_addc_u32 s51, s47, s49
	s_cmp_ge_u32 s57, s11
	s_cbranch_scc0 .LBB87_11
; %bb.5:                                ;   in Loop: Header=BB87_4 Depth=1
	s_add_i32 s58, s57, 1
	s_cmp_ge_u32 s58, s11
	s_cbranch_scc0 .LBB87_12
.LBB87_6:                               ;   in Loop: Header=BB87_4 Depth=1
	s_add_i32 s58, s58, 1
	s_cmp_ge_u32 s58, s11
	s_cbranch_scc0 .LBB87_13
.LBB87_7:                               ;   in Loop: Header=BB87_4 Depth=1
	s_add_i32 s58, s58, 1
	s_cmp_ge_u32 s58, s11
	s_cbranch_scc1 .LBB87_9
.LBB87_8:                               ;   in Loop: Header=BB87_4 Depth=1
	s_load_dword s50, s[50:51], 0xc
	s_waitcnt lgkmcnt(0)
	s_add_i32 s43, s43, s31
	s_add_i32 s55, s50, s55
.LBB87_9:                               ;   in Loop: Header=BB87_4 Depth=1
	s_waitcnt lgkmcnt(0)
	s_add_i32 s28, s28, s56
	s_add_i32 s28, s28, s29
	;; [unrolled: 1-line block ×4, first 2 shown]
	s_add_u32 s14, s14, 16
	s_addc_u32 s15, s15, 0
	s_add_u32 s46, s46, 16
	s_addc_u32 s47, s47, 0
	s_add_i32 s51, s58, 4
	s_add_u32 s30, s46, s48
	s_addc_u32 s31, s47, s49
	s_add_u32 s28, s14, s48
	s_addc_u32 s29, s15, s49
	s_add_i32 s50, s58, 1
	s_cmp_ge_u32 s51, s10
	s_cbranch_scc1 .LBB87_15
; %bb.10:                               ;   in Loop: Header=BB87_4 Depth=1
	s_mov_b32 s57, s50
	s_branch .LBB87_4
.LBB87_11:                              ;   in Loop: Header=BB87_4 Depth=1
	s_load_dword s58, s[50:51], 0x0
	s_waitcnt lgkmcnt(0)
	s_add_i32 s43, s28, s43
	s_add_i32 s55, s58, s55
	;; [unrolled: 1-line block ×3, first 2 shown]
	s_cmp_ge_u32 s58, s11
	s_cbranch_scc1 .LBB87_6
.LBB87_12:                              ;   in Loop: Header=BB87_4 Depth=1
	s_load_dword s59, s[50:51], 0x4
	s_waitcnt lgkmcnt(0)
	s_add_i32 s43, s43, s29
	s_add_i32 s55, s59, s55
	;; [unrolled: 1-line block ×3, first 2 shown]
	s_cmp_ge_u32 s58, s11
	s_cbranch_scc1 .LBB87_7
.LBB87_13:                              ;   in Loop: Header=BB87_4 Depth=1
	s_load_dword s59, s[50:51], 0x8
	s_waitcnt lgkmcnt(0)
	s_add_i32 s43, s43, s30
	s_add_i32 s55, s59, s55
	;; [unrolled: 1-line block ×3, first 2 shown]
	s_cmp_ge_u32 s58, s11
	s_cbranch_scc0 .LBB87_8
	s_branch .LBB87_9
.LBB87_14:
	s_mov_b32 s55, 0
	s_mov_b32 s56, 0
	;; [unrolled: 1-line block ×3, first 2 shown]
	s_cmp_ge_u32 s14, s10
	s_cbranch_scc0 .LBB87_38
	s_branch .LBB87_16
.LBB87_15:
	s_add_i32 s14, s57, 4
	s_cmp_ge_u32 s14, s10
	s_cbranch_scc0 .LBB87_38
.LBB87_16:
	v_mov_b32_e32 v2, s55
	v_mov_b32_e32 v3, s56
	;; [unrolled: 1-line block ×4, first 2 shown]
	ds_write_b96 v1, v[2:4] offset:1056
.LBB87_17:
	s_or_b64 exec, exec, s[12:13]
	s_load_dwordx4 s[12:15], s[4:5], 0xd8
	s_mul_i32 s28, s9, s11
	s_lshl_b32 s28, s28, 8
	s_waitcnt lgkmcnt(0)
	s_add_i32 s15, s11, 1
	s_mov_b32 s11, 0
	s_sub_i32 s29, s12, s28
	s_add_u32 s29, s29, 0xff
	s_addc_u32 s30, 0, 0
	v_mov_b32_e32 v1, s29
	v_alignbit_b32 v1, s30, v1, 8
	s_cmp_lt_u32 s15, s10
	v_readfirstlane_b32 s10, v1
	s_cselect_b32 s9, s9, s10
	s_cmp_eq_u32 s9, 0
	s_barrier
	s_cbranch_scc1 .LBB87_40
; %bb.18:
	s_mul_i32 s10, s19, s45
	s_mul_i32 s15, s23, s44
	s_sub_i32 s10, s42, s10
	s_sub_i32 s15, s19, s15
	s_mul_i32 s10, s10, s26
	s_add_i32 s26, s23, 1
	s_sub_i32 s29, s15, s44
	s_cmp_ge_u32 s15, s44
	s_cselect_b32 s23, s26, s23
	s_cselect_b32 s15, s29, s15
	s_add_i32 s26, s23, 1
	s_cmp_ge_u32 s15, s44
	s_cselect_b32 s15, s26, s23
	s_mul_i32 s23, s15, s44
	s_sub_i32 s19, s19, s23
	s_mul_i32 s19, s19, s25
	s_add_i32 s10, s19, s10
	s_mul_i32 s15, s15, s24
	s_add_i32 s10, s10, s15
	s_mul_i32 s15, s27, s41
	s_mul_i32 s19, s54, s40
	s_sub_i32 s15, s42, s15
	s_sub_i32 s19, s27, s19
	s_mul_i32 s15, s15, s22
	s_add_i32 s22, s54, 1
	s_sub_i32 s23, s19, s40
	s_cmp_ge_u32 s19, s40
	s_cselect_b32 s22, s22, s54
	s_cselect_b32 s19, s23, s19
	s_add_i32 s23, s22, 1
	s_cmp_ge_u32 s19, s40
	s_cselect_b32 s19, s23, s22
	s_mul_i32 s22, s19, s40
	s_sub_i32 s22, s27, s22
	s_mul_i32 s21, s22, s21
	s_add_i32 s15, s21, s15
	s_mul_i32 s19, s19, s20
	s_add_i32 s20, s15, s19
	s_mul_i32 s15, s52, s39
	s_sub_i32 s15, s42, s15
	s_mul_i32 s15, s15, s18
	s_mul_i32 s18, s53, s38
	s_sub_i32 s18, s52, s18
	s_add_i32 s19, s53, 1
	s_sub_i32 s21, s18, s38
	s_cmp_ge_u32 s18, s38
	s_cselect_b32 s19, s19, s53
	s_cselect_b32 s18, s21, s18
	s_add_i32 s21, s19, 1
	s_cmp_ge_u32 s18, s38
	s_cselect_b32 s18, s21, s19
	s_mul_i32 s19, s18, s38
	s_sub_i32 s19, s52, s19
	s_mul_i32 s17, s19, s17
	s_add_i32 s15, s17, s15
	s_mul_i32 s18, s18, s16
	s_add_i32 s22, s15, s18
	s_lshl_b64 s[16:17], s[10:11], 2
	s_add_u32 s15, s36, s16
	s_mov_b32 s21, s11
	s_addc_u32 s16, s37, s17
	s_lshl_b64 s[18:19], s[20:21], 2
	s_add_u32 s17, s34, s18
	s_mov_b32 s23, s11
	v_mov_b32_e32 v1, 0
	s_addc_u32 s18, s35, s19
	s_lshl_b64 s[10:11], s[22:23], 3
	ds_read_b96 v[2:4], v1 offset:1056
	s_add_u32 s19, s6, s10
	s_addc_u32 s20, s7, s11
	s_cmp_gt_i32 s33, -1
	s_cselect_b32 s10, 0x80000000, -1
	v_cmp_o_f32_e64 s[6:7], s33, s33
	s_xor_b32 s10, s10, s33
	s_waitcnt lgkmcnt(0)
	v_add_u32_e32 v5, v2, v3
	v_lshrrev_b32_e32 v2, 5, v0
	s_and_b64 s[6:7], s[6:7], exec
	v_add_lshl_u32 v6, v2, v0, 2
	v_lshlrev_b32_e32 v2, 2, v0
	v_lshrrev_b32_e32 v3, 3, v0
	s_cselect_b32 s21, s10, -1
	s_bitcmp1_b32 s14, 0
	s_load_dword s10, s[4:5], 0xe8
	s_load_dword s14, s[4:5], 0x1c8
	v_add_lshl_u32 v7, v3, v2, 2
	v_add_u32_e32 v2, -1, v0
	v_lshrrev_b32_e32 v3, 5, v2
	v_add_lshl_u32 v8, v3, v2, 2
	v_mbcnt_lo_u32_b32 v3, -1, 0
	v_add_u32_e32 v2, s28, v0
	v_mbcnt_hi_u32_b32 v10, -1, v3
	s_cselect_b64 s[6:7], -1, 0
	v_cmp_gt_u32_e64 s[4:5], 64, v0
	s_waitcnt lgkmcnt(0)
	v_mul_lo_u32 v0, s10, v2
	s_lshl_b32 s22, s10, 8
	v_bfrev_b32_e32 v9, 1
	v_and_b32_e32 v11, 15, v10
	v_bfe_i32 v12, v10, 4, 1
	v_add_u32_e32 v13, -1, v10
	v_and_b32_e32 v14, 64, v10
                                        ; implicit-def: $vgpr15
	s_branch .LBB87_21
.LBB87_19:                              ;   in Loop: Header=BB87_21 Depth=1
	s_or_b64 exec, exec, s[10:11]
	v_add_u32_e32 v5, v18, v5
.LBB87_20:                              ;   in Loop: Header=BB87_21 Depth=1
	s_add_i32 s9, s9, -1
	v_add_u32_e32 v4, v17, v4
	v_add_u32_e32 v0, s22, v0
	s_cmp_lg_u32 s9, 0
	v_add_u32_e32 v2, 0x100, v2
	s_cbranch_scc0 .LBB87_40
.LBB87_21:                              ; =>This Inner Loop Header: Depth=1
	v_cmp_gt_u32_e32 vcc, s12, v2
	v_mov_b32_e32 v3, 0
	v_mov_b32_e32 v16, 0
	s_and_saveexec_b64 s[10:11], vcc
	s_cbranch_execz .LBB87_23
; %bb.22:                               ;   in Loop: Header=BB87_21 Depth=1
	v_lshlrev_b64 v[16:17], 2, v[0:1]
	v_mov_b32_e32 v3, s16
	v_add_co_u32_e32 v16, vcc, s15, v16
	v_addc_co_u32_e32 v17, vcc, v3, v17, vcc
	global_load_dword v15, v[16:17], off
	s_waitcnt vmcnt(0)
	v_cmp_lt_i32_e32 vcc, -1, v15
	v_cndmask_b32_e32 v3, -1, v9, vcc
	v_xor_b32_e32 v3, v3, v15
	v_cmp_o_f32_e32 vcc, v15, v15
	v_cndmask_b32_e32 v16, -1, v3, vcc
	v_cmp_lt_u32_e32 vcc, s21, v16
	v_cndmask_b32_e64 v3, 0, 1, vcc
	v_cmp_gt_u32_e32 vcc, s21, v16
	v_cndmask_b32_e64 v17, 0, 1, vcc
	v_cndmask_b32_e64 v3, v17, v3, s[6:7]
	v_cmp_eq_u32_e32 vcc, s21, v16
	v_and_b32_e32 v3, 1, v3
	v_cndmask_b32_e64 v16, 0, 1, vcc
.LBB87_23:                              ;   in Loop: Header=BB87_21 Depth=1
	s_or_b64 exec, exec, s[10:11]
	ds_write_b32 v6, v3
	s_waitcnt lgkmcnt(0)
	s_barrier
	s_and_saveexec_b64 s[10:11], s[4:5]
	s_cbranch_execz .LBB87_25
; %bb.24:                               ;   in Loop: Header=BB87_21 Depth=1
	ds_read2_b32 v[18:19], v7 offset1:1
	ds_read2_b32 v[20:21], v7 offset0:2 offset1:3
	v_cmp_ne_u32_e32 vcc, 0, v11
	; wave barrier
	s_waitcnt lgkmcnt(1)
	v_add_u32_e32 v17, v19, v18
	s_waitcnt lgkmcnt(0)
	v_add3_u32 v17, v17, v20, v21
	s_nop 1
	v_mov_b32_dpp v19, v17 row_shr:1 row_mask:0xf bank_mask:0xf
	v_cndmask_b32_e32 v19, 0, v19, vcc
	v_add_u32_e32 v17, v19, v17
	v_cmp_lt_u32_e32 vcc, 1, v11
	s_nop 0
	v_mov_b32_dpp v19, v17 row_shr:2 row_mask:0xf bank_mask:0xf
	v_cndmask_b32_e32 v19, 0, v19, vcc
	v_add_u32_e32 v17, v17, v19
	v_cmp_lt_u32_e32 vcc, 3, v11
	;; [unrolled: 5-line block ×4, first 2 shown]
	s_nop 0
	v_mov_b32_dpp v19, v17 row_bcast:15 row_mask:0xf bank_mask:0xf
	v_and_b32_e32 v19, v12, v19
	v_add_u32_e32 v17, v17, v19
	s_nop 1
	v_mov_b32_dpp v19, v17 row_bcast:31 row_mask:0xf bank_mask:0xf
	v_cndmask_b32_e32 v19, 0, v19, vcc
	v_cmp_lt_i32_e32 vcc, v13, v14
	v_add_u32_e32 v17, v17, v19
	v_cndmask_b32_e32 v19, v13, v10, vcc
	v_lshlrev_b32_e32 v19, 2, v19
	ds_bpermute_b32 v17, v19, v17
	s_waitcnt lgkmcnt(0)
	v_add_u32_e32 v17, v17, v18
	v_cndmask_b32_e64 v17, v17, v3, s[2:3]
	ds_write_b32 v7, v17
	; wave barrier
	ds_read2_b32 v[18:19], v7 offset0:1 offset1:2
	ds_read_b32 v20, v7 offset:12
	s_waitcnt lgkmcnt(1)
	v_add_u32_e32 v17, v18, v17
	v_add_u32_e32 v18, v19, v17
	ds_write2_b32 v7, v17, v18 offset0:1 offset1:2
	s_waitcnt lgkmcnt(1)
	v_add_u32_e32 v17, v20, v18
	ds_write_b32 v7, v17 offset:12
.LBB87_25:                              ;   in Loop: Header=BB87_21 Depth=1
	s_or_b64 exec, exec, s[10:11]
	v_mov_b32_e32 v18, 0
	s_waitcnt lgkmcnt(0)
	s_barrier
	s_and_saveexec_b64 s[10:11], s[0:1]
	s_cbranch_execz .LBB87_27
; %bb.26:                               ;   in Loop: Header=BB87_21 Depth=1
	ds_read_b32 v18, v8
.LBB87_27:                              ;   in Loop: Header=BB87_21 Depth=1
	s_or_b64 exec, exec, s[10:11]
	ds_read_b32 v17, v1 offset:1048
	v_cmp_ne_u32_e32 vcc, 0, v3
	s_waitcnt lgkmcnt(0)
	s_barrier
	s_and_saveexec_b64 s[10:11], vcc
	s_cbranch_execz .LBB87_29
; %bb.28:                               ;   in Loop: Header=BB87_21 Depth=1
	v_add_u32_e32 v20, v18, v4
	v_mul_lo_u32 v18, v20, s14
	v_mov_b32_e32 v19, v1
	v_lshlrev_b64 v[18:19], 2, v[18:19]
	v_mov_b32_e32 v3, s18
	v_add_co_u32_e32 v18, vcc, s17, v18
	v_addc_co_u32_e32 v19, vcc, v3, v19, vcc
	global_store_dword v[18:19], v15, off
	v_mul_lo_u32 v18, v20, s8
	v_mov_b32_e32 v19, v1
	v_lshlrev_b64 v[18:19], 3, v[18:19]
	v_mov_b32_e32 v20, s20
	v_add_co_u32_e32 v18, vcc, s19, v18
	v_mov_b32_e32 v3, v1
	v_addc_co_u32_e32 v19, vcc, v20, v19, vcc
	global_store_dwordx2 v[18:19], v[2:3], off
.LBB87_29:                              ;   in Loop: Header=BB87_21 Depth=1
	s_or_b64 exec, exec, s[10:11]
	v_cmp_le_u32_e32 vcc, s13, v5
	s_cbranch_vccnz .LBB87_20
; %bb.30:                               ;   in Loop: Header=BB87_21 Depth=1
	ds_write_b32 v6, v16
	s_waitcnt lgkmcnt(0)
	s_barrier
	s_and_saveexec_b64 s[10:11], s[4:5]
	s_cbranch_execz .LBB87_32
; %bb.31:                               ;   in Loop: Header=BB87_21 Depth=1
	ds_read2_b32 v[18:19], v7 offset1:1
	ds_read2_b32 v[20:21], v7 offset0:2 offset1:3
	v_cmp_ne_u32_e32 vcc, 0, v11
	; wave barrier
	s_waitcnt lgkmcnt(1)
	v_add_u32_e32 v3, v19, v18
	s_waitcnt lgkmcnt(0)
	v_add3_u32 v3, v3, v20, v21
	s_nop 1
	v_mov_b32_dpp v19, v3 row_shr:1 row_mask:0xf bank_mask:0xf
	v_cndmask_b32_e32 v19, 0, v19, vcc
	v_add_u32_e32 v3, v19, v3
	v_cmp_lt_u32_e32 vcc, 1, v11
	s_nop 0
	v_mov_b32_dpp v19, v3 row_shr:2 row_mask:0xf bank_mask:0xf
	v_cndmask_b32_e32 v19, 0, v19, vcc
	v_add_u32_e32 v3, v3, v19
	v_cmp_lt_u32_e32 vcc, 3, v11
	;; [unrolled: 5-line block ×4, first 2 shown]
	s_nop 0
	v_mov_b32_dpp v19, v3 row_bcast:15 row_mask:0xf bank_mask:0xf
	v_and_b32_e32 v19, v12, v19
	v_add_u32_e32 v3, v3, v19
	s_nop 1
	v_mov_b32_dpp v19, v3 row_bcast:31 row_mask:0xf bank_mask:0xf
	v_cndmask_b32_e32 v19, 0, v19, vcc
	v_cmp_lt_i32_e32 vcc, v13, v14
	v_add_u32_e32 v3, v3, v19
	v_cndmask_b32_e32 v19, v13, v10, vcc
	v_lshlrev_b32_e32 v19, 2, v19
	ds_bpermute_b32 v3, v19, v3
	s_waitcnt lgkmcnt(0)
	v_add_u32_e32 v3, v3, v18
	v_cndmask_b32_e64 v3, v3, v16, s[2:3]
	ds_write_b32 v7, v3
	; wave barrier
	ds_read2_b32 v[18:19], v7 offset0:1 offset1:2
	ds_read_b32 v20, v7 offset:12
	s_waitcnt lgkmcnt(1)
	v_add_u32_e32 v3, v18, v3
	v_add_u32_e32 v18, v19, v3
	ds_write2_b32 v7, v3, v18 offset0:1 offset1:2
	s_waitcnt lgkmcnt(1)
	v_add_u32_e32 v3, v20, v18
	ds_write_b32 v7, v3 offset:12
.LBB87_32:                              ;   in Loop: Header=BB87_21 Depth=1
	s_or_b64 exec, exec, s[10:11]
	v_mov_b32_e32 v3, 0
	s_waitcnt lgkmcnt(0)
	s_barrier
	s_and_saveexec_b64 s[10:11], s[0:1]
	s_cbranch_execz .LBB87_34
; %bb.33:                               ;   in Loop: Header=BB87_21 Depth=1
	ds_read_b32 v3, v8
.LBB87_34:                              ;   in Loop: Header=BB87_21 Depth=1
	s_or_b64 exec, exec, s[10:11]
	ds_read_b32 v18, v1 offset:1048
	v_cmp_ne_u32_e32 vcc, 0, v16
	s_waitcnt lgkmcnt(0)
	s_barrier
	s_and_saveexec_b64 s[10:11], vcc
	s_cbranch_execz .LBB87_19
; %bb.35:                               ;   in Loop: Header=BB87_21 Depth=1
	v_add_u32_e32 v16, v3, v5
	v_cmp_gt_u32_e32 vcc, s13, v16
	s_and_b64 exec, exec, vcc
	s_cbranch_execz .LBB87_19
; %bb.36:                               ;   in Loop: Header=BB87_21 Depth=1
	v_mul_lo_u32 v20, v16, s14
	v_mov_b32_e32 v21, v1
	v_lshlrev_b64 v[20:21], 2, v[20:21]
	v_mov_b32_e32 v3, s18
	v_add_co_u32_e32 v20, vcc, s17, v20
	v_addc_co_u32_e32 v21, vcc, v3, v21, vcc
	global_store_dword v[20:21], v15, off
	v_mul_lo_u32 v20, v16, s8
	v_mov_b32_e32 v21, v1
	v_lshlrev_b64 v[20:21], 3, v[20:21]
	v_mov_b32_e32 v16, s20
	v_add_co_u32_e32 v20, vcc, s19, v20
	v_mov_b32_e32 v3, v1
	v_addc_co_u32_e32 v21, vcc, v16, v21, vcc
	global_store_dwordx2 v[20:21], v[2:3], off
	s_branch .LBB87_19
.LBB87_37:                              ;   in Loop: Header=BB87_38 Depth=1
	s_add_u32 s28, s28, 4
	s_addc_u32 s29, s29, 0
	s_waitcnt lgkmcnt(0)
	s_add_i32 s56, s15, s56
	s_add_u32 s30, s30, 4
	s_addc_u32 s31, s31, 0
	s_add_i32 s14, s14, 1
	s_cmp_lt_u32 s14, s10
	s_cbranch_scc0 .LBB87_16
.LBB87_38:                              ; =>This Inner Loop Header: Depth=1
	s_load_dword s15, s[28:29], 0x0
	s_cmp_ge_u32 s14, s11
	s_cbranch_scc1 .LBB87_37
; %bb.39:                               ;   in Loop: Header=BB87_38 Depth=1
	s_load_dword s46, s[30:31], 0x0
	s_waitcnt lgkmcnt(0)
	s_add_i32 s43, s15, s43
	s_add_i32 s55, s46, s55
	s_branch .LBB87_37
.LBB87_40:
	s_endpgm
	.section	.rodata,"a",@progbits
	.p2align	6, 0x0
	.amdhsa_kernel _ZN2at6native6mbtopk10gatherTopKIfjLi3EEEvNS_4cuda6detail10TensorInfoIKT_T0_EES8_S8_bjS8_NS5_IS6_S8_EES8_NS5_IlS8_EES8_jjPS6_PjSD_j
		.amdhsa_group_segment_fixed_size 1068
		.amdhsa_private_segment_fixed_size 0
		.amdhsa_kernarg_size 984
		.amdhsa_user_sgpr_count 6
		.amdhsa_user_sgpr_private_segment_buffer 1
		.amdhsa_user_sgpr_dispatch_ptr 0
		.amdhsa_user_sgpr_queue_ptr 0
		.amdhsa_user_sgpr_kernarg_segment_ptr 1
		.amdhsa_user_sgpr_dispatch_id 0
		.amdhsa_user_sgpr_flat_scratch_init 0
		.amdhsa_user_sgpr_kernarg_preload_length 0
		.amdhsa_user_sgpr_kernarg_preload_offset 0
		.amdhsa_user_sgpr_private_segment_size 0
		.amdhsa_uses_dynamic_stack 0
		.amdhsa_system_sgpr_private_segment_wavefront_offset 0
		.amdhsa_system_sgpr_workgroup_id_x 1
		.amdhsa_system_sgpr_workgroup_id_y 1
		.amdhsa_system_sgpr_workgroup_id_z 1
		.amdhsa_system_sgpr_workgroup_info 0
		.amdhsa_system_vgpr_workitem_id 0
		.amdhsa_next_free_vgpr 22
		.amdhsa_next_free_sgpr 60
		.amdhsa_accum_offset 24
		.amdhsa_reserve_vcc 1
		.amdhsa_reserve_flat_scratch 0
		.amdhsa_float_round_mode_32 0
		.amdhsa_float_round_mode_16_64 0
		.amdhsa_float_denorm_mode_32 3
		.amdhsa_float_denorm_mode_16_64 3
		.amdhsa_dx10_clamp 1
		.amdhsa_ieee_mode 1
		.amdhsa_fp16_overflow 0
		.amdhsa_tg_split 0
		.amdhsa_exception_fp_ieee_invalid_op 0
		.amdhsa_exception_fp_denorm_src 0
		.amdhsa_exception_fp_ieee_div_zero 0
		.amdhsa_exception_fp_ieee_overflow 0
		.amdhsa_exception_fp_ieee_underflow 0
		.amdhsa_exception_fp_ieee_inexact 0
		.amdhsa_exception_int_div_zero 0
	.end_amdhsa_kernel
	.section	.text._ZN2at6native6mbtopk10gatherTopKIfjLi3EEEvNS_4cuda6detail10TensorInfoIKT_T0_EES8_S8_bjS8_NS5_IS6_S8_EES8_NS5_IlS8_EES8_jjPS6_PjSD_j,"axG",@progbits,_ZN2at6native6mbtopk10gatherTopKIfjLi3EEEvNS_4cuda6detail10TensorInfoIKT_T0_EES8_S8_bjS8_NS5_IS6_S8_EES8_NS5_IlS8_EES8_jjPS6_PjSD_j,comdat
.Lfunc_end87:
	.size	_ZN2at6native6mbtopk10gatherTopKIfjLi3EEEvNS_4cuda6detail10TensorInfoIKT_T0_EES8_S8_bjS8_NS5_IS6_S8_EES8_NS5_IlS8_EES8_jjPS6_PjSD_j, .Lfunc_end87-_ZN2at6native6mbtopk10gatherTopKIfjLi3EEEvNS_4cuda6detail10TensorInfoIKT_T0_EES8_S8_bjS8_NS5_IS6_S8_EES8_NS5_IlS8_EES8_jjPS6_PjSD_j
                                        ; -- End function
	.section	.AMDGPU.csdata,"",@progbits
; Kernel info:
; codeLenInByte = 2744
; NumSgprs: 64
; NumVgprs: 22
; NumAgprs: 0
; TotalNumVgprs: 22
; ScratchSize: 0
; MemoryBound: 0
; FloatMode: 240
; IeeeMode: 1
; LDSByteSize: 1068 bytes/workgroup (compile time only)
; SGPRBlocks: 7
; VGPRBlocks: 2
; NumSGPRsForWavesPerEU: 64
; NumVGPRsForWavesPerEU: 22
; AccumOffset: 24
; Occupancy: 8
; WaveLimiterHint : 1
; COMPUTE_PGM_RSRC2:SCRATCH_EN: 0
; COMPUTE_PGM_RSRC2:USER_SGPR: 6
; COMPUTE_PGM_RSRC2:TRAP_HANDLER: 0
; COMPUTE_PGM_RSRC2:TGID_X_EN: 1
; COMPUTE_PGM_RSRC2:TGID_Y_EN: 1
; COMPUTE_PGM_RSRC2:TGID_Z_EN: 1
; COMPUTE_PGM_RSRC2:TIDIG_COMP_CNT: 0
; COMPUTE_PGM_RSRC3_GFX90A:ACCUM_OFFSET: 5
; COMPUTE_PGM_RSRC3_GFX90A:TG_SPLIT: 0
	.section	.text._ZN2at6native6sbtopk10gatherTopKIfjLi3ELb0EEEvNS_4cuda6detail10TensorInfoIKT_T0_EES8_S8_bS8_S8_NS5_IS6_S8_EES8_NS5_IlS8_EES8_PS6_,"axG",@progbits,_ZN2at6native6sbtopk10gatherTopKIfjLi3ELb0EEEvNS_4cuda6detail10TensorInfoIKT_T0_EES8_S8_bS8_S8_NS5_IS6_S8_EES8_NS5_IlS8_EES8_PS6_,comdat
	.protected	_ZN2at6native6sbtopk10gatherTopKIfjLi3ELb0EEEvNS_4cuda6detail10TensorInfoIKT_T0_EES8_S8_bS8_S8_NS5_IS6_S8_EES8_NS5_IlS8_EES8_PS6_ ; -- Begin function _ZN2at6native6sbtopk10gatherTopKIfjLi3ELb0EEEvNS_4cuda6detail10TensorInfoIKT_T0_EES8_S8_bS8_S8_NS5_IS6_S8_EES8_NS5_IlS8_EES8_PS6_
	.globl	_ZN2at6native6sbtopk10gatherTopKIfjLi3ELb0EEEvNS_4cuda6detail10TensorInfoIKT_T0_EES8_S8_bS8_S8_NS5_IS6_S8_EES8_NS5_IlS8_EES8_PS6_
	.p2align	8
	.type	_ZN2at6native6sbtopk10gatherTopKIfjLi3ELb0EEEvNS_4cuda6detail10TensorInfoIKT_T0_EES8_S8_bS8_S8_NS5_IS6_S8_EES8_NS5_IlS8_EES8_PS6_,@function
_ZN2at6native6sbtopk10gatherTopKIfjLi3ELb0EEEvNS_4cuda6detail10TensorInfoIKT_T0_EES8_S8_bS8_S8_NS5_IS6_S8_EES8_NS5_IlS8_EES8_PS6_: ; @_ZN2at6native6sbtopk10gatherTopKIfjLi3ELb0EEEvNS_4cuda6detail10TensorInfoIKT_T0_EES8_S8_bS8_S8_NS5_IS6_S8_EES8_NS5_IlS8_EES8_PS6_
; %bb.0:
	s_load_dwordx2 s[12:13], s[4:5], 0x2b8
	s_load_dwordx4 s[60:63], s[4:5], 0xd8
	s_add_u32 s10, s4, 0x2b8
	s_addc_u32 s11, s5, 0
	s_waitcnt lgkmcnt(0)
	s_mul_i32 s0, s13, s8
	s_add_i32 s0, s0, s7
	s_mul_i32 s0, s0, s12
	s_add_i32 s13, s0, s6
	s_cmp_ge_u32 s13, s63
	s_cbranch_scc1 .LBB88_414
; %bb.1:
	s_load_dwordx4 s[0:3], s[4:5], 0x23c
                                        ; implicit-def: $vgpr55 : SGPR spill to VGPR lane
	s_load_dwordx2 s[16:17], s[4:5], 0xc
	s_load_dwordx2 s[14:15], s[4:5], 0x0
	s_mov_b32 s24, 0
	s_load_dword s20, s[4:5], 0xe8
	s_waitcnt lgkmcnt(0)
	v_writelane_b32 v55, s0, 0
	v_writelane_b32 v55, s1, 1
	;; [unrolled: 1-line block ×4, first 2 shown]
	s_load_dwordx2 s[18:19], s[4:5], 0x1dc
	s_load_dwordx2 s[0:1], s[4:5], 0x1d0
	v_cvt_f32_u32_e32 v1, s17
	s_waitcnt lgkmcnt(0)
	v_writelane_b32 v55, s0, 4
	v_writelane_b32 v55, s1, 5
	s_load_dwordx4 s[0:3], s[4:5], 0x15c
	v_rcp_iflag_f32_e32 v1, v1
	v_mul_f32_e32 v1, 0x4f7ffffe, v1
	s_waitcnt lgkmcnt(0)
	v_writelane_b32 v55, s0, 6
	v_writelane_b32 v55, s1, 7
	;; [unrolled: 1-line block ×4, first 2 shown]
	s_load_dwordx2 s[22:23], s[4:5], 0xfc
	s_load_dwordx2 s[0:1], s[4:5], 0xf0
	v_cvt_u32_f32_e32 v1, v1
	s_waitcnt lgkmcnt(0)
	v_cvt_f32_u32_e32 v2, s23
	v_writelane_b32 v55, s0, 10
	v_writelane_b32 v55, s1, 11
	;; [unrolled: 1-line block ×4, first 2 shown]
	s_load_dwordx4 s[0:3], s[4:5], 0x6c
	v_readfirstlane_b32 s4, v1
	v_cvt_f32_u32_e32 v1, s16
	s_waitcnt lgkmcnt(0)
	s_sub_i32 s3, 0, s17
	s_mul_i32 s3, s3, s4
	s_mul_hi_u32 s3, s4, s3
	s_add_i32 s4, s4, s3
	v_rcp_iflag_f32_e32 v1, v1
	s_mul_hi_u32 s3, s13, s4
	s_mul_i32 s4, s3, s17
	s_sub_i32 s4, s13, s4
	s_add_i32 s5, s3, 1
	s_sub_i32 s7, s4, s17
	v_mul_f32_e32 v1, 0x4f7ffffe, v1
	s_cmp_ge_u32 s4, s17
	v_cvt_u32_f32_e32 v1, v1
	v_rcp_iflag_f32_e32 v2, v2
	s_cselect_b32 s3, s5, s3
	s_cselect_b32 s4, s7, s4
	s_add_i32 s5, s3, 1
	s_cmp_ge_u32 s4, s17
	s_cselect_b32 s3, s5, s3
	v_readfirstlane_b32 s5, v1
	v_mul_f32_e32 v1, 0x4f7ffffe, v2
	v_cvt_u32_f32_e32 v1, v1
	s_sub_i32 s4, 0, s16
	s_mul_i32 s4, s4, s5
	s_mul_hi_u32 s4, s5, s4
	v_readfirstlane_b32 s7, v1
	v_cvt_f32_u32_e32 v1, s22
	s_add_i32 s5, s5, s4
	s_mul_hi_u32 s4, s3, s5
	s_sub_i32 s5, 0, s23
	s_mul_i32 s5, s5, s7
	s_mul_hi_u32 s5, s7, s5
	v_rcp_iflag_f32_e32 v1, v1
	s_add_i32 s7, s7, s5
	v_cvt_f32_u32_e32 v2, s19
	s_mul_hi_u32 s5, s13, s7
	s_mul_i32 s7, s5, s23
	s_sub_i32 s7, s13, s7
	v_mul_f32_e32 v1, 0x4f7ffffe, v1
	s_add_i32 s8, s5, 1
	s_sub_i32 s9, s7, s23
	v_cvt_u32_f32_e32 v1, v1
	v_rcp_iflag_f32_e32 v2, v2
	s_cmp_ge_u32 s7, s23
	s_cselect_b32 s5, s8, s5
	s_cselect_b32 s7, s9, s7
	s_add_i32 s8, s5, 1
	s_cmp_ge_u32 s7, s23
	v_readfirstlane_b32 s7, v1
	v_mul_f32_e32 v1, 0x4f7ffffe, v2
	s_cselect_b32 s8, s8, s5
	v_writelane_b32 v55, s22, 14
	s_sub_i32 s5, 0, s22
	v_cvt_u32_f32_e32 v1, v1
	s_mul_i32 s5, s5, s7
	s_mul_hi_u32 s5, s7, s5
	v_writelane_b32 v55, s23, 15
	s_add_i32 s7, s7, s5
	v_writelane_b32 v55, s8, 16
	s_mul_hi_u32 s5, s8, s7
	v_readfirstlane_b32 s7, v1
	v_cvt_f32_u32_e32 v1, s18
	v_writelane_b32 v55, s5, 17
	s_sub_i32 s5, 0, s19
	s_mul_i32 s5, s5, s7
	s_mul_hi_u32 s5, s7, s5
	s_add_i32 s7, s7, s5
	v_rcp_iflag_f32_e32 v1, v1
	s_mul_hi_u32 s5, s13, s7
	s_mul_i32 s7, s5, s19
	s_sub_i32 s7, s13, s7
	s_add_i32 s8, s5, 1
	s_sub_i32 s9, s7, s19
	v_mul_f32_e32 v1, 0x4f7ffffe, v1
	s_cmp_ge_u32 s7, s19
	v_cvt_u32_f32_e32 v1, v1
	s_cselect_b32 s5, s8, s5
	s_cselect_b32 s7, s9, s7
	s_add_i32 s8, s5, 1
	s_cmp_ge_u32 s7, s19
	s_cselect_b32 s8, s8, s5
	v_writelane_b32 v55, s18, 18
	s_sub_i32 s5, 0, s18
	v_readfirstlane_b32 s7, v1
	s_mul_i32 s5, s5, s7
	s_mul_hi_u32 s5, s7, s5
	v_writelane_b32 v55, s19, 19
	s_add_i32 s7, s7, s5
	v_writelane_b32 v55, s8, 20
	s_mul_hi_u32 s5, s8, s7
	v_writelane_b32 v55, s5, 21
	v_cmp_eq_u32_e64 s[8:9], 0, v0
	s_mov_b64 s[18:19], exec
	v_writelane_b32 v55, s8, 22
	v_writelane_b32 v55, s9, 23
	s_and_b64 s[8:9], s[18:19], s[8:9]
	s_mov_b64 exec, s[8:9]
	s_cbranch_execz .LBB88_3
; %bb.2:
	v_mov_b32_e32 v2, 0
	v_mov_b32_e32 v3, s60
	;; [unrolled: 1-line block ×3, first 2 shown]
	ds_write_b96 v2, v[2:4] offset:4096
.LBB88_3:
	s_or_b64 exec, exec, s[18:19]
	s_mul_i32 s5, s3, s17
	s_sub_i32 s5, s13, s5
	s_mul_i32 s5, s5, s2
	s_mul_i32 s2, s4, s16
	s_sub_i32 s2, s3, s2
	s_add_i32 s7, s4, 1
	s_sub_i32 s8, s2, s16
	s_cmp_ge_u32 s2, s16
	s_cselect_b32 s4, s7, s4
	s_cselect_b32 s2, s8, s2
	s_add_i32 s7, s4, 1
	s_cmp_ge_u32 s2, s16
	s_cselect_b32 s2, s7, s4
	s_mul_i32 s4, s2, s16
	s_sub_i32 s3, s3, s4
	s_mul_i32 s1, s3, s1
	s_add_i32 s1, s1, s5
	s_mul_i32 s2, s2, s0
	s_add_i32 s0, s1, s2
	s_mov_b32 s1, s24
	s_lshl_b64 s[0:1], s[0:1], 2
	s_add_u32 s33, s14, s0
	s_waitcnt lgkmcnt(0)
	s_barrier
	s_load_dword s0, s[10:11], 0xc
	v_writelane_b32 v55, s13, 24
	s_mov_b32 s2, 0
	s_addc_u32 s8, s15, s1
	v_writelane_b32 v55, s2, 25
	s_bitcmp1_b32 s62, 0
	v_mbcnt_lo_u32_b32 v1, -1, 0
	v_writelane_b32 v55, s3, 26
	s_cselect_b64 s[2:3], -1, 0
	v_mbcnt_hi_u32_b32 v1, -1, v1
	v_writelane_b32 v55, s2, 27
	s_waitcnt lgkmcnt(0)
	s_and_b32 s9, s0, 0xffff
	s_bfe_u32 s5, s0, 0xa0006
	v_cmp_gt_u32_e32 vcc, 64, v0
	v_cmp_gt_i32_e64 s[0:1], 4, v1
	v_writelane_b32 v55, s3, 28
	s_xor_b64 s[2:3], s[2:3], -1
	s_lshl_b32 s85, s9, 2
	s_and_b64 s[82:83], vcc, s[0:1]
	v_writelane_b32 v55, s2, 29
	s_cmpk_gt_u32 s60, 0x300
	v_writelane_b32 v55, s3, 30
	s_cselect_b64 s[0:1], -1, 0
	v_writelane_b32 v55, s0, 31
	s_cmp_gt_u32 s9, 63
	v_writelane_b32 v55, s1, 32
	s_cselect_b64 s[0:1], -1, 0
	v_writelane_b32 v55, s0, 33
	v_writelane_b32 v55, s1, 34
	s_add_i32 s0, s9, -1
	s_add_i32 s2, s0, s60
	s_cmp_lt_u32 s6, s12
	v_writelane_b32 v55, s0, 35
	s_cselect_b32 s0, 12, 18
	s_add_u32 s0, s10, s0
	s_addc_u32 s1, s11, 0
	v_writelane_b32 v55, s0, 36
	s_add_i32 s3, s5, -2
	v_writelane_b32 v55, s1, 37
	s_lshr_b32 s0, s3, 1
	s_add_i32 s4, s0, 1
	s_cmpk_gt_u32 s9, 0x7f
	v_mov_b32_e32 v11, 0
	s_cselect_b64 s[0:1], -1, 0
	v_writelane_b32 v55, s0, 38
	v_mul_lo_u32 v12, v0, s20
	v_mov_b32_e32 v13, v11
	v_writelane_b32 v55, s1, 39
	v_cmp_gt_u32_e64 s[6:7], s60, v0
	v_lshlrev_b64 v[2:3], 2, v[12:13]
	v_writelane_b32 v55, s6, 40
	v_mov_b32_e32 v21, s8
	v_add_co_u32_e32 v8, vcc, s33, v2
	v_lshrrev_b32_e32 v2, 4, v0
	v_writelane_b32 v55, s7, 41
	v_addc_co_u32_e32 v9, vcc, v21, v3, vcc
	v_and_b32_e32 v22, 60, v2
	v_cmp_gt_u32_e64 s[6:7], 2, v0
	v_lshlrev_b64 v[2:3], v1, -1
	v_writelane_b32 v55, s6, 42
	v_not_b32_e32 v6, v2
	v_cvt_f32_u32_e32 v2, s85
	v_writelane_b32 v55, s7, 43
	s_and_b32 s6, s5, 0x3fe
	s_and_b32 s7, s4, 7
	s_cmp_gt_u32 s3, 13
	s_cselect_b64 s[10:11], -1, 0
	v_writelane_b32 v55, s10, 44
	v_rcp_iflag_f32_e32 v2, v2
	v_writelane_b32 v55, s11, 45
	s_and_b32 s3, s4, -8
	v_writelane_b32 v55, s3, 46
	s_cmp_lg_u32 s7, 0
	v_writelane_b32 v55, s7, 47
	s_cselect_b64 s[10:11], -1, 0
	v_writelane_b32 v55, s10, 48
	v_mul_f32_e32 v2, 0x4f7ffffe, v2
	v_writelane_b32 v55, s11, 49
	v_cvt_u32_f32_e32 v2, v2
	v_writelane_b32 v55, s5, 50
	s_cmp_lg_u32 s6, s5
	v_writelane_b32 v55, s6, 51
	s_cselect_b64 s[4:5], -1, 0
	v_writelane_b32 v55, s4, 52
	v_writelane_b32 v55, s5, 53
	s_sub_i32 s3, 0, s85
	v_readfirstlane_b32 s4, v2
	s_mul_i32 s3, s3, s4
	s_mul_hi_u32 s3, s4, s3
	s_add_i32 s3, s4, s3
	v_cvt_f32_u32_e32 v2, s9
	v_writelane_b32 v55, s3, 54
	s_mul_hi_u32 s3, s60, s3
	s_mul_i32 s3, s3, s85
	s_sub_i32 s3, s60, s3
	s_sub_i32 s4, s3, s85
	v_rcp_iflag_f32_e32 v5, v2
	s_cmp_ge_u32 s3, s85
	s_cselect_b32 s3, s4, s3
	s_sub_i32 s4, s3, s85
	s_cmp_ge_u32 s3, s85
	v_mul_f32_e32 v5, 0x4f7ffffe, v5
	s_cselect_b32 s3, s4, s3
	v_cvt_u32_f32_e32 v5, v5
	v_lshlrev_b32_e32 v20, 2, v0
	s_sub_i32 s87, s60, s3
	v_cmp_gt_u32_e64 s[4:5], s87, v20
	v_writelane_b32 v55, s4, 55
	v_writelane_b32 v55, s5, 56
	s_sub_i32 s4, 0, s9
	v_readfirstlane_b32 s5, v5
	s_mul_i32 s4, s4, s5
	s_mul_hi_u32 s4, s5, s4
	s_add_i32 s4, s5, s4
	v_writelane_b32 v55, s4, 57
	s_mul_hi_u32 s4, s2, s4
	s_mul_i32 s4, s4, s9
	s_sub_i32 s4, s2, s4
	s_sub_i32 s5, s4, s9
	v_add_u32_e32 v24, s87, v0
	s_cmp_ge_u32 s4, s9
	v_mul_lo_u32 v10, v24, s20
	s_cselect_b32 s4, s5, s4
	v_not_b32_e32 v7, v3
	v_lshlrev_b64 v[2:3], 2, v[10:11]
	s_sub_i32 s5, s4, s9
	v_add_co_u32_e32 v14, vcc, s33, v2
	s_cmp_ge_u32 s4, s9
	v_mul_lo_u32 v2, s20, v20
	s_cselect_b32 s4, s5, s4
	v_add_u32_e32 v25, s20, v2
	v_or_b32_e32 v2, 2, v20
	s_sub_i32 s12, s2, s4
	v_mul_lo_u32 v26, s20, v2
	v_or_b32_e32 v2, 3, v20
	s_add_i32 s2, s9, s60
	v_cmp_gt_u32_e64 s[4:5], s12, v0
	v_mul_lo_u32 v27, s20, v2
	v_add_u32_e32 v2, s2, v0
	v_lshlrev_b32_e32 v4, 2, v1
	v_mov_b32_e32 v10, s8
	v_writelane_b32 v55, s4, 58
	s_mul_i32 s84, s20, s9
	v_subrev_u32_e32 v2, s3, v2
	v_cmp_eq_u32_e64 s[0:1], 0, v1
	v_add_u32_e32 v23, 0xc00, v20
	v_and_b32_e32 v13, 0x100, v4
	v_cmp_gt_u32_e64 s[14:15], s60, v24
	v_addc_co_u32_e32 v15, vcc, v10, v3, vcc
	v_writelane_b32 v55, s5, 59
	s_lshl_b32 s13, s84, 2
	v_lshlrev_b32_e32 v28, 2, v12
	v_mul_lo_u32 v29, s20, v2
	v_lshlrev_b32_e32 v30, 4, v0
	s_lshl_b32 s6, s9, 4
	v_or_b32_e32 v31, 0xc00, v4
	s_mov_b32 s7, 30
	s_mov_b64 s[74:75], 0
	v_mov_b32_e32 v36, s61
	v_mov_b32_e32 v16, 1.0
	v_bfrev_b32_e32 v32, 1
	v_mov_b32_e32 v33, 0xc00
	v_mov_b32_e32 v19, 0
	;; [unrolled: 1-line block ×4, first 2 shown]
	s_mov_b32 s86, 0
	v_writelane_b32 v55, s20, 60
                                        ; implicit-def: $sgpr64_sgpr65
                                        ; implicit-def: $sgpr66_sgpr67
                                        ; implicit-def: $sgpr68_sgpr69
                                        ; implicit-def: $sgpr70_sgpr71
                                        ; implicit-def: $sgpr2_sgpr3
                                        ; implicit-def: $sgpr76_sgpr77
                                        ; implicit-def: $sgpr78_sgpr79
                                        ; implicit-def: $sgpr92_sgpr93
                                        ; implicit-def: $sgpr94_sgpr95
                                        ; implicit-def: $sgpr72_sgpr73
	s_branch .LBB88_6
.LBB88_4:                               ;   in Loop: Header=BB88_6 Depth=1
	s_or_b64 exec, exec, s[22:23]
	s_andn2_b64 s[4:5], s[72:73], exec
	s_and_b64 s[10:11], s[20:21], exec
	s_or_b64 s[72:73], s[4:5], s[10:11]
	s_andn2_b64 s[94:95], s[94:95], exec
	s_andn2_b64 s[92:93], s[92:93], exec
	;; [unrolled: 1-line block ×4, first 2 shown]
	s_orn2_b64 s[18:19], s[18:19], exec
	v_mov_b32_e32 v34, v5
	v_mov_b32_e32 v35, v4
	;; [unrolled: 1-line block ×4, first 2 shown]
.LBB88_5:                               ;   in Loop: Header=BB88_6 Depth=1
	s_or_b64 exec, exec, s[16:17]
	s_and_b64 s[4:5], exec, s[18:19]
	s_or_b64 s[74:75], s[4:5], s[74:75]
	s_andn2_b64 s[2:3], s[2:3], exec
	s_and_b64 s[4:5], s[72:73], exec
	s_or_b64 s[2:3], s[2:3], s[4:5]
	s_andn2_b64 s[4:5], s[70:71], exec
	s_and_b64 s[10:11], s[94:95], exec
	;; [unrolled: 3-line block ×5, first 2 shown]
	s_or_b64 s[64:65], s[4:5], s[10:11]
	s_andn2_b64 exec, exec, s[74:75]
	s_cbranch_execz .LBB88_410
.LBB88_6:                               ; =>This Loop Header: Depth=1
                                        ;     Child Loop BB88_14 Depth 2
                                        ;     Child Loop BB88_32 Depth 2
	;; [unrolled: 1-line block ×25, first 2 shown]
	ds_read_b64 v[2:3], v11 offset:4096
	s_waitcnt lgkmcnt(0)
	v_readfirstlane_b32 s4, v2
	s_cmp_lg_u32 s4, 0
	s_cbranch_scc1 .LBB88_39
; %bb.7:                                ;   in Loop: Header=BB88_6 Depth=1
	v_readlane_b32 s4, v55, 31
	v_readlane_b32 s5, v55, 32
	s_and_b64 vcc, exec, s[4:5]
	s_cbranch_vccz .LBB88_22
; %bb.8:                                ;   in Loop: Header=BB88_6 Depth=1
	s_movk_i32 s4, 0x301
	v_cmp_gt_u32_e32 vcc, s4, v3
	s_mov_b64 s[16:17], 0
	s_mov_b64 s[18:19], 0
	s_cbranch_vccz .LBB88_23
; %bb.9:                                ;   in Loop: Header=BB88_6 Depth=1
	v_mov_b32_e32 v2, 0
	s_mov_b64 s[18:19], exec
	v_readlane_b32 s4, v55, 40
	v_readlane_b32 s5, v55, 41
	s_and_b64 s[4:5], s[18:19], s[4:5]
	s_mov_b64 exec, s[4:5]
	s_cbranch_execz .LBB88_11
; %bb.10:                               ;   in Loop: Header=BB88_6 Depth=1
	global_load_dword v2, v[8:9], off
.LBB88_11:                              ;   in Loop: Header=BB88_6 Depth=1
	s_or_b64 exec, exec, s[18:19]
	s_mov_b64 s[22:23], exec
	v_readlane_b32 s4, v55, 40
	v_readlane_b32 s5, v55, 41
	s_and_b64 s[4:5], s[22:23], s[4:5]
	s_mov_b64 exec, s[4:5]
	s_cbranch_execz .LBB88_24
; %bb.12:                               ;   in Loop: Header=BB88_6 Depth=1
	v_readlane_b32 s4, v55, 36
	v_readlane_b32 s5, v55, 37
	s_mov_b64 s[24:25], 0
	s_nop 3
	global_load_ushort v3, v11, s[4:5]
	v_readlane_b32 s4, v55, 60
	s_waitcnt vmcnt(0)
	v_add_u32_e32 v5, v0, v3
	v_mul_lo_u32 v4, s4, v3
	v_mul_lo_u32 v10, s4, v5
	v_mov_b32_e32 v5, v0
	s_branch .LBB88_14
.LBB88_13:                              ;   in Loop: Header=BB88_14 Depth=2
	s_or_b64 exec, exec, s[20:21]
	v_add_u32_e32 v10, v10, v4
	s_waitcnt vmcnt(0)
	v_mov_b32_e32 v2, v17
	s_andn2_b64 exec, exec, s[24:25]
	s_cbranch_execz .LBB88_24
.LBB88_14:                              ;   Parent Loop BB88_6 Depth=1
                                        ; =>  This Inner Loop Header: Depth=2
	v_add_u32_e32 v5, v5, v3
	v_cmp_gt_u32_e64 s[18:19], s60, v5
	v_cmp_le_u32_e32 vcc, s60, v5
	s_waitcnt lgkmcnt(0)
	v_mov_b32_e32 v18, 0
	v_mov_b32_e32 v17, 0
	s_and_saveexec_b64 s[20:21], s[18:19]
	s_cbranch_execz .LBB88_16
; %bb.15:                               ;   in Loop: Header=BB88_14 Depth=2
	v_lshlrev_b64 v[38:39], 2, v[10:11]
	v_add_co_u32_e64 v38, s[18:19], s33, v38
	v_addc_co_u32_e64 v39, s[18:19], v21, v39, s[18:19]
	global_load_dword v17, v[38:39], off
.LBB88_16:                              ;   in Loop: Header=BB88_14 Depth=2
	s_or_b64 exec, exec, s[20:21]
	v_cmp_lt_i32_e64 s[18:19], -1, v2
	v_cndmask_b32_e64 v37, -1, v32, s[18:19]
	v_xor_b32_e32 v37, v37, v2
	v_cmp_o_f32_e64 s[18:19], v2, v2
	v_cndmask_b32_e64 v37, -1, v37, s[18:19]
	v_and_b32_e32 v37, v37, v34
	v_cmp_eq_u32_e64 s[18:19], v37, v35
	s_cmp_lg_u64 s[18:19], 0
	s_cselect_b64 s[4:5], -1, 0
	s_and_b64 s[4:5], s[0:1], s[4:5]
	s_and_saveexec_b64 s[26:27], s[4:5]
	s_cbranch_execz .LBB88_20
; %bb.17:                               ;   in Loop: Header=BB88_14 Depth=2
	s_mov_b64 s[30:31], exec
	v_mbcnt_lo_u32_b32 v18, s30, 0
	v_mbcnt_hi_u32_b32 v18, s31, v18
	s_bcnt1_i32_b64 s4, s[18:19]
	v_cmp_eq_u32_e64 s[20:21], 0, v18
                                        ; implicit-def: $vgpr37
	s_and_saveexec_b64 s[28:29], s[20:21]
	s_cbranch_execz .LBB88_19
; %bb.18:                               ;   in Loop: Header=BB88_14 Depth=2
	s_bcnt1_i32_b64 s5, s[30:31]
	s_mul_i32 s5, s4, s5
	v_mov_b32_e32 v37, s5
	ds_add_rtn_u32 v37, v11, v37 offset:4104
.LBB88_19:                              ;   in Loop: Header=BB88_14 Depth=2
	s_or_b64 exec, exec, s[28:29]
	s_waitcnt lgkmcnt(0)
	v_readfirstlane_b32 s5, v37
	v_mov_b32_e32 v37, s5
	v_mad_u32_u24 v18, s4, v18, v37
.LBB88_20:                              ;   in Loop: Header=BB88_14 Depth=2
	s_or_b64 exec, exec, s[26:27]
	ds_bpermute_b32 v18, v13, v18
	s_and_b64 s[4:5], exec, vcc
	s_or_b64 s[24:25], s[4:5], s[24:25]
	s_and_saveexec_b64 s[20:21], s[18:19]
	s_cbranch_execz .LBB88_13
; %bb.21:                               ;   in Loop: Header=BB88_14 Depth=2
	v_and_b32_e32 v38, s18, v6
	v_and_b32_e32 v37, s19, v7
	v_bcnt_u32_b32 v38, v38, 0
	v_bcnt_u32_b32 v37, v37, v38
	v_lshlrev_b32_e32 v37, 2, v37
	s_waitcnt lgkmcnt(0)
	v_lshl_add_u32 v18, v18, 2, v37
	ds_write_b32 v18, v2
	s_branch .LBB88_13
.LBB88_22:                              ;   in Loop: Header=BB88_6 Depth=1
	s_mov_b64 s[18:19], 0
                                        ; implicit-def: $sgpr4
	s_cbranch_execnz .LBB88_27
	s_branch .LBB88_37
.LBB88_23:                              ;   in Loop: Header=BB88_6 Depth=1
	s_mov_b32 s4, 0
	s_and_b64 vcc, exec, s[16:17]
	s_cbranch_vccnz .LBB88_27
	s_branch .LBB88_37
.LBB88_24:                              ;   in Loop: Header=BB88_6 Depth=1
	s_or_b64 exec, exec, s[22:23]
	s_waitcnt lgkmcnt(0)
	s_barrier
	s_mov_b64 s[18:19], exec
	v_readlane_b32 s4, v55, 22
	v_readlane_b32 s5, v55, 23
	s_and_b64 s[4:5], s[18:19], s[4:5]
	s_mov_b64 exec, s[4:5]
	s_cbranch_execz .LBB88_26
; %bb.25:                               ;   in Loop: Header=BB88_6 Depth=1
	s_waitcnt vmcnt(0)
	ds_read_b32 v2, v11 offset:4104
	s_waitcnt lgkmcnt(0)
	ds_write_b32 v11, v2 offset:4096
.LBB88_26:                              ;   in Loop: Header=BB88_6 Depth=1
	s_or_b64 exec, exec, s[18:19]
	s_waitcnt lgkmcnt(0)
	s_barrier
	s_mov_b64 s[18:19], -1
	s_mov_b32 s4, 0
	s_and_b64 vcc, exec, s[16:17]
	s_cbranch_vccz .LBB88_37
.LBB88_27:                              ;   in Loop: Header=BB88_6 Depth=1
	s_waitcnt vmcnt(0)
	v_mov_b32_e32 v2, 0
	s_mov_b64 s[16:17], exec
	v_readlane_b32 s4, v55, 40
	v_readlane_b32 s5, v55, 41
	s_and_b64 s[4:5], s[16:17], s[4:5]
	s_mov_b64 exec, s[4:5]
	s_cbranch_execz .LBB88_29
; %bb.28:                               ;   in Loop: Header=BB88_6 Depth=1
	global_load_dword v2, v[8:9], off
.LBB88_29:                              ;   in Loop: Header=BB88_6 Depth=1
	s_or_b64 exec, exec, s[16:17]
	s_mov_b64 s[16:17], exec
	v_readlane_b32 s4, v55, 40
	v_readlane_b32 s5, v55, 41
	s_and_b64 s[4:5], s[16:17], s[4:5]
	s_mov_b64 exec, s[4:5]
	s_cbranch_execz .LBB88_34
; %bb.30:                               ;   in Loop: Header=BB88_6 Depth=1
	v_readlane_b32 s4, v55, 36
	v_readlane_b32 s5, v55, 37
	s_mov_b64 s[20:21], 0
	v_mov_b32_e32 v4, v20
	v_mov_b32_e32 v18, v0
	s_nop 1
	global_load_ushort v3, v11, s[4:5]
	v_readlane_b32 s4, v55, 60
	s_waitcnt vmcnt(0)
	v_add_u32_e32 v10, v0, v3
	v_lshlrev_b32_e32 v5, 2, v3
	v_mul_lo_u32 v17, s4, v3
	v_mul_lo_u32 v10, s4, v10
	s_branch .LBB88_32
.LBB88_31:                              ;   in Loop: Header=BB88_32 Depth=2
	s_or_b64 exec, exec, s[22:23]
	s_and_b64 s[4:5], exec, vcc
	s_or_b64 s[20:21], s[4:5], s[20:21]
	ds_write_b32 v4, v2
	v_add_u32_e32 v4, v4, v5
	v_add_u32_e32 v10, v10, v17
	s_waitcnt vmcnt(0)
	v_mov_b32_e32 v2, v37
	s_andn2_b64 exec, exec, s[20:21]
	s_cbranch_execz .LBB88_34
.LBB88_32:                              ;   Parent Loop BB88_6 Depth=1
                                        ; =>  This Inner Loop Header: Depth=2
	v_add_u32_e32 v18, v18, v3
	v_cmp_gt_u32_e64 s[18:19], s60, v18
	v_cmp_le_u32_e32 vcc, s60, v18
	v_mov_b32_e32 v37, 0
	s_and_saveexec_b64 s[22:23], s[18:19]
	s_cbranch_execz .LBB88_31
; %bb.33:                               ;   in Loop: Header=BB88_32 Depth=2
	v_lshlrev_b64 v[38:39], 2, v[10:11]
	v_mov_b32_e32 v37, s8
	v_add_co_u32_e64 v38, s[18:19], s33, v38
	v_addc_co_u32_e64 v39, s[18:19], v37, v39, s[18:19]
	global_load_dword v37, v[38:39], off
	s_branch .LBB88_31
.LBB88_34:                              ;   in Loop: Header=BB88_6 Depth=1
	s_or_b64 exec, exec, s[16:17]
	s_waitcnt lgkmcnt(0)
	s_barrier
	s_mov_b64 s[16:17], exec
	v_readlane_b32 s4, v55, 22
	v_readlane_b32 s5, v55, 23
	s_and_b64 s[4:5], s[16:17], s[4:5]
	s_mov_b64 exec, s[4:5]
	s_cbranch_execz .LBB88_36
; %bb.35:                               ;   in Loop: Header=BB88_6 Depth=1
	s_waitcnt vmcnt(0)
	v_mov_b32_e32 v2, s60
	ds_write_b32 v11, v2 offset:4096
.LBB88_36:                              ;   in Loop: Header=BB88_6 Depth=1
	s_or_b64 exec, exec, s[16:17]
	s_mov_b64 s[18:19], -1
	s_waitcnt lgkmcnt(0)
	s_barrier
                                        ; implicit-def: $sgpr4
.LBB88_37:                              ;   in Loop: Header=BB88_6 Depth=1
	s_and_b64 vcc, exec, s[18:19]
	s_cbranch_vccz .LBB88_39
; %bb.38:                               ;   in Loop: Header=BB88_6 Depth=1
	s_waitcnt vmcnt(0)
	ds_read_b32 v2, v11 offset:4096
	s_waitcnt lgkmcnt(0)
	v_readfirstlane_b32 s4, v2
.LBB88_39:                              ;   in Loop: Header=BB88_6 Depth=1
	s_cmp_lt_i32 s4, 1
	s_cbranch_scc0 .LBB88_51
; %bb.40:                               ;   in Loop: Header=BB88_6 Depth=1
	s_waitcnt vmcnt(0)
	v_mov_b32_e32 v2, 0
	s_mov_b32 s5, 0
	v_mov_b32_e32 v3, 0
	v_mov_b32_e32 v4, v2
	;; [unrolled: 1-line block ×3, first 2 shown]
	s_mov_b64 s[48:49], exec
	v_readlane_b32 s10, v55, 55
	v_readlane_b32 s11, v55, 56
	s_and_b64 s[10:11], s[48:49], s[10:11]
	s_mov_b64 exec, s[10:11]
	s_cbranch_execz .LBB88_44
; %bb.41:                               ;   in Loop: Header=BB88_6 Depth=1
	s_and_b32 s10, s7, 0xfe
	s_mov_b64 s[50:51], 0
	s_mov_b32 s11, 0
	s_mov_b32 s16, 0
	;; [unrolled: 1-line block ×4, first 2 shown]
	v_mov_b32_e32 v17, v20
.LBB88_42:                              ;   Parent Loop BB88_6 Depth=1
                                        ; =>  This Inner Loop Header: Depth=2
	v_add_u32_e32 v10, s5, v28
	v_lshlrev_b64 v[2:3], 2, v[10:11]
	v_mov_b32_e32 v18, s8
	v_add_u32_e32 v10, s5, v25
	v_add_co_u32_e64 v2, s[18:19], s33, v2
	v_lshlrev_b64 v[4:5], 2, v[10:11]
	v_addc_co_u32_e64 v3, s[18:19], v18, v3, s[18:19]
	v_add_u32_e32 v10, s5, v26
	global_load_dword v37, v[2:3], off
	v_add_co_u32_e64 v2, s[18:19], s33, v4
	v_lshlrev_b64 v[38:39], 2, v[10:11]
	v_add_u32_e32 v10, s5, v27
	v_addc_co_u32_e64 v3, s[18:19], v18, v5, s[18:19]
	v_lshlrev_b64 v[4:5], 2, v[10:11]
	global_load_dword v10, v[2:3], off
	v_add_co_u32_e64 v2, s[18:19], s33, v38
	v_addc_co_u32_e64 v3, s[18:19], v18, v39, s[18:19]
	global_load_dword v38, v[2:3], off
	v_add_co_u32_e64 v2, s[18:19], s33, v4
	v_addc_co_u32_e64 v3, s[18:19], v18, v5, s[18:19]
	global_load_dword v2, v[2:3], off
	v_add_u32_e32 v17, s85, v17
	v_cmp_le_u32_e32 vcc, s87, v17
	s_add_i32 s5, s5, s13
	s_waitcnt vmcnt(3)
	v_cmp_lt_i32_e64 s[18:19], -1, v37
	v_cndmask_b32_e64 v3, -1, v32, s[18:19]
	v_xor_b32_e32 v3, v3, v37
	s_waitcnt vmcnt(2)
	v_cmp_lt_i32_e64 s[18:19], -1, v10
	v_cndmask_b32_e64 v4, -1, v32, s[18:19]
	v_cmp_o_f32_e64 s[18:19], v37, v37
	v_cndmask_b32_e64 v3, -1, v3, s[18:19]
	v_xor_b32_e32 v4, v4, v10
	s_waitcnt vmcnt(1)
	v_cmp_lt_i32_e64 s[18:19], -1, v38
	v_cndmask_b32_e64 v5, -1, v32, s[18:19]
	v_cmp_o_f32_e64 s[18:19], v10, v10
	v_cndmask_b32_e64 v4, -1, v4, s[18:19]
	v_xor_b32_e32 v5, v5, v38
	s_waitcnt vmcnt(0)
	v_cmp_lt_i32_e64 s[18:19], -1, v2
	v_cndmask_b32_e64 v10, -1, v32, s[18:19]
	v_and_b32_e32 v18, v3, v34
	v_bfe_u32 v3, v3, s10, 2
	v_cmp_o_f32_e64 s[18:19], v38, v38
	v_cndmask_b32_e64 v5, -1, v5, s[18:19]
	v_cmp_eq_u32_e64 s[18:19], v18, v35
	v_cmp_eq_u32_e64 s[20:21], 0, v3
	v_and_b32_e32 v18, v4, v34
	v_bfe_u32 v4, v4, s10, 2
	v_cmp_eq_u32_e64 s[22:23], 1, v3
	s_and_b64 s[20:21], s[18:19], s[20:21]
	v_xor_b32_e32 v10, v10, v2
	v_cmp_eq_u32_e64 s[24:25], 2, v3
	v_cmp_eq_u32_e64 s[26:27], 3, v3
	v_cmp_o_f32_e64 s[28:29], v2, v2
	v_cmp_eq_u32_e64 s[30:31], 0, v4
	v_cmp_eq_u32_e64 s[34:35], 1, v4
	;; [unrolled: 1-line block ×4, first 2 shown]
	v_cndmask_b32_e64 v4, 0, 1, s[20:21]
	s_and_b64 s[20:21], s[18:19], s[22:23]
	v_cndmask_b32_e64 v2, -1, v10, s[28:29]
	v_cmp_eq_u32_e64 s[28:29], v18, v35
	v_and_b32_e32 v3, v5, v34
	v_bfe_u32 v5, v5, s10, 2
	v_cndmask_b32_e64 v10, 0, 1, s[20:21]
	s_and_b64 s[20:21], s[18:19], s[24:25]
	s_and_b64 s[18:19], s[18:19], s[26:27]
	v_cndmask_b32_e64 v18, 0, 1, s[20:21]
	v_cndmask_b32_e64 v37, 0, 1, s[18:19]
	v_cmp_eq_u32_e64 s[18:19], v3, v35
	v_and_b32_e32 v3, v2, v34
	v_bfe_u32 v2, v2, s10, 2
	v_cmp_eq_u32_e64 s[20:21], 0, v5
	s_and_b64 s[30:31], s[28:29], s[30:31]
	s_and_b64 s[34:35], s[28:29], s[34:35]
	;; [unrolled: 1-line block ×4, first 2 shown]
	v_cmp_eq_u32_e64 s[22:23], 1, v5
	v_cmp_eq_u32_e64 s[24:25], 2, v5
	;; [unrolled: 1-line block ×3, first 2 shown]
	v_cndmask_b32_e64 v5, 0, 1, s[34:35]
	v_cmp_ne_u32_e64 s[34:35], 0, v18
	v_cndmask_b32_e64 v18, 0, 1, s[28:29]
	v_cmp_eq_u32_e64 s[28:29], v3, v35
	v_cmp_eq_u32_e64 s[38:39], 0, v2
	s_and_b64 s[20:21], s[18:19], s[20:21]
	v_cmp_eq_u32_e64 s[42:43], 1, v2
	v_cmp_eq_u32_e64 s[44:45], 2, v2
	;; [unrolled: 1-line block ×3, first 2 shown]
	v_cndmask_b32_e64 v2, 0, 1, s[20:21]
	s_and_b64 s[22:23], s[18:19], s[22:23]
	s_and_b64 s[24:25], s[18:19], s[24:25]
	;; [unrolled: 1-line block ×4, first 2 shown]
	v_cmp_ne_u32_e64 s[40:41], 0, v4
	v_cndmask_b32_e64 v4, 0, 1, s[30:31]
	v_cmp_ne_u32_e64 s[30:31], 0, v10
	v_cndmask_b32_e64 v10, 0, 1, s[36:37]
	v_cmp_ne_u32_e64 s[36:37], 0, v37
	v_cmp_ne_u32_e64 s[20:21], 0, v5
	v_cndmask_b32_e64 v3, 0, 1, s[22:23]
	v_cndmask_b32_e64 v5, 0, 1, s[18:19]
	v_cmp_ne_u32_e64 s[18:19], 0, v2
	v_cndmask_b32_e64 v2, 0, 1, s[26:27]
	s_and_b64 s[26:27], s[28:29], s[42:43]
	s_bcnt1_i32_b64 s53, s[40:41]
	v_cmp_ne_u32_e64 s[40:41], 0, v4
	s_bcnt1_i32_b64 s30, s[30:31]
	s_bcnt1_i32_b64 s31, s[34:35]
	v_cmp_ne_u32_e64 s[22:23], 0, v10
	v_cndmask_b32_e64 v4, 0, 1, s[24:25]
	s_bcnt1_i32_b64 s34, s[36:37]
	s_bcnt1_i32_b64 s37, s[20:21]
	v_cmp_ne_u32_e64 s[20:21], 0, v3
	v_cndmask_b32_e64 v3, 0, 1, s[26:27]
	s_and_b64 s[26:27], s[28:29], s[44:45]
	v_cmp_ne_u32_e64 s[24:25], 0, v18
	s_add_i32 s30, s17, s30
	s_bcnt1_i32_b64 s38, s[22:23]
	v_cmp_ne_u32_e64 s[22:23], 0, v4
	v_cndmask_b32_e64 v4, 0, 1, s[26:27]
	s_add_i32 s26, s16, s31
	s_and_b64 s[16:17], s[28:29], s[46:47]
	s_bcnt1_i32_b64 s35, s[40:41]
	s_add_i32 s36, s52, s53
	s_bcnt1_i32_b64 s27, s[24:25]
	v_cmp_ne_u32_e64 s[24:25], 0, v5
	v_cndmask_b32_e64 v5, 0, 1, s[16:17]
	s_add_i32 s11, s11, s34
	s_bcnt1_i32_b64 s16, s[18:19]
	v_cmp_ne_u32_e64 s[18:19], 0, v2
	s_add_i32 s17, s36, s35
	s_bcnt1_i32_b64 s28, s[20:21]
	v_cmp_ne_u32_e64 s[20:21], 0, v3
	;; [unrolled: 3-line block ×4, first 2 shown]
	s_add_i32 s11, s11, s27
	s_bcnt1_i32_b64 s18, s[18:19]
	s_add_i32 s16, s17, s16
	s_bcnt1_i32_b64 s17, s[20:21]
	;; [unrolled: 2-line block ×4, first 2 shown]
	s_add_i32 s11, s11, s31
	s_add_i32 s52, s16, s18
	;; [unrolled: 1-line block ×5, first 2 shown]
	s_or_b64 s[50:51], vcc, s[50:51]
	v_mov_b32_e32 v2, s52
	v_mov_b32_e32 v3, s17
	;; [unrolled: 1-line block ×4, first 2 shown]
	s_andn2_b64 exec, exec, s[50:51]
	s_cbranch_execnz .LBB88_42
; %bb.43:                               ;   in Loop: Header=BB88_6 Depth=1
	s_or_b64 exec, exec, s[50:51]
.LBB88_44:                              ;   in Loop: Header=BB88_6 Depth=1
	s_or_b64 exec, exec, s[48:49]
	v_mov_b32_e32 v17, 0
	s_and_saveexec_b64 s[16:17], s[14:15]
	s_cbranch_execz .LBB88_46
; %bb.45:                               ;   in Loop: Header=BB88_6 Depth=1
	global_load_dword v17, v[14:15], off
.LBB88_46:                              ;   in Loop: Header=BB88_6 Depth=1
	s_or_b64 exec, exec, s[16:17]
	s_mov_b64 s[16:17], 0
	s_mov_b64 s[88:89], 0
	s_and_saveexec_b64 s[20:21], s[14:15]
	s_cbranch_execz .LBB88_53
; %bb.47:                               ;   in Loop: Header=BB88_6 Depth=1
	s_and_b32 s5, s7, 0xfe
	s_mov_b64 s[22:23], 0
	v_mov_b32_e32 v10, v29
	v_mov_b32_e32 v18, v24
	s_branch .LBB88_49
.LBB88_48:                              ;   in Loop: Header=BB88_49 Depth=2
	s_or_b64 exec, exec, s[24:25]
	s_and_b64 s[10:11], exec, vcc
	s_waitcnt vmcnt(0)
	v_cmp_lt_i32_e32 vcc, -1, v17
	v_cndmask_b32_e32 v38, -1, v32, vcc
	v_xor_b32_e32 v38, v38, v17
	v_cmp_o_f32_e32 vcc, v17, v17
	v_cndmask_b32_e32 v17, -1, v38, vcc
	v_and_b32_e32 v38, v17, v34
	v_bfe_u32 v17, v17, s5, 2
	s_or_b64 s[22:23], s[10:11], s[22:23]
	v_cmp_eq_u32_e32 vcc, v38, v35
	v_cmp_eq_u32_e64 s[18:19], 0, v17
	s_and_b64 s[10:11], vcc, s[18:19]
	v_cndmask_b32_e64 v38, 0, 1, s[10:11]
	v_cmp_ne_u32_e64 s[18:19], 0, v38
	s_bcnt1_i32_b64 s10, s[18:19]
	v_cmp_eq_u32_e64 s[18:19], 1, v17
	v_add_u32_e32 v2, s10, v2
	s_and_b64 s[10:11], vcc, s[18:19]
	v_cndmask_b32_e64 v38, 0, 1, s[10:11]
	v_cmp_ne_u32_e64 s[18:19], 0, v38
	s_bcnt1_i32_b64 s10, s[18:19]
	v_cmp_eq_u32_e64 s[18:19], 2, v17
	v_add_u32_e32 v3, s10, v3
	;; [unrolled: 6-line block ×3, first 2 shown]
	s_and_b64 s[10:11], vcc, s[18:19]
	v_cndmask_b32_e64 v17, 0, 1, s[10:11]
	v_cmp_ne_u32_e32 vcc, 0, v17
	s_bcnt1_i32_b64 s10, vcc
	v_add_u32_e32 v5, s10, v5
	v_add_u32_e32 v10, s84, v10
	v_mov_b32_e32 v17, v37
	s_andn2_b64 exec, exec, s[22:23]
	s_cbranch_execz .LBB88_52
.LBB88_49:                              ;   Parent Loop BB88_6 Depth=1
                                        ; =>  This Inner Loop Header: Depth=2
	v_add_u32_e32 v18, s9, v18
	v_cmp_gt_u32_e64 s[18:19], s60, v18
	v_cmp_le_u32_e32 vcc, s60, v18
	v_mov_b32_e32 v37, 0
	s_and_saveexec_b64 s[24:25], s[18:19]
	s_cbranch_execz .LBB88_48
; %bb.50:                               ;   in Loop: Header=BB88_49 Depth=2
	v_lshlrev_b64 v[38:39], 2, v[10:11]
	v_mov_b32_e32 v37, s8
	v_add_co_u32_e64 v38, s[18:19], s33, v38
	v_addc_co_u32_e64 v39, s[18:19], v37, v39, s[18:19]
	global_load_dword v37, v[38:39], off
	s_branch .LBB88_48
.LBB88_51:                              ;   in Loop: Header=BB88_6 Depth=1
	s_mov_b64 s[88:89], 0
                                        ; implicit-def: $vgpr5
	s_cbranch_execnz .LBB88_54
	s_branch .LBB88_63
.LBB88_52:                              ;   in Loop: Header=BB88_6 Depth=1
	s_or_b64 exec, exec, s[22:23]
	s_mov_b64 s[88:89], exec
.LBB88_53:                              ;   in Loop: Header=BB88_6 Depth=1
	s_or_b64 exec, exec, s[20:21]
	s_and_b64 vcc, exec, s[16:17]
	s_cbranch_vccz .LBB88_63
.LBB88_54:                              ;   in Loop: Header=BB88_6 Depth=1
	v_readlane_b32 s5, v55, 54
	s_mul_hi_u32 s5, s4, s5
	s_mul_i32 s5, s5, s85
	s_sub_i32 s5, s4, s5
	s_sub_i32 s10, s5, s85
	s_cmp_ge_u32 s5, s85
	s_cselect_b32 s5, s10, s5
	s_sub_i32 s10, s5, s85
	s_cmp_ge_u32 s5, s85
	s_cselect_b32 s5, s10, s5
	s_sub_i32 s5, s4, s5
	v_cmp_gt_u32_e32 vcc, s5, v20
	s_mov_b32 s11, 0
	s_waitcnt vmcnt(0)
	v_mov_b32_e32 v2, 0
	v_mov_b32_e32 v3, 0
	;; [unrolled: 1-line block ×4, first 2 shown]
	s_and_saveexec_b64 s[90:91], vcc
	s_cbranch_execz .LBB88_58
; %bb.55:                               ;   in Loop: Header=BB88_6 Depth=1
	s_and_b32 s10, s7, 0xfe
	s_mov_b64 s[16:17], 0
	v_mov_b32_e32 v10, v30
	s_mov_b32 s62, 0
	s_mov_b32 s63, 0
	;; [unrolled: 1-line block ×3, first 2 shown]
	v_mov_b32_e32 v17, v20
.LBB88_56:                              ;   Parent Loop BB88_6 Depth=1
                                        ; =>  This Inner Loop Header: Depth=2
	ds_read_b128 v[2:5], v10
	v_add_u32_e32 v17, s85, v17
	v_cmp_le_u32_e32 vcc, s5, v17
	v_add_u32_e32 v10, s6, v10
	s_waitcnt lgkmcnt(0)
	v_cmp_lt_i32_e64 s[18:19], -1, v2
	v_cndmask_b32_e64 v18, -1, v32, s[18:19]
	v_cmp_lt_i32_e64 s[18:19], -1, v3
	v_cndmask_b32_e64 v37, -1, v32, s[18:19]
	;; [unrolled: 2-line block ×4, first 2 shown]
	v_xor_b32_e32 v37, v37, v3
	v_cmp_o_f32_e64 s[18:19], v3, v3
	v_xor_b32_e32 v3, v38, v4
	v_cmp_o_f32_e64 s[20:21], v4, v4
	;; [unrolled: 2-line block ×4, first 2 shown]
	v_cndmask_b32_e64 v2, -1, v5, s[24:25]
	v_cndmask_b32_e64 v5, -1, v37, s[18:19]
	v_and_b32_e32 v18, v2, v34
	v_bfe_u32 v2, v2, s10, 2
	v_cndmask_b32_e64 v3, -1, v3, s[20:21]
	v_and_b32_e32 v37, v5, v34
	v_bfe_u32 v5, v5, s10, 2
	v_cmp_eq_u32_e64 s[18:19], v18, v35
	v_cmp_eq_u32_e64 s[26:27], 0, v2
	v_cndmask_b32_e64 v4, -1, v4, s[22:23]
	v_and_b32_e32 v38, v3, v34
	v_bfe_u32 v3, v3, s10, 2
	v_cmp_eq_u32_e64 s[20:21], v37, v35
	v_cmp_eq_u32_e64 s[28:29], 0, v5
	s_and_b64 s[26:27], s[18:19], s[26:27]
	v_and_b32_e32 v39, v4, v34
	v_bfe_u32 v4, v4, s10, 2
	v_cmp_eq_u32_e64 s[22:23], v38, v35
	v_cmp_eq_u32_e64 s[30:31], 0, v3
	;; [unrolled: 1-line block ×5, first 2 shown]
	v_cndmask_b32_e64 v2, 0, 1, s[26:27]
	s_and_b64 s[26:27], s[20:21], s[28:29]
	v_cmp_eq_u32_e64 s[24:25], v39, v35
	v_cmp_eq_u32_e64 s[34:35], 0, v4
	;; [unrolled: 1-line block ×5, first 2 shown]
	v_cndmask_b32_e64 v3, 0, 1, s[26:27]
	s_and_b64 s[26:27], s[22:23], s[30:31]
	v_cmp_eq_u32_e64 s[42:43], 1, v4
	v_cmp_eq_u32_e64 s[50:51], 2, v4
	;; [unrolled: 1-line block ×3, first 2 shown]
	v_cndmask_b32_e64 v4, 0, 1, s[26:27]
	s_and_b64 s[26:27], s[24:25], s[34:35]
	v_cmp_eq_u32_e64 s[38:39], 1, v5
	v_cmp_eq_u32_e64 s[46:47], 2, v5
	;; [unrolled: 1-line block ×3, first 2 shown]
	v_cndmask_b32_e64 v5, 0, 1, s[26:27]
	s_and_b64 s[26:27], s[18:19], s[36:37]
	v_cndmask_b32_e64 v18, 0, 1, s[26:27]
	s_and_b64 s[26:27], s[20:21], s[38:39]
	;; [unrolled: 2-line block ×5, first 2 shown]
	s_and_b64 s[18:19], s[18:19], s[52:53]
	v_cndmask_b32_e64 v40, 0, 1, s[26:27]
	s_and_b64 s[26:27], s[20:21], s[46:47]
	v_cndmask_b32_e64 v44, 0, 1, s[18:19]
	;; [unrolled: 2-line block ×7, first 2 shown]
	v_cndmask_b32_e64 v47, 0, 1, s[18:19]
	v_cmp_ne_u32_e64 s[18:19], 0, v2
	v_cmp_ne_u32_e64 s[20:21], 0, v3
	;; [unrolled: 1-line block ×11, first 2 shown]
	s_bcnt1_i32_b64 s18, s[18:19]
	s_bcnt1_i32_b64 s19, s[20:21]
	;; [unrolled: 1-line block ×8, first 2 shown]
	v_cmp_ne_u32_e64 s[34:35], 0, v39
	v_cmp_ne_u32_e64 s[40:41], 0, v42
	;; [unrolled: 1-line block ×3, first 2 shown]
	s_bcnt1_i32_b64 s23, s[28:29]
	s_bcnt1_i32_b64 s27, s[38:39]
	;; [unrolled: 1-line block ×3, first 2 shown]
	s_add_i32 s18, s80, s18
	s_add_i32 s22, s63, s22
	;; [unrolled: 1-line block ×4, first 2 shown]
	v_cmp_ne_u32_e64 s[42:43], 0, v43
	v_cmp_ne_u32_e64 s[50:51], 0, v47
	s_bcnt1_i32_b64 s25, s[34:35]
	s_bcnt1_i32_b64 s28, s[40:41]
	;; [unrolled: 1-line block ×3, first 2 shown]
	s_add_i32 s18, s18, s19
	s_add_i32 s19, s22, s23
	;; [unrolled: 1-line block ×4, first 2 shown]
	s_bcnt1_i32_b64 s29, s[42:43]
	s_bcnt1_i32_b64 s35, s[50:51]
	s_add_i32 s18, s18, s20
	s_add_i32 s19, s19, s24
	;; [unrolled: 1-line block ×8, first 2 shown]
	s_or_b64 s[16:17], vcc, s[16:17]
	v_mov_b32_e32 v2, s80
	v_mov_b32_e32 v3, s63
	v_mov_b32_e32 v4, s62
	v_mov_b32_e32 v5, s11
	s_andn2_b64 exec, exec, s[16:17]
	s_cbranch_execnz .LBB88_56
; %bb.57:                               ;   in Loop: Header=BB88_6 Depth=1
	s_or_b64 exec, exec, s[16:17]
.LBB88_58:                              ;   in Loop: Header=BB88_6 Depth=1
	s_or_b64 exec, exec, s[90:91]
	v_add_u32_e32 v10, s5, v0
	v_cmp_gt_u32_e32 vcc, s4, v10
	s_and_saveexec_b64 s[16:17], vcc
	s_cbranch_execz .LBB88_62
; %bb.59:                               ;   in Loop: Header=BB88_6 Depth=1
	s_and_b32 s5, s7, 0xfe
	v_lshlrev_b32_e32 v17, 2, v10
	s_mov_b64 s[28:29], 0
.LBB88_60:                              ;   Parent Loop BB88_6 Depth=1
                                        ; =>  This Inner Loop Header: Depth=2
	ds_read_b32 v18, v17
	v_add_u32_e32 v10, s9, v10
	v_cmp_le_u32_e32 vcc, s4, v10
	v_add_u32_e32 v17, s85, v17
	s_waitcnt lgkmcnt(0)
	v_cmp_lt_i32_e64 s[18:19], -1, v18
	v_cndmask_b32_e64 v37, -1, v32, s[18:19]
	v_xor_b32_e32 v37, v37, v18
	v_cmp_o_f32_e64 s[18:19], v18, v18
	v_cndmask_b32_e64 v18, -1, v37, s[18:19]
	v_and_b32_e32 v37, v18, v34
	v_bfe_u32 v18, v18, s5, 2
	v_cmp_eq_u32_e64 s[18:19], v37, v35
	v_cmp_eq_u32_e64 s[20:21], 0, v18
	;; [unrolled: 1-line block ×3, first 2 shown]
	s_and_b64 s[10:11], s[18:19], s[20:21]
	v_cmp_eq_u32_e64 s[24:25], 2, v18
	v_cmp_eq_u32_e64 s[26:27], 3, v18
	v_cndmask_b32_e64 v18, 0, 1, s[10:11]
	s_and_b64 s[10:11], s[18:19], s[22:23]
	v_cndmask_b32_e64 v37, 0, 1, s[10:11]
	s_and_b64 s[10:11], s[18:19], s[24:25]
	;; [unrolled: 2-line block ×3, first 2 shown]
	v_cndmask_b32_e64 v39, 0, 1, s[10:11]
	v_cmp_ne_u32_e64 s[18:19], 0, v18
	v_cmp_ne_u32_e64 s[20:21], 0, v37
	;; [unrolled: 1-line block ×4, first 2 shown]
	s_bcnt1_i32_b64 s10, s[18:19]
	s_bcnt1_i32_b64 s11, s[20:21]
	;; [unrolled: 1-line block ×4, first 2 shown]
	v_add_u32_e32 v2, s10, v2
	v_add_u32_e32 v3, s11, v3
	;; [unrolled: 1-line block ×3, first 2 shown]
	s_or_b64 s[28:29], vcc, s[28:29]
	v_add_u32_e32 v5, s19, v5
	s_andn2_b64 exec, exec, s[28:29]
	s_cbranch_execnz .LBB88_60
; %bb.61:                               ;   in Loop: Header=BB88_6 Depth=1
	s_or_b64 exec, exec, s[28:29]
	s_or_b64 s[88:89], s[88:89], exec
.LBB88_62:                              ;   in Loop: Header=BB88_6 Depth=1
	s_or_b64 exec, exec, s[16:17]
.LBB88_63:                              ;   in Loop: Header=BB88_6 Depth=1
	s_and_saveexec_b64 s[16:17], s[88:89]
	s_or_b64 exec, exec, s[16:17]
	s_lshl_b32 s4, s86, 6
	s_and_saveexec_b64 s[16:17], s[0:1]
	s_cbranch_execz .LBB88_65
; %bb.64:                               ;   in Loop: Header=BB88_6 Depth=1
	v_or_b32_e32 v10, s4, v22
	v_lshlrev_b32_e32 v10, 2, v10
	s_waitcnt vmcnt(0)
	ds_write_b128 v10, v[2:5] offset:3072
.LBB88_65:                              ;   in Loop: Header=BB88_6 Depth=1
	s_or_b64 exec, exec, s[16:17]
	s_waitcnt lgkmcnt(0)
	s_barrier
	s_and_saveexec_b64 s[16:17], s[82:83]
	s_cbranch_execz .LBB88_79
; %bb.66:                               ;   in Loop: Header=BB88_6 Depth=1
	v_readlane_b32 s10, v55, 33
	v_readlane_b32 s11, v55, 34
	v_add_u32_e32 v4, s4, v1
	s_andn2_b64 vcc, exec, s[10:11]
	s_waitcnt vmcnt(0)
	v_mov_b32_e32 v2, 0
	s_cbranch_vccnz .LBB88_78
; %bb.67:                               ;   in Loop: Header=BB88_6 Depth=1
	v_readlane_b32 s10, v55, 38
	v_readlane_b32 s11, v55, 39
	s_mov_b32 s5, 0
	s_and_b64 vcc, exec, s[10:11]
	v_mov_b32_e32 v2, 0
	s_cbranch_vccz .LBB88_71
; %bb.68:                               ;   in Loop: Header=BB88_6 Depth=1
	v_readlane_b32 s10, v55, 44
	v_readlane_b32 s18, v55, 25
	;; [unrolled: 1-line block ×3, first 2 shown]
	v_lshl_add_u32 v5, v4, 2, v33
	v_readlane_b32 s19, v55, 26
	s_andn2_b64 vcc, exec, s[10:11]
	s_cbranch_vccnz .LBB88_72
; %bb.69:                               ;   in Loop: Header=BB88_6 Depth=1
	v_writelane_b32 v55, s18, 25
	v_writelane_b32 v55, s19, 26
	s_mov_b32 s19, 1
	s_mov_b32 s18, 0
	v_mov_b32_e32 v2, 0
	v_readlane_b32 s5, v55, 46
	v_mov_b32_e32 v3, 0
.LBB88_70:                              ;   Parent Loop BB88_6 Depth=1
                                        ; =>  This Inner Loop Header: Depth=2
	v_lshl_add_u32 v10, s18, 4, v5
	v_lshl_add_u32 v17, s19, 4, v5
	ds_read2_b32 v[38:39], v10 offset1:8
	ds_read2_b32 v[40:41], v17 offset1:8
	ds_read2_b32 v[42:43], v10 offset0:16 offset1:24
	ds_read2_b32 v[44:45], v17 offset0:16 offset1:24
	;; [unrolled: 1-line block ×6, first 2 shown]
	s_waitcnt lgkmcnt(7)
	v_add3_u32 v2, v38, v2, v39
	s_waitcnt lgkmcnt(6)
	v_add3_u32 v3, v40, v3, v41
	s_waitcnt lgkmcnt(4)
	v_add3_u32 v3, v44, v3, v45
	v_add3_u32 v2, v42, v2, v43
	s_add_i32 s19, s19, 16
	s_add_i32 s18, s18, 16
	s_add_i32 s5, s5, -8
	s_waitcnt lgkmcnt(3)
	v_add3_u32 v2, v46, v2, v47
	s_waitcnt lgkmcnt(2)
	v_add3_u32 v3, v48, v3, v49
	s_cmp_lg_u32 s5, 0
	s_waitcnt lgkmcnt(0)
	v_add3_u32 v3, v52, v3, v53
	v_add3_u32 v2, v50, v2, v51
	s_cbranch_scc1 .LBB88_70
	s_branch .LBB88_73
.LBB88_71:                              ;   in Loop: Header=BB88_6 Depth=1
	s_cbranch_execnz .LBB88_76
	s_branch .LBB88_78
.LBB88_72:                              ;   in Loop: Header=BB88_6 Depth=1
	s_mov_b32 s10, s18
	s_mov_b32 s19, s18
	v_writelane_b32 v55, s10, 25
	v_pk_mov_b32 v[2:3], s[18:19], s[18:19] op_sel:[0,1]
	s_mov_b32 s19, 1
	v_writelane_b32 v55, s11, 26
.LBB88_73:                              ;   in Loop: Header=BB88_6 Depth=1
	v_readlane_b32 s10, v55, 48
	v_readlane_b32 s11, v55, 49
	s_andn2_b64 vcc, exec, s[10:11]
	v_readlane_b32 s5, v55, 47
	s_cbranch_vccnz .LBB88_75
.LBB88_74:                              ;   Parent Loop BB88_6 Depth=1
                                        ; =>  This Inner Loop Header: Depth=2
	v_lshl_add_u32 v10, s18, 4, v5
	v_lshl_add_u32 v17, s19, 4, v5
	ds_read_b32 v17, v17
	ds_read_b32 v10, v10
	s_add_i32 s19, s19, 2
	s_add_i32 s18, s18, 2
	s_add_i32 s5, s5, -1
	s_cmp_lg_u32 s5, 0
	s_waitcnt lgkmcnt(1)
	v_add_u32_e32 v3, v17, v3
	s_waitcnt lgkmcnt(0)
	v_add_u32_e32 v2, v10, v2
	s_cbranch_scc1 .LBB88_74
.LBB88_75:                              ;   in Loop: Header=BB88_6 Depth=1
	v_readlane_b32 s18, v55, 52
	v_add_u32_e32 v2, v2, v3
	v_readlane_b32 s5, v55, 51
	v_readlane_b32 s19, v55, 53
	s_and_b64 vcc, exec, s[18:19]
	s_cbranch_vccz .LBB88_78
.LBB88_76:                              ;   in Loop: Header=BB88_6 Depth=1
	s_lshl_b32 s10, s86, 8
	s_lshl_b32 s11, s5, 4
	s_add_i32 s10, s10, s11
	v_add_u32_e32 v3, s10, v31
	v_readlane_b32 s10, v55, 50
	s_sub_i32 s5, s10, s5
.LBB88_77:                              ;   Parent Loop BB88_6 Depth=1
                                        ; =>  This Inner Loop Header: Depth=2
	ds_read_b32 v5, v3
	s_add_i32 s5, s5, -1
	v_add_u32_e32 v3, 16, v3
	s_cmp_eq_u32 s5, 0
	s_waitcnt lgkmcnt(0)
	v_add_u32_e32 v2, v5, v2
	s_cbranch_scc0 .LBB88_77
.LBB88_78:                              ;   in Loop: Header=BB88_6 Depth=1
	v_lshlrev_b32_e32 v3, 2, v4
	ds_write_b32 v3, v2 offset:3072
.LBB88_79:                              ;   in Loop: Header=BB88_6 Depth=1
	s_or_b64 exec, exec, s[16:17]
	s_lshl_b32 s4, s4, 2
	s_waitcnt vmcnt(0)
	v_mov_b32_e32 v2, s4
	s_waitcnt lgkmcnt(0)
	s_barrier
	ds_read_b128 v[2:5], v2 offset:3072
	s_and_b32 s10, s7, 0xfe
	v_readlane_b32 s16, v55, 29
	s_lshl_b32 s80, 3, s10
	v_readlane_b32 s17, v55, 30
	s_waitcnt lgkmcnt(0)
	v_readfirstlane_b32 s81, v2
	v_readfirstlane_b32 s4, v3
	;; [unrolled: 1-line block ×4, first 2 shown]
	s_not_b32 s5, s80
	s_andn2_b64 vcc, exec, s[16:17]
	v_cmp_eq_u32_e64 s[18:19], 1, v36
	s_cbranch_vccnz .LBB88_92
; %bb.80:                               ;   in Loop: Header=BB88_6 Depth=1
	s_cmp_eq_u32 s81, 1
	s_cselect_b64 s[16:17], -1, 0
	s_and_b64 s[36:37], s[16:17], s[18:19]
	s_mov_b64 s[38:39], -1
	v_mov_b32_e32 v4, v35
	v_mov_b32_e32 v5, v34
	;; [unrolled: 1-line block ×3, first 2 shown]
                                        ; implicit-def: $sgpr22_sgpr23
                                        ; implicit-def: $sgpr28_sgpr29
                                        ; implicit-def: $sgpr26_sgpr27
	s_and_saveexec_b64 s[16:17], s[36:37]
	s_cbranch_execz .LBB88_108
; %bb.81:                               ;   in Loop: Header=BB88_6 Depth=1
	ds_read_b32 v2, v11 offset:4096
	s_waitcnt lgkmcnt(0)
	s_barrier
	v_readfirstlane_b32 s28, v2
	s_mov_b64 s[20:21], exec
	v_readlane_b32 s22, v55, 42
	v_readlane_b32 s23, v55, 43
	s_and_b64 s[22:23], s[20:21], s[22:23]
	s_mov_b64 exec, s[22:23]
	s_cbranch_execz .LBB88_83
; %bb.82:                               ;   in Loop: Header=BB88_6 Depth=1
	ds_write_b32 v23, v11
.LBB88_83:                              ;   in Loop: Header=BB88_6 Depth=1
	s_or_b64 exec, exec, s[20:21]
	v_and_b32_e32 v4, s5, v35
	v_or_b32_e32 v5, s80, v34
	s_cmp_eq_u32 s28, 0
	s_waitcnt lgkmcnt(0)
	s_barrier
	s_cbranch_scc1 .LBB88_94
; %bb.84:                               ;   in Loop: Header=BB88_6 Depth=1
	v_readlane_b32 s20, v55, 35
	s_add_i32 s20, s28, s20
	v_readlane_b32 s21, v55, 57
	s_mul_hi_u32 s21, s20, s21
	s_mul_i32 s21, s21, s9
	s_sub_i32 s21, s20, s21
	s_sub_i32 s22, s21, s9
	s_cmp_ge_u32 s21, s9
	s_cselect_b32 s21, s22, s21
	s_sub_i32 s22, s21, s9
	s_cmp_ge_u32 s21, s9
	s_cselect_b32 s21, s22, s21
	s_sub_i32 s29, s20, s21
	v_cmp_gt_u32_e32 vcc, s29, v0
	s_mov_b64 s[20:21], 0
                                        ; implicit-def: $vgpr3
	s_and_saveexec_b64 s[22:23], vcc
	s_cbranch_execz .LBB88_96
; %bb.85:                               ;   in Loop: Header=BB88_6 Depth=1
	s_mov_b64 s[24:25], 0
	v_mov_b32_e32 v10, v20
	v_mov_b32_e32 v18, v0
                                        ; implicit-def: $sgpr26_sgpr27
	s_branch .LBB88_87
.LBB88_86:                              ;   in Loop: Header=BB88_87 Depth=2
	s_or_b64 exec, exec, s[20:21]
	s_waitcnt lgkmcnt(0)
	s_barrier
	ds_read_b64 v[2:3], v11 offset:3072
	v_add_u32_e32 v18, s9, v18
	v_cmp_le_u32_e64 s[20:21], s29, v18
	v_add_u32_e32 v10, s85, v10
	s_waitcnt lgkmcnt(0)
	v_cmp_neq_f32_e32 vcc, 0, v2
	s_or_b64 s[20:21], s[20:21], vcc
	s_and_b64 s[20:21], exec, s[20:21]
	s_or_b64 s[24:25], s[20:21], s[24:25]
	s_andn2_b64 s[20:21], s[26:27], exec
	s_and_b64 s[26:27], vcc, exec
	s_or_b64 s[26:27], s[20:21], s[26:27]
	s_barrier
	s_andn2_b64 exec, exec, s[24:25]
	s_cbranch_execz .LBB88_95
.LBB88_87:                              ;   Parent Loop BB88_6 Depth=1
                                        ; =>  This Inner Loop Header: Depth=2
	v_cmp_gt_u32_e32 vcc, s28, v18
	v_mov_b32_e32 v17, 0
	s_and_saveexec_b64 s[20:21], vcc
	s_cbranch_execz .LBB88_89
; %bb.88:                               ;   in Loop: Header=BB88_87 Depth=2
	ds_read_b32 v17, v10
.LBB88_89:                              ;   in Loop: Header=BB88_87 Depth=2
	s_or_b64 exec, exec, s[20:21]
	s_and_saveexec_b64 s[20:21], vcc
	s_cbranch_execz .LBB88_86
; %bb.90:                               ;   in Loop: Header=BB88_87 Depth=2
	s_waitcnt lgkmcnt(0)
	v_cmp_lt_i32_e32 vcc, -1, v17
	v_cndmask_b32_e32 v2, -1, v32, vcc
	v_xor_b32_e32 v2, v2, v17
	v_cmp_o_f32_e32 vcc, v17, v17
	v_cndmask_b32_e32 v2, -1, v2, vcc
	v_and_b32_e32 v2, v2, v5
	v_cmp_eq_u32_e32 vcc, v2, v4
	s_and_b64 exec, exec, vcc
	s_cbranch_execz .LBB88_86
; %bb.91:                               ;   in Loop: Header=BB88_87 Depth=2
	ds_write_b64 v11, v[16:17] offset:3072
	s_branch .LBB88_86
.LBB88_92:                              ;   in Loop: Header=BB88_6 Depth=1
	s_mov_b64 s[24:25], 0
	s_mov_b64 s[20:21], 0
                                        ; implicit-def: $sgpr26_sgpr27
                                        ; implicit-def: $sgpr28_sgpr29
                                        ; implicit-def: $sgpr22_sgpr23
                                        ; implicit-def: $vgpr2
                                        ; implicit-def: $vgpr37
                                        ; implicit-def: $vgpr4
                                        ; implicit-def: $vgpr5
                                        ; implicit-def: $vgpr3
	s_cbranch_execnz .LBB88_244
.LBB88_93:                              ;   in Loop: Header=BB88_6 Depth=1
	s_mov_b64 s[30:31], s[22:23]
	s_mov_b64 s[34:35], s[22:23]
	s_and_saveexec_b64 s[16:17], s[24:25]
	s_cbranch_execnz .LBB88_406
	s_branch .LBB88_407
.LBB88_94:                              ;   in Loop: Header=BB88_6 Depth=1
	s_mov_b64 s[22:23], -1
	s_mov_b64 s[20:21], 0
                                        ; implicit-def: $sgpr26_sgpr27
                                        ; implicit-def: $vgpr3
	s_mov_b64 s[28:29], s[22:23]
	s_cbranch_execnz .LBB88_97
	s_branch .LBB88_107
.LBB88_95:                              ;   in Loop: Header=BB88_6 Depth=1
	s_or_b64 exec, exec, s[24:25]
	s_and_b64 s[20:21], s[26:27], exec
.LBB88_96:                              ;   in Loop: Header=BB88_6 Depth=1
	s_or_b64 exec, exec, s[22:23]
	s_mov_b64 s[26:27], -1
	s_mov_b64 s[22:23], 0
	s_mov_b64 s[28:29], s[22:23]
	s_branch .LBB88_107
.LBB88_97:                              ;   in Loop: Header=BB88_6 Depth=1
	s_mov_b64 s[20:21], 0
                                        ; implicit-def: $vgpr3
	s_mov_b64 s[22:23], exec
	v_readlane_b32 s24, v55, 58
	v_readlane_b32 s25, v55, 59
	s_and_b64 s[24:25], s[22:23], s[24:25]
	s_mov_b64 exec, s[24:25]
	s_cbranch_execz .LBB88_106
; %bb.98:                               ;   in Loop: Header=BB88_6 Depth=1
	s_mov_b64 s[24:25], 0
	v_mov_b32_e32 v10, v12
	v_mov_b32_e32 v18, v0
                                        ; implicit-def: $sgpr26_sgpr27
	s_branch .LBB88_100
.LBB88_99:                              ;   in Loop: Header=BB88_100 Depth=2
	s_or_b64 exec, exec, s[20:21]
	s_waitcnt lgkmcnt(0)
	s_barrier
	ds_read_b64 v[2:3], v11 offset:3072
	v_add_u32_e32 v18, s9, v18
	v_cmp_le_u32_e64 s[20:21], s12, v18
	v_add_u32_e32 v10, s84, v10
	s_waitcnt lgkmcnt(0)
	v_cmp_neq_f32_e32 vcc, 0, v2
	s_or_b64 s[20:21], s[20:21], vcc
	s_and_b64 s[20:21], exec, s[20:21]
	s_or_b64 s[24:25], s[20:21], s[24:25]
	s_andn2_b64 s[20:21], s[26:27], exec
	s_and_b64 s[26:27], vcc, exec
	s_or_b64 s[26:27], s[20:21], s[26:27]
	s_barrier
	s_andn2_b64 exec, exec, s[24:25]
	s_cbranch_execz .LBB88_105
.LBB88_100:                             ;   Parent Loop BB88_6 Depth=1
                                        ; =>  This Inner Loop Header: Depth=2
	v_cmp_gt_u32_e32 vcc, s60, v18
	s_waitcnt vmcnt(0)
	v_mov_b32_e32 v17, 0
	s_and_saveexec_b64 s[28:29], vcc
	s_cbranch_execz .LBB88_102
; %bb.101:                              ;   in Loop: Header=BB88_100 Depth=2
	v_lshlrev_b64 v[2:3], 2, v[10:11]
	v_mov_b32_e32 v17, s8
	v_add_co_u32_e64 v2, s[20:21], s33, v2
	v_addc_co_u32_e64 v3, s[20:21], v17, v3, s[20:21]
	global_load_dword v17, v[2:3], off
.LBB88_102:                             ;   in Loop: Header=BB88_100 Depth=2
	s_or_b64 exec, exec, s[28:29]
	s_and_saveexec_b64 s[20:21], vcc
	s_cbranch_execz .LBB88_99
; %bb.103:                              ;   in Loop: Header=BB88_100 Depth=2
	s_waitcnt vmcnt(0)
	v_cmp_lt_i32_e32 vcc, -1, v17
	v_cndmask_b32_e32 v2, -1, v32, vcc
	v_xor_b32_e32 v2, v2, v17
	v_cmp_o_f32_e32 vcc, v17, v17
	v_cndmask_b32_e32 v2, -1, v2, vcc
	v_and_b32_e32 v2, v2, v5
	v_cmp_eq_u32_e32 vcc, v2, v4
	s_and_b64 exec, exec, vcc
	s_cbranch_execz .LBB88_99
; %bb.104:                              ;   in Loop: Header=BB88_100 Depth=2
	ds_write_b64 v11, v[16:17] offset:3072
	s_branch .LBB88_99
.LBB88_105:                             ;   in Loop: Header=BB88_6 Depth=1
	s_or_b64 exec, exec, s[24:25]
	s_and_b64 s[20:21], s[26:27], exec
.LBB88_106:                             ;   in Loop: Header=BB88_6 Depth=1
	s_or_b64 exec, exec, s[22:23]
	s_mov_b64 s[28:29], -1
	s_mov_b64 s[22:23], 0
	s_mov_b64 s[26:27], 0
.LBB88_107:                             ;   in Loop: Header=BB88_6 Depth=1
	s_orn2_b64 s[38:39], s[20:21], exec
.LBB88_108:                             ;   in Loop: Header=BB88_6 Depth=1
	s_or_b64 exec, exec, s[16:17]
	s_mov_b64 s[30:31], 0
	s_mov_b64 s[24:25], 0
	;; [unrolled: 1-line block ×3, first 2 shown]
                                        ; implicit-def: $vgpr2
                                        ; implicit-def: $vgpr37
	s_and_saveexec_b64 s[34:35], s[38:39]
	s_cbranch_execz .LBB88_243
; %bb.109:                              ;   in Loop: Header=BB88_6 Depth=1
	s_xor_b64 s[24:25], s[36:37], -1
	v_mov_b32_e32 v37, 1
	v_mov_b32_e32 v2, 1
	s_and_saveexec_b64 s[16:17], s[24:25]
	s_cbranch_execz .LBB88_119
; %bb.110:                              ;   in Loop: Header=BB88_6 Depth=1
	v_cmp_ge_u32_e32 vcc, s81, v36
                                        ; implicit-def: $sgpr36
                                        ; implicit-def: $sgpr20_sgpr21
	s_and_saveexec_b64 s[24:25], vcc
	s_xor_b64 s[24:25], exec, s[24:25]
	s_cbranch_execz .LBB88_116
; %bb.111:                              ;   in Loop: Header=BB88_6 Depth=1
	ds_read_b32 v2, v11 offset:4096
	s_waitcnt lgkmcnt(0)
	v_cmp_ne_u32_e32 vcc, 0, v2
	s_cbranch_vccnz .LBB88_115
; %bb.112:                              ;   in Loop: Header=BB88_6 Depth=1
	s_mov_b64 s[20:21], exec
	v_readlane_b32 s36, v55, 22
	v_readlane_b32 s37, v55, 23
	s_and_b64 s[36:37], s[20:21], s[36:37]
	s_mov_b64 exec, s[36:37]
	s_cbranch_execz .LBB88_114
; %bb.113:                              ;   in Loop: Header=BB88_6 Depth=1
	v_mov_b32_e32 v2, s81
	ds_write_b32 v11, v2 offset:4100
.LBB88_114:                             ;   in Loop: Header=BB88_6 Depth=1
	s_or_b64 exec, exec, s[20:21]
	s_waitcnt lgkmcnt(0)
	s_barrier
.LBB88_115:                             ;   in Loop: Header=BB88_6 Depth=1
	v_and_b32_e32 v4, s5, v4
	v_or_b32_e32 v5, s80, v5
	s_mov_b64 s[20:21], 0
	s_mov_b32 s36, 8
.LBB88_116:                             ;   in Loop: Header=BB88_6 Depth=1
	s_or_saveexec_b64 s[24:25], s[24:25]
	v_mov_b32_e32 v2, s36
	v_mov_b32_e32 v37, v36
	s_xor_b64 exec, exec, s[24:25]
; %bb.117:                              ;   in Loop: Header=BB88_6 Depth=1
	v_subrev_u32_e32 v37, s81, v36
	v_mov_b32_e32 v2, 0
	s_or_b64 s[20:21], s[20:21], exec
; %bb.118:                              ;   in Loop: Header=BB88_6 Depth=1
	s_or_b64 exec, exec, s[24:25]
	s_and_b64 s[20:21], s[20:21], exec
.LBB88_119:                             ;   in Loop: Header=BB88_6 Depth=1
	s_or_b64 exec, exec, s[16:17]
	s_mov_b64 s[38:39], -1
                                        ; implicit-def: $sgpr16_sgpr17
                                        ; implicit-def: $sgpr36_sgpr37
                                        ; implicit-def: $sgpr42_sgpr43
	s_and_saveexec_b64 s[24:25], s[20:21]
	s_xor_b64 s[24:25], exec, s[24:25]
	s_cbranch_execz .LBB88_240
; %bb.120:                              ;   in Loop: Header=BB88_6 Depth=1
	s_cmp_eq_u32 s4, 1
	s_cselect_b64 s[16:17], -1, 0
	v_cmp_eq_u32_e32 vcc, 1, v37
	s_and_b64 s[44:45], s[16:17], vcc
	s_mov_b64 s[46:47], -1
                                        ; implicit-def: $sgpr36_sgpr37
                                        ; implicit-def: $sgpr40_sgpr41
                                        ; implicit-def: $sgpr38_sgpr39
	s_and_saveexec_b64 s[16:17], s[44:45]
	s_cbranch_execz .LBB88_146
; %bb.121:                              ;   in Loop: Header=BB88_6 Depth=1
	ds_read_b32 v2, v11 offset:4096
	s_waitcnt lgkmcnt(0)
	s_barrier
	v_readfirstlane_b32 s42, v2
	s_mov_b64 s[20:21], exec
	v_readlane_b32 s36, v55, 42
	v_readlane_b32 s37, v55, 43
	s_and_b64 s[36:37], s[20:21], s[36:37]
	s_mov_b64 exec, s[36:37]
	s_cbranch_execz .LBB88_123
; %bb.122:                              ;   in Loop: Header=BB88_6 Depth=1
	ds_write_b32 v23, v11
.LBB88_123:                             ;   in Loop: Header=BB88_6 Depth=1
	s_or_b64 exec, exec, s[20:21]
	v_and_b32_e32 v2, s5, v4
	v_lshl_or_b32 v4, 1, s10, v2
	v_or_b32_e32 v5, s80, v5
	s_cmp_eq_u32 s42, 0
	s_waitcnt lgkmcnt(0)
	s_barrier
	s_cbranch_scc1 .LBB88_132
; %bb.124:                              ;   in Loop: Header=BB88_6 Depth=1
	v_readlane_b32 s20, v55, 35
	s_add_i32 s20, s42, s20
	v_readlane_b32 s21, v55, 57
	s_mul_hi_u32 s21, s20, s21
	s_mul_i32 s21, s21, s9
	s_sub_i32 s21, s20, s21
	s_sub_i32 s36, s21, s9
	s_cmp_ge_u32 s21, s9
	s_cselect_b32 s21, s36, s21
	s_sub_i32 s36, s21, s9
	s_cmp_ge_u32 s21, s9
	s_cselect_b32 s21, s36, s21
	s_sub_i32 s43, s20, s21
	v_cmp_gt_u32_e32 vcc, s43, v0
	s_mov_b64 s[20:21], 0
                                        ; implicit-def: $vgpr3
	s_and_saveexec_b64 s[36:37], vcc
	s_cbranch_execz .LBB88_134
; %bb.125:                              ;   in Loop: Header=BB88_6 Depth=1
	s_mov_b64 s[38:39], 0
	v_mov_b32_e32 v10, v20
	v_mov_b32_e32 v18, v0
                                        ; implicit-def: $sgpr40_sgpr41
	s_branch .LBB88_127
.LBB88_126:                             ;   in Loop: Header=BB88_127 Depth=2
	s_or_b64 exec, exec, s[20:21]
	s_waitcnt lgkmcnt(0)
	s_barrier
	ds_read_b64 v[2:3], v11 offset:3072
	v_add_u32_e32 v18, s9, v18
	v_cmp_le_u32_e64 s[20:21], s43, v18
	v_add_u32_e32 v10, s85, v10
	s_waitcnt lgkmcnt(0)
	v_cmp_neq_f32_e32 vcc, 0, v2
	s_or_b64 s[20:21], s[20:21], vcc
	s_and_b64 s[20:21], exec, s[20:21]
	s_or_b64 s[38:39], s[20:21], s[38:39]
	s_andn2_b64 s[20:21], s[40:41], exec
	s_and_b64 s[40:41], vcc, exec
	s_or_b64 s[40:41], s[20:21], s[40:41]
	s_barrier
	s_andn2_b64 exec, exec, s[38:39]
	s_cbranch_execz .LBB88_133
.LBB88_127:                             ;   Parent Loop BB88_6 Depth=1
                                        ; =>  This Inner Loop Header: Depth=2
	v_cmp_gt_u32_e32 vcc, s42, v18
	s_waitcnt vmcnt(0)
	v_mov_b32_e32 v17, 0
	s_and_saveexec_b64 s[20:21], vcc
	s_cbranch_execz .LBB88_129
; %bb.128:                              ;   in Loop: Header=BB88_127 Depth=2
	ds_read_b32 v17, v10
.LBB88_129:                             ;   in Loop: Header=BB88_127 Depth=2
	s_or_b64 exec, exec, s[20:21]
	s_and_saveexec_b64 s[20:21], vcc
	s_cbranch_execz .LBB88_126
; %bb.130:                              ;   in Loop: Header=BB88_127 Depth=2
	s_waitcnt lgkmcnt(0)
	v_cmp_lt_i32_e32 vcc, -1, v17
	v_cndmask_b32_e32 v2, -1, v32, vcc
	v_xor_b32_e32 v2, v2, v17
	v_cmp_o_f32_e32 vcc, v17, v17
	v_cndmask_b32_e32 v2, -1, v2, vcc
	v_and_b32_e32 v2, v2, v5
	v_cmp_eq_u32_e32 vcc, v2, v4
	s_and_b64 exec, exec, vcc
	s_cbranch_execz .LBB88_126
; %bb.131:                              ;   in Loop: Header=BB88_127 Depth=2
	ds_write_b64 v11, v[16:17] offset:3072
	s_branch .LBB88_126
.LBB88_132:                             ;   in Loop: Header=BB88_6 Depth=1
	s_mov_b64 s[36:37], -1
	s_mov_b64 s[20:21], 0
                                        ; implicit-def: $sgpr38_sgpr39
                                        ; implicit-def: $vgpr3
	s_mov_b64 s[40:41], s[36:37]
	s_cbranch_execnz .LBB88_135
	s_branch .LBB88_145
.LBB88_133:                             ;   in Loop: Header=BB88_6 Depth=1
	s_or_b64 exec, exec, s[38:39]
	s_and_b64 s[20:21], s[40:41], exec
.LBB88_134:                             ;   in Loop: Header=BB88_6 Depth=1
	s_or_b64 exec, exec, s[36:37]
	s_mov_b64 s[38:39], -1
	s_mov_b64 s[36:37], 0
	s_mov_b64 s[40:41], s[36:37]
	s_branch .LBB88_145
.LBB88_135:                             ;   in Loop: Header=BB88_6 Depth=1
	s_mov_b64 s[20:21], 0
                                        ; implicit-def: $vgpr3
	s_mov_b64 s[36:37], exec
	v_readlane_b32 s38, v55, 58
	v_readlane_b32 s39, v55, 59
	s_and_b64 s[38:39], s[36:37], s[38:39]
	s_mov_b64 exec, s[38:39]
	s_cbranch_execz .LBB88_144
; %bb.136:                              ;   in Loop: Header=BB88_6 Depth=1
	s_mov_b64 s[38:39], 0
	v_mov_b32_e32 v10, v12
	v_mov_b32_e32 v18, v0
                                        ; implicit-def: $sgpr40_sgpr41
	s_branch .LBB88_138
.LBB88_137:                             ;   in Loop: Header=BB88_138 Depth=2
	s_or_b64 exec, exec, s[20:21]
	s_waitcnt lgkmcnt(0)
	s_barrier
	ds_read_b64 v[2:3], v11 offset:3072
	v_add_u32_e32 v18, s9, v18
	v_cmp_le_u32_e64 s[20:21], s12, v18
	v_add_u32_e32 v10, s84, v10
	s_waitcnt lgkmcnt(0)
	v_cmp_neq_f32_e32 vcc, 0, v2
	s_or_b64 s[20:21], s[20:21], vcc
	s_and_b64 s[20:21], exec, s[20:21]
	s_or_b64 s[38:39], s[20:21], s[38:39]
	s_andn2_b64 s[20:21], s[40:41], exec
	s_and_b64 s[40:41], vcc, exec
	s_or_b64 s[40:41], s[20:21], s[40:41]
	s_barrier
	s_andn2_b64 exec, exec, s[38:39]
	s_cbranch_execz .LBB88_143
.LBB88_138:                             ;   Parent Loop BB88_6 Depth=1
                                        ; =>  This Inner Loop Header: Depth=2
	v_cmp_gt_u32_e32 vcc, s60, v18
	s_waitcnt vmcnt(0)
	v_mov_b32_e32 v17, 0
	s_and_saveexec_b64 s[42:43], vcc
	s_cbranch_execz .LBB88_140
; %bb.139:                              ;   in Loop: Header=BB88_138 Depth=2
	v_lshlrev_b64 v[2:3], 2, v[10:11]
	v_mov_b32_e32 v17, s8
	v_add_co_u32_e64 v2, s[20:21], s33, v2
	v_addc_co_u32_e64 v3, s[20:21], v17, v3, s[20:21]
	global_load_dword v17, v[2:3], off
.LBB88_140:                             ;   in Loop: Header=BB88_138 Depth=2
	s_or_b64 exec, exec, s[42:43]
	s_and_saveexec_b64 s[20:21], vcc
	s_cbranch_execz .LBB88_137
; %bb.141:                              ;   in Loop: Header=BB88_138 Depth=2
	s_waitcnt vmcnt(0)
	v_cmp_lt_i32_e32 vcc, -1, v17
	v_cndmask_b32_e32 v2, -1, v32, vcc
	v_xor_b32_e32 v2, v2, v17
	v_cmp_o_f32_e32 vcc, v17, v17
	v_cndmask_b32_e32 v2, -1, v2, vcc
	v_and_b32_e32 v2, v2, v5
	v_cmp_eq_u32_e32 vcc, v2, v4
	s_and_b64 exec, exec, vcc
	s_cbranch_execz .LBB88_137
; %bb.142:                              ;   in Loop: Header=BB88_138 Depth=2
	ds_write_b64 v11, v[16:17] offset:3072
	s_branch .LBB88_137
.LBB88_143:                             ;   in Loop: Header=BB88_6 Depth=1
	s_or_b64 exec, exec, s[38:39]
	s_and_b64 s[20:21], s[40:41], exec
.LBB88_144:                             ;   in Loop: Header=BB88_6 Depth=1
	s_or_b64 exec, exec, s[36:37]
	s_mov_b64 s[40:41], -1
	s_mov_b64 s[36:37], 0
	s_mov_b64 s[38:39], 0
.LBB88_145:                             ;   in Loop: Header=BB88_6 Depth=1
	s_orn2_b64 s[46:47], s[20:21], exec
.LBB88_146:                             ;   in Loop: Header=BB88_6 Depth=1
	s_or_b64 exec, exec, s[16:17]
	s_mov_b64 s[20:21], 0
                                        ; implicit-def: $vgpr2
	s_and_saveexec_b64 s[42:43], s[46:47]
	s_cbranch_execz .LBB88_239
; %bb.147:                              ;   in Loop: Header=BB88_6 Depth=1
	s_xor_b64 s[20:21], s[44:45], -1
	s_mov_b64 s[48:49], 0
	v_mov_b32_e32 v18, 1
	v_mov_b32_e32 v2, 1
	s_and_saveexec_b64 s[16:17], s[20:21]
	s_cbranch_execz .LBB88_157
; %bb.148:                              ;   in Loop: Header=BB88_6 Depth=1
	v_cmp_ge_u32_e32 vcc, s4, v37
                                        ; implicit-def: $sgpr46
                                        ; implicit-def: $sgpr20_sgpr21
	s_and_saveexec_b64 s[44:45], vcc
	s_xor_b64 s[44:45], exec, s[44:45]
	s_cbranch_execz .LBB88_154
; %bb.149:                              ;   in Loop: Header=BB88_6 Depth=1
	ds_read_b32 v2, v11 offset:4096
	s_waitcnt lgkmcnt(0)
	v_cmp_ne_u32_e32 vcc, 0, v2
	s_cbranch_vccnz .LBB88_153
; %bb.150:                              ;   in Loop: Header=BB88_6 Depth=1
	s_mov_b64 s[20:21], exec
	v_readlane_b32 s46, v55, 22
	v_readlane_b32 s47, v55, 23
	s_and_b64 s[46:47], s[20:21], s[46:47]
	s_mov_b64 exec, s[46:47]
	s_cbranch_execz .LBB88_152
; %bb.151:                              ;   in Loop: Header=BB88_6 Depth=1
	v_mov_b32_e32 v2, s4
	ds_write_b32 v11, v2 offset:4100
.LBB88_152:                             ;   in Loop: Header=BB88_6 Depth=1
	s_or_b64 exec, exec, s[20:21]
	s_waitcnt lgkmcnt(0)
	s_barrier
.LBB88_153:                             ;   in Loop: Header=BB88_6 Depth=1
	v_and_b32_e32 v2, s5, v4
	v_lshl_or_b32 v4, 1, s10, v2
	v_or_b32_e32 v5, s80, v5
	s_mov_b64 s[20:21], 0
	s_mov_b32 s46, 8
.LBB88_154:                             ;   in Loop: Header=BB88_6 Depth=1
	s_or_saveexec_b64 s[44:45], s[44:45]
	v_mov_b32_e32 v2, s46
	s_xor_b64 exec, exec, s[44:45]
; %bb.155:                              ;   in Loop: Header=BB88_6 Depth=1
	v_subrev_u32_e32 v37, s4, v37
	v_mov_b32_e32 v2, 0
	s_or_b64 s[20:21], s[20:21], exec
; %bb.156:                              ;   in Loop: Header=BB88_6 Depth=1
	s_or_b64 exec, exec, s[44:45]
	s_and_b64 s[48:49], s[20:21], exec
	v_mov_b32_e32 v18, v37
.LBB88_157:                             ;   in Loop: Header=BB88_6 Depth=1
	s_or_b64 exec, exec, s[16:17]
	s_mov_b64 s[16:17], -1
                                        ; implicit-def: $sgpr20_sgpr21
                                        ; implicit-def: $sgpr46_sgpr47
                                        ; implicit-def: $sgpr52_sgpr53
	s_and_saveexec_b64 s[44:45], s[48:49]
	s_cbranch_execz .LBB88_238
; %bb.158:                              ;   in Loop: Header=BB88_6 Depth=1
	s_cmp_eq_u32 s11, 1
	s_cselect_b64 s[16:17], -1, 0
	v_cmp_eq_u32_e32 vcc, 1, v18
	s_and_b64 s[54:55], s[16:17], vcc
	s_mov_b64 s[20:21], -1
                                        ; implicit-def: $sgpr46_sgpr47
                                        ; implicit-def: $sgpr50_sgpr51
                                        ; implicit-def: $sgpr48_sgpr49
	s_and_saveexec_b64 s[16:17], s[54:55]
	s_cbranch_execz .LBB88_184
; %bb.159:                              ;   in Loop: Header=BB88_6 Depth=1
	ds_read_b32 v2, v11 offset:4096
	s_waitcnt lgkmcnt(0)
	s_barrier
	v_readfirstlane_b32 s52, v2
	s_mov_b64 s[20:21], exec
	v_readlane_b32 s46, v55, 42
	v_readlane_b32 s47, v55, 43
	s_and_b64 s[46:47], s[20:21], s[46:47]
	s_mov_b64 exec, s[46:47]
	s_cbranch_execz .LBB88_161
; %bb.160:                              ;   in Loop: Header=BB88_6 Depth=1
	ds_write_b32 v23, v11
.LBB88_161:                             ;   in Loop: Header=BB88_6 Depth=1
	s_or_b64 exec, exec, s[20:21]
	v_and_b32_e32 v2, s5, v4
	v_lshl_or_b32 v4, 2, s10, v2
	v_or_b32_e32 v5, s80, v5
	s_cmp_eq_u32 s52, 0
	s_waitcnt lgkmcnt(0)
	s_barrier
	s_cbranch_scc1 .LBB88_170
; %bb.162:                              ;   in Loop: Header=BB88_6 Depth=1
	v_readlane_b32 s20, v55, 35
	s_add_i32 s20, s52, s20
	v_readlane_b32 s21, v55, 57
	s_mul_hi_u32 s21, s20, s21
	s_mul_i32 s21, s21, s9
	s_sub_i32 s21, s20, s21
	s_sub_i32 s46, s21, s9
	s_cmp_ge_u32 s21, s9
	s_cselect_b32 s21, s46, s21
	s_sub_i32 s46, s21, s9
	s_cmp_ge_u32 s21, s9
	s_cselect_b32 s21, s46, s21
	s_sub_i32 s53, s20, s21
	v_cmp_gt_u32_e32 vcc, s53, v0
	s_mov_b64 s[20:21], 0
                                        ; implicit-def: $vgpr3
	s_and_saveexec_b64 s[46:47], vcc
	s_cbranch_execz .LBB88_172
; %bb.163:                              ;   in Loop: Header=BB88_6 Depth=1
	s_mov_b64 s[48:49], 0
	v_mov_b32_e32 v10, v20
	v_mov_b32_e32 v37, v0
                                        ; implicit-def: $sgpr50_sgpr51
	s_branch .LBB88_165
.LBB88_164:                             ;   in Loop: Header=BB88_165 Depth=2
	s_or_b64 exec, exec, s[20:21]
	s_waitcnt lgkmcnt(0)
	s_barrier
	ds_read_b64 v[2:3], v11 offset:3072
	v_add_u32_e32 v37, s9, v37
	v_cmp_le_u32_e64 s[20:21], s53, v37
	v_add_u32_e32 v10, s85, v10
	s_waitcnt lgkmcnt(0)
	v_cmp_neq_f32_e32 vcc, 0, v2
	s_or_b64 s[20:21], s[20:21], vcc
	s_and_b64 s[20:21], exec, s[20:21]
	s_or_b64 s[48:49], s[20:21], s[48:49]
	s_andn2_b64 s[20:21], s[50:51], exec
	s_and_b64 s[50:51], vcc, exec
	s_or_b64 s[50:51], s[20:21], s[50:51]
	s_barrier
	s_andn2_b64 exec, exec, s[48:49]
	s_cbranch_execz .LBB88_171
.LBB88_165:                             ;   Parent Loop BB88_6 Depth=1
                                        ; =>  This Inner Loop Header: Depth=2
	v_cmp_gt_u32_e32 vcc, s52, v37
	s_waitcnt vmcnt(0)
	v_mov_b32_e32 v17, 0
	s_and_saveexec_b64 s[20:21], vcc
	s_cbranch_execz .LBB88_167
; %bb.166:                              ;   in Loop: Header=BB88_165 Depth=2
	ds_read_b32 v17, v10
.LBB88_167:                             ;   in Loop: Header=BB88_165 Depth=2
	s_or_b64 exec, exec, s[20:21]
	s_and_saveexec_b64 s[20:21], vcc
	s_cbranch_execz .LBB88_164
; %bb.168:                              ;   in Loop: Header=BB88_165 Depth=2
	s_waitcnt lgkmcnt(0)
	v_cmp_lt_i32_e32 vcc, -1, v17
	v_cndmask_b32_e32 v2, -1, v32, vcc
	v_xor_b32_e32 v2, v2, v17
	v_cmp_o_f32_e32 vcc, v17, v17
	v_cndmask_b32_e32 v2, -1, v2, vcc
	v_and_b32_e32 v2, v2, v5
	v_cmp_eq_u32_e32 vcc, v2, v4
	s_and_b64 exec, exec, vcc
	s_cbranch_execz .LBB88_164
; %bb.169:                              ;   in Loop: Header=BB88_165 Depth=2
	ds_write_b64 v11, v[16:17] offset:3072
	s_branch .LBB88_164
.LBB88_170:                             ;   in Loop: Header=BB88_6 Depth=1
	s_mov_b64 s[46:47], -1
	s_mov_b64 s[20:21], 0
                                        ; implicit-def: $sgpr48_sgpr49
                                        ; implicit-def: $vgpr3
	s_mov_b64 s[50:51], s[46:47]
	s_cbranch_execnz .LBB88_173
	s_branch .LBB88_183
.LBB88_171:                             ;   in Loop: Header=BB88_6 Depth=1
	s_or_b64 exec, exec, s[48:49]
	s_and_b64 s[20:21], s[50:51], exec
.LBB88_172:                             ;   in Loop: Header=BB88_6 Depth=1
	s_or_b64 exec, exec, s[46:47]
	s_mov_b64 s[48:49], -1
	s_mov_b64 s[46:47], 0
	s_mov_b64 s[50:51], s[46:47]
	s_branch .LBB88_183
.LBB88_173:                             ;   in Loop: Header=BB88_6 Depth=1
	s_mov_b64 s[20:21], 0
                                        ; implicit-def: $vgpr3
	s_mov_b64 s[46:47], exec
	v_readlane_b32 s48, v55, 58
	v_readlane_b32 s49, v55, 59
	s_and_b64 s[48:49], s[46:47], s[48:49]
	s_mov_b64 exec, s[48:49]
	s_cbranch_execz .LBB88_182
; %bb.174:                              ;   in Loop: Header=BB88_6 Depth=1
	s_mov_b64 s[48:49], 0
	v_mov_b32_e32 v10, v12
	v_mov_b32_e32 v37, v0
                                        ; implicit-def: $sgpr50_sgpr51
	s_branch .LBB88_176
.LBB88_175:                             ;   in Loop: Header=BB88_176 Depth=2
	s_or_b64 exec, exec, s[20:21]
	s_waitcnt lgkmcnt(0)
	s_barrier
	ds_read_b64 v[2:3], v11 offset:3072
	v_add_u32_e32 v37, s9, v37
	v_cmp_le_u32_e64 s[20:21], s12, v37
	v_add_u32_e32 v10, s84, v10
	s_waitcnt lgkmcnt(0)
	v_cmp_neq_f32_e32 vcc, 0, v2
	s_or_b64 s[20:21], s[20:21], vcc
	s_and_b64 s[20:21], exec, s[20:21]
	s_or_b64 s[48:49], s[20:21], s[48:49]
	s_andn2_b64 s[20:21], s[50:51], exec
	s_and_b64 s[50:51], vcc, exec
	s_or_b64 s[50:51], s[20:21], s[50:51]
	s_barrier
	s_andn2_b64 exec, exec, s[48:49]
	s_cbranch_execz .LBB88_181
.LBB88_176:                             ;   Parent Loop BB88_6 Depth=1
                                        ; =>  This Inner Loop Header: Depth=2
	v_cmp_gt_u32_e32 vcc, s60, v37
	s_waitcnt vmcnt(0)
	v_mov_b32_e32 v17, 0
	s_and_saveexec_b64 s[52:53], vcc
	s_cbranch_execz .LBB88_178
; %bb.177:                              ;   in Loop: Header=BB88_176 Depth=2
	v_lshlrev_b64 v[2:3], 2, v[10:11]
	v_mov_b32_e32 v17, s8
	v_add_co_u32_e64 v2, s[20:21], s33, v2
	v_addc_co_u32_e64 v3, s[20:21], v17, v3, s[20:21]
	global_load_dword v17, v[2:3], off
.LBB88_178:                             ;   in Loop: Header=BB88_176 Depth=2
	s_or_b64 exec, exec, s[52:53]
	s_and_saveexec_b64 s[20:21], vcc
	s_cbranch_execz .LBB88_175
; %bb.179:                              ;   in Loop: Header=BB88_176 Depth=2
	s_waitcnt vmcnt(0)
	v_cmp_lt_i32_e32 vcc, -1, v17
	v_cndmask_b32_e32 v2, -1, v32, vcc
	v_xor_b32_e32 v2, v2, v17
	v_cmp_o_f32_e32 vcc, v17, v17
	v_cndmask_b32_e32 v2, -1, v2, vcc
	v_and_b32_e32 v2, v2, v5
	v_cmp_eq_u32_e32 vcc, v2, v4
	s_and_b64 exec, exec, vcc
	s_cbranch_execz .LBB88_175
; %bb.180:                              ;   in Loop: Header=BB88_176 Depth=2
	ds_write_b64 v11, v[16:17] offset:3072
	s_branch .LBB88_175
.LBB88_181:                             ;   in Loop: Header=BB88_6 Depth=1
	s_or_b64 exec, exec, s[48:49]
	s_and_b64 s[20:21], s[50:51], exec
.LBB88_182:                             ;   in Loop: Header=BB88_6 Depth=1
	s_or_b64 exec, exec, s[46:47]
	s_mov_b64 s[50:51], -1
	s_mov_b64 s[46:47], 0
	s_mov_b64 s[48:49], 0
.LBB88_183:                             ;   in Loop: Header=BB88_6 Depth=1
	s_orn2_b64 s[20:21], s[20:21], exec
.LBB88_184:                             ;   in Loop: Header=BB88_6 Depth=1
	s_or_b64 exec, exec, s[16:17]
	s_mov_b64 s[16:17], 0
                                        ; implicit-def: $vgpr2
	s_and_saveexec_b64 s[52:53], s[20:21]
	s_cbranch_execz .LBB88_237
; %bb.185:                              ;   in Loop: Header=BB88_6 Depth=1
	s_xor_b64 s[20:21], s[54:55], -1
	s_mov_b64 s[56:57], 0
	v_mov_b32_e32 v37, 1
	v_mov_b32_e32 v2, 1
	s_and_saveexec_b64 s[16:17], s[20:21]
	s_cbranch_execz .LBB88_195
; %bb.186:                              ;   in Loop: Header=BB88_6 Depth=1
	v_cmp_ge_u32_e32 vcc, s11, v18
                                        ; implicit-def: $sgpr56
                                        ; implicit-def: $sgpr20_sgpr21
	s_and_saveexec_b64 s[54:55], vcc
	s_xor_b64 s[54:55], exec, s[54:55]
	s_cbranch_execz .LBB88_192
; %bb.187:                              ;   in Loop: Header=BB88_6 Depth=1
	ds_read_b32 v2, v11 offset:4096
	s_waitcnt lgkmcnt(0)
	v_cmp_ne_u32_e32 vcc, 0, v2
	s_cbranch_vccnz .LBB88_191
; %bb.188:                              ;   in Loop: Header=BB88_6 Depth=1
	s_mov_b64 s[20:21], exec
	v_readlane_b32 s56, v55, 22
	v_readlane_b32 s57, v55, 23
	s_and_b64 s[56:57], s[20:21], s[56:57]
	s_mov_b64 exec, s[56:57]
	s_cbranch_execz .LBB88_190
; %bb.189:                              ;   in Loop: Header=BB88_6 Depth=1
	v_mov_b32_e32 v2, s11
	ds_write_b32 v11, v2 offset:4100
.LBB88_190:                             ;   in Loop: Header=BB88_6 Depth=1
	s_or_b64 exec, exec, s[20:21]
	s_waitcnt lgkmcnt(0)
	s_barrier
.LBB88_191:                             ;   in Loop: Header=BB88_6 Depth=1
	v_and_b32_e32 v2, s5, v4
	v_lshl_or_b32 v4, 2, s10, v2
	v_or_b32_e32 v5, s80, v5
	s_mov_b64 s[20:21], 0
	s_mov_b32 s56, 8
.LBB88_192:                             ;   in Loop: Header=BB88_6 Depth=1
	s_or_saveexec_b64 s[54:55], s[54:55]
	v_mov_b32_e32 v2, s56
	s_xor_b64 exec, exec, s[54:55]
; %bb.193:                              ;   in Loop: Header=BB88_6 Depth=1
	v_subrev_u32_e32 v18, s11, v18
	v_mov_b32_e32 v2, 0
	s_or_b64 s[20:21], s[20:21], exec
; %bb.194:                              ;   in Loop: Header=BB88_6 Depth=1
	s_or_b64 exec, exec, s[54:55]
	s_and_b64 s[56:57], s[20:21], exec
	v_mov_b32_e32 v37, v18
.LBB88_195:                             ;   in Loop: Header=BB88_6 Depth=1
	s_or_b64 exec, exec, s[16:17]
	s_mov_b64 s[16:17], -1
                                        ; implicit-def: $sgpr20_sgpr21
                                        ; implicit-def: $sgpr88_sgpr89
                                        ; implicit-def: $sgpr58_sgpr59
	s_and_saveexec_b64 s[54:55], s[56:57]
	s_cbranch_execz .LBB88_236
; %bb.196:                              ;   in Loop: Header=BB88_6 Depth=1
	s_cmp_eq_u32 s62, 1
	s_cselect_b64 s[16:17], -1, 0
	v_cmp_eq_u32_e32 vcc, 1, v37
	s_mov_b64 s[90:91], -1
	s_and_b64 s[56:57], s[16:17], vcc
                                        ; implicit-def: $sgpr20_sgpr21
                                        ; implicit-def: $sgpr88_sgpr89
                                        ; implicit-def: $sgpr58_sgpr59
	s_mov_b64 s[16:17], exec
	v_writelane_b32 v55, s56, 61
	v_writelane_b32 v55, s57, 62
	s_and_b64 s[56:57], s[16:17], s[56:57]
                                        ; implicit-def: $vgpr54 : SGPR spill to VGPR lane
	s_mov_b64 exec, s[56:57]
	s_cbranch_execz .LBB88_223
; %bb.197:                              ;   in Loop: Header=BB88_6 Depth=1
	ds_read_b32 v2, v11 offset:4096
	s_waitcnt lgkmcnt(0)
	s_barrier
	v_readfirstlane_b32 s63, v2
	s_mov_b64 s[20:21], exec
	v_readlane_b32 s56, v55, 42
	v_readlane_b32 s57, v55, 43
	s_and_b64 s[56:57], s[20:21], s[56:57]
	s_mov_b64 exec, s[56:57]
	s_cbranch_execz .LBB88_199
; %bb.198:                              ;   in Loop: Header=BB88_6 Depth=1
	ds_write_b32 v23, v11
.LBB88_199:                             ;   in Loop: Header=BB88_6 Depth=1
	s_or_b64 exec, exec, s[20:21]
	v_or_b32_e32 v4, s80, v4
	v_or_b32_e32 v5, s80, v5
	s_cmp_eq_u32 s63, 0
	s_waitcnt lgkmcnt(0)
	s_barrier
	s_cbranch_scc1 .LBB88_208
; %bb.200:                              ;   in Loop: Header=BB88_6 Depth=1
	v_readlane_b32 s20, v55, 35
	s_add_i32 s20, s63, s20
	v_readlane_b32 s21, v55, 57
	s_mul_hi_u32 s21, s20, s21
	s_mul_i32 s21, s21, s9
	s_sub_i32 s21, s20, s21
	s_sub_i32 s56, s21, s9
	s_cmp_ge_u32 s21, s9
	s_cselect_b32 s21, s56, s21
	s_sub_i32 s56, s21, s9
	s_cmp_ge_u32 s21, s9
	s_cselect_b32 s21, s56, s21
	s_sub_i32 s56, s20, s21
	s_mov_b64 s[90:91], 0
	v_cmp_gt_u32_e32 vcc, s56, v0
                                        ; implicit-def: $vgpr3
	s_mov_b64 s[20:21], exec
	v_writelane_b32 v55, s20, 63
	v_writelane_b32 v54, s21, 0
	s_and_b64 s[20:21], s[20:21], vcc
	s_mov_b64 exec, s[20:21]
	s_cbranch_execz .LBB88_210
; %bb.201:                              ;   in Loop: Header=BB88_6 Depth=1
	s_mov_b64 s[88:89], 0
	v_mov_b32_e32 v10, v20
	v_mov_b32_e32 v18, v0
                                        ; implicit-def: $sgpr90_sgpr91
	s_branch .LBB88_203
.LBB88_202:                             ;   in Loop: Header=BB88_203 Depth=2
	s_or_b64 exec, exec, s[20:21]
	s_waitcnt lgkmcnt(0)
	s_barrier
	ds_read_b64 v[2:3], v11 offset:3072
	v_add_u32_e32 v18, s9, v18
	v_cmp_le_u32_e64 s[20:21], s56, v18
	v_add_u32_e32 v10, s85, v10
	s_waitcnt lgkmcnt(0)
	v_cmp_neq_f32_e32 vcc, 0, v2
	s_or_b64 s[20:21], s[20:21], vcc
	s_and_b64 s[20:21], exec, s[20:21]
	s_or_b64 s[88:89], s[20:21], s[88:89]
	s_andn2_b64 s[20:21], s[90:91], exec
	s_and_b64 s[58:59], vcc, exec
	s_or_b64 s[90:91], s[20:21], s[58:59]
	s_barrier
	s_andn2_b64 exec, exec, s[88:89]
	s_cbranch_execz .LBB88_209
.LBB88_203:                             ;   Parent Loop BB88_6 Depth=1
                                        ; =>  This Inner Loop Header: Depth=2
	v_cmp_gt_u32_e32 vcc, s63, v18
	s_waitcnt vmcnt(0)
	v_mov_b32_e32 v17, 0
	s_and_saveexec_b64 s[20:21], vcc
	s_cbranch_execz .LBB88_205
; %bb.204:                              ;   in Loop: Header=BB88_203 Depth=2
	ds_read_b32 v17, v10
.LBB88_205:                             ;   in Loop: Header=BB88_203 Depth=2
	s_or_b64 exec, exec, s[20:21]
	s_and_saveexec_b64 s[20:21], vcc
	s_cbranch_execz .LBB88_202
; %bb.206:                              ;   in Loop: Header=BB88_203 Depth=2
	s_waitcnt lgkmcnt(0)
	v_cmp_lt_i32_e32 vcc, -1, v17
	v_cndmask_b32_e32 v2, -1, v32, vcc
	v_xor_b32_e32 v2, v2, v17
	v_cmp_o_f32_e32 vcc, v17, v17
	v_cndmask_b32_e32 v2, -1, v2, vcc
	v_and_b32_e32 v2, v2, v5
	v_cmp_eq_u32_e32 vcc, v2, v4
	s_and_b64 exec, exec, vcc
	s_cbranch_execz .LBB88_202
; %bb.207:                              ;   in Loop: Header=BB88_203 Depth=2
	ds_write_b64 v11, v[16:17] offset:3072
	s_branch .LBB88_202
.LBB88_208:                             ;   in Loop: Header=BB88_6 Depth=1
	s_mov_b64 s[20:21], -1
	s_mov_b64 s[90:91], 0
                                        ; implicit-def: $sgpr58_sgpr59
                                        ; implicit-def: $vgpr3
	s_branch .LBB88_211
.LBB88_209:                             ;   in Loop: Header=BB88_6 Depth=1
	s_or_b64 exec, exec, s[88:89]
	s_and_b64 s[90:91], s[90:91], exec
.LBB88_210:                             ;   in Loop: Header=BB88_6 Depth=1
	v_readlane_b32 s20, v55, 63
	v_readlane_b32 s21, v54, 0
	s_or_b64 exec, exec, s[20:21]
	s_mov_b64 s[58:59], -1
	s_mov_b64 s[20:21], 0
.LBB88_211:                             ;   in Loop: Header=BB88_6 Depth=1
	s_and_b64 vcc, exec, s[20:21]
	s_mov_b64 s[88:89], s[20:21]
	s_cbranch_vccz .LBB88_222
; %bb.212:                              ;   in Loop: Header=BB88_6 Depth=1
	s_mov_b64 s[90:91], 0
                                        ; implicit-def: $vgpr3
	s_mov_b64 s[56:57], exec
	v_readlane_b32 s20, v55, 58
	v_readlane_b32 s21, v55, 59
	v_writelane_b32 v54, s56, 1
	s_and_b64 s[20:21], s[56:57], s[20:21]
	v_writelane_b32 v54, s57, 2
	s_mov_b64 exec, s[20:21]
	s_cbranch_execz .LBB88_221
; %bb.213:                              ;   in Loop: Header=BB88_6 Depth=1
	s_mov_b64 s[88:89], 0
	v_mov_b32_e32 v10, v12
	v_mov_b32_e32 v18, v0
                                        ; implicit-def: $sgpr90_sgpr91
	s_branch .LBB88_215
.LBB88_214:                             ;   in Loop: Header=BB88_215 Depth=2
	s_or_b64 exec, exec, s[20:21]
	s_waitcnt lgkmcnt(0)
	s_barrier
	ds_read_b64 v[2:3], v11 offset:3072
	v_add_u32_e32 v18, s9, v18
	v_cmp_le_u32_e64 s[20:21], s12, v18
	v_add_u32_e32 v10, s84, v10
	s_waitcnt lgkmcnt(0)
	v_cmp_neq_f32_e32 vcc, 0, v2
	s_or_b64 s[20:21], s[20:21], vcc
	s_and_b64 s[20:21], exec, s[20:21]
	s_or_b64 s[88:89], s[20:21], s[88:89]
	s_andn2_b64 s[20:21], s[90:91], exec
	s_and_b64 s[56:57], vcc, exec
	s_or_b64 s[90:91], s[20:21], s[56:57]
	s_barrier
	s_andn2_b64 exec, exec, s[88:89]
	s_cbranch_execz .LBB88_220
.LBB88_215:                             ;   Parent Loop BB88_6 Depth=1
                                        ; =>  This Inner Loop Header: Depth=2
	v_cmp_gt_u32_e32 vcc, s60, v18
	s_waitcnt vmcnt(0)
	v_mov_b32_e32 v17, 0
	s_and_saveexec_b64 s[58:59], vcc
	s_cbranch_execz .LBB88_217
; %bb.216:                              ;   in Loop: Header=BB88_215 Depth=2
	v_lshlrev_b64 v[2:3], 2, v[10:11]
	v_mov_b32_e32 v17, s8
	v_add_co_u32_e64 v2, s[20:21], s33, v2
	v_addc_co_u32_e64 v3, s[20:21], v17, v3, s[20:21]
	global_load_dword v17, v[2:3], off
.LBB88_217:                             ;   in Loop: Header=BB88_215 Depth=2
	s_or_b64 exec, exec, s[58:59]
	s_and_saveexec_b64 s[20:21], vcc
	s_cbranch_execz .LBB88_214
; %bb.218:                              ;   in Loop: Header=BB88_215 Depth=2
	s_waitcnt vmcnt(0)
	v_cmp_lt_i32_e32 vcc, -1, v17
	v_cndmask_b32_e32 v2, -1, v32, vcc
	v_xor_b32_e32 v2, v2, v17
	v_cmp_o_f32_e32 vcc, v17, v17
	v_cndmask_b32_e32 v2, -1, v2, vcc
	v_and_b32_e32 v2, v2, v5
	v_cmp_eq_u32_e32 vcc, v2, v4
	s_and_b64 exec, exec, vcc
	s_cbranch_execz .LBB88_214
; %bb.219:                              ;   in Loop: Header=BB88_215 Depth=2
	ds_write_b64 v11, v[16:17] offset:3072
	s_branch .LBB88_214
.LBB88_220:                             ;   in Loop: Header=BB88_6 Depth=1
	s_or_b64 exec, exec, s[88:89]
	s_and_b64 s[90:91], s[90:91], exec
.LBB88_221:                             ;   in Loop: Header=BB88_6 Depth=1
	v_readlane_b32 s20, v54, 1
	v_readlane_b32 s21, v54, 2
	s_or_b64 exec, exec, s[20:21]
	s_mov_b64 s[88:89], -1
	s_mov_b64 s[20:21], 0
	s_mov_b64 s[58:59], 0
.LBB88_222:                             ;   in Loop: Header=BB88_6 Depth=1
	s_orn2_b64 s[90:91], s[90:91], exec
.LBB88_223:                             ;   in Loop: Header=BB88_6 Depth=1
	s_or_b64 exec, exec, s[16:17]
	s_mov_b64 vcc, 0
                                        ; implicit-def: $vgpr2
                                        ; implicit-def: $vgpr10
	s_and_saveexec_b64 s[16:17], s[90:91]
	s_cbranch_execz .LBB88_235
; %bb.224:                              ;   in Loop: Header=BB88_6 Depth=1
	v_readlane_b32 s56, v55, 61
	v_readlane_b32 s57, v55, 62
	s_xor_b64 s[90:91], s[56:57], -1
	v_mov_b32_e32 v2, 1
	v_mov_b32_e32 v10, 1
	s_and_saveexec_b64 s[56:57], s[90:91]
	s_cbranch_execz .LBB88_234
; %bb.225:                              ;   in Loop: Header=BB88_6 Depth=1
	v_cmp_ge_u32_e32 vcc, s62, v37
                                        ; implicit-def: $sgpr63
	s_and_saveexec_b64 s[90:91], vcc
	s_xor_b64 s[90:91], exec, s[90:91]
	s_cbranch_execz .LBB88_231
; %bb.226:                              ;   in Loop: Header=BB88_6 Depth=1
	ds_read_b32 v2, v11 offset:4096
	s_waitcnt lgkmcnt(0)
	v_cmp_ne_u32_e32 vcc, 0, v2
	s_cbranch_vccnz .LBB88_230
; %bb.227:                              ;   in Loop: Header=BB88_6 Depth=1
	v_writelane_b32 v54, s90, 3
	v_writelane_b32 v54, s91, 4
	s_mov_b64 s[90:91], exec
	v_writelane_b32 v54, s90, 5
	v_writelane_b32 v54, s91, 6
	v_readlane_b32 vcc_lo, v55, 22
	v_readlane_b32 s90, v54, 5
	v_readlane_b32 vcc_hi, v55, 23
	v_readlane_b32 s91, v54, 6
	s_and_b64 vcc, s[90:91], vcc
	s_mov_b64 exec, vcc
	s_cbranch_execz .LBB88_229
; %bb.228:                              ;   in Loop: Header=BB88_6 Depth=1
	v_mov_b32_e32 v2, s62
	ds_write_b32 v11, v2 offset:4100
.LBB88_229:                             ;   in Loop: Header=BB88_6 Depth=1
	v_readlane_b32 vcc_lo, v54, 5
	v_readlane_b32 vcc_hi, v54, 6
	s_or_b64 exec, exec, vcc
	v_readlane_b32 s90, v54, 3
	v_readlane_b32 s91, v54, 4
	s_waitcnt lgkmcnt(0)
	s_barrier
.LBB88_230:                             ;   in Loop: Header=BB88_6 Depth=1
	v_or_b32_e32 v4, s80, v4
	v_or_b32_e32 v5, s80, v5
	s_mov_b32 s63, 8
.LBB88_231:                             ;   in Loop: Header=BB88_6 Depth=1
	s_or_saveexec_b64 s[90:91], s[90:91]
	v_mov_b32_e32 v2, s63
	s_xor_b64 exec, exec, s[90:91]
; %bb.232:                              ;   in Loop: Header=BB88_6 Depth=1
	v_subrev_u32_e32 v37, s62, v37
	v_mov_b32_e32 v2, 8
; %bb.233:                              ;   in Loop: Header=BB88_6 Depth=1
	s_or_b64 exec, exec, s[90:91]
	v_mov_b32_e32 v10, v37
.LBB88_234:                             ;   in Loop: Header=BB88_6 Depth=1
	s_or_b64 exec, exec, s[56:57]
	s_mov_b64 vcc, exec
.LBB88_235:                             ;   in Loop: Header=BB88_6 Depth=1
	s_or_b64 exec, exec, s[16:17]
	s_orn2_b64 s[16:17], vcc, exec
	v_mov_b32_e32 v37, v10
.LBB88_236:                             ;   in Loop: Header=BB88_6 Depth=1
	s_or_b64 exec, exec, s[54:55]
	s_andn2_b64 s[46:47], s[46:47], exec
	s_and_b64 s[20:21], s[20:21], exec
	s_or_b64 s[46:47], s[46:47], s[20:21]
	s_andn2_b64 s[20:21], s[50:51], exec
	s_and_b64 s[50:51], s[88:89], exec
	s_or_b64 s[50:51], s[20:21], s[50:51]
	;; [unrolled: 3-line block ×3, first 2 shown]
	s_and_b64 s[16:17], s[16:17], exec
	v_mov_b32_e32 v18, v37
.LBB88_237:                             ;   in Loop: Header=BB88_6 Depth=1
	s_or_b64 exec, exec, s[52:53]
	s_and_b64 s[52:53], s[46:47], exec
	s_and_b64 s[46:47], s[50:51], exec
	;; [unrolled: 1-line block ×3, first 2 shown]
	s_orn2_b64 s[16:17], s[16:17], exec
.LBB88_238:                             ;   in Loop: Header=BB88_6 Depth=1
	s_or_b64 exec, exec, s[44:45]
	s_andn2_b64 s[36:37], s[36:37], exec
	s_and_b64 s[44:45], s[52:53], exec
	s_or_b64 s[36:37], s[36:37], s[44:45]
	s_andn2_b64 s[40:41], s[40:41], exec
	s_and_b64 s[44:45], s[46:47], exec
	s_andn2_b64 s[38:39], s[38:39], exec
	s_and_b64 s[20:21], s[20:21], exec
	s_or_b64 s[40:41], s[40:41], s[44:45]
	s_or_b64 s[38:39], s[38:39], s[20:21]
	s_and_b64 s[20:21], s[16:17], exec
	v_mov_b32_e32 v37, v18
.LBB88_239:                             ;   in Loop: Header=BB88_6 Depth=1
	s_or_b64 exec, exec, s[42:43]
	s_and_b64 s[42:43], s[36:37], exec
	s_and_b64 s[36:37], s[40:41], exec
	;; [unrolled: 1-line block ×3, first 2 shown]
	s_orn2_b64 s[38:39], s[20:21], exec
.LBB88_240:                             ;   in Loop: Header=BB88_6 Depth=1
	s_or_b64 exec, exec, s[24:25]
	s_mov_b64 s[24:25], 0
	s_mov_b64 s[20:21], 0
	s_and_saveexec_b64 s[40:41], s[38:39]
	s_xor_b64 s[38:39], exec, s[40:41]
; %bb.241:                              ;   in Loop: Header=BB88_6 Depth=1
	v_cmp_eq_u32_e32 vcc, 8, v2
	v_cmp_ne_u32_e64 s[20:21], 8, v2
	s_andn2_b64 s[42:43], s[42:43], exec
	s_andn2_b64 s[36:37], s[36:37], exec
	;; [unrolled: 1-line block ×3, first 2 shown]
	s_and_b64 s[20:21], s[20:21], exec
	s_and_b64 s[24:25], vcc, exec
; %bb.242:                              ;   in Loop: Header=BB88_6 Depth=1
	s_or_b64 exec, exec, s[38:39]
	s_andn2_b64 s[22:23], s[22:23], exec
	s_and_b64 s[38:39], s[42:43], exec
	s_andn2_b64 s[28:29], s[28:29], exec
	s_and_b64 s[36:37], s[36:37], exec
	;; [unrolled: 2-line block ×3, first 2 shown]
	s_or_b64 s[22:23], s[22:23], s[38:39]
	s_or_b64 s[28:29], s[28:29], s[36:37]
	;; [unrolled: 1-line block ×3, first 2 shown]
	s_and_b64 s[20:21], s[20:21], exec
	s_and_b64 s[24:25], s[24:25], exec
.LBB88_243:                             ;   in Loop: Header=BB88_6 Depth=1
	s_or_b64 exec, exec, s[34:35]
	s_and_b64 vcc, exec, s[30:31]
	s_cbranch_vccz .LBB88_93
.LBB88_244:                             ;   in Loop: Header=BB88_6 Depth=1
	s_cmp_eq_u32 s62, 1
	s_cselect_b64 s[16:17], -1, 0
	s_and_b64 s[28:29], s[16:17], s[18:19]
	s_mov_b64 s[18:19], -1
                                        ; implicit-def: $sgpr30_sgpr31
                                        ; implicit-def: $sgpr34_sgpr35
                                        ; implicit-def: $sgpr22_sgpr23
	s_and_saveexec_b64 s[16:17], s[28:29]
	s_cbranch_execz .LBB88_270
; %bb.245:                              ;   in Loop: Header=BB88_6 Depth=1
	ds_read_b32 v2, v11 offset:4096
	s_waitcnt lgkmcnt(0)
	s_barrier
	v_readfirstlane_b32 s34, v2
	s_mov_b64 s[18:19], exec
	v_readlane_b32 s22, v55, 42
	v_readlane_b32 s23, v55, 43
	s_and_b64 s[22:23], s[18:19], s[22:23]
	s_mov_b64 exec, s[22:23]
	s_cbranch_execz .LBB88_247
; %bb.246:                              ;   in Loop: Header=BB88_6 Depth=1
	ds_write_b32 v23, v11
.LBB88_247:                             ;   in Loop: Header=BB88_6 Depth=1
	s_or_b64 exec, exec, s[18:19]
	v_or_b32_e32 v35, s80, v35
	v_or_b32_e32 v34, s80, v34
	s_cmp_eq_u32 s34, 0
	s_waitcnt lgkmcnt(0)
	s_barrier
	s_cbranch_scc1 .LBB88_256
; %bb.248:                              ;   in Loop: Header=BB88_6 Depth=1
	v_readlane_b32 s18, v55, 35
	s_add_i32 s18, s34, s18
	v_readlane_b32 s19, v55, 57
	s_mul_hi_u32 s19, s18, s19
	s_mul_i32 s19, s19, s9
	s_sub_i32 s19, s18, s19
	s_sub_i32 s22, s19, s9
	s_cmp_ge_u32 s19, s9
	s_cselect_b32 s19, s22, s19
	s_sub_i32 s22, s19, s9
	s_cmp_ge_u32 s19, s9
	s_cselect_b32 s19, s22, s19
	s_sub_i32 s35, s18, s19
	v_cmp_gt_u32_e32 vcc, s35, v0
	s_mov_b64 s[18:19], 0
                                        ; implicit-def: $vgpr19
	s_and_saveexec_b64 s[22:23], vcc
	s_cbranch_execz .LBB88_258
; %bb.249:                              ;   in Loop: Header=BB88_6 Depth=1
	s_mov_b64 s[26:27], 0
	v_mov_b32_e32 v2, v20
	v_mov_b32_e32 v3, v0
                                        ; implicit-def: $sgpr30_sgpr31
	s_branch .LBB88_251
.LBB88_250:                             ;   in Loop: Header=BB88_251 Depth=2
	s_or_b64 exec, exec, s[18:19]
	s_waitcnt lgkmcnt(0)
	s_barrier
	ds_read_b64 v[18:19], v11 offset:3072
	v_add_u32_e32 v3, s9, v3
	v_cmp_le_u32_e64 s[18:19], s35, v3
	v_add_u32_e32 v2, s85, v2
	s_waitcnt lgkmcnt(0)
	v_cmp_neq_f32_e32 vcc, 0, v18
	s_or_b64 s[18:19], s[18:19], vcc
	s_and_b64 s[18:19], exec, s[18:19]
	s_or_b64 s[26:27], s[18:19], s[26:27]
	s_andn2_b64 s[18:19], s[30:31], exec
	s_and_b64 s[30:31], vcc, exec
	s_or_b64 s[30:31], s[18:19], s[30:31]
	s_barrier
	s_andn2_b64 exec, exec, s[26:27]
	s_cbranch_execz .LBB88_257
.LBB88_251:                             ;   Parent Loop BB88_6 Depth=1
                                        ; =>  This Inner Loop Header: Depth=2
	v_cmp_gt_u32_e32 vcc, s34, v3
	s_waitcnt vmcnt(0)
	v_mov_b32_e32 v17, 0
	s_and_saveexec_b64 s[18:19], vcc
	s_cbranch_execz .LBB88_253
; %bb.252:                              ;   in Loop: Header=BB88_251 Depth=2
	ds_read_b32 v17, v2
.LBB88_253:                             ;   in Loop: Header=BB88_251 Depth=2
	s_or_b64 exec, exec, s[18:19]
	s_and_saveexec_b64 s[18:19], vcc
	s_cbranch_execz .LBB88_250
; %bb.254:                              ;   in Loop: Header=BB88_251 Depth=2
	s_waitcnt lgkmcnt(0)
	v_cmp_lt_i32_e32 vcc, -1, v17
	v_cndmask_b32_e32 v4, -1, v32, vcc
	v_xor_b32_e32 v4, v4, v17
	v_cmp_o_f32_e32 vcc, v17, v17
	v_cndmask_b32_e32 v4, -1, v4, vcc
	v_and_b32_e32 v4, v4, v34
	v_cmp_eq_u32_e32 vcc, v4, v35
	s_and_b64 exec, exec, vcc
	s_cbranch_execz .LBB88_250
; %bb.255:                              ;   in Loop: Header=BB88_251 Depth=2
	ds_write_b64 v11, v[16:17] offset:3072
	s_branch .LBB88_250
.LBB88_256:                             ;   in Loop: Header=BB88_6 Depth=1
	s_mov_b64 s[30:31], -1
	s_mov_b64 s[18:19], 0
                                        ; implicit-def: $sgpr34_sgpr35
                                        ; implicit-def: $vgpr19
	s_mov_b64 s[22:23], s[30:31]
	s_cbranch_execnz .LBB88_259
	s_branch .LBB88_269
.LBB88_257:                             ;   in Loop: Header=BB88_6 Depth=1
	s_or_b64 exec, exec, s[26:27]
	s_and_b64 s[18:19], s[30:31], exec
.LBB88_258:                             ;   in Loop: Header=BB88_6 Depth=1
	s_or_b64 exec, exec, s[22:23]
	s_mov_b64 s[30:31], 0
	s_mov_b64 s[34:35], -1
	s_mov_b64 s[22:23], s[30:31]
	s_branch .LBB88_269
.LBB88_259:                             ;   in Loop: Header=BB88_6 Depth=1
	s_mov_b64 s[18:19], 0
                                        ; implicit-def: $vgpr19
	s_mov_b64 s[22:23], exec
	v_readlane_b32 s26, v55, 58
	v_readlane_b32 s27, v55, 59
	s_and_b64 s[26:27], s[22:23], s[26:27]
	s_mov_b64 exec, s[26:27]
	s_cbranch_execz .LBB88_268
; %bb.260:                              ;   in Loop: Header=BB88_6 Depth=1
	s_mov_b64 s[26:27], 0
	v_mov_b32_e32 v10, v12
	v_mov_b32_e32 v2, v0
                                        ; implicit-def: $sgpr30_sgpr31
	s_branch .LBB88_262
.LBB88_261:                             ;   in Loop: Header=BB88_262 Depth=2
	s_or_b64 exec, exec, s[18:19]
	s_waitcnt lgkmcnt(0)
	s_barrier
	ds_read_b64 v[18:19], v11 offset:3072
	v_add_u32_e32 v2, s9, v2
	v_cmp_le_u32_e64 s[18:19], s12, v2
	v_add_u32_e32 v10, s84, v10
	s_waitcnt lgkmcnt(0)
	v_cmp_neq_f32_e32 vcc, 0, v18
	s_or_b64 s[18:19], s[18:19], vcc
	s_and_b64 s[18:19], exec, s[18:19]
	s_or_b64 s[26:27], s[18:19], s[26:27]
	s_andn2_b64 s[18:19], s[30:31], exec
	s_and_b64 s[30:31], vcc, exec
	s_or_b64 s[30:31], s[18:19], s[30:31]
	s_barrier
	s_andn2_b64 exec, exec, s[26:27]
	s_cbranch_execz .LBB88_267
.LBB88_262:                             ;   Parent Loop BB88_6 Depth=1
                                        ; =>  This Inner Loop Header: Depth=2
	v_cmp_gt_u32_e32 vcc, s60, v2
	s_waitcnt vmcnt(0)
	v_mov_b32_e32 v17, 0
	s_and_saveexec_b64 s[34:35], vcc
	s_cbranch_execz .LBB88_264
; %bb.263:                              ;   in Loop: Header=BB88_262 Depth=2
	v_lshlrev_b64 v[4:5], 2, v[10:11]
	v_mov_b32_e32 v3, s8
	v_add_co_u32_e64 v4, s[18:19], s33, v4
	v_addc_co_u32_e64 v5, s[18:19], v3, v5, s[18:19]
	global_load_dword v17, v[4:5], off
.LBB88_264:                             ;   in Loop: Header=BB88_262 Depth=2
	s_or_b64 exec, exec, s[34:35]
	s_and_saveexec_b64 s[18:19], vcc
	s_cbranch_execz .LBB88_261
; %bb.265:                              ;   in Loop: Header=BB88_262 Depth=2
	s_waitcnt vmcnt(0)
	v_cmp_lt_i32_e32 vcc, -1, v17
	v_cndmask_b32_e32 v3, -1, v32, vcc
	v_xor_b32_e32 v3, v3, v17
	v_cmp_o_f32_e32 vcc, v17, v17
	v_cndmask_b32_e32 v3, -1, v3, vcc
	v_and_b32_e32 v3, v3, v34
	v_cmp_eq_u32_e32 vcc, v3, v35
	s_and_b64 exec, exec, vcc
	s_cbranch_execz .LBB88_261
; %bb.266:                              ;   in Loop: Header=BB88_262 Depth=2
	ds_write_b64 v11, v[16:17] offset:3072
	s_branch .LBB88_261
.LBB88_267:                             ;   in Loop: Header=BB88_6 Depth=1
	s_or_b64 exec, exec, s[26:27]
	s_and_b64 s[18:19], s[30:31], exec
.LBB88_268:                             ;   in Loop: Header=BB88_6 Depth=1
	s_or_b64 exec, exec, s[22:23]
	s_mov_b64 s[34:35], 0
	s_mov_b64 s[30:31], -1
	s_mov_b64 s[22:23], 0
.LBB88_269:                             ;   in Loop: Header=BB88_6 Depth=1
	s_orn2_b64 s[18:19], s[18:19], exec
.LBB88_270:                             ;   in Loop: Header=BB88_6 Depth=1
	s_or_b64 exec, exec, s[16:17]
                                        ; implicit-def: $vgpr2
                                        ; implicit-def: $vgpr37
                                        ; implicit-def: $vgpr4
                                        ; implicit-def: $vgpr5
                                        ; implicit-def: $vgpr3
	s_and_saveexec_b64 s[26:27], s[18:19]
	s_cbranch_execz .LBB88_405
; %bb.271:                              ;   in Loop: Header=BB88_6 Depth=1
	s_xor_b64 s[28:29], s[28:29], -1
	s_mov_b64 s[18:19], 0
	v_mov_b32_e32 v37, 1
	v_mov_b32_e32 v2, 1
	s_and_saveexec_b64 s[16:17], s[28:29]
	s_cbranch_execz .LBB88_281
; %bb.272:                              ;   in Loop: Header=BB88_6 Depth=1
	v_cmp_ge_u32_e32 vcc, s62, v36
                                        ; implicit-def: $sgpr36
                                        ; implicit-def: $sgpr18_sgpr19
	s_and_saveexec_b64 s[28:29], vcc
	s_xor_b64 s[28:29], exec, s[28:29]
	s_cbranch_execz .LBB88_278
; %bb.273:                              ;   in Loop: Header=BB88_6 Depth=1
	ds_read_b32 v2, v11 offset:4096
	s_waitcnt lgkmcnt(0)
	v_cmp_ne_u32_e32 vcc, 0, v2
	s_cbranch_vccnz .LBB88_277
; %bb.274:                              ;   in Loop: Header=BB88_6 Depth=1
	s_mov_b64 s[18:19], exec
	v_readlane_b32 s36, v55, 22
	v_readlane_b32 s37, v55, 23
	s_and_b64 s[36:37], s[18:19], s[36:37]
	s_mov_b64 exec, s[36:37]
	s_cbranch_execz .LBB88_276
; %bb.275:                              ;   in Loop: Header=BB88_6 Depth=1
	v_mov_b32_e32 v2, s62
	ds_write_b32 v11, v2 offset:4100
.LBB88_276:                             ;   in Loop: Header=BB88_6 Depth=1
	s_or_b64 exec, exec, s[18:19]
	s_waitcnt lgkmcnt(0)
	s_barrier
.LBB88_277:                             ;   in Loop: Header=BB88_6 Depth=1
	v_or_b32_e32 v35, s80, v35
	v_or_b32_e32 v34, s80, v34
	s_mov_b64 s[18:19], 0
	s_mov_b32 s36, 5
.LBB88_278:                             ;   in Loop: Header=BB88_6 Depth=1
	s_or_saveexec_b64 s[28:29], s[28:29]
	v_mov_b32_e32 v2, s36
	s_xor_b64 exec, exec, s[28:29]
; %bb.279:                              ;   in Loop: Header=BB88_6 Depth=1
	v_subrev_u32_e32 v36, s62, v36
	v_mov_b32_e32 v2, 0
	s_or_b64 s[18:19], s[18:19], exec
; %bb.280:                              ;   in Loop: Header=BB88_6 Depth=1
	s_or_b64 exec, exec, s[28:29]
	s_and_b64 s[18:19], s[18:19], exec
	v_mov_b32_e32 v37, v36
.LBB88_281:                             ;   in Loop: Header=BB88_6 Depth=1
	s_or_b64 exec, exec, s[16:17]
	s_mov_b64 s[38:39], -1
                                        ; implicit-def: $sgpr16_sgpr17
                                        ; implicit-def: $sgpr36_sgpr37
                                        ; implicit-def: $sgpr42_sgpr43
	s_and_saveexec_b64 s[28:29], s[18:19]
	s_xor_b64 s[28:29], exec, s[28:29]
	s_cbranch_execz .LBB88_402
; %bb.282:                              ;   in Loop: Header=BB88_6 Depth=1
	s_cmp_eq_u32 s11, 1
	s_cselect_b64 s[16:17], -1, 0
	v_cmp_eq_u32_e32 vcc, 1, v37
	s_and_b64 s[44:45], s[16:17], vcc
	s_mov_b64 s[46:47], -1
                                        ; implicit-def: $sgpr36_sgpr37
                                        ; implicit-def: $sgpr38_sgpr39
                                        ; implicit-def: $sgpr40_sgpr41
	s_and_saveexec_b64 s[16:17], s[44:45]
	s_cbranch_execz .LBB88_308
; %bb.283:                              ;   in Loop: Header=BB88_6 Depth=1
	ds_read_b32 v2, v11 offset:4096
	s_waitcnt lgkmcnt(0)
	s_barrier
	v_readfirstlane_b32 s42, v2
	s_mov_b64 s[18:19], exec
	v_readlane_b32 s36, v55, 42
	v_readlane_b32 s37, v55, 43
	s_and_b64 s[36:37], s[18:19], s[36:37]
	s_mov_b64 exec, s[36:37]
	s_cbranch_execz .LBB88_285
; %bb.284:                              ;   in Loop: Header=BB88_6 Depth=1
	ds_write_b32 v23, v11
.LBB88_285:                             ;   in Loop: Header=BB88_6 Depth=1
	s_or_b64 exec, exec, s[18:19]
	v_and_b32_e32 v2, s5, v35
	v_lshl_or_b32 v35, 2, s10, v2
	v_or_b32_e32 v34, s80, v34
	s_cmp_eq_u32 s42, 0
	s_waitcnt lgkmcnt(0)
	s_barrier
	s_cbranch_scc1 .LBB88_294
; %bb.286:                              ;   in Loop: Header=BB88_6 Depth=1
	v_readlane_b32 s18, v55, 35
	s_add_i32 s18, s42, s18
	v_readlane_b32 s19, v55, 57
	s_mul_hi_u32 s19, s18, s19
	s_mul_i32 s19, s19, s9
	s_sub_i32 s19, s18, s19
	s_sub_i32 s36, s19, s9
	s_cmp_ge_u32 s19, s9
	s_cselect_b32 s19, s36, s19
	s_sub_i32 s36, s19, s9
	s_cmp_ge_u32 s19, s9
	s_cselect_b32 s19, s36, s19
	s_sub_i32 s43, s18, s19
	v_cmp_gt_u32_e32 vcc, s43, v0
	s_mov_b64 s[18:19], 0
                                        ; implicit-def: $vgpr19
	s_and_saveexec_b64 s[36:37], vcc
	s_cbranch_execz .LBB88_296
; %bb.287:                              ;   in Loop: Header=BB88_6 Depth=1
	s_mov_b64 s[38:39], 0
	v_mov_b32_e32 v2, v20
	v_mov_b32_e32 v3, v0
                                        ; implicit-def: $sgpr40_sgpr41
	s_branch .LBB88_289
.LBB88_288:                             ;   in Loop: Header=BB88_289 Depth=2
	s_or_b64 exec, exec, s[18:19]
	s_waitcnt lgkmcnt(0)
	s_barrier
	ds_read_b64 v[18:19], v11 offset:3072
	v_add_u32_e32 v3, s9, v3
	v_cmp_le_u32_e64 s[18:19], s43, v3
	v_add_u32_e32 v2, s85, v2
	s_waitcnt lgkmcnt(0)
	v_cmp_neq_f32_e32 vcc, 0, v18
	s_or_b64 s[18:19], s[18:19], vcc
	s_and_b64 s[18:19], exec, s[18:19]
	s_or_b64 s[38:39], s[18:19], s[38:39]
	s_andn2_b64 s[18:19], s[40:41], exec
	s_and_b64 s[40:41], vcc, exec
	s_or_b64 s[40:41], s[18:19], s[40:41]
	s_barrier
	s_andn2_b64 exec, exec, s[38:39]
	s_cbranch_execz .LBB88_295
.LBB88_289:                             ;   Parent Loop BB88_6 Depth=1
                                        ; =>  This Inner Loop Header: Depth=2
	v_cmp_gt_u32_e32 vcc, s42, v3
	s_waitcnt vmcnt(0)
	v_mov_b32_e32 v17, 0
	s_and_saveexec_b64 s[18:19], vcc
	s_cbranch_execz .LBB88_291
; %bb.290:                              ;   in Loop: Header=BB88_289 Depth=2
	ds_read_b32 v17, v2
.LBB88_291:                             ;   in Loop: Header=BB88_289 Depth=2
	s_or_b64 exec, exec, s[18:19]
	s_and_saveexec_b64 s[18:19], vcc
	s_cbranch_execz .LBB88_288
; %bb.292:                              ;   in Loop: Header=BB88_289 Depth=2
	s_waitcnt lgkmcnt(0)
	v_cmp_lt_i32_e32 vcc, -1, v17
	v_cndmask_b32_e32 v4, -1, v32, vcc
	v_xor_b32_e32 v4, v4, v17
	v_cmp_o_f32_e32 vcc, v17, v17
	v_cndmask_b32_e32 v4, -1, v4, vcc
	v_and_b32_e32 v4, v4, v34
	v_cmp_eq_u32_e32 vcc, v4, v35
	s_and_b64 exec, exec, vcc
	s_cbranch_execz .LBB88_288
; %bb.293:                              ;   in Loop: Header=BB88_289 Depth=2
	ds_write_b64 v11, v[16:17] offset:3072
	s_branch .LBB88_288
.LBB88_294:                             ;   in Loop: Header=BB88_6 Depth=1
	s_mov_b64 s[36:37], -1
	s_mov_b64 s[18:19], 0
                                        ; implicit-def: $sgpr38_sgpr39
                                        ; implicit-def: $vgpr19
	s_mov_b64 s[40:41], s[36:37]
	s_cbranch_execnz .LBB88_297
	s_branch .LBB88_307
.LBB88_295:                             ;   in Loop: Header=BB88_6 Depth=1
	s_or_b64 exec, exec, s[38:39]
	s_and_b64 s[18:19], s[40:41], exec
.LBB88_296:                             ;   in Loop: Header=BB88_6 Depth=1
	s_or_b64 exec, exec, s[36:37]
	s_mov_b64 s[36:37], 0
	s_mov_b64 s[38:39], -1
	s_mov_b64 s[40:41], s[36:37]
	s_branch .LBB88_307
.LBB88_297:                             ;   in Loop: Header=BB88_6 Depth=1
	s_mov_b64 s[18:19], 0
                                        ; implicit-def: $vgpr19
	s_mov_b64 s[36:37], exec
	v_readlane_b32 s38, v55, 58
	v_readlane_b32 s39, v55, 59
	s_and_b64 s[38:39], s[36:37], s[38:39]
	s_mov_b64 exec, s[38:39]
	s_cbranch_execz .LBB88_306
; %bb.298:                              ;   in Loop: Header=BB88_6 Depth=1
	s_mov_b64 s[38:39], 0
	v_mov_b32_e32 v10, v12
	v_mov_b32_e32 v2, v0
                                        ; implicit-def: $sgpr40_sgpr41
	s_branch .LBB88_300
.LBB88_299:                             ;   in Loop: Header=BB88_300 Depth=2
	s_or_b64 exec, exec, s[18:19]
	s_waitcnt lgkmcnt(0)
	s_barrier
	ds_read_b64 v[18:19], v11 offset:3072
	v_add_u32_e32 v2, s9, v2
	v_cmp_le_u32_e64 s[18:19], s12, v2
	v_add_u32_e32 v10, s84, v10
	s_waitcnt lgkmcnt(0)
	v_cmp_neq_f32_e32 vcc, 0, v18
	s_or_b64 s[18:19], s[18:19], vcc
	s_and_b64 s[18:19], exec, s[18:19]
	s_or_b64 s[38:39], s[18:19], s[38:39]
	s_andn2_b64 s[18:19], s[40:41], exec
	s_and_b64 s[40:41], vcc, exec
	s_or_b64 s[40:41], s[18:19], s[40:41]
	s_barrier
	s_andn2_b64 exec, exec, s[38:39]
	s_cbranch_execz .LBB88_305
.LBB88_300:                             ;   Parent Loop BB88_6 Depth=1
                                        ; =>  This Inner Loop Header: Depth=2
	v_cmp_gt_u32_e32 vcc, s60, v2
	s_waitcnt vmcnt(0)
	v_mov_b32_e32 v17, 0
	s_and_saveexec_b64 s[42:43], vcc
	s_cbranch_execz .LBB88_302
; %bb.301:                              ;   in Loop: Header=BB88_300 Depth=2
	v_lshlrev_b64 v[4:5], 2, v[10:11]
	v_mov_b32_e32 v3, s8
	v_add_co_u32_e64 v4, s[18:19], s33, v4
	v_addc_co_u32_e64 v5, s[18:19], v3, v5, s[18:19]
	global_load_dword v17, v[4:5], off
.LBB88_302:                             ;   in Loop: Header=BB88_300 Depth=2
	s_or_b64 exec, exec, s[42:43]
	s_and_saveexec_b64 s[18:19], vcc
	s_cbranch_execz .LBB88_299
; %bb.303:                              ;   in Loop: Header=BB88_300 Depth=2
	s_waitcnt vmcnt(0)
	v_cmp_lt_i32_e32 vcc, -1, v17
	v_cndmask_b32_e32 v3, -1, v32, vcc
	v_xor_b32_e32 v3, v3, v17
	v_cmp_o_f32_e32 vcc, v17, v17
	v_cndmask_b32_e32 v3, -1, v3, vcc
	v_and_b32_e32 v3, v3, v34
	v_cmp_eq_u32_e32 vcc, v3, v35
	s_and_b64 exec, exec, vcc
	s_cbranch_execz .LBB88_299
; %bb.304:                              ;   in Loop: Header=BB88_300 Depth=2
	ds_write_b64 v11, v[16:17] offset:3072
	s_branch .LBB88_299
.LBB88_305:                             ;   in Loop: Header=BB88_6 Depth=1
	s_or_b64 exec, exec, s[38:39]
	s_and_b64 s[18:19], s[40:41], exec
.LBB88_306:                             ;   in Loop: Header=BB88_6 Depth=1
	s_or_b64 exec, exec, s[36:37]
	s_mov_b64 s[38:39], 0
	s_mov_b64 s[36:37], -1
	s_mov_b64 s[40:41], 0
.LBB88_307:                             ;   in Loop: Header=BB88_6 Depth=1
	s_orn2_b64 s[46:47], s[18:19], exec
.LBB88_308:                             ;   in Loop: Header=BB88_6 Depth=1
	s_or_b64 exec, exec, s[16:17]
	s_mov_b64 s[18:19], 0
                                        ; implicit-def: $vgpr2
	s_and_saveexec_b64 s[42:43], s[46:47]
	s_cbranch_execz .LBB88_401
; %bb.309:                              ;   in Loop: Header=BB88_6 Depth=1
	s_xor_b64 s[18:19], s[44:45], -1
	s_mov_b64 s[48:49], 0
	v_mov_b32_e32 v3, 1
	v_mov_b32_e32 v2, 1
	s_and_saveexec_b64 s[16:17], s[18:19]
	s_cbranch_execz .LBB88_319
; %bb.310:                              ;   in Loop: Header=BB88_6 Depth=1
	v_cmp_ge_u32_e32 vcc, s11, v37
                                        ; implicit-def: $sgpr46
                                        ; implicit-def: $sgpr18_sgpr19
	s_and_saveexec_b64 s[44:45], vcc
	s_xor_b64 s[44:45], exec, s[44:45]
	s_cbranch_execz .LBB88_316
; %bb.311:                              ;   in Loop: Header=BB88_6 Depth=1
	ds_read_b32 v2, v11 offset:4096
	s_waitcnt lgkmcnt(0)
	v_cmp_ne_u32_e32 vcc, 0, v2
	s_cbranch_vccnz .LBB88_315
; %bb.312:                              ;   in Loop: Header=BB88_6 Depth=1
	s_mov_b64 s[18:19], exec
	v_readlane_b32 s46, v55, 22
	v_readlane_b32 s47, v55, 23
	s_and_b64 s[46:47], s[18:19], s[46:47]
	s_mov_b64 exec, s[46:47]
	s_cbranch_execz .LBB88_314
; %bb.313:                              ;   in Loop: Header=BB88_6 Depth=1
	v_mov_b32_e32 v2, s11
	ds_write_b32 v11, v2 offset:4100
.LBB88_314:                             ;   in Loop: Header=BB88_6 Depth=1
	s_or_b64 exec, exec, s[18:19]
	s_waitcnt lgkmcnt(0)
	s_barrier
.LBB88_315:                             ;   in Loop: Header=BB88_6 Depth=1
	v_and_b32_e32 v2, s5, v35
	v_lshl_or_b32 v35, 2, s10, v2
	v_or_b32_e32 v34, s80, v34
	s_mov_b64 s[18:19], 0
	s_mov_b32 s46, 5
.LBB88_316:                             ;   in Loop: Header=BB88_6 Depth=1
	s_or_saveexec_b64 s[44:45], s[44:45]
	v_mov_b32_e32 v2, s46
	s_xor_b64 exec, exec, s[44:45]
; %bb.317:                              ;   in Loop: Header=BB88_6 Depth=1
	v_subrev_u32_e32 v37, s11, v37
	v_mov_b32_e32 v2, 0
	s_or_b64 s[18:19], s[18:19], exec
; %bb.318:                              ;   in Loop: Header=BB88_6 Depth=1
	s_or_b64 exec, exec, s[44:45]
	s_and_b64 s[48:49], s[18:19], exec
	v_mov_b32_e32 v3, v37
.LBB88_319:                             ;   in Loop: Header=BB88_6 Depth=1
	s_or_b64 exec, exec, s[16:17]
	s_mov_b64 s[16:17], -1
                                        ; implicit-def: $sgpr18_sgpr19
                                        ; implicit-def: $sgpr46_sgpr47
                                        ; implicit-def: $sgpr52_sgpr53
	s_and_saveexec_b64 s[44:45], s[48:49]
	s_cbranch_execz .LBB88_400
; %bb.320:                              ;   in Loop: Header=BB88_6 Depth=1
	s_cmp_eq_u32 s4, 1
	s_cselect_b64 s[16:17], -1, 0
	v_cmp_eq_u32_e32 vcc, 1, v3
	s_and_b64 s[54:55], s[16:17], vcc
	s_mov_b64 s[18:19], -1
                                        ; implicit-def: $sgpr46_sgpr47
                                        ; implicit-def: $sgpr48_sgpr49
                                        ; implicit-def: $sgpr50_sgpr51
	s_and_saveexec_b64 s[16:17], s[54:55]
	s_cbranch_execz .LBB88_346
; %bb.321:                              ;   in Loop: Header=BB88_6 Depth=1
	ds_read_b32 v2, v11 offset:4096
	s_waitcnt lgkmcnt(0)
	s_barrier
	v_readfirstlane_b32 s11, v2
	s_mov_b64 s[18:19], exec
	v_readlane_b32 s46, v55, 42
	v_readlane_b32 s47, v55, 43
	s_and_b64 s[46:47], s[18:19], s[46:47]
	s_mov_b64 exec, s[46:47]
	s_cbranch_execz .LBB88_323
; %bb.322:                              ;   in Loop: Header=BB88_6 Depth=1
	ds_write_b32 v23, v11
.LBB88_323:                             ;   in Loop: Header=BB88_6 Depth=1
	s_or_b64 exec, exec, s[18:19]
	v_and_b32_e32 v2, s5, v35
	v_lshl_or_b32 v35, 1, s10, v2
	v_or_b32_e32 v34, s80, v34
	s_cmp_eq_u32 s11, 0
	s_waitcnt lgkmcnt(0)
	s_barrier
	s_cbranch_scc1 .LBB88_332
; %bb.324:                              ;   in Loop: Header=BB88_6 Depth=1
	v_readlane_b32 s18, v55, 35
	s_add_i32 s18, s11, s18
	v_readlane_b32 s19, v55, 57
	s_mul_hi_u32 s19, s18, s19
	s_mul_i32 s19, s19, s9
	s_sub_i32 s19, s18, s19
	s_sub_i32 s46, s19, s9
	s_cmp_ge_u32 s19, s9
	s_cselect_b32 s19, s46, s19
	s_sub_i32 s46, s19, s9
	s_cmp_ge_u32 s19, s9
	s_cselect_b32 s19, s46, s19
	s_sub_i32 s52, s18, s19
	v_cmp_gt_u32_e32 vcc, s52, v0
	s_mov_b64 s[18:19], 0
                                        ; implicit-def: $vgpr19
	s_and_saveexec_b64 s[46:47], vcc
	s_cbranch_execz .LBB88_334
; %bb.325:                              ;   in Loop: Header=BB88_6 Depth=1
	s_mov_b64 s[48:49], 0
	v_mov_b32_e32 v2, v20
	v_mov_b32_e32 v4, v0
                                        ; implicit-def: $sgpr50_sgpr51
	s_branch .LBB88_327
.LBB88_326:                             ;   in Loop: Header=BB88_327 Depth=2
	s_or_b64 exec, exec, s[18:19]
	s_waitcnt lgkmcnt(0)
	s_barrier
	ds_read_b64 v[18:19], v11 offset:3072
	v_add_u32_e32 v4, s9, v4
	v_cmp_le_u32_e64 s[18:19], s52, v4
	v_add_u32_e32 v2, s85, v2
	s_waitcnt lgkmcnt(0)
	v_cmp_neq_f32_e32 vcc, 0, v18
	s_or_b64 s[18:19], s[18:19], vcc
	s_and_b64 s[18:19], exec, s[18:19]
	s_or_b64 s[48:49], s[18:19], s[48:49]
	s_andn2_b64 s[18:19], s[50:51], exec
	s_and_b64 s[50:51], vcc, exec
	s_or_b64 s[50:51], s[18:19], s[50:51]
	s_barrier
	s_andn2_b64 exec, exec, s[48:49]
	s_cbranch_execz .LBB88_333
.LBB88_327:                             ;   Parent Loop BB88_6 Depth=1
                                        ; =>  This Inner Loop Header: Depth=2
	v_cmp_gt_u32_e32 vcc, s11, v4
	s_waitcnt vmcnt(0)
	v_mov_b32_e32 v17, 0
	s_and_saveexec_b64 s[18:19], vcc
	s_cbranch_execz .LBB88_329
; %bb.328:                              ;   in Loop: Header=BB88_327 Depth=2
	ds_read_b32 v17, v2
.LBB88_329:                             ;   in Loop: Header=BB88_327 Depth=2
	s_or_b64 exec, exec, s[18:19]
	s_and_saveexec_b64 s[18:19], vcc
	s_cbranch_execz .LBB88_326
; %bb.330:                              ;   in Loop: Header=BB88_327 Depth=2
	s_waitcnt lgkmcnt(0)
	v_cmp_lt_i32_e32 vcc, -1, v17
	v_cndmask_b32_e32 v5, -1, v32, vcc
	v_xor_b32_e32 v5, v5, v17
	v_cmp_o_f32_e32 vcc, v17, v17
	v_cndmask_b32_e32 v5, -1, v5, vcc
	v_and_b32_e32 v5, v5, v34
	v_cmp_eq_u32_e32 vcc, v5, v35
	s_and_b64 exec, exec, vcc
	s_cbranch_execz .LBB88_326
; %bb.331:                              ;   in Loop: Header=BB88_327 Depth=2
	ds_write_b64 v11, v[16:17] offset:3072
	s_branch .LBB88_326
.LBB88_332:                             ;   in Loop: Header=BB88_6 Depth=1
	s_mov_b64 s[46:47], -1
	s_mov_b64 s[18:19], 0
                                        ; implicit-def: $sgpr48_sgpr49
                                        ; implicit-def: $vgpr19
	s_mov_b64 s[50:51], s[46:47]
	s_cbranch_execnz .LBB88_335
	s_branch .LBB88_345
.LBB88_333:                             ;   in Loop: Header=BB88_6 Depth=1
	s_or_b64 exec, exec, s[48:49]
	s_and_b64 s[18:19], s[50:51], exec
.LBB88_334:                             ;   in Loop: Header=BB88_6 Depth=1
	s_or_b64 exec, exec, s[46:47]
	s_mov_b64 s[46:47], 0
	s_mov_b64 s[48:49], -1
	s_mov_b64 s[50:51], s[46:47]
	s_branch .LBB88_345
.LBB88_335:                             ;   in Loop: Header=BB88_6 Depth=1
	s_mov_b64 s[18:19], 0
                                        ; implicit-def: $vgpr19
	s_mov_b64 s[46:47], exec
	v_readlane_b32 s48, v55, 58
	v_readlane_b32 s49, v55, 59
	s_and_b64 s[48:49], s[46:47], s[48:49]
	s_mov_b64 exec, s[48:49]
	s_cbranch_execz .LBB88_344
; %bb.336:                              ;   in Loop: Header=BB88_6 Depth=1
	s_mov_b64 s[48:49], 0
	v_mov_b32_e32 v10, v12
	v_mov_b32_e32 v2, v0
                                        ; implicit-def: $sgpr50_sgpr51
	s_branch .LBB88_338
.LBB88_337:                             ;   in Loop: Header=BB88_338 Depth=2
	s_or_b64 exec, exec, s[18:19]
	s_waitcnt lgkmcnt(0)
	s_barrier
	ds_read_b64 v[18:19], v11 offset:3072
	v_add_u32_e32 v2, s9, v2
	v_cmp_le_u32_e64 s[18:19], s12, v2
	v_add_u32_e32 v10, s84, v10
	s_waitcnt lgkmcnt(0)
	v_cmp_neq_f32_e32 vcc, 0, v18
	s_or_b64 s[18:19], s[18:19], vcc
	s_and_b64 s[18:19], exec, s[18:19]
	s_or_b64 s[48:49], s[18:19], s[48:49]
	s_andn2_b64 s[18:19], s[50:51], exec
	s_and_b64 s[50:51], vcc, exec
	s_or_b64 s[50:51], s[18:19], s[50:51]
	s_barrier
	s_andn2_b64 exec, exec, s[48:49]
	s_cbranch_execz .LBB88_343
.LBB88_338:                             ;   Parent Loop BB88_6 Depth=1
                                        ; =>  This Inner Loop Header: Depth=2
	v_cmp_gt_u32_e32 vcc, s60, v2
	s_waitcnt vmcnt(0)
	v_mov_b32_e32 v17, 0
	s_and_saveexec_b64 s[52:53], vcc
	s_cbranch_execz .LBB88_340
; %bb.339:                              ;   in Loop: Header=BB88_338 Depth=2
	v_lshlrev_b64 v[4:5], 2, v[10:11]
	v_mov_b32_e32 v17, s8
	v_add_co_u32_e64 v4, s[18:19], s33, v4
	v_addc_co_u32_e64 v5, s[18:19], v17, v5, s[18:19]
	global_load_dword v17, v[4:5], off
.LBB88_340:                             ;   in Loop: Header=BB88_338 Depth=2
	s_or_b64 exec, exec, s[52:53]
	s_and_saveexec_b64 s[18:19], vcc
	s_cbranch_execz .LBB88_337
; %bb.341:                              ;   in Loop: Header=BB88_338 Depth=2
	s_waitcnt vmcnt(0)
	v_cmp_lt_i32_e32 vcc, -1, v17
	v_cndmask_b32_e32 v4, -1, v32, vcc
	v_xor_b32_e32 v4, v4, v17
	v_cmp_o_f32_e32 vcc, v17, v17
	v_cndmask_b32_e32 v4, -1, v4, vcc
	v_and_b32_e32 v4, v4, v34
	v_cmp_eq_u32_e32 vcc, v4, v35
	s_and_b64 exec, exec, vcc
	s_cbranch_execz .LBB88_337
; %bb.342:                              ;   in Loop: Header=BB88_338 Depth=2
	ds_write_b64 v11, v[16:17] offset:3072
	s_branch .LBB88_337
.LBB88_343:                             ;   in Loop: Header=BB88_6 Depth=1
	s_or_b64 exec, exec, s[48:49]
	s_and_b64 s[18:19], s[50:51], exec
.LBB88_344:                             ;   in Loop: Header=BB88_6 Depth=1
	s_or_b64 exec, exec, s[46:47]
	s_mov_b64 s[48:49], 0
	s_mov_b64 s[46:47], -1
	s_mov_b64 s[50:51], 0
.LBB88_345:                             ;   in Loop: Header=BB88_6 Depth=1
	s_orn2_b64 s[18:19], s[18:19], exec
.LBB88_346:                             ;   in Loop: Header=BB88_6 Depth=1
	s_or_b64 exec, exec, s[16:17]
	s_mov_b64 s[16:17], 0
                                        ; implicit-def: $vgpr2
	s_and_saveexec_b64 s[52:53], s[18:19]
	s_cbranch_execz .LBB88_399
; %bb.347:                              ;   in Loop: Header=BB88_6 Depth=1
	s_xor_b64 s[18:19], s[54:55], -1
	s_mov_b64 s[56:57], 0
	v_mov_b32_e32 v4, 1
	v_mov_b32_e32 v2, 1
	s_and_saveexec_b64 s[16:17], s[18:19]
	s_cbranch_execz .LBB88_357
; %bb.348:                              ;   in Loop: Header=BB88_6 Depth=1
	v_cmp_ge_u32_e32 vcc, s4, v3
                                        ; implicit-def: $sgpr11
                                        ; implicit-def: $sgpr18_sgpr19
	s_and_saveexec_b64 s[54:55], vcc
	s_xor_b64 s[54:55], exec, s[54:55]
	s_cbranch_execz .LBB88_354
; %bb.349:                              ;   in Loop: Header=BB88_6 Depth=1
	ds_read_b32 v2, v11 offset:4096
	s_waitcnt lgkmcnt(0)
	v_cmp_ne_u32_e32 vcc, 0, v2
	s_cbranch_vccnz .LBB88_353
; %bb.350:                              ;   in Loop: Header=BB88_6 Depth=1
	s_mov_b64 s[18:19], exec
	v_readlane_b32 s56, v55, 22
	v_readlane_b32 s57, v55, 23
	s_and_b64 s[56:57], s[18:19], s[56:57]
	s_mov_b64 exec, s[56:57]
	s_cbranch_execz .LBB88_352
; %bb.351:                              ;   in Loop: Header=BB88_6 Depth=1
	v_mov_b32_e32 v2, s4
	ds_write_b32 v11, v2 offset:4100
.LBB88_352:                             ;   in Loop: Header=BB88_6 Depth=1
	s_or_b64 exec, exec, s[18:19]
	s_waitcnt lgkmcnt(0)
	s_barrier
.LBB88_353:                             ;   in Loop: Header=BB88_6 Depth=1
	v_and_b32_e32 v2, s5, v35
	v_lshl_or_b32 v35, 1, s10, v2
	v_or_b32_e32 v34, s80, v34
	s_mov_b64 s[18:19], 0
	s_mov_b32 s11, 5
.LBB88_354:                             ;   in Loop: Header=BB88_6 Depth=1
	s_or_saveexec_b64 s[54:55], s[54:55]
	v_mov_b32_e32 v2, s11
	s_xor_b64 exec, exec, s[54:55]
; %bb.355:                              ;   in Loop: Header=BB88_6 Depth=1
	v_subrev_u32_e32 v3, s4, v3
	v_mov_b32_e32 v2, 0
	s_or_b64 s[18:19], s[18:19], exec
; %bb.356:                              ;   in Loop: Header=BB88_6 Depth=1
	s_or_b64 exec, exec, s[54:55]
	s_and_b64 s[56:57], s[18:19], exec
	v_mov_b32_e32 v4, v3
.LBB88_357:                             ;   in Loop: Header=BB88_6 Depth=1
	s_or_b64 exec, exec, s[16:17]
	s_mov_b64 s[16:17], -1
                                        ; implicit-def: $sgpr18_sgpr19
                                        ; implicit-def: $sgpr58_sgpr59
                                        ; implicit-def: $sgpr88_sgpr89
	s_and_saveexec_b64 s[54:55], s[56:57]
	s_cbranch_execz .LBB88_398
; %bb.358:                              ;   in Loop: Header=BB88_6 Depth=1
	s_cmp_eq_u32 s81, 1
	s_cselect_b64 s[10:11], -1, 0
	v_cmp_eq_u32_e32 vcc, 1, v4
	s_and_b64 s[56:57], s[10:11], vcc
	s_mov_b64 s[90:91], -1
                                        ; implicit-def: $sgpr18_sgpr19
                                        ; implicit-def: $sgpr58_sgpr59
                                        ; implicit-def: $sgpr88_sgpr89
	s_and_saveexec_b64 s[16:17], s[56:57]
	s_cbranch_execz .LBB88_385
; %bb.359:                              ;   in Loop: Header=BB88_6 Depth=1
	ds_read_b32 v2, v11 offset:4096
	s_waitcnt lgkmcnt(0)
	s_barrier
	v_readfirstlane_b32 s4, v2
	s_mov_b64 s[18:19], exec
	v_readlane_b32 s10, v55, 42
	v_readlane_b32 s11, v55, 43
	s_and_b64 s[10:11], s[18:19], s[10:11]
	s_mov_b64 exec, s[10:11]
	s_cbranch_execz .LBB88_361
; %bb.360:                              ;   in Loop: Header=BB88_6 Depth=1
	ds_write_b32 v23, v11
.LBB88_361:                             ;   in Loop: Header=BB88_6 Depth=1
	s_or_b64 exec, exec, s[18:19]
	v_and_b32_e32 v35, s5, v35
	v_or_b32_e32 v34, s80, v34
	s_cmp_eq_u32 s4, 0
	s_waitcnt lgkmcnt(0)
	s_barrier
	s_cbranch_scc1 .LBB88_370
; %bb.362:                              ;   in Loop: Header=BB88_6 Depth=1
	v_readlane_b32 s10, v55, 35
	s_add_i32 s10, s4, s10
	v_readlane_b32 s11, v55, 57
	s_mul_hi_u32 s11, s10, s11
	s_mul_i32 s11, s11, s9
	s_sub_i32 s11, s10, s11
	s_sub_i32 s18, s11, s9
	s_cmp_ge_u32 s11, s9
	s_cselect_b32 s11, s18, s11
	s_sub_i32 s18, s11, s9
	s_cmp_ge_u32 s11, s9
	s_cselect_b32 s11, s18, s11
	s_sub_i32 s10, s10, s11
	v_cmp_gt_u32_e32 vcc, s10, v0
	s_mov_b64 s[90:91], 0
                                        ; implicit-def: $vgpr19
	s_and_saveexec_b64 s[58:59], vcc
	s_cbranch_execz .LBB88_372
; %bb.363:                              ;   in Loop: Header=BB88_6 Depth=1
	s_mov_b64 s[88:89], 0
	v_mov_b32_e32 v2, v20
	v_mov_b32_e32 v3, v0
                                        ; implicit-def: $sgpr90_sgpr91
	s_branch .LBB88_365
.LBB88_364:                             ;   in Loop: Header=BB88_365 Depth=2
	s_or_b64 exec, exec, s[18:19]
	s_waitcnt lgkmcnt(0)
	s_barrier
	ds_read_b64 v[18:19], v11 offset:3072
	v_add_u32_e32 v3, s9, v3
	v_cmp_le_u32_e64 s[18:19], s10, v3
	v_add_u32_e32 v2, s85, v2
	s_waitcnt lgkmcnt(0)
	v_cmp_neq_f32_e32 vcc, 0, v18
	s_or_b64 s[18:19], s[18:19], vcc
	s_and_b64 s[18:19], exec, s[18:19]
	s_or_b64 s[88:89], s[18:19], s[88:89]
	s_andn2_b64 s[18:19], s[90:91], exec
	s_and_b64 s[62:63], vcc, exec
	s_or_b64 s[90:91], s[18:19], s[62:63]
	s_barrier
	s_andn2_b64 exec, exec, s[88:89]
	s_cbranch_execz .LBB88_371
.LBB88_365:                             ;   Parent Loop BB88_6 Depth=1
                                        ; =>  This Inner Loop Header: Depth=2
	v_cmp_gt_u32_e32 vcc, s4, v3
	s_waitcnt vmcnt(0)
	v_mov_b32_e32 v17, 0
	s_and_saveexec_b64 s[18:19], vcc
	s_cbranch_execz .LBB88_367
; %bb.366:                              ;   in Loop: Header=BB88_365 Depth=2
	ds_read_b32 v17, v2
.LBB88_367:                             ;   in Loop: Header=BB88_365 Depth=2
	s_or_b64 exec, exec, s[18:19]
	s_and_saveexec_b64 s[18:19], vcc
	s_cbranch_execz .LBB88_364
; %bb.368:                              ;   in Loop: Header=BB88_365 Depth=2
	s_waitcnt lgkmcnt(0)
	v_cmp_lt_i32_e32 vcc, -1, v17
	v_cndmask_b32_e32 v5, -1, v32, vcc
	v_xor_b32_e32 v5, v5, v17
	v_cmp_o_f32_e32 vcc, v17, v17
	v_cndmask_b32_e32 v5, -1, v5, vcc
	v_and_b32_e32 v5, v5, v34
	v_cmp_eq_u32_e32 vcc, v5, v35
	s_and_b64 exec, exec, vcc
	s_cbranch_execz .LBB88_364
; %bb.369:                              ;   in Loop: Header=BB88_365 Depth=2
	ds_write_b64 v11, v[16:17] offset:3072
	s_branch .LBB88_364
.LBB88_370:                             ;   in Loop: Header=BB88_6 Depth=1
	s_mov_b64 s[18:19], -1
	s_mov_b64 s[90:91], 0
                                        ; implicit-def: $sgpr58_sgpr59
                                        ; implicit-def: $vgpr19
	s_branch .LBB88_373
.LBB88_371:                             ;   in Loop: Header=BB88_6 Depth=1
	s_or_b64 exec, exec, s[88:89]
	s_and_b64 s[90:91], s[90:91], exec
.LBB88_372:                             ;   in Loop: Header=BB88_6 Depth=1
	s_or_b64 exec, exec, s[58:59]
	s_mov_b64 s[18:19], 0
	s_mov_b64 s[58:59], -1
.LBB88_373:                             ;   in Loop: Header=BB88_6 Depth=1
	s_and_b64 vcc, exec, s[18:19]
	s_mov_b64 s[88:89], s[18:19]
	s_cbranch_vccz .LBB88_384
; %bb.374:                              ;   in Loop: Header=BB88_6 Depth=1
	s_mov_b64 s[90:91], 0
                                        ; implicit-def: $vgpr19
	s_mov_b64 s[62:63], exec
	v_readlane_b32 s10, v55, 58
	v_readlane_b32 s11, v55, 59
	s_and_b64 s[10:11], s[62:63], s[10:11]
	s_mov_b64 exec, s[10:11]
	s_cbranch_execz .LBB88_383
; %bb.375:                              ;   in Loop: Header=BB88_6 Depth=1
	s_mov_b64 s[88:89], 0
	v_mov_b32_e32 v10, v12
	v_mov_b32_e32 v2, v0
                                        ; implicit-def: $sgpr90_sgpr91
	s_branch .LBB88_377
.LBB88_376:                             ;   in Loop: Header=BB88_377 Depth=2
	s_or_b64 exec, exec, s[18:19]
	s_waitcnt lgkmcnt(0)
	s_barrier
	ds_read_b64 v[18:19], v11 offset:3072
	v_add_u32_e32 v2, s9, v2
	v_cmp_le_u32_e64 s[18:19], s12, v2
	v_add_u32_e32 v10, s84, v10
	s_waitcnt lgkmcnt(0)
	v_cmp_neq_f32_e32 vcc, 0, v18
	s_or_b64 s[10:11], s[18:19], vcc
	s_and_b64 s[10:11], exec, s[10:11]
	s_or_b64 s[88:89], s[10:11], s[88:89]
	s_andn2_b64 s[10:11], s[90:91], exec
	s_and_b64 s[18:19], vcc, exec
	s_or_b64 s[90:91], s[10:11], s[18:19]
	s_barrier
	s_andn2_b64 exec, exec, s[88:89]
	s_cbranch_execz .LBB88_382
.LBB88_377:                             ;   Parent Loop BB88_6 Depth=1
                                        ; =>  This Inner Loop Header: Depth=2
	v_cmp_gt_u32_e32 vcc, s60, v2
	s_waitcnt vmcnt(0)
	v_mov_b32_e32 v17, 0
	s_and_saveexec_b64 s[58:59], vcc
	s_cbranch_execz .LBB88_379
; %bb.378:                              ;   in Loop: Header=BB88_377 Depth=2
	v_lshlrev_b64 v[18:19], 2, v[10:11]
	v_mov_b32_e32 v3, s8
	v_add_co_u32_e64 v18, s[18:19], s33, v18
	v_addc_co_u32_e64 v19, s[18:19], v3, v19, s[18:19]
	global_load_dword v17, v[18:19], off
.LBB88_379:                             ;   in Loop: Header=BB88_377 Depth=2
	s_or_b64 exec, exec, s[58:59]
	s_and_saveexec_b64 s[18:19], vcc
	s_cbranch_execz .LBB88_376
; %bb.380:                              ;   in Loop: Header=BB88_377 Depth=2
	s_waitcnt vmcnt(0)
	v_cmp_lt_i32_e32 vcc, -1, v17
	v_cndmask_b32_e32 v3, -1, v32, vcc
	v_xor_b32_e32 v3, v3, v17
	v_cmp_o_f32_e32 vcc, v17, v17
	v_cndmask_b32_e32 v3, -1, v3, vcc
	v_and_b32_e32 v3, v3, v34
	v_cmp_eq_u32_e32 vcc, v3, v35
	s_and_b64 exec, exec, vcc
	s_cbranch_execz .LBB88_376
; %bb.381:                              ;   in Loop: Header=BB88_377 Depth=2
	ds_write_b64 v11, v[16:17] offset:3072
	s_branch .LBB88_376
.LBB88_382:                             ;   in Loop: Header=BB88_6 Depth=1
	s_or_b64 exec, exec, s[88:89]
	s_and_b64 s[90:91], s[90:91], exec
.LBB88_383:                             ;   in Loop: Header=BB88_6 Depth=1
	s_or_b64 exec, exec, s[62:63]
	s_mov_b64 s[58:59], 0
	s_mov_b64 s[18:19], -1
	s_mov_b64 s[88:89], 0
.LBB88_384:                             ;   in Loop: Header=BB88_6 Depth=1
	s_orn2_b64 s[90:91], s[90:91], exec
.LBB88_385:                             ;   in Loop: Header=BB88_6 Depth=1
	s_or_b64 exec, exec, s[16:17]
	s_mov_b64 vcc, 0
                                        ; implicit-def: $vgpr2
                                        ; implicit-def: $vgpr3
	s_and_saveexec_b64 s[16:17], s[90:91]
	s_cbranch_execz .LBB88_397
; %bb.386:                              ;   in Loop: Header=BB88_6 Depth=1
	s_xor_b64 s[10:11], s[56:57], -1
	v_mov_b32_e32 v2, 1
	v_mov_b32_e32 v3, 1
	s_and_saveexec_b64 s[56:57], s[10:11]
	s_cbranch_execz .LBB88_396
; %bb.387:                              ;   in Loop: Header=BB88_6 Depth=1
	v_cmp_ge_u32_e32 vcc, s81, v4
                                        ; implicit-def: $sgpr4
	s_and_saveexec_b64 s[10:11], vcc
	s_xor_b64 s[90:91], exec, s[10:11]
	s_cbranch_execz .LBB88_393
; %bb.388:                              ;   in Loop: Header=BB88_6 Depth=1
	ds_read_b32 v2, v11 offset:4096
	s_waitcnt lgkmcnt(0)
	v_cmp_ne_u32_e32 vcc, 0, v2
	s_cbranch_vccnz .LBB88_392
; %bb.389:                              ;   in Loop: Header=BB88_6 Depth=1
	s_mov_b64 vcc, exec
	v_readlane_b32 s10, v55, 22
	v_readlane_b32 s11, v55, 23
	s_and_b64 s[10:11], vcc, s[10:11]
	s_mov_b64 exec, s[10:11]
	s_cbranch_execz .LBB88_391
; %bb.390:                              ;   in Loop: Header=BB88_6 Depth=1
	v_mov_b32_e32 v2, s81
	ds_write_b32 v11, v2 offset:4100
.LBB88_391:                             ;   in Loop: Header=BB88_6 Depth=1
	s_or_b64 exec, exec, vcc
	s_waitcnt lgkmcnt(0)
	s_barrier
.LBB88_392:                             ;   in Loop: Header=BB88_6 Depth=1
	v_and_b32_e32 v35, s5, v35
	v_or_b32_e32 v34, s80, v34
	s_mov_b32 s4, 5
.LBB88_393:                             ;   in Loop: Header=BB88_6 Depth=1
	s_or_saveexec_b64 s[90:91], s[90:91]
	v_mov_b32_e32 v2, s4
	s_xor_b64 exec, exec, s[90:91]
; %bb.394:                              ;   in Loop: Header=BB88_6 Depth=1
	v_subrev_u32_e32 v4, s81, v4
	v_mov_b32_e32 v2, 5
; %bb.395:                              ;   in Loop: Header=BB88_6 Depth=1
	s_or_b64 exec, exec, s[90:91]
	v_mov_b32_e32 v3, v4
.LBB88_396:                             ;   in Loop: Header=BB88_6 Depth=1
	s_or_b64 exec, exec, s[56:57]
	s_mov_b64 vcc, exec
.LBB88_397:                             ;   in Loop: Header=BB88_6 Depth=1
	s_or_b64 exec, exec, s[16:17]
	s_orn2_b64 s[16:17], vcc, exec
	v_mov_b32_e32 v4, v3
.LBB88_398:                             ;   in Loop: Header=BB88_6 Depth=1
	s_or_b64 exec, exec, s[54:55]
	s_andn2_b64 s[4:5], s[46:47], exec
	s_and_b64 s[10:11], s[18:19], exec
	s_or_b64 s[46:47], s[4:5], s[10:11]
	s_andn2_b64 s[4:5], s[48:49], exec
	s_and_b64 s[10:11], s[58:59], exec
	s_or_b64 s[48:49], s[4:5], s[10:11]
	;; [unrolled: 3-line block ×3, first 2 shown]
	s_and_b64 s[16:17], s[16:17], exec
	v_mov_b32_e32 v3, v4
.LBB88_399:                             ;   in Loop: Header=BB88_6 Depth=1
	s_or_b64 exec, exec, s[52:53]
	s_and_b64 s[52:53], s[46:47], exec
	s_and_b64 s[46:47], s[48:49], exec
	;; [unrolled: 1-line block ×3, first 2 shown]
	s_orn2_b64 s[16:17], s[16:17], exec
.LBB88_400:                             ;   in Loop: Header=BB88_6 Depth=1
	s_or_b64 exec, exec, s[44:45]
	s_andn2_b64 s[4:5], s[36:37], exec
	s_and_b64 s[10:11], s[52:53], exec
	s_or_b64 s[36:37], s[4:5], s[10:11]
	s_andn2_b64 s[4:5], s[38:39], exec
	s_and_b64 s[10:11], s[46:47], exec
	s_or_b64 s[38:39], s[4:5], s[10:11]
	;; [unrolled: 3-line block ×3, first 2 shown]
	s_and_b64 s[18:19], s[16:17], exec
	v_mov_b32_e32 v37, v3
.LBB88_401:                             ;   in Loop: Header=BB88_6 Depth=1
	s_or_b64 exec, exec, s[42:43]
	s_and_b64 s[42:43], s[36:37], exec
	s_and_b64 s[36:37], s[38:39], exec
	;; [unrolled: 1-line block ×3, first 2 shown]
	s_orn2_b64 s[38:39], s[18:19], exec
.LBB88_402:                             ;   in Loop: Header=BB88_6 Depth=1
	s_or_b64 exec, exec, s[28:29]
	s_mov_b64 s[18:19], s[24:25]
	s_mov_b64 s[28:29], s[20:21]
	s_and_saveexec_b64 s[40:41], s[38:39]
; %bb.403:                              ;   in Loop: Header=BB88_6 Depth=1
	v_cmp_ne_u32_e64 s[18:19], 5, v2
	v_cmp_eq_u32_e32 vcc, 5, v2
	s_andn2_b64 s[4:5], s[20:21], exec
	s_and_b64 s[10:11], s[18:19], exec
	s_or_b64 s[28:29], s[4:5], s[10:11]
	s_andn2_b64 s[4:5], s[24:25], exec
	s_and_b64 s[10:11], vcc, exec
	s_andn2_b64 s[42:43], s[42:43], exec
	s_andn2_b64 s[36:37], s[36:37], exec
	s_andn2_b64 s[16:17], s[16:17], exec
	s_or_b64 s[18:19], s[4:5], s[10:11]
; %bb.404:                              ;   in Loop: Header=BB88_6 Depth=1
	s_or_b64 exec, exec, s[40:41]
	s_andn2_b64 s[4:5], s[30:31], exec
	s_and_b64 s[10:11], s[42:43], exec
	s_or_b64 s[30:31], s[4:5], s[10:11]
	s_andn2_b64 s[4:5], s[34:35], exec
	s_and_b64 s[10:11], s[36:37], exec
	s_or_b64 s[34:35], s[4:5], s[10:11]
	;; [unrolled: 3-line block ×5, first 2 shown]
	v_mov_b32_e32 v4, v35
	v_mov_b32_e32 v5, v34
	;; [unrolled: 1-line block ×3, first 2 shown]
.LBB88_405:                             ;   in Loop: Header=BB88_6 Depth=1
	s_or_b64 exec, exec, s[26:27]
	s_mov_b64 s[28:29], s[22:23]
	s_mov_b64 s[26:27], s[22:23]
	s_and_saveexec_b64 s[16:17], s[24:25]
.LBB88_406:                             ;   in Loop: Header=BB88_6 Depth=1
	v_mov_b32_e32 v2, 0
	s_andn2_b64 s[22:23], s[22:23], exec
	s_andn2_b64 s[30:31], s[30:31], exec
	;; [unrolled: 1-line block ×5, first 2 shown]
	s_or_b64 s[20:21], s[20:21], exec
.LBB88_407:                             ;   in Loop: Header=BB88_6 Depth=1
	s_or_b64 exec, exec, s[16:17]
	s_andn2_b64 s[4:5], s[72:73], exec
	s_and_b64 s[10:11], s[22:23], exec
	s_or_b64 s[72:73], s[4:5], s[10:11]
	s_andn2_b64 s[4:5], s[94:95], exec
	s_and_b64 s[10:11], s[30:31], exec
	s_or_b64 s[94:95], s[4:5], s[10:11]
	s_andn2_b64 s[4:5], s[92:93], exec
	s_and_b64 s[10:11], s[34:35], exec
	s_or_b64 s[92:93], s[4:5], s[10:11]
	s_andn2_b64 s[4:5], s[78:79], exec
	s_and_b64 s[10:11], s[28:29], exec
	s_or_b64 s[78:79], s[4:5], s[10:11]
	s_andn2_b64 s[4:5], s[76:77], exec
	s_and_b64 s[10:11], s[26:27], exec
	s_mov_b64 s[18:19], -1
	s_or_b64 s[76:77], s[4:5], s[10:11]
                                        ; implicit-def: $vgpr34
                                        ; implicit-def: $vgpr35
                                        ; implicit-def: $vgpr36
                                        ; implicit-def: $vgpr19
	s_and_saveexec_b64 s[4:5], s[20:21]
	s_xor_b64 s[16:17], exec, s[4:5]
	s_cbranch_execz .LBB88_5
; %bb.408:                              ;   in Loop: Header=BB88_6 Depth=1
	v_cmp_eq_u32_e32 vcc, 0, v2
	s_mov_b64 s[20:21], -1
	s_and_saveexec_b64 s[22:23], vcc
	s_cbranch_execz .LBB88_4
; %bb.409:                              ;   in Loop: Header=BB88_6 Depth=1
	s_xor_b32 s86, s86, 1
	s_add_i32 s10, s7, -2
	s_cmp_eq_u32 s7, 0
	s_cselect_b64 s[4:5], -1, 0
	s_xor_b64 s[20:21], exec, -1
	s_orn2_b64 s[18:19], s[4:5], exec
	s_mov_b32 s7, s10
	s_branch .LBB88_4
.LBB88_410:
	s_or_b64 exec, exec, s[74:75]
	s_xor_b64 s[16:17], s[70:71], -1
	s_xor_b64 s[20:21], s[68:69], -1
	;; [unrolled: 1-line block ×5, first 2 shown]
	s_mov_b64 s[12:13], 0
	s_and_saveexec_b64 s[6:7], s[4:5]
	s_xor_b64 s[10:11], exec, s[6:7]
	s_cbranch_execnz .LBB88_415
; %bb.411:
	s_andn2_saveexec_b64 s[0:1], s[10:11]
	s_cbranch_execnz .LBB88_434
.LBB88_412:
	s_or_b64 exec, exec, s[0:1]
	s_and_saveexec_b64 s[0:1], s[12:13]
.LBB88_413:
	; divergent unreachable
.LBB88_414:
	s_endpgm
.LBB88_415:
	s_mov_b64 s[14:15], 0
	s_and_saveexec_b64 s[4:5], s[18:19]
	s_xor_b64 s[12:13], exec, s[4:5]
	s_cbranch_execz .LBB88_432
; %bb.416:
	s_mov_b64 s[18:19], 0
	s_and_saveexec_b64 s[4:5], s[20:21]
	s_xor_b64 s[14:15], exec, s[4:5]
	s_cbranch_execz .LBB88_430
; %bb.417:
	s_and_saveexec_b64 s[4:5], s[16:17]
	s_xor_b64 s[16:17], exec, s[4:5]
	s_cbranch_execz .LBB88_428
; %bb.418:
	s_and_saveexec_b64 s[4:5], s[2:3]
	s_xor_b64 s[2:3], exec, s[4:5]
; %bb.419:
	v_bfrev_b32_e32 v1, 1
	v_cmp_lt_i32_e32 vcc, -1, v4
	v_cndmask_b32_e64 v1, v1, -1, vcc
	v_xor_b32_e32 v3, v1, v4
; %bb.420:
	s_or_b64 exec, exec, s[2:3]
	s_mov_b64 s[2:3], exec
	v_readlane_b32 s4, v55, 22
	v_readlane_b32 s5, v55, 23
	;; [unrolled: 1-line block ×3, first 2 shown]
	s_and_b64 s[4:5], s[2:3], s[4:5]
	v_readlane_b32 s35, v55, 28
	v_readlane_b32 s20, v55, 60
	s_mov_b64 exec, s[4:5]
	s_cbranch_execz .LBB88_422
; %bb.421:
	v_mov_b32_e32 v1, 0
	ds_write_b32 v1, v1 offset:4108
.LBB88_422:
	s_or_b64 exec, exec, s[2:3]
	v_mov_b32_e32 v11, 0
	s_waitcnt lgkmcnt(0)
	s_barrier
	s_mov_b64 s[2:3], exec
	v_readlane_b32 s4, v55, 40
	v_readlane_b32 s5, v55, 41
	s_and_b64 s[4:5], s[2:3], s[4:5]
	s_mov_b64 exec, s[4:5]
	s_cbranch_execz .LBB88_424
; %bb.423:
	global_load_dword v11, v[8:9], off
.LBB88_424:
	s_or_b64 exec, exec, s[2:3]
	v_readlane_b32 s18, v55, 14
	v_readlane_b32 s19, v55, 15
	;; [unrolled: 1-line block ×3, first 2 shown]
	s_mul_i32 s2, s7, s19
	v_readlane_b32 s19, v55, 17
	s_mul_i32 s3, s19, s18
	s_add_i32 s42, s60, 63
	v_readlane_b32 s6, v55, 24
	s_sub_i32 s3, s7, s3
	s_andn2_b32 s42, s42, 63
	s_sub_i32 s2, s6, s2
	s_add_i32 s4, s19, 1
	s_sub_i32 s5, s3, s18
	s_cmp_ge_u32 s3, s18
	s_cselect_b32 s4, s4, s19
	s_cselect_b32 s3, s5, s3
	s_add_i32 s5, s4, 1
	s_cmp_ge_u32 s3, s18
	s_cselect_b32 s3, s5, s4
	v_readlane_b32 s24, v55, 6
	s_mul_i32 s4, s3, s18
	v_readlane_b32 s25, v55, 7
	v_readlane_b32 s26, v55, 8
	s_sub_i32 s4, s7, s4
	s_mul_i32 s2, s2, s26
	s_mul_i32 s4, s4, s25
	v_readlane_b32 s18, v55, 18
	s_add_i32 s2, s4, s2
	s_mul_i32 s3, s3, s24
	v_readlane_b32 s19, v55, 19
	v_readlane_b32 s21, v55, 20
	s_add_i32 s2, s2, s3
	s_mul_i32 s3, s21, s19
	s_sub_i32 s3, s6, s3
	v_readlane_b32 s4, v55, 0
	v_readlane_b32 s6, v55, 2
	;; [unrolled: 1-line block ×4, first 2 shown]
	s_mov_b32 s26, s6
	v_readlane_b32 s7, v55, 21
	s_mov_b64 s[24:25], s[4:5]
	s_mul_i32 s4, s7, s18
	s_sub_i32 s4, s21, s4
	s_add_i32 s5, s7, 1
	s_sub_i32 s6, s4, s18
	s_cmp_ge_u32 s4, s18
	s_cselect_b32 s5, s5, s7
	s_cselect_b32 s4, s6, s4
	s_add_i32 s6, s5, 1
	s_cmp_ge_u32 s4, s18
	s_cselect_b32 s4, s6, s5
	s_mul_i32 s5, s4, s18
	s_sub_i32 s5, s21, s5
	s_mul_i32 s3, s3, s26
	s_mul_i32 s5, s5, s25
	s_add_i32 s3, s5, s3
	s_mul_i32 s4, s4, s24
	s_add_i32 s4, s3, s4
	s_mov_b32 s3, 0
	s_lshl_b64 s[6:7], s[2:3], 2
	v_readlane_b32 s18, v55, 10
	v_readlane_b32 s19, v55, 11
	s_add_u32 s43, s18, s6
	s_mov_b32 s5, s3
	s_addc_u32 s44, s19, s7
	s_lshl_b64 s[2:3], s[4:5], 3
	v_readlane_b32 s4, v55, 4
	v_readlane_b32 s5, v55, 5
	s_add_u32 s45, s4, s2
	s_addc_u32 s46, s5, s3
	v_readlane_b32 s2, v55, 12
	v_readlane_b32 s3, v55, 13
	s_load_dword s47, s[2:3], 0x1c8
	s_load_dword s48, s[2:3], 0x2a8
	v_bfrev_b32_e32 v1, 1
	v_cmp_lt_i32_e32 vcc, -1, v3
	v_cndmask_b32_e32 v2, -1, v1, vcc
	v_xor_b32_e32 v2, v2, v3
	v_cmp_o_f32_e32 vcc, v3, v3
	v_add_u32_e32 v3, s9, v0
	v_cndmask_b32_e32 v12, -1, v2, vcc
	v_cmp_gt_u32_e32 vcc, s42, v0
	s_mov_b64 s[18:19], -1
	s_mov_b64 s[2:3], 0
	v_mul_lo_u32 v2, s20, v3
	s_mov_b64 s[4:5], 0
	v_readlane_b32 s27, v55, 9
	s_and_saveexec_b64 s[30:31], vcc
	s_cbranch_execnz .LBB88_435
; %bb.425:
	s_or_b64 exec, exec, s[30:31]
	s_and_saveexec_b64 s[40:41], s[18:19]
	s_cbranch_execnz .LBB88_452
.LBB88_426:
	s_or_b64 exec, exec, s[40:41]
	s_and_saveexec_b64 s[0:1], s[4:5]
	s_xor_b64 s[0:1], exec, s[0:1]
	s_cbranch_execnz .LBB88_474
.LBB88_427:
	s_or_b64 exec, exec, s[0:1]
	s_and_b64 s[18:19], s[2:3], exec
.LBB88_428:
	s_andn2_saveexec_b64 s[0:1], s[16:17]
	s_cbranch_execnz .LBB88_477
.LBB88_429:
	s_or_b64 exec, exec, s[0:1]
	s_and_b64 s[18:19], s[18:19], exec
.LBB88_430:
	s_andn2_saveexec_b64 s[0:1], s[14:15]
	s_cbranch_execnz .LBB88_476
.LBB88_431:
	s_or_b64 exec, exec, s[0:1]
	s_and_b64 s[14:15], s[18:19], exec
.LBB88_432:
	s_andn2_saveexec_b64 s[0:1], s[12:13]
	s_cbranch_execnz .LBB88_475
.LBB88_433:
	s_or_b64 exec, exec, s[0:1]
	s_and_b64 s[12:13], s[14:15], exec
	s_andn2_saveexec_b64 s[0:1], s[10:11]
	s_cbranch_execz .LBB88_412
.LBB88_434:
	s_or_b64 s[12:13], s[12:13], exec
	s_trap 2
	s_or_b64 exec, exec, s[0:1]
	s_and_saveexec_b64 s[0:1], s[12:13]
	s_cbranch_execnz .LBB88_413
	s_branch .LBB88_414
.LBB88_435:
	v_mul_lo_u32 v4, s20, v3
	s_mov_b64 s[18:19], 0
	v_mov_b32_e32 v5, 0
	v_mov_b32_e32 v10, v0
                                        ; implicit-def: $sgpr20_sgpr21
                                        ; implicit-def: $vgpr14
	s_branch .LBB88_437
.LBB88_436:                             ;   in Loop: Header=BB88_437 Depth=1
	s_or_b64 exec, exec, s[22:23]
	s_xor_b64 s[6:7], s[26:27], -1
	s_and_b64 s[4:5], exec, s[4:5]
	s_or_b64 s[18:19], s[4:5], s[18:19]
	s_andn2_b64 s[4:5], s[20:21], exec
	s_and_b64 s[6:7], s[6:7], exec
	s_or_b64 s[20:21], s[4:5], s[6:7]
	s_waitcnt vmcnt(0)
	v_mov_b32_e32 v11, v15
	v_mov_b32_e32 v10, v3
	s_andn2_b64 exec, exec, s[18:19]
	s_cbranch_execz .LBB88_451
.LBB88_437:                             ; =>This Inner Loop Header: Depth=1
	v_add_u32_e32 v3, s9, v10
	v_cmp_gt_u32_e32 vcc, s60, v3
	v_mov_b32_e32 v15, 0
	s_and_saveexec_b64 s[4:5], vcc
	s_cbranch_execz .LBB88_439
; %bb.438:                              ;   in Loop: Header=BB88_437 Depth=1
	s_waitcnt vmcnt(0)
	v_lshlrev_b64 v[16:17], 2, v[4:5]
	v_mov_b32_e32 v15, s8
	v_add_co_u32_e32 v16, vcc, s33, v16
	v_addc_co_u32_e32 v17, vcc, v15, v17, vcc
	global_load_dword v15, v[16:17], off
.LBB88_439:                             ;   in Loop: Header=BB88_437 Depth=1
	s_or_b64 exec, exec, s[4:5]
	v_cmp_gt_u32_e32 vcc, s60, v10
	s_mov_b64 s[22:23], 0
	s_and_saveexec_b64 s[4:5], vcc
	s_cbranch_execz .LBB88_441
; %bb.440:                              ;   in Loop: Header=BB88_437 Depth=1
	s_waitcnt vmcnt(0)
	v_cmp_lt_i32_e32 vcc, -1, v11
	v_cndmask_b32_e32 v16, -1, v1, vcc
	v_xor_b32_e32 v16, v16, v11
	v_cmp_o_f32_e32 vcc, v11, v11
	v_cndmask_b32_e32 v16, -1, v16, vcc
	v_cmp_gt_u32_e32 vcc, v16, v12
	v_cndmask_b32_e64 v17, 0, 1, vcc
	v_cmp_lt_u32_e32 vcc, v16, v12
	v_cndmask_b32_e64 v16, 0, 1, vcc
	v_cndmask_b32_e64 v16, v16, v17, s[34:35]
	v_and_b32_e32 v16, 1, v16
	v_cmp_eq_u32_e32 vcc, 1, v16
	s_and_b64 s[22:23], vcc, exec
.LBB88_441:                             ;   in Loop: Header=BB88_437 Depth=1
	s_or_b64 exec, exec, s[4:5]
	v_cndmask_b32_e64 v16, 0, 1, s[22:23]
	v_cmp_ne_u32_e32 vcc, 0, v16
	s_cmp_lg_u64 vcc, 0
	s_cselect_b64 s[4:5], -1, 0
	s_and_b64 s[4:5], s[0:1], s[4:5]
	s_and_saveexec_b64 s[24:25], s[4:5]
	s_cbranch_execz .LBB88_445
; %bb.442:                              ;   in Loop: Header=BB88_437 Depth=1
	s_mov_b64 s[28:29], exec
	s_waitcnt lgkmcnt(0)
	v_mbcnt_lo_u32_b32 v14, s28, 0
	v_mbcnt_hi_u32_b32 v14, s29, v14
	s_bcnt1_i32_b64 s6, vcc
	v_cmp_eq_u32_e64 s[4:5], 0, v14
                                        ; implicit-def: $vgpr16
	s_and_saveexec_b64 s[26:27], s[4:5]
	s_cbranch_execz .LBB88_444
; %bb.443:                              ;   in Loop: Header=BB88_437 Depth=1
	s_bcnt1_i32_b64 s4, s[28:29]
	s_mul_i32 s4, s6, s4
	v_mov_b32_e32 v16, s4
	ds_add_rtn_u32 v16, v5, v16 offset:4108
.LBB88_444:                             ;   in Loop: Header=BB88_437 Depth=1
	s_or_b64 exec, exec, s[26:27]
	s_waitcnt lgkmcnt(0)
	v_readfirstlane_b32 s4, v16
	v_mov_b32_e32 v16, s4
	v_mad_u32_u24 v14, s6, v14, v16
.LBB88_445:                             ;   in Loop: Header=BB88_437 Depth=1
	s_or_b64 exec, exec, s[24:25]
	s_waitcnt lgkmcnt(0)
	ds_bpermute_b32 v14, v13, v14
	s_mov_b64 s[4:5], -1
	s_mov_b64 s[28:29], -1
                                        ; implicit-def: $sgpr26_sgpr27
	s_and_saveexec_b64 s[24:25], s[22:23]
	s_cbranch_execz .LBB88_449
; %bb.446:                              ;   in Loop: Header=BB88_437 Depth=1
	s_waitcnt vmcnt(0)
	v_and_b32_e32 v17, vcc_lo, v6
	v_and_b32_e32 v16, vcc_hi, v7
	v_bcnt_u32_b32 v17, v17, 0
	v_bcnt_u32_b32 v16, v16, v17
	s_waitcnt lgkmcnt(0)
	v_add_u32_e32 v16, v14, v16
	v_cmp_gt_u32_e32 vcc, s61, v16
	s_mov_b64 s[22:23], 0
	s_and_saveexec_b64 s[26:27], vcc
	s_cbranch_execz .LBB88_448
; %bb.447:                              ;   in Loop: Header=BB88_437 Depth=1
	v_mul_lo_u32 v18, v16, s47
	v_mov_b32_e32 v19, v5
	v_lshlrev_b64 v[18:19], 2, v[18:19]
	v_mov_b32_e32 v17, s44
	v_add_co_u32_e32 v18, vcc, s43, v18
	v_mul_lo_u32 v16, v16, s48
	v_addc_co_u32_e32 v19, vcc, v17, v19, vcc
	v_mov_b32_e32 v17, v5
	v_lshlrev_b64 v[16:17], 3, v[16:17]
	global_store_dword v[18:19], v11, off
	v_mov_b32_e32 v18, s46
	v_add_co_u32_e32 v16, vcc, s45, v16
	s_mov_b64 s[22:23], exec
	v_mov_b32_e32 v11, v5
	v_addc_co_u32_e32 v17, vcc, v18, v17, vcc
	global_store_dwordx2 v[16:17], v[10:11], off
.LBB88_448:                             ;   in Loop: Header=BB88_437 Depth=1
	s_or_b64 exec, exec, s[26:27]
	s_mov_b64 s[26:27], -1
	s_orn2_b64 s[28:29], s[22:23], exec
.LBB88_449:                             ;   in Loop: Header=BB88_437 Depth=1
	s_or_b64 exec, exec, s[24:25]
	s_and_saveexec_b64 s[22:23], s[28:29]
	s_cbranch_execz .LBB88_436
; %bb.450:                              ;   in Loop: Header=BB88_437 Depth=1
	v_cmp_le_u32_e32 vcc, s42, v3
	v_add_u32_e32 v4, s84, v4
	s_andn2_b64 s[26:27], s[26:27], exec
	s_orn2_b64 s[4:5], vcc, exec
	s_branch .LBB88_436
.LBB88_451:
	s_or_b64 exec, exec, s[18:19]
	s_mov_b64 s[4:5], exec
	s_orn2_b64 s[18:19], s[20:21], exec
	s_or_b64 exec, exec, s[30:31]
	s_and_saveexec_b64 s[40:41], s[18:19]
	s_cbranch_execz .LBB88_426
.LBB88_452:
	v_mov_b32_e32 v3, 0
	v_mov_b32_e32 v1, 0
	s_waitcnt lgkmcnt(0)
	s_barrier
	s_mov_b64 s[2:3], exec
	v_readlane_b32 s6, v55, 40
	v_readlane_b32 s7, v55, 41
	s_and_b64 s[6:7], s[2:3], s[6:7]
	s_mov_b64 exec, s[6:7]
	s_cbranch_execz .LBB88_454
; %bb.453:
	global_load_dword v1, v[8:9], off
.LBB88_454:
	s_or_b64 exec, exec, s[2:3]
	s_mov_b64 s[6:7], 0
	v_bfrev_b32_e32 v4, 1
                                        ; implicit-def: $sgpr18_sgpr19
                                        ; implicit-def: $sgpr20_sgpr21
                                        ; implicit-def: $sgpr22_sgpr23
                                        ; implicit-def: $vgpr5
	s_branch .LBB88_457
.LBB88_455:                             ;   in Loop: Header=BB88_457 Depth=1
	s_or_b64 exec, exec, s[28:29]
	s_andn2_b64 s[2:3], s[22:23], exec
	s_and_b64 s[22:23], s[34:35], exec
	s_or_b64 s[22:23], s[2:3], s[22:23]
	s_andn2_b64 s[2:3], s[20:21], exec
	s_and_b64 s[20:21], s[26:27], exec
	s_or_b64 s[20:21], s[2:3], s[20:21]
	v_mov_b32_e32 v0, v8
	v_mov_b32_e32 v1, v10
.LBB88_456:                             ;   in Loop: Header=BB88_457 Depth=1
	s_or_b64 exec, exec, s[24:25]
	s_xor_b64 s[2:3], s[22:23], -1
	s_and_b64 s[24:25], exec, s[20:21]
	s_or_b64 s[6:7], s[24:25], s[6:7]
	s_andn2_b64 s[18:19], s[18:19], exec
	s_and_b64 s[2:3], s[2:3], exec
	s_or_b64 s[18:19], s[18:19], s[2:3]
	s_andn2_b64 exec, exec, s[6:7]
	s_cbranch_execz .LBB88_472
.LBB88_457:                             ; =>This Inner Loop Header: Depth=1
	v_cmp_gt_u32_e32 vcc, s42, v0
	s_or_b64 s[22:23], s[22:23], exec
	s_or_b64 s[20:21], s[20:21], exec
	s_and_saveexec_b64 s[24:25], vcc
	s_cbranch_execz .LBB88_456
; %bb.458:                              ;   in Loop: Header=BB88_457 Depth=1
	v_add_u32_e32 v8, s9, v0
	v_cmp_gt_u32_e32 vcc, s60, v8
	v_mov_b32_e32 v9, 0
	s_and_saveexec_b64 s[2:3], vcc
	s_cbranch_execz .LBB88_460
; %bb.459:                              ;   in Loop: Header=BB88_457 Depth=1
	s_waitcnt vmcnt(0)
	v_lshlrev_b64 v[10:11], 2, v[2:3]
	v_mov_b32_e32 v9, s8
	v_add_co_u32_e32 v10, vcc, s33, v10
	v_addc_co_u32_e32 v11, vcc, v9, v11, vcc
	global_load_dword v9, v[10:11], off
.LBB88_460:                             ;   in Loop: Header=BB88_457 Depth=1
	s_or_b64 exec, exec, s[2:3]
	s_waitcnt vmcnt(0)
	v_cmp_lt_i32_e64 s[2:3], -1, v1
	v_cndmask_b32_e64 v10, -1, v4, s[2:3]
	v_xor_b32_e32 v10, v10, v1
	v_cmp_o_f32_e64 s[2:3], v1, v1
	v_cndmask_b32_e64 v10, -1, v10, s[2:3]
	v_cmp_gt_u32_e32 vcc, s60, v0
	v_cmp_eq_u32_e64 s[2:3], v10, v12
	s_and_b64 s[28:29], vcc, s[2:3]
	v_cndmask_b32_e64 v10, 0, 1, s[28:29]
	v_cmp_ne_u32_e32 vcc, 0, v10
	s_cmp_lg_u64 vcc, 0
	s_cselect_b64 s[2:3], -1, 0
	s_and_b64 s[2:3], s[0:1], s[2:3]
	s_and_saveexec_b64 s[26:27], s[2:3]
	s_cbranch_execz .LBB88_464
; %bb.461:                              ;   in Loop: Header=BB88_457 Depth=1
	s_mov_b64 s[34:35], exec
	v_mbcnt_lo_u32_b32 v5, s34, 0
	v_mbcnt_hi_u32_b32 v5, s35, v5
	s_bcnt1_i32_b64 s36, vcc
	v_cmp_eq_u32_e64 s[2:3], 0, v5
                                        ; implicit-def: $vgpr10
	s_and_saveexec_b64 s[30:31], s[2:3]
	s_cbranch_execz .LBB88_463
; %bb.462:                              ;   in Loop: Header=BB88_457 Depth=1
	s_bcnt1_i32_b64 s2, s[34:35]
	s_mul_i32 s2, s36, s2
	v_mov_b32_e32 v10, s2
	ds_add_rtn_u32 v10, v3, v10 offset:4108
.LBB88_463:                             ;   in Loop: Header=BB88_457 Depth=1
	s_or_b64 exec, exec, s[30:31]
	s_waitcnt lgkmcnt(0)
	v_readfirstlane_b32 s2, v10
	v_mov_b32_e32 v10, s2
	v_mad_u32_u24 v5, s36, v5, v10
.LBB88_464:                             ;   in Loop: Header=BB88_457 Depth=1
	s_or_b64 exec, exec, s[26:27]
	ds_bpermute_b32 v5, v13, v5
	s_cmp_eq_u64 vcc, 0
	s_cselect_b64 s[30:31], -1, 0
	s_mov_b64 s[26:27], -1
	s_mov_b64 s[34:35], -1
	s_waitcnt lgkmcnt(0)
	v_cmp_gt_u32_e64 s[2:3], s61, v5
	s_or_b64 s[2:3], s[30:31], s[2:3]
	v_cndmask_b32_e64 v10, v1, v9, s[2:3]
	s_and_b64 s[36:37], s[28:29], s[2:3]
	s_mov_b64 s[30:31], -1
	s_and_saveexec_b64 s[28:29], s[36:37]
	s_cbranch_execz .LBB88_470
; %bb.465:                              ;   in Loop: Header=BB88_457 Depth=1
	v_and_b32_e32 v11, vcc_lo, v6
	v_and_b32_e32 v10, vcc_hi, v7
	v_bcnt_u32_b32 v11, v11, 0
	v_bcnt_u32_b32 v10, v10, v11
	v_sub_u32_e32 v11, s61, v5
	v_cmp_le_u32_e64 s[30:31], v11, v10
	v_cmp_gt_u32_e32 vcc, v11, v10
	s_mov_b64 s[36:37], -1
	s_and_saveexec_b64 s[34:35], vcc
	s_cbranch_execz .LBB88_469
; %bb.466:                              ;   in Loop: Header=BB88_457 Depth=1
	v_add_u32_e32 v10, v5, v10
	v_cmp_gt_u32_e32 vcc, s61, v10
	s_mov_b64 s[38:39], s[30:31]
	s_and_saveexec_b64 s[36:37], vcc
	s_cbranch_execz .LBB88_468
; %bb.467:                              ;   in Loop: Header=BB88_457 Depth=1
	v_mul_lo_u32 v14, v10, s47
	v_mov_b32_e32 v15, v3
	v_lshlrev_b64 v[14:15], 2, v[14:15]
	v_mov_b32_e32 v11, s44
	v_add_co_u32_e32 v14, vcc, s43, v14
	v_mul_lo_u32 v10, v10, s48
	v_addc_co_u32_e32 v15, vcc, v11, v15, vcc
	v_mov_b32_e32 v11, v3
	v_lshlrev_b64 v[10:11], 3, v[10:11]
	global_store_dword v[14:15], v1, off
	v_mov_b32_e32 v14, s46
	v_add_co_u32_e32 v10, vcc, s45, v10
	v_mov_b32_e32 v1, v3
	v_addc_co_u32_e32 v11, vcc, v14, v11, vcc
	s_or_b64 s[38:39], s[30:31], exec
	global_store_dwordx2 v[10:11], v[0:1], off
.LBB88_468:                             ;   in Loop: Header=BB88_457 Depth=1
	s_or_b64 exec, exec, s[36:37]
	s_andn2_b64 s[30:31], s[30:31], exec
	s_and_b64 s[38:39], s[38:39], exec
	s_xor_b64 s[36:37], exec, -1
	s_or_b64 s[30:31], s[30:31], s[38:39]
.LBB88_469:                             ;   in Loop: Header=BB88_457 Depth=1
	s_or_b64 exec, exec, s[34:35]
	s_orn2_b64 s[34:35], s[36:37], exec
	s_or_b64 s[2:3], s[2:3], exec
	s_orn2_b64 s[30:31], s[30:31], exec
	v_mov_b32_e32 v10, v9
.LBB88_470:                             ;   in Loop: Header=BB88_457 Depth=1
	s_or_b64 exec, exec, s[28:29]
	s_and_saveexec_b64 s[28:29], s[30:31]
	s_cbranch_execz .LBB88_455
; %bb.471:                              ;   in Loop: Header=BB88_457 Depth=1
	s_xor_b64 s[2:3], s[2:3], -1
	v_add_u32_e32 v2, s84, v2
	s_or_b64 s[34:35], s[34:35], exec
	s_orn2_b64 s[26:27], s[2:3], exec
	s_branch .LBB88_455
.LBB88_472:
	s_or_b64 exec, exec, s[6:7]
	s_mov_b64 s[0:1], 0
	s_and_saveexec_b64 s[2:3], s[18:19]
	s_xor_b64 s[2:3], exec, s[2:3]
	s_cbranch_execnz .LBB88_478
.LBB88_473:
	s_or_b64 exec, exec, s[2:3]
	s_and_b64 s[2:3], s[0:1], exec
	s_andn2_b64 s[4:5], s[4:5], exec
	s_or_b64 exec, exec, s[40:41]
	s_and_saveexec_b64 s[0:1], s[4:5]
	s_xor_b64 s[0:1], exec, s[0:1]
	s_cbranch_execz .LBB88_427
.LBB88_474:
	s_or_b64 s[2:3], s[2:3], exec
	s_trap 2
	s_branch .LBB88_427
.LBB88_475:
	s_or_b64 s[14:15], s[14:15], exec
	s_trap 2
	s_branch .LBB88_433
.LBB88_476:
	s_or_b64 s[18:19], s[18:19], exec
	s_trap 2
	s_branch .LBB88_431
.LBB88_477:
	s_trap 2
	s_or_b64 s[18:19], s[18:19], exec
	s_branch .LBB88_429
.LBB88_478:
	s_mov_b64 s[0:1], exec
	s_trap 2
	s_branch .LBB88_473
	.section	.rodata,"a",@progbits
	.p2align	6, 0x0
	.amdhsa_kernel _ZN2at6native6sbtopk10gatherTopKIfjLi3ELb0EEEvNS_4cuda6detail10TensorInfoIKT_T0_EES8_S8_bS8_S8_NS5_IS6_S8_EES8_NS5_IlS8_EES8_PS6_
		.amdhsa_group_segment_fixed_size 4112
		.amdhsa_private_segment_fixed_size 0
		.amdhsa_kernarg_size 952
		.amdhsa_user_sgpr_count 6
		.amdhsa_user_sgpr_private_segment_buffer 1
		.amdhsa_user_sgpr_dispatch_ptr 0
		.amdhsa_user_sgpr_queue_ptr 0
		.amdhsa_user_sgpr_kernarg_segment_ptr 1
		.amdhsa_user_sgpr_dispatch_id 0
		.amdhsa_user_sgpr_flat_scratch_init 0
		.amdhsa_user_sgpr_kernarg_preload_length 0
		.amdhsa_user_sgpr_kernarg_preload_offset 0
		.amdhsa_user_sgpr_private_segment_size 0
		.amdhsa_uses_dynamic_stack 0
		.amdhsa_system_sgpr_private_segment_wavefront_offset 0
		.amdhsa_system_sgpr_workgroup_id_x 1
		.amdhsa_system_sgpr_workgroup_id_y 1
		.amdhsa_system_sgpr_workgroup_id_z 1
		.amdhsa_system_sgpr_workgroup_info 0
		.amdhsa_system_vgpr_workitem_id 0
		.amdhsa_next_free_vgpr 56
		.amdhsa_next_free_sgpr 96
		.amdhsa_accum_offset 56
		.amdhsa_reserve_vcc 1
		.amdhsa_reserve_flat_scratch 0
		.amdhsa_float_round_mode_32 0
		.amdhsa_float_round_mode_16_64 0
		.amdhsa_float_denorm_mode_32 3
		.amdhsa_float_denorm_mode_16_64 3
		.amdhsa_dx10_clamp 1
		.amdhsa_ieee_mode 1
		.amdhsa_fp16_overflow 0
		.amdhsa_tg_split 0
		.amdhsa_exception_fp_ieee_invalid_op 0
		.amdhsa_exception_fp_denorm_src 0
		.amdhsa_exception_fp_ieee_div_zero 0
		.amdhsa_exception_fp_ieee_overflow 0
		.amdhsa_exception_fp_ieee_underflow 0
		.amdhsa_exception_fp_ieee_inexact 0
		.amdhsa_exception_int_div_zero 0
	.end_amdhsa_kernel
	.section	.text._ZN2at6native6sbtopk10gatherTopKIfjLi3ELb0EEEvNS_4cuda6detail10TensorInfoIKT_T0_EES8_S8_bS8_S8_NS5_IS6_S8_EES8_NS5_IlS8_EES8_PS6_,"axG",@progbits,_ZN2at6native6sbtopk10gatherTopKIfjLi3ELb0EEEvNS_4cuda6detail10TensorInfoIKT_T0_EES8_S8_bS8_S8_NS5_IS6_S8_EES8_NS5_IlS8_EES8_PS6_,comdat
.Lfunc_end88:
	.size	_ZN2at6native6sbtopk10gatherTopKIfjLi3ELb0EEEvNS_4cuda6detail10TensorInfoIKT_T0_EES8_S8_bS8_S8_NS5_IS6_S8_EES8_NS5_IlS8_EES8_PS6_, .Lfunc_end88-_ZN2at6native6sbtopk10gatherTopKIfjLi3ELb0EEEvNS_4cuda6detail10TensorInfoIKT_T0_EES8_S8_bS8_S8_NS5_IS6_S8_EES8_NS5_IlS8_EES8_PS6_
                                        ; -- End function
	.section	.AMDGPU.csdata,"",@progbits
; Kernel info:
; codeLenInByte = 16936
; NumSgprs: 100
; NumVgprs: 56
; NumAgprs: 0
; TotalNumVgprs: 56
; ScratchSize: 0
; MemoryBound: 0
; FloatMode: 240
; IeeeMode: 1
; LDSByteSize: 4112 bytes/workgroup (compile time only)
; SGPRBlocks: 12
; VGPRBlocks: 6
; NumSGPRsForWavesPerEU: 100
; NumVGPRsForWavesPerEU: 56
; AccumOffset: 56
; Occupancy: 8
; WaveLimiterHint : 1
; COMPUTE_PGM_RSRC2:SCRATCH_EN: 0
; COMPUTE_PGM_RSRC2:USER_SGPR: 6
; COMPUTE_PGM_RSRC2:TRAP_HANDLER: 0
; COMPUTE_PGM_RSRC2:TGID_X_EN: 1
; COMPUTE_PGM_RSRC2:TGID_Y_EN: 1
; COMPUTE_PGM_RSRC2:TGID_Z_EN: 1
; COMPUTE_PGM_RSRC2:TIDIG_COMP_CNT: 0
; COMPUTE_PGM_RSRC3_GFX90A:ACCUM_OFFSET: 13
; COMPUTE_PGM_RSRC3_GFX90A:TG_SPLIT: 0
	.section	.text._ZN2at6native6mbtopk23computeBlockDigitCountsIfjjLin1EEEvNS_4cuda6detail10TensorInfoIKT_T0_EEjPjjS8_iijT1_PSB_Ps,"axG",@progbits,_ZN2at6native6mbtopk23computeBlockDigitCountsIfjjLin1EEEvNS_4cuda6detail10TensorInfoIKT_T0_EEjPjjS8_iijT1_PSB_Ps,comdat
	.protected	_ZN2at6native6mbtopk23computeBlockDigitCountsIfjjLin1EEEvNS_4cuda6detail10TensorInfoIKT_T0_EEjPjjS8_iijT1_PSB_Ps ; -- Begin function _ZN2at6native6mbtopk23computeBlockDigitCountsIfjjLin1EEEvNS_4cuda6detail10TensorInfoIKT_T0_EEjPjjS8_iijT1_PSB_Ps
	.globl	_ZN2at6native6mbtopk23computeBlockDigitCountsIfjjLin1EEEvNS_4cuda6detail10TensorInfoIKT_T0_EEjPjjS8_iijT1_PSB_Ps
	.p2align	8
	.type	_ZN2at6native6mbtopk23computeBlockDigitCountsIfjjLin1EEEvNS_4cuda6detail10TensorInfoIKT_T0_EEjPjjS8_iijT1_PSB_Ps,@function
_ZN2at6native6mbtopk23computeBlockDigitCountsIfjjLin1EEEvNS_4cuda6detail10TensorInfoIKT_T0_EEjPjjS8_iijT1_PSB_Ps: ; @_ZN2at6native6mbtopk23computeBlockDigitCountsIfjjLin1EEEvNS_4cuda6detail10TensorInfoIKT_T0_EEjPjjS8_iijT1_PSB_Ps
; %bb.0:
	s_load_dwordx2 s[10:11], s[4:5], 0xf8
	s_load_dwordx4 s[12:15], s[4:5], 0xe8
	s_load_dwordx2 s[0:1], s[4:5], 0x110
	s_mov_b32 s9, 0
	s_waitcnt lgkmcnt(0)
	v_cvt_f32_u32_e32 v1, s10
	s_sub_i32 s2, 0, s10
	s_mul_i32 s1, s1, s8
	s_add_i32 s1, s1, s7
	v_rcp_iflag_f32_e32 v1, v1
	s_mul_i32 s16, s1, s0
	s_add_i32 s16, s16, s6
	v_mul_f32_e32 v1, 0x4f7ffffe, v1
	v_cvt_u32_f32_e32 v1, v1
	v_readfirstlane_b32 s0, v1
	s_mul_i32 s2, s2, s0
	s_mul_hi_u32 s1, s0, s2
	s_add_i32 s0, s0, s1
	s_mul_hi_u32 s0, s16, s0
	s_mul_i32 s1, s0, s10
	s_sub_i32 s1, s16, s1
	s_add_i32 s2, s0, 1
	s_sub_i32 s3, s1, s10
	s_cmp_ge_u32 s1, s10
	s_cselect_b32 s0, s2, s0
	s_cselect_b32 s1, s3, s1
	s_add_i32 s2, s0, 1
	s_cmp_ge_u32 s1, s10
	s_cselect_b32 s8, s2, s0
	s_cmp_ge_u32 s8, s12
	s_cbranch_scc1 .LBB89_32
; %bb.1:
	s_load_dwordx4 s[0:3], s[4:5], 0x100
	s_load_dword s6, s[4:5], 0xd0
	s_lshl_b64 s[18:19], s[8:9], 2
	s_waitcnt lgkmcnt(0)
	s_add_u32 s0, s0, s18
	s_addc_u32 s1, s1, s19
	s_cmp_lt_i32 s6, 2
	s_mov_b32 s19, s8
	s_cbranch_scc1 .LBB89_4
; %bb.2:
	s_add_i32 s20, s6, -1
	s_mov_b32 s21, 0
	s_add_i32 s12, s6, 1
	s_lshl_b64 s[6:7], s[20:21], 2
	s_add_u32 s6, s6, s4
	s_addc_u32 s7, s7, s5
	s_add_u32 s6, s6, 8
	s_addc_u32 s7, s7, 0
	s_mov_b32 s19, s8
	s_mov_b32 s9, s21
.LBB89_3:                               ; =>This Inner Loop Header: Depth=1
	s_load_dword s17, s[6:7], 0x0
	s_load_dword s20, s[6:7], 0x64
	s_mov_b32 s18, s19
	s_waitcnt lgkmcnt(0)
	v_cvt_f32_u32_e32 v1, s17
	s_sub_i32 s19, 0, s17
	v_rcp_iflag_f32_e32 v1, v1
	v_mul_f32_e32 v1, 0x4f7ffffe, v1
	v_cvt_u32_f32_e32 v1, v1
	v_readfirstlane_b32 s21, v1
	s_mul_i32 s19, s19, s21
	s_mul_hi_u32 s19, s21, s19
	s_add_i32 s21, s21, s19
	s_mul_hi_u32 s19, s18, s21
	s_mul_i32 s21, s19, s17
	s_sub_i32 s21, s18, s21
	s_add_i32 s22, s19, 1
	s_sub_i32 s23, s21, s17
	s_cmp_ge_u32 s21, s17
	s_cselect_b32 s19, s22, s19
	s_cselect_b32 s21, s23, s21
	s_add_i32 s22, s19, 1
	s_cmp_ge_u32 s21, s17
	s_cselect_b32 s19, s22, s19
	s_mul_i32 s17, s19, s17
	s_sub_i32 s17, s18, s17
	s_mul_i32 s17, s20, s17
	s_add_i32 s12, s12, -1
	s_add_i32 s9, s17, s9
	s_add_u32 s6, s6, -4
	s_addc_u32 s7, s7, -1
	s_cmp_gt_u32 s12, 2
	s_cbranch_scc1 .LBB89_3
.LBB89_4:
	s_load_dword s12, s[0:1], 0x0
	s_movk_i32 s0, 0x100
	v_cmp_gt_u32_e32 vcc, s0, v0
	v_lshlrev_b32_e32 v1, 2, v0
	s_and_saveexec_b64 s[0:1], vcc
	s_cbranch_execz .LBB89_6
; %bb.5:
	v_mov_b32_e32 v2, 0
	ds_write_b32 v1, v2
.LBB89_6:
	s_or_b64 exec, exec, s[0:1]
	s_load_dword s17, s[4:5], 0xd8
	s_mul_i32 s0, s8, s10
	s_sub_i32 s0, s16, s0
	s_add_i32 s1, s0, 1
	s_mul_i32 s0, s15, s0
	s_lshl_b32 s18, s0, 8
	s_waitcnt lgkmcnt(0)
	s_sub_i32 s0, s17, s18
	s_add_u32 s0, s0, 0xff
	s_addc_u32 s6, 0, 0
	v_mov_b32_e32 v2, s0
	v_alignbit_b32 v2, s6, v2, 8
	s_cmp_lt_u32 s1, s10
	v_readfirstlane_b32 s0, v2
	s_cselect_b32 s10, s15, s0
	s_cmp_lt_i32 s10, 1
	s_mov_b32 s7, 0
	s_barrier
	s_cbranch_scc1 .LBB89_28
; %bb.7:
	s_load_dword s6, s[4:5], 0x6c
	s_load_dwordx2 s[0:1], s[4:5], 0x0
	s_waitcnt lgkmcnt(0)
	s_mul_i32 s4, s6, s19
	s_add_i32 s6, s4, s9
	s_lshl_b64 s[4:5], s[6:7], 2
	s_add_u32 s6, s0, s4
	s_addc_u32 s8, s1, s5
	s_and_b32 s9, s14, 0xff
	s_cmp_lt_u32 s10, 4
	s_cbranch_scc1 .LBB89_22
; %bb.8:
	v_add_u32_e32 v2, s18, v0
	v_add_u32_e32 v3, 0x200, v2
	v_add_u32_e32 v4, 0x300, v2
	v_mul_lo_u32 v6, s13, v3
	v_add_u32_e32 v3, 0x100, v2
	s_and_b32 s7, s10, 0x7ffffffc
	v_mul_lo_u32 v5, s13, v4
	s_lshl_b32 s14, s13, 10
	v_mul_lo_u32 v7, s13, v3
	v_mul_lo_u32 v8, s13, v2
	s_mov_b32 s15, 0
	v_mov_b32_e32 v3, 0
	v_mov_b32_e32 v9, 1
	v_bfrev_b32_e32 v10, 1
	s_mov_b32 s19, 0
	s_branch .LBB89_10
.LBB89_9:                               ;   in Loop: Header=BB89_10 Depth=1
	s_or_b64 exec, exec, s[4:5]
	s_add_i32 s19, s19, 4
	s_add_i32 s15, s15, s14
	s_cmp_eq_u32 s7, s19
	v_add_u32_e32 v4, 0x400, v4
	s_cbranch_scc1 .LBB89_22
.LBB89_10:                              ; =>This Inner Loop Header: Depth=1
	v_add_u32_e32 v2, 0xfffffd00, v4
	v_cmp_gt_u32_e64 s[0:1], s17, v2
	s_and_saveexec_b64 s[4:5], s[0:1]
	s_cbranch_execz .LBB89_13
; %bb.11:                               ;   in Loop: Header=BB89_10 Depth=1
	v_add_u32_e32 v2, s15, v8
	v_lshlrev_b64 v[12:13], 2, v[2:3]
	v_mov_b32_e32 v2, s8
	v_add_co_u32_e64 v12, s[0:1], s6, v12
	v_addc_co_u32_e64 v13, s[0:1], v2, v13, s[0:1]
	global_load_dword v2, v[12:13], off
	s_waitcnt vmcnt(0)
	v_cmp_lt_i32_e64 s[0:1], -1, v2
	v_cndmask_b32_e64 v11, -1, v10, s[0:1]
	v_xor_b32_e32 v11, v11, v2
	v_cmp_o_f32_e64 s[0:1], v2, v2
	v_cndmask_b32_e64 v2, -1, v11, s[0:1]
	v_xor_b32_e32 v11, s12, v2
	v_and_b32_e32 v11, s11, v11
	v_cmp_eq_u32_e64 s[0:1], 0, v11
	s_and_b64 exec, exec, s[0:1]
	s_cbranch_execz .LBB89_13
; %bb.12:                               ;   in Loop: Header=BB89_10 Depth=1
	v_bfe_u32 v2, v2, s9, 8
	v_lshlrev_b32_e32 v2, 2, v2
	ds_add_u32 v2, v9
.LBB89_13:                              ;   in Loop: Header=BB89_10 Depth=1
	s_or_b64 exec, exec, s[4:5]
	v_add_u32_e32 v2, 0xfffffe00, v4
	v_cmp_gt_u32_e64 s[0:1], s17, v2
	s_and_saveexec_b64 s[4:5], s[0:1]
	s_cbranch_execz .LBB89_16
; %bb.14:                               ;   in Loop: Header=BB89_10 Depth=1
	v_add_u32_e32 v2, s15, v7
	v_lshlrev_b64 v[12:13], 2, v[2:3]
	v_mov_b32_e32 v2, s8
	v_add_co_u32_e64 v12, s[0:1], s6, v12
	v_addc_co_u32_e64 v13, s[0:1], v2, v13, s[0:1]
	global_load_dword v2, v[12:13], off
	s_waitcnt vmcnt(0)
	v_cmp_lt_i32_e64 s[0:1], -1, v2
	v_cndmask_b32_e64 v11, -1, v10, s[0:1]
	v_xor_b32_e32 v11, v11, v2
	v_cmp_o_f32_e64 s[0:1], v2, v2
	v_cndmask_b32_e64 v2, -1, v11, s[0:1]
	v_xor_b32_e32 v11, s12, v2
	v_and_b32_e32 v11, s11, v11
	v_cmp_eq_u32_e64 s[0:1], 0, v11
	s_and_b64 exec, exec, s[0:1]
	s_cbranch_execz .LBB89_16
; %bb.15:                               ;   in Loop: Header=BB89_10 Depth=1
	v_bfe_u32 v2, v2, s9, 8
	v_lshlrev_b32_e32 v2, 2, v2
	ds_add_u32 v2, v9
.LBB89_16:                              ;   in Loop: Header=BB89_10 Depth=1
	s_or_b64 exec, exec, s[4:5]
	;; [unrolled: 28-line block ×3, first 2 shown]
	v_cmp_gt_u32_e64 s[0:1], s17, v4
	s_and_saveexec_b64 s[4:5], s[0:1]
	s_cbranch_execz .LBB89_9
; %bb.20:                               ;   in Loop: Header=BB89_10 Depth=1
	v_add_u32_e32 v2, s15, v5
	v_lshlrev_b64 v[12:13], 2, v[2:3]
	v_mov_b32_e32 v2, s8
	v_add_co_u32_e64 v12, s[0:1], s6, v12
	v_addc_co_u32_e64 v13, s[0:1], v2, v13, s[0:1]
	global_load_dword v2, v[12:13], off
	s_waitcnt vmcnt(0)
	v_cmp_lt_i32_e64 s[0:1], -1, v2
	v_cndmask_b32_e64 v11, -1, v10, s[0:1]
	v_xor_b32_e32 v11, v11, v2
	v_cmp_o_f32_e64 s[0:1], v2, v2
	v_cndmask_b32_e64 v2, -1, v11, s[0:1]
	v_xor_b32_e32 v11, s12, v2
	v_and_b32_e32 v11, s11, v11
	v_cmp_eq_u32_e64 s[0:1], 0, v11
	s_and_b64 exec, exec, s[0:1]
	s_cbranch_execz .LBB89_9
; %bb.21:                               ;   in Loop: Header=BB89_10 Depth=1
	v_bfe_u32 v2, v2, s9, 8
	v_lshlrev_b32_e32 v2, 2, v2
	ds_add_u32 v2, v9
	s_branch .LBB89_9
.LBB89_22:
	s_and_b32 s10, s10, 3
	s_cmp_eq_u32 s10, 0
	s_cbranch_scc1 .LBB89_28
; %bb.23:
	s_lshl_b32 s0, s7, 8
	s_add_i32 s0, s0, s18
	v_add_u32_e32 v4, s0, v0
	v_mul_lo_u32 v2, s13, v4
	s_lshl_b32 s7, s13, 8
	v_mov_b32_e32 v3, 0
	v_mov_b32_e32 v5, 1
	v_bfrev_b32_e32 v6, 1
	s_branch .LBB89_25
.LBB89_24:                              ;   in Loop: Header=BB89_25 Depth=1
	s_or_b64 exec, exec, s[4:5]
	s_add_i32 s10, s10, -1
	v_add_u32_e32 v2, s7, v2
	s_cmp_lg_u32 s10, 0
	v_add_u32_e32 v4, 0x100, v4
	s_cbranch_scc0 .LBB89_28
.LBB89_25:                              ; =>This Inner Loop Header: Depth=1
	v_cmp_gt_u32_e64 s[0:1], s17, v4
	s_and_saveexec_b64 s[4:5], s[0:1]
	s_cbranch_execz .LBB89_24
; %bb.26:                               ;   in Loop: Header=BB89_25 Depth=1
	v_lshlrev_b64 v[8:9], 2, v[2:3]
	v_mov_b32_e32 v7, s8
	v_add_co_u32_e64 v8, s[0:1], s6, v8
	v_addc_co_u32_e64 v9, s[0:1], v7, v9, s[0:1]
	global_load_dword v7, v[8:9], off
	s_waitcnt vmcnt(0)
	v_cmp_lt_i32_e64 s[0:1], -1, v7
	v_cndmask_b32_e64 v8, -1, v6, s[0:1]
	v_xor_b32_e32 v8, v8, v7
	v_cmp_o_f32_e64 s[0:1], v7, v7
	v_cndmask_b32_e64 v7, -1, v8, s[0:1]
	v_xor_b32_e32 v8, s12, v7
	v_and_b32_e32 v8, s11, v8
	v_cmp_eq_u32_e64 s[0:1], 0, v8
	s_and_b64 exec, exec, s[0:1]
	s_cbranch_execz .LBB89_24
; %bb.27:                               ;   in Loop: Header=BB89_25 Depth=1
	v_bfe_u32 v7, v7, s9, 8
	v_lshlrev_b32_e32 v7, 2, v7
	ds_add_u32 v7, v5
	s_branch .LBB89_24
.LBB89_28:
	v_mov_b32_e32 v2, 0
	s_waitcnt lgkmcnt(0)
	s_barrier
	s_and_saveexec_b64 s[0:1], vcc
	s_cbranch_execz .LBB89_30
; %bb.29:
	ds_read_b32 v2, v1
.LBB89_30:
	s_or_b64 exec, exec, s[0:1]
	s_and_saveexec_b64 s[0:1], vcc
	s_cbranch_execz .LBB89_32
; %bb.31:
	v_lshl_or_b32 v0, s16, 8, v0
	v_mov_b32_e32 v1, 0
	v_lshlrev_b64 v[0:1], 1, v[0:1]
	v_mov_b32_e32 v3, s3
	v_add_co_u32_e32 v0, vcc, s2, v0
	v_addc_co_u32_e32 v1, vcc, v3, v1, vcc
	s_waitcnt lgkmcnt(0)
	global_store_short v[0:1], v2, off
.LBB89_32:
	s_endpgm
	.section	.rodata,"a",@progbits
	.p2align	6, 0x0
	.amdhsa_kernel _ZN2at6native6mbtopk23computeBlockDigitCountsIfjjLin1EEEvNS_4cuda6detail10TensorInfoIKT_T0_EEjPjjS8_iijT1_PSB_Ps
		.amdhsa_group_segment_fixed_size 1024
		.amdhsa_private_segment_fixed_size 0
		.amdhsa_kernarg_size 528
		.amdhsa_user_sgpr_count 6
		.amdhsa_user_sgpr_private_segment_buffer 1
		.amdhsa_user_sgpr_dispatch_ptr 0
		.amdhsa_user_sgpr_queue_ptr 0
		.amdhsa_user_sgpr_kernarg_segment_ptr 1
		.amdhsa_user_sgpr_dispatch_id 0
		.amdhsa_user_sgpr_flat_scratch_init 0
		.amdhsa_user_sgpr_kernarg_preload_length 0
		.amdhsa_user_sgpr_kernarg_preload_offset 0
		.amdhsa_user_sgpr_private_segment_size 0
		.amdhsa_uses_dynamic_stack 0
		.amdhsa_system_sgpr_private_segment_wavefront_offset 0
		.amdhsa_system_sgpr_workgroup_id_x 1
		.amdhsa_system_sgpr_workgroup_id_y 1
		.amdhsa_system_sgpr_workgroup_id_z 1
		.amdhsa_system_sgpr_workgroup_info 0
		.amdhsa_system_vgpr_workitem_id 0
		.amdhsa_next_free_vgpr 14
		.amdhsa_next_free_sgpr 24
		.amdhsa_accum_offset 16
		.amdhsa_reserve_vcc 1
		.amdhsa_reserve_flat_scratch 0
		.amdhsa_float_round_mode_32 0
		.amdhsa_float_round_mode_16_64 0
		.amdhsa_float_denorm_mode_32 3
		.amdhsa_float_denorm_mode_16_64 3
		.amdhsa_dx10_clamp 1
		.amdhsa_ieee_mode 1
		.amdhsa_fp16_overflow 0
		.amdhsa_tg_split 0
		.amdhsa_exception_fp_ieee_invalid_op 0
		.amdhsa_exception_fp_denorm_src 0
		.amdhsa_exception_fp_ieee_div_zero 0
		.amdhsa_exception_fp_ieee_overflow 0
		.amdhsa_exception_fp_ieee_underflow 0
		.amdhsa_exception_fp_ieee_inexact 0
		.amdhsa_exception_int_div_zero 0
	.end_amdhsa_kernel
	.section	.text._ZN2at6native6mbtopk23computeBlockDigitCountsIfjjLin1EEEvNS_4cuda6detail10TensorInfoIKT_T0_EEjPjjS8_iijT1_PSB_Ps,"axG",@progbits,_ZN2at6native6mbtopk23computeBlockDigitCountsIfjjLin1EEEvNS_4cuda6detail10TensorInfoIKT_T0_EEjPjjS8_iijT1_PSB_Ps,comdat
.Lfunc_end89:
	.size	_ZN2at6native6mbtopk23computeBlockDigitCountsIfjjLin1EEEvNS_4cuda6detail10TensorInfoIKT_T0_EEjPjjS8_iijT1_PSB_Ps, .Lfunc_end89-_ZN2at6native6mbtopk23computeBlockDigitCountsIfjjLin1EEEvNS_4cuda6detail10TensorInfoIKT_T0_EEjPjjS8_iijT1_PSB_Ps
                                        ; -- End function
	.section	.AMDGPU.csdata,"",@progbits
; Kernel info:
; codeLenInByte = 1588
; NumSgprs: 28
; NumVgprs: 14
; NumAgprs: 0
; TotalNumVgprs: 14
; ScratchSize: 0
; MemoryBound: 0
; FloatMode: 240
; IeeeMode: 1
; LDSByteSize: 1024 bytes/workgroup (compile time only)
; SGPRBlocks: 3
; VGPRBlocks: 1
; NumSGPRsForWavesPerEU: 28
; NumVGPRsForWavesPerEU: 14
; AccumOffset: 16
; Occupancy: 8
; WaveLimiterHint : 1
; COMPUTE_PGM_RSRC2:SCRATCH_EN: 0
; COMPUTE_PGM_RSRC2:USER_SGPR: 6
; COMPUTE_PGM_RSRC2:TRAP_HANDLER: 0
; COMPUTE_PGM_RSRC2:TGID_X_EN: 1
; COMPUTE_PGM_RSRC2:TGID_Y_EN: 1
; COMPUTE_PGM_RSRC2:TGID_Z_EN: 1
; COMPUTE_PGM_RSRC2:TIDIG_COMP_CNT: 0
; COMPUTE_PGM_RSRC3_GFX90A:ACCUM_OFFSET: 3
; COMPUTE_PGM_RSRC3_GFX90A:TG_SPLIT: 0
	.section	.text._ZN2at6native6mbtopk10gatherTopKIfjLin1EEEvNS_4cuda6detail10TensorInfoIKT_T0_EES8_S8_bjS8_NS5_IS6_S8_EES8_NS5_IlS8_EES8_jjPS6_PjSD_j,"axG",@progbits,_ZN2at6native6mbtopk10gatherTopKIfjLin1EEEvNS_4cuda6detail10TensorInfoIKT_T0_EES8_S8_bjS8_NS5_IS6_S8_EES8_NS5_IlS8_EES8_jjPS6_PjSD_j,comdat
	.protected	_ZN2at6native6mbtopk10gatherTopKIfjLin1EEEvNS_4cuda6detail10TensorInfoIKT_T0_EES8_S8_bjS8_NS5_IS6_S8_EES8_NS5_IlS8_EES8_jjPS6_PjSD_j ; -- Begin function _ZN2at6native6mbtopk10gatherTopKIfjLin1EEEvNS_4cuda6detail10TensorInfoIKT_T0_EES8_S8_bjS8_NS5_IS6_S8_EES8_NS5_IlS8_EES8_jjPS6_PjSD_j
	.globl	_ZN2at6native6mbtopk10gatherTopKIfjLin1EEEvNS_4cuda6detail10TensorInfoIKT_T0_EES8_S8_bjS8_NS5_IS6_S8_EES8_NS5_IlS8_EES8_jjPS6_PjSD_j
	.p2align	8
	.type	_ZN2at6native6mbtopk10gatherTopKIfjLin1EEEvNS_4cuda6detail10TensorInfoIKT_T0_EES8_S8_bjS8_NS5_IS6_S8_EES8_NS5_IlS8_EES8_jjPS6_PjSD_j,@function
_ZN2at6native6mbtopk10gatherTopKIfjLin1EEEvNS_4cuda6detail10TensorInfoIKT_T0_EES8_S8_bjS8_NS5_IS6_S8_EES8_NS5_IlS8_EES8_jjPS6_PjSD_j: ; @_ZN2at6native6mbtopk10gatherTopKIfjLin1EEEvNS_4cuda6detail10TensorInfoIKT_T0_EES8_S8_bjS8_NS5_IS6_S8_EES8_NS5_IlS8_EES8_jjPS6_PjSD_j
; %bb.0:
	s_load_dwordx2 s[0:1], s[4:5], 0x2d8
	s_load_dword s2, s[4:5], 0x2d0
	s_waitcnt lgkmcnt(0)
	s_mul_i32 s1, s1, s8
	s_add_i32 s1, s1, s7
	s_mul_i32 s12, s1, s0
	s_add_i32 s12, s12, s6
	s_cmp_ge_u32 s12, s2
	s_cbranch_scc1 .LBB90_49
; %bb.1:
	s_load_dwordx4 s[8:11], s[4:5], 0x2a8
	s_load_dword s0, s[4:5], 0xd0
	s_mov_b32 s7, 0
	s_waitcnt lgkmcnt(0)
	v_cvt_f32_u32_e32 v1, s10
	s_sub_i32 s1, 0, s10
	v_rcp_iflag_f32_e32 v1, v1
	v_mul_f32_e32 v1, 0x4f7ffffe, v1
	v_cvt_u32_f32_e32 v1, v1
	v_readfirstlane_b32 s2, v1
	s_mul_i32 s1, s1, s2
	s_mul_hi_u32 s1, s2, s1
	s_add_i32 s2, s2, s1
	s_mul_hi_u32 s1, s12, s2
	s_mul_i32 s2, s1, s10
	s_sub_i32 s2, s12, s2
	s_add_i32 s3, s1, 1
	s_sub_i32 s6, s2, s10
	s_cmp_ge_u32 s2, s10
	s_cselect_b32 s1, s3, s1
	s_cselect_b32 s2, s6, s2
	s_add_i32 s3, s1, 1
	s_cmp_ge_u32 s2, s10
	s_cselect_b32 s20, s3, s1
	s_cmp_lt_i32 s0, 2
	s_mov_b32 s6, s20
	s_cbranch_scc1 .LBB90_4
; %bb.2:
	s_add_i32 s6, s0, -1
	s_add_i32 s2, s0, 1
	s_lshl_b64 s[0:1], s[6:7], 2
	s_add_u32 s0, s0, s4
	s_addc_u32 s1, s1, s5
	s_add_u32 s0, s0, 8
	s_addc_u32 s1, s1, 0
	s_mov_b32 s6, s20
.LBB90_3:                               ; =>This Inner Loop Header: Depth=1
	s_load_dword s3, s[0:1], 0x0
	s_load_dword s13, s[0:1], 0x64
	s_mov_b32 s11, s6
	s_waitcnt lgkmcnt(0)
	v_cvt_f32_u32_e32 v1, s3
	s_sub_i32 s6, 0, s3
	v_rcp_iflag_f32_e32 v1, v1
	v_mul_f32_e32 v1, 0x4f7ffffe, v1
	v_cvt_u32_f32_e32 v1, v1
	v_readfirstlane_b32 s14, v1
	s_mul_i32 s6, s6, s14
	s_mul_hi_u32 s6, s14, s6
	s_add_i32 s14, s14, s6
	s_mul_hi_u32 s6, s11, s14
	s_mul_i32 s14, s6, s3
	s_sub_i32 s14, s11, s14
	s_add_i32 s15, s6, 1
	s_sub_i32 s16, s14, s3
	s_cmp_ge_u32 s14, s3
	s_cselect_b32 s6, s15, s6
	s_cselect_b32 s14, s16, s14
	s_add_i32 s15, s6, 1
	s_cmp_ge_u32 s14, s3
	s_cselect_b32 s6, s15, s6
	s_mul_i32 s3, s6, s3
	s_sub_i32 s3, s11, s3
	s_mul_i32 s3, s13, s3
	s_add_i32 s2, s2, -1
	s_add_i32 s7, s3, s7
	s_add_u32 s0, s0, -4
	s_addc_u32 s1, s1, -1
	s_cmp_gt_u32 s2, 2
	s_cbranch_scc1 .LBB90_3
.LBB90_4:
	s_load_dword s2, s[4:5], 0x1c0
	s_add_u32 s0, s4, 0xf0
	s_addc_u32 s1, s5, 0
	s_mov_b32 s23, 0
	s_mov_b32 s22, s20
	s_waitcnt lgkmcnt(0)
	s_cmp_lt_i32 s2, 2
	s_cbranch_scc1 .LBB90_7
; %bb.5:
	s_add_i32 s22, s2, -1
	s_add_i32 s11, s2, 1
	s_lshl_b64 s[2:3], s[22:23], 2
	s_add_u32 s2, s2, s0
	s_addc_u32 s3, s3, s1
	s_add_u32 s2, s2, 8
	s_addc_u32 s3, s3, 0
	s_mov_b32 s22, s20
.LBB90_6:                               ; =>This Inner Loop Header: Depth=1
	s_load_dword s13, s[2:3], 0x0
	s_load_dword s15, s[2:3], 0x64
	s_mov_b32 s14, s22
	s_waitcnt lgkmcnt(0)
	v_cvt_f32_u32_e32 v1, s13
	s_sub_i32 s16, 0, s13
	v_rcp_iflag_f32_e32 v1, v1
	v_mul_f32_e32 v1, 0x4f7ffffe, v1
	v_cvt_u32_f32_e32 v1, v1
	v_readfirstlane_b32 s17, v1
	s_mul_i32 s16, s16, s17
	s_mul_hi_u32 s16, s17, s16
	s_add_i32 s17, s17, s16
	s_mul_hi_u32 s16, s22, s17
	s_mul_i32 s17, s16, s13
	s_sub_i32 s17, s22, s17
	s_add_i32 s18, s16, 1
	s_sub_i32 s19, s17, s13
	s_cmp_ge_u32 s17, s13
	s_cselect_b32 s16, s18, s16
	s_cselect_b32 s17, s19, s17
	s_add_i32 s18, s16, 1
	s_cmp_ge_u32 s17, s13
	s_cselect_b32 s22, s18, s16
	s_mul_i32 s13, s22, s13
	s_sub_i32 s13, s14, s13
	s_mul_i32 s13, s15, s13
	s_add_i32 s11, s11, -1
	s_add_i32 s23, s13, s23
	s_add_u32 s2, s2, -4
	s_addc_u32 s3, s3, -1
	s_cmp_gt_u32 s11, 2
	s_cbranch_scc1 .LBB90_6
.LBB90_7:
	s_load_dword s33, s[4:5], 0x6c
	s_load_dword s13, s[4:5], 0x2a0
	s_add_u32 s2, s4, 0x1d0
	s_addc_u32 s3, s5, 0
	s_mov_b32 s25, 0
	s_mov_b32 s24, s20
	s_waitcnt lgkmcnt(0)
	s_cmp_lt_i32 s13, 2
	s_cbranch_scc1 .LBB90_10
; %bb.8:
	s_add_i32 s24, s13, -1
	s_add_i32 s11, s13, 1
	s_lshl_b64 s[14:15], s[24:25], 2
	s_add_u32 s2, s14, s2
	s_addc_u32 s3, s15, s3
	s_add_u32 s2, s2, 8
	s_addc_u32 s3, s3, 0
	s_mov_b32 s24, s20
.LBB90_9:                               ; =>This Inner Loop Header: Depth=1
	s_load_dword s13, s[2:3], 0x0
	s_load_dword s15, s[2:3], 0x64
	s_mov_b32 s14, s24
	s_waitcnt lgkmcnt(0)
	v_cvt_f32_u32_e32 v1, s13
	s_sub_i32 s16, 0, s13
	v_rcp_iflag_f32_e32 v1, v1
	v_mul_f32_e32 v1, 0x4f7ffffe, v1
	v_cvt_u32_f32_e32 v1, v1
	v_readfirstlane_b32 s17, v1
	s_mul_i32 s16, s16, s17
	s_mul_hi_u32 s16, s17, s16
	s_add_i32 s17, s17, s16
	s_mul_hi_u32 s16, s24, s17
	s_mul_i32 s17, s16, s13
	s_sub_i32 s17, s24, s17
	s_add_i32 s18, s16, 1
	s_sub_i32 s19, s17, s13
	s_cmp_ge_u32 s17, s13
	s_cselect_b32 s16, s18, s16
	s_cselect_b32 s17, s19, s17
	s_add_i32 s18, s16, 1
	s_cmp_ge_u32 s17, s13
	s_cselect_b32 s24, s18, s16
	s_mul_i32 s13, s24, s13
	s_sub_i32 s13, s14, s13
	s_mul_i32 s13, s15, s13
	s_add_i32 s11, s11, -1
	s_add_i32 s25, s13, s25
	s_add_u32 s2, s2, -4
	s_addc_u32 s3, s3, -1
	s_cmp_gt_u32 s11, 2
	s_cbranch_scc1 .LBB90_9
.LBB90_10:
	s_mul_i32 s16, s20, s10
	s_sub_i32 s11, s12, s16
	s_load_dwordx4 s[12:15], s[4:5], 0x2b8
	s_load_dwordx2 s[30:31], s[4:5], 0x0
	s_load_dwordx2 s[28:29], s[4:5], 0xf0
	;; [unrolled: 1-line block ×3, first 2 shown]
	s_mov_b32 s21, 0
	s_load_dword s41, s[0:1], 0x6c
	s_lshl_b64 s[0:1], s[20:21], 2
	s_waitcnt lgkmcnt(0)
	s_add_u32 s0, s12, s0
	s_addc_u32 s1, s13, s1
	s_load_dword s40, s[0:1], 0x0
	v_cmp_ne_u32_e64 s[0:1], 0, v0
	v_cmp_eq_u32_e64 s[2:3], 0, v0
	s_and_saveexec_b64 s[12:13], s[2:3]
	s_cbranch_execz .LBB90_26
; %bb.11:
	s_load_dwordx2 s[34:35], s[4:5], 0x2c8
	s_mov_b32 s17, s21
	s_lshl_b64 s[36:37], s[16:17], 2
	s_add_u32 s16, s14, s36
	s_addc_u32 s17, s15, s37
	s_waitcnt lgkmcnt(0)
	s_add_u32 s18, s34, s36
	s_addc_u32 s19, s35, s37
	s_mov_b32 s20, 0
	s_mov_b32 s42, 0
	s_cmp_lt_u32 s10, 4
	s_cbranch_scc1 .LBB90_23
; %bb.12:
	s_mov_b32 s43, 0
.LBB90_13:                              ; =>This Inner Loop Header: Depth=1
	s_add_u32 s16, s14, s36
	s_addc_u32 s17, s15, s37
	s_load_dwordx4 s[16:19], s[16:17], 0x0
	s_add_u32 s38, s34, s36
	s_addc_u32 s39, s35, s37
	s_cmp_ge_u32 s43, s11
	s_cbranch_scc0 .LBB90_20
; %bb.14:                               ;   in Loop: Header=BB90_13 Depth=1
	s_add_i32 s44, s43, 1
	s_cmp_ge_u32 s44, s11
	s_cbranch_scc0 .LBB90_21
.LBB90_15:                              ;   in Loop: Header=BB90_13 Depth=1
	s_add_i32 s44, s44, 1
	s_cmp_ge_u32 s44, s11
	s_cbranch_scc0 .LBB90_22
.LBB90_16:                              ;   in Loop: Header=BB90_13 Depth=1
	s_add_i32 s44, s44, 1
	s_cmp_ge_u32 s44, s11
	s_cbranch_scc1 .LBB90_18
.LBB90_17:                              ;   in Loop: Header=BB90_13 Depth=1
	s_load_dword s38, s[38:39], 0xc
	s_waitcnt lgkmcnt(0)
	s_add_i32 s21, s21, s19
	s_add_i32 s20, s38, s20
.LBB90_18:                              ;   in Loop: Header=BB90_13 Depth=1
	s_waitcnt lgkmcnt(0)
	s_add_i32 s16, s16, s42
	s_add_i32 s16, s16, s17
	;; [unrolled: 1-line block ×4, first 2 shown]
	s_add_u32 s14, s14, 16
	s_addc_u32 s15, s15, 0
	s_add_u32 s34, s34, 16
	s_addc_u32 s35, s35, 0
	s_add_i32 s39, s44, 4
	s_add_u32 s18, s34, s36
	s_addc_u32 s19, s35, s37
	s_add_u32 s16, s14, s36
	s_addc_u32 s17, s15, s37
	s_add_i32 s38, s44, 1
	s_cmp_ge_u32 s39, s10
	s_cbranch_scc1 .LBB90_24
; %bb.19:                               ;   in Loop: Header=BB90_13 Depth=1
	s_mov_b32 s43, s38
	s_branch .LBB90_13
.LBB90_20:                              ;   in Loop: Header=BB90_13 Depth=1
	s_load_dword s44, s[38:39], 0x0
	s_waitcnt lgkmcnt(0)
	s_add_i32 s21, s16, s21
	s_add_i32 s20, s44, s20
	;; [unrolled: 1-line block ×3, first 2 shown]
	s_cmp_ge_u32 s44, s11
	s_cbranch_scc1 .LBB90_15
.LBB90_21:                              ;   in Loop: Header=BB90_13 Depth=1
	s_load_dword s45, s[38:39], 0x4
	s_waitcnt lgkmcnt(0)
	s_add_i32 s21, s21, s17
	s_add_i32 s20, s45, s20
	s_add_i32 s44, s44, 1
	s_cmp_ge_u32 s44, s11
	s_cbranch_scc1 .LBB90_16
.LBB90_22:                              ;   in Loop: Header=BB90_13 Depth=1
	s_load_dword s45, s[38:39], 0x8
	s_waitcnt lgkmcnt(0)
	s_add_i32 s21, s21, s18
	s_add_i32 s20, s45, s20
	;; [unrolled: 1-line block ×3, first 2 shown]
	s_cmp_ge_u32 s44, s11
	s_cbranch_scc0 .LBB90_17
	s_branch .LBB90_18
.LBB90_23:
	s_mov_b32 s14, 0
	s_cmp_ge_u32 s14, s10
	s_cbranch_scc0 .LBB90_47
	s_branch .LBB90_25
.LBB90_24:
	s_add_i32 s14, s43, 4
	s_cmp_ge_u32 s14, s10
	s_cbranch_scc0 .LBB90_47
.LBB90_25:
	v_mov_b32_e32 v2, s20
	v_mov_b32_e32 v3, s42
	;; [unrolled: 1-line block ×4, first 2 shown]
	ds_write_b96 v1, v[2:4] offset:1056
.LBB90_26:
	s_or_b64 exec, exec, s[12:13]
	s_load_dword s16, s[4:5], 0x23c
	s_load_dwordx4 s[12:15], s[4:5], 0xd8
	s_mul_i32 s17, s9, s11
	s_lshl_b32 s34, s17, 8
	s_waitcnt lgkmcnt(0)
	s_add_i32 s15, s11, 1
	s_mov_b32 s11, 0
	s_sub_i32 s17, s12, s34
	s_add_u32 s17, s17, 0xff
	s_addc_u32 s18, 0, 0
	v_mov_b32_e32 v1, s17
	v_alignbit_b32 v1, s18, v1, 8
	s_cmp_lt_u32 s15, s10
	v_readfirstlane_b32 s10, v1
	s_cselect_b32 s9, s9, s10
	s_cmp_eq_u32 s9, 0
	s_barrier
	s_cbranch_scc1 .LBB90_49
; %bb.27:
	s_mul_i32 s10, s41, s22
	s_mul_i32 s6, s33, s6
	s_add_i32 s18, s10, s23
	s_add_i32 s10, s6, s7
	s_mul_i32 s6, s16, s24
	s_add_i32 s6, s6, s25
	s_lshl_b64 s[16:17], s[10:11], 2
	s_add_u32 s15, s30, s16
	s_mov_b32 s19, s11
	s_addc_u32 s16, s31, s17
	s_lshl_b64 s[18:19], s[18:19], 2
	s_add_u32 s17, s28, s18
	s_mov_b32 s7, s11
	v_mov_b32_e32 v1, 0
	s_addc_u32 s18, s29, s19
	s_lshl_b64 s[6:7], s[6:7], 3
	ds_read_b96 v[2:4], v1 offset:1056
	s_add_u32 s19, s26, s6
	s_addc_u32 s20, s27, s7
	s_cmp_gt_i32 s40, -1
	s_cselect_b32 s10, 0x80000000, -1
	v_cmp_o_f32_e64 s[6:7], s40, s40
	s_xor_b32 s10, s10, s40
	s_waitcnt lgkmcnt(0)
	v_add_u32_e32 v5, v2, v3
	v_lshrrev_b32_e32 v2, 5, v0
	s_and_b64 s[6:7], s[6:7], exec
	v_add_lshl_u32 v6, v2, v0, 2
	v_lshlrev_b32_e32 v2, 2, v0
	v_lshrrev_b32_e32 v3, 3, v0
	s_cselect_b32 s21, s10, -1
	s_bitcmp1_b32 s14, 0
	s_load_dword s10, s[4:5], 0xe8
	s_load_dword s14, s[4:5], 0x1c8
	v_add_lshl_u32 v7, v3, v2, 2
	v_add_u32_e32 v2, -1, v0
	v_lshrrev_b32_e32 v3, 5, v2
	v_add_lshl_u32 v8, v3, v2, 2
	v_mbcnt_lo_u32_b32 v3, -1, 0
	v_add_u32_e32 v2, s34, v0
	v_mbcnt_hi_u32_b32 v10, -1, v3
	s_cselect_b64 s[6:7], -1, 0
	v_cmp_gt_u32_e64 s[4:5], 64, v0
	s_waitcnt lgkmcnt(0)
	v_mul_lo_u32 v0, s10, v2
	s_lshl_b32 s22, s10, 8
	v_bfrev_b32_e32 v9, 1
	v_and_b32_e32 v11, 15, v10
	v_bfe_i32 v12, v10, 4, 1
	v_add_u32_e32 v13, -1, v10
	v_and_b32_e32 v14, 64, v10
                                        ; implicit-def: $vgpr15
	s_branch .LBB90_30
.LBB90_28:                              ;   in Loop: Header=BB90_30 Depth=1
	s_or_b64 exec, exec, s[10:11]
	v_add_u32_e32 v5, v18, v5
.LBB90_29:                              ;   in Loop: Header=BB90_30 Depth=1
	s_add_i32 s9, s9, -1
	v_add_u32_e32 v4, v17, v4
	v_add_u32_e32 v0, s22, v0
	s_cmp_lg_u32 s9, 0
	v_add_u32_e32 v2, 0x100, v2
	s_cbranch_scc0 .LBB90_49
.LBB90_30:                              ; =>This Inner Loop Header: Depth=1
	v_cmp_gt_u32_e32 vcc, s12, v2
	v_mov_b32_e32 v3, 0
	v_mov_b32_e32 v16, 0
	s_and_saveexec_b64 s[10:11], vcc
	s_cbranch_execz .LBB90_32
; %bb.31:                               ;   in Loop: Header=BB90_30 Depth=1
	v_lshlrev_b64 v[16:17], 2, v[0:1]
	v_mov_b32_e32 v3, s16
	v_add_co_u32_e32 v16, vcc, s15, v16
	v_addc_co_u32_e32 v17, vcc, v3, v17, vcc
	global_load_dword v15, v[16:17], off
	s_waitcnt vmcnt(0)
	v_cmp_lt_i32_e32 vcc, -1, v15
	v_cndmask_b32_e32 v3, -1, v9, vcc
	v_xor_b32_e32 v3, v3, v15
	v_cmp_o_f32_e32 vcc, v15, v15
	v_cndmask_b32_e32 v16, -1, v3, vcc
	v_cmp_lt_u32_e32 vcc, s21, v16
	v_cndmask_b32_e64 v3, 0, 1, vcc
	v_cmp_gt_u32_e32 vcc, s21, v16
	v_cndmask_b32_e64 v17, 0, 1, vcc
	v_cndmask_b32_e64 v3, v17, v3, s[6:7]
	v_cmp_eq_u32_e32 vcc, s21, v16
	v_and_b32_e32 v3, 1, v3
	v_cndmask_b32_e64 v16, 0, 1, vcc
.LBB90_32:                              ;   in Loop: Header=BB90_30 Depth=1
	s_or_b64 exec, exec, s[10:11]
	ds_write_b32 v6, v3
	s_waitcnt lgkmcnt(0)
	s_barrier
	s_and_saveexec_b64 s[10:11], s[4:5]
	s_cbranch_execz .LBB90_34
; %bb.33:                               ;   in Loop: Header=BB90_30 Depth=1
	ds_read2_b32 v[18:19], v7 offset1:1
	ds_read2_b32 v[20:21], v7 offset0:2 offset1:3
	v_cmp_ne_u32_e32 vcc, 0, v11
	; wave barrier
	s_waitcnt lgkmcnt(1)
	v_add_u32_e32 v17, v19, v18
	s_waitcnt lgkmcnt(0)
	v_add3_u32 v17, v17, v20, v21
	s_nop 1
	v_mov_b32_dpp v19, v17 row_shr:1 row_mask:0xf bank_mask:0xf
	v_cndmask_b32_e32 v19, 0, v19, vcc
	v_add_u32_e32 v17, v19, v17
	v_cmp_lt_u32_e32 vcc, 1, v11
	s_nop 0
	v_mov_b32_dpp v19, v17 row_shr:2 row_mask:0xf bank_mask:0xf
	v_cndmask_b32_e32 v19, 0, v19, vcc
	v_add_u32_e32 v17, v17, v19
	v_cmp_lt_u32_e32 vcc, 3, v11
	;; [unrolled: 5-line block ×4, first 2 shown]
	s_nop 0
	v_mov_b32_dpp v19, v17 row_bcast:15 row_mask:0xf bank_mask:0xf
	v_and_b32_e32 v19, v12, v19
	v_add_u32_e32 v17, v17, v19
	s_nop 1
	v_mov_b32_dpp v19, v17 row_bcast:31 row_mask:0xf bank_mask:0xf
	v_cndmask_b32_e32 v19, 0, v19, vcc
	v_cmp_lt_i32_e32 vcc, v13, v14
	v_add_u32_e32 v17, v17, v19
	v_cndmask_b32_e32 v19, v13, v10, vcc
	v_lshlrev_b32_e32 v19, 2, v19
	ds_bpermute_b32 v17, v19, v17
	s_waitcnt lgkmcnt(0)
	v_add_u32_e32 v17, v17, v18
	v_cndmask_b32_e64 v17, v17, v3, s[2:3]
	ds_write_b32 v7, v17
	; wave barrier
	ds_read2_b32 v[18:19], v7 offset0:1 offset1:2
	ds_read_b32 v20, v7 offset:12
	s_waitcnt lgkmcnt(1)
	v_add_u32_e32 v17, v18, v17
	v_add_u32_e32 v18, v19, v17
	ds_write2_b32 v7, v17, v18 offset0:1 offset1:2
	s_waitcnt lgkmcnt(1)
	v_add_u32_e32 v17, v20, v18
	ds_write_b32 v7, v17 offset:12
.LBB90_34:                              ;   in Loop: Header=BB90_30 Depth=1
	s_or_b64 exec, exec, s[10:11]
	v_mov_b32_e32 v18, 0
	s_waitcnt lgkmcnt(0)
	s_barrier
	s_and_saveexec_b64 s[10:11], s[0:1]
	s_cbranch_execz .LBB90_36
; %bb.35:                               ;   in Loop: Header=BB90_30 Depth=1
	ds_read_b32 v18, v8
.LBB90_36:                              ;   in Loop: Header=BB90_30 Depth=1
	s_or_b64 exec, exec, s[10:11]
	ds_read_b32 v17, v1 offset:1048
	v_cmp_ne_u32_e32 vcc, 0, v3
	s_waitcnt lgkmcnt(0)
	s_barrier
	s_and_saveexec_b64 s[10:11], vcc
	s_cbranch_execz .LBB90_38
; %bb.37:                               ;   in Loop: Header=BB90_30 Depth=1
	v_add_u32_e32 v20, v18, v4
	v_mul_lo_u32 v18, v20, s14
	v_mov_b32_e32 v19, v1
	v_lshlrev_b64 v[18:19], 2, v[18:19]
	v_mov_b32_e32 v3, s18
	v_add_co_u32_e32 v18, vcc, s17, v18
	v_addc_co_u32_e32 v19, vcc, v3, v19, vcc
	global_store_dword v[18:19], v15, off
	v_mul_lo_u32 v18, v20, s8
	v_mov_b32_e32 v19, v1
	v_lshlrev_b64 v[18:19], 3, v[18:19]
	v_mov_b32_e32 v20, s20
	v_add_co_u32_e32 v18, vcc, s19, v18
	v_mov_b32_e32 v3, v1
	v_addc_co_u32_e32 v19, vcc, v20, v19, vcc
	global_store_dwordx2 v[18:19], v[2:3], off
.LBB90_38:                              ;   in Loop: Header=BB90_30 Depth=1
	s_or_b64 exec, exec, s[10:11]
	v_cmp_le_u32_e32 vcc, s13, v5
	s_cbranch_vccnz .LBB90_29
; %bb.39:                               ;   in Loop: Header=BB90_30 Depth=1
	ds_write_b32 v6, v16
	s_waitcnt lgkmcnt(0)
	s_barrier
	s_and_saveexec_b64 s[10:11], s[4:5]
	s_cbranch_execz .LBB90_41
; %bb.40:                               ;   in Loop: Header=BB90_30 Depth=1
	ds_read2_b32 v[18:19], v7 offset1:1
	ds_read2_b32 v[20:21], v7 offset0:2 offset1:3
	v_cmp_ne_u32_e32 vcc, 0, v11
	; wave barrier
	s_waitcnt lgkmcnt(1)
	v_add_u32_e32 v3, v19, v18
	s_waitcnt lgkmcnt(0)
	v_add3_u32 v3, v3, v20, v21
	s_nop 1
	v_mov_b32_dpp v19, v3 row_shr:1 row_mask:0xf bank_mask:0xf
	v_cndmask_b32_e32 v19, 0, v19, vcc
	v_add_u32_e32 v3, v19, v3
	v_cmp_lt_u32_e32 vcc, 1, v11
	s_nop 0
	v_mov_b32_dpp v19, v3 row_shr:2 row_mask:0xf bank_mask:0xf
	v_cndmask_b32_e32 v19, 0, v19, vcc
	v_add_u32_e32 v3, v3, v19
	v_cmp_lt_u32_e32 vcc, 3, v11
	;; [unrolled: 5-line block ×4, first 2 shown]
	s_nop 0
	v_mov_b32_dpp v19, v3 row_bcast:15 row_mask:0xf bank_mask:0xf
	v_and_b32_e32 v19, v12, v19
	v_add_u32_e32 v3, v3, v19
	s_nop 1
	v_mov_b32_dpp v19, v3 row_bcast:31 row_mask:0xf bank_mask:0xf
	v_cndmask_b32_e32 v19, 0, v19, vcc
	v_cmp_lt_i32_e32 vcc, v13, v14
	v_add_u32_e32 v3, v3, v19
	v_cndmask_b32_e32 v19, v13, v10, vcc
	v_lshlrev_b32_e32 v19, 2, v19
	ds_bpermute_b32 v3, v19, v3
	s_waitcnt lgkmcnt(0)
	v_add_u32_e32 v3, v3, v18
	v_cndmask_b32_e64 v3, v3, v16, s[2:3]
	ds_write_b32 v7, v3
	; wave barrier
	ds_read2_b32 v[18:19], v7 offset0:1 offset1:2
	ds_read_b32 v20, v7 offset:12
	s_waitcnt lgkmcnt(1)
	v_add_u32_e32 v3, v18, v3
	v_add_u32_e32 v18, v19, v3
	ds_write2_b32 v7, v3, v18 offset0:1 offset1:2
	s_waitcnt lgkmcnt(1)
	v_add_u32_e32 v3, v20, v18
	ds_write_b32 v7, v3 offset:12
.LBB90_41:                              ;   in Loop: Header=BB90_30 Depth=1
	s_or_b64 exec, exec, s[10:11]
	v_mov_b32_e32 v3, 0
	s_waitcnt lgkmcnt(0)
	s_barrier
	s_and_saveexec_b64 s[10:11], s[0:1]
	s_cbranch_execz .LBB90_43
; %bb.42:                               ;   in Loop: Header=BB90_30 Depth=1
	ds_read_b32 v3, v8
.LBB90_43:                              ;   in Loop: Header=BB90_30 Depth=1
	s_or_b64 exec, exec, s[10:11]
	ds_read_b32 v18, v1 offset:1048
	v_cmp_ne_u32_e32 vcc, 0, v16
	s_waitcnt lgkmcnt(0)
	s_barrier
	s_and_saveexec_b64 s[10:11], vcc
	s_cbranch_execz .LBB90_28
; %bb.44:                               ;   in Loop: Header=BB90_30 Depth=1
	v_add_u32_e32 v16, v3, v5
	v_cmp_gt_u32_e32 vcc, s13, v16
	s_and_b64 exec, exec, vcc
	s_cbranch_execz .LBB90_28
; %bb.45:                               ;   in Loop: Header=BB90_30 Depth=1
	v_mul_lo_u32 v20, v16, s14
	v_mov_b32_e32 v21, v1
	v_lshlrev_b64 v[20:21], 2, v[20:21]
	v_mov_b32_e32 v3, s18
	v_add_co_u32_e32 v20, vcc, s17, v20
	v_addc_co_u32_e32 v21, vcc, v3, v21, vcc
	global_store_dword v[20:21], v15, off
	v_mul_lo_u32 v20, v16, s8
	v_mov_b32_e32 v21, v1
	v_lshlrev_b64 v[20:21], 3, v[20:21]
	v_mov_b32_e32 v16, s20
	v_add_co_u32_e32 v20, vcc, s19, v20
	v_mov_b32_e32 v3, v1
	v_addc_co_u32_e32 v21, vcc, v16, v21, vcc
	global_store_dwordx2 v[20:21], v[2:3], off
	s_branch .LBB90_28
.LBB90_46:                              ;   in Loop: Header=BB90_47 Depth=1
	s_add_u32 s16, s16, 4
	s_addc_u32 s17, s17, 0
	s_waitcnt lgkmcnt(0)
	s_add_i32 s42, s15, s42
	s_add_u32 s18, s18, 4
	s_addc_u32 s19, s19, 0
	s_add_i32 s14, s14, 1
	s_cmp_lt_u32 s14, s10
	s_cbranch_scc0 .LBB90_25
.LBB90_47:                              ; =>This Inner Loop Header: Depth=1
	s_load_dword s15, s[16:17], 0x0
	s_cmp_ge_u32 s14, s11
	s_cbranch_scc1 .LBB90_46
; %bb.48:                               ;   in Loop: Header=BB90_47 Depth=1
	s_load_dword s34, s[18:19], 0x0
	s_waitcnt lgkmcnt(0)
	s_add_i32 s21, s15, s21
	s_add_i32 s20, s34, s20
	s_branch .LBB90_46
.LBB90_49:
	s_endpgm
	.section	.rodata,"a",@progbits
	.p2align	6, 0x0
	.amdhsa_kernel _ZN2at6native6mbtopk10gatherTopKIfjLin1EEEvNS_4cuda6detail10TensorInfoIKT_T0_EES8_S8_bjS8_NS5_IS6_S8_EES8_NS5_IlS8_EES8_jjPS6_PjSD_j
		.amdhsa_group_segment_fixed_size 1068
		.amdhsa_private_segment_fixed_size 0
		.amdhsa_kernarg_size 984
		.amdhsa_user_sgpr_count 6
		.amdhsa_user_sgpr_private_segment_buffer 1
		.amdhsa_user_sgpr_dispatch_ptr 0
		.amdhsa_user_sgpr_queue_ptr 0
		.amdhsa_user_sgpr_kernarg_segment_ptr 1
		.amdhsa_user_sgpr_dispatch_id 0
		.amdhsa_user_sgpr_flat_scratch_init 0
		.amdhsa_user_sgpr_kernarg_preload_length 0
		.amdhsa_user_sgpr_kernarg_preload_offset 0
		.amdhsa_user_sgpr_private_segment_size 0
		.amdhsa_uses_dynamic_stack 0
		.amdhsa_system_sgpr_private_segment_wavefront_offset 0
		.amdhsa_system_sgpr_workgroup_id_x 1
		.amdhsa_system_sgpr_workgroup_id_y 1
		.amdhsa_system_sgpr_workgroup_id_z 1
		.amdhsa_system_sgpr_workgroup_info 0
		.amdhsa_system_vgpr_workitem_id 0
		.amdhsa_next_free_vgpr 22
		.amdhsa_next_free_sgpr 46
		.amdhsa_accum_offset 24
		.amdhsa_reserve_vcc 1
		.amdhsa_reserve_flat_scratch 0
		.amdhsa_float_round_mode_32 0
		.amdhsa_float_round_mode_16_64 0
		.amdhsa_float_denorm_mode_32 3
		.amdhsa_float_denorm_mode_16_64 3
		.amdhsa_dx10_clamp 1
		.amdhsa_ieee_mode 1
		.amdhsa_fp16_overflow 0
		.amdhsa_tg_split 0
		.amdhsa_exception_fp_ieee_invalid_op 0
		.amdhsa_exception_fp_denorm_src 0
		.amdhsa_exception_fp_ieee_div_zero 0
		.amdhsa_exception_fp_ieee_overflow 0
		.amdhsa_exception_fp_ieee_underflow 0
		.amdhsa_exception_fp_ieee_inexact 0
		.amdhsa_exception_int_div_zero 0
	.end_amdhsa_kernel
	.section	.text._ZN2at6native6mbtopk10gatherTopKIfjLin1EEEvNS_4cuda6detail10TensorInfoIKT_T0_EES8_S8_bjS8_NS5_IS6_S8_EES8_NS5_IlS8_EES8_jjPS6_PjSD_j,"axG",@progbits,_ZN2at6native6mbtopk10gatherTopKIfjLin1EEEvNS_4cuda6detail10TensorInfoIKT_T0_EES8_S8_bjS8_NS5_IS6_S8_EES8_NS5_IlS8_EES8_jjPS6_PjSD_j,comdat
.Lfunc_end90:
	.size	_ZN2at6native6mbtopk10gatherTopKIfjLin1EEEvNS_4cuda6detail10TensorInfoIKT_T0_EES8_S8_bjS8_NS5_IS6_S8_EES8_NS5_IlS8_EES8_jjPS6_PjSD_j, .Lfunc_end90-_ZN2at6native6mbtopk10gatherTopKIfjLin1EEEvNS_4cuda6detail10TensorInfoIKT_T0_EES8_S8_bjS8_NS5_IS6_S8_EES8_NS5_IlS8_EES8_jjPS6_PjSD_j
                                        ; -- End function
	.section	.AMDGPU.csdata,"",@progbits
; Kernel info:
; codeLenInByte = 2768
; NumSgprs: 50
; NumVgprs: 22
; NumAgprs: 0
; TotalNumVgprs: 22
; ScratchSize: 0
; MemoryBound: 0
; FloatMode: 240
; IeeeMode: 1
; LDSByteSize: 1068 bytes/workgroup (compile time only)
; SGPRBlocks: 6
; VGPRBlocks: 2
; NumSGPRsForWavesPerEU: 50
; NumVGPRsForWavesPerEU: 22
; AccumOffset: 24
; Occupancy: 8
; WaveLimiterHint : 1
; COMPUTE_PGM_RSRC2:SCRATCH_EN: 0
; COMPUTE_PGM_RSRC2:USER_SGPR: 6
; COMPUTE_PGM_RSRC2:TRAP_HANDLER: 0
; COMPUTE_PGM_RSRC2:TGID_X_EN: 1
; COMPUTE_PGM_RSRC2:TGID_Y_EN: 1
; COMPUTE_PGM_RSRC2:TGID_Z_EN: 1
; COMPUTE_PGM_RSRC2:TIDIG_COMP_CNT: 0
; COMPUTE_PGM_RSRC3_GFX90A:ACCUM_OFFSET: 5
; COMPUTE_PGM_RSRC3_GFX90A:TG_SPLIT: 0
	.section	.text._ZN2at6native6sbtopk10gatherTopKIfjLin1ELb0EEEvNS_4cuda6detail10TensorInfoIKT_T0_EES8_S8_bS8_S8_NS5_IS6_S8_EES8_NS5_IlS8_EES8_PS6_,"axG",@progbits,_ZN2at6native6sbtopk10gatherTopKIfjLin1ELb0EEEvNS_4cuda6detail10TensorInfoIKT_T0_EES8_S8_bS8_S8_NS5_IS6_S8_EES8_NS5_IlS8_EES8_PS6_,comdat
	.protected	_ZN2at6native6sbtopk10gatherTopKIfjLin1ELb0EEEvNS_4cuda6detail10TensorInfoIKT_T0_EES8_S8_bS8_S8_NS5_IS6_S8_EES8_NS5_IlS8_EES8_PS6_ ; -- Begin function _ZN2at6native6sbtopk10gatherTopKIfjLin1ELb0EEEvNS_4cuda6detail10TensorInfoIKT_T0_EES8_S8_bS8_S8_NS5_IS6_S8_EES8_NS5_IlS8_EES8_PS6_
	.globl	_ZN2at6native6sbtopk10gatherTopKIfjLin1ELb0EEEvNS_4cuda6detail10TensorInfoIKT_T0_EES8_S8_bS8_S8_NS5_IS6_S8_EES8_NS5_IlS8_EES8_PS6_
	.p2align	8
	.type	_ZN2at6native6sbtopk10gatherTopKIfjLin1ELb0EEEvNS_4cuda6detail10TensorInfoIKT_T0_EES8_S8_bS8_S8_NS5_IS6_S8_EES8_NS5_IlS8_EES8_PS6_,@function
_ZN2at6native6sbtopk10gatherTopKIfjLin1ELb0EEEvNS_4cuda6detail10TensorInfoIKT_T0_EES8_S8_bS8_S8_NS5_IS6_S8_EES8_NS5_IlS8_EES8_PS6_: ; @_ZN2at6native6sbtopk10gatherTopKIfjLin1ELb0EEEvNS_4cuda6detail10TensorInfoIKT_T0_EES8_S8_bS8_S8_NS5_IS6_S8_EES8_NS5_IlS8_EES8_PS6_
; %bb.0:
	s_load_dwordx2 s[10:11], s[4:5], 0x2b8
	s_load_dwordx4 s[60:63], s[4:5], 0xd8
	s_mov_b64 s[20:21], s[4:5]
	s_add_u32 s2, s20, 0x2b8
	s_addc_u32 s3, s21, 0
	s_waitcnt lgkmcnt(0)
	s_mul_i32 s0, s11, s8
	s_add_i32 s0, s0, s7
	s_mul_i32 s0, s0, s10
	s_add_i32 s79, s0, s6
	s_cmp_ge_u32 s79, s63
	s_cbranch_scc1 .LBB91_423
; %bb.1:
	s_load_dword s5, s[20:21], 0xd0
	s_load_dword s22, s[20:21], 0xe8
	s_mov_b32 s1, 0
	s_mov_b32 s0, s79
	s_waitcnt lgkmcnt(0)
	s_cmp_lt_i32 s5, 2
	s_cbranch_scc1 .LBB91_4
; %bb.2:
	s_add_i32 s0, s5, -1
	s_add_i32 s4, s5, 1
	s_lshl_b64 s[8:9], s[0:1], 2
	s_add_u32 s0, s8, s20
	s_addc_u32 s5, s9, s21
	s_add_u32 s8, s0, 8
	s_addc_u32 s9, s5, 0
	s_mov_b32 s0, s79
.LBB91_3:                               ; =>This Inner Loop Header: Depth=1
	s_load_dword s5, s[8:9], 0x0
	s_load_dword s11, s[8:9], 0x64
	s_mov_b32 s7, s0
	s_waitcnt lgkmcnt(0)
	v_cvt_f32_u32_e32 v1, s5
	s_sub_i32 s0, 0, s5
	v_rcp_iflag_f32_e32 v1, v1
	v_mul_f32_e32 v1, 0x4f7ffffe, v1
	v_cvt_u32_f32_e32 v1, v1
	v_readfirstlane_b32 s12, v1
	s_mul_i32 s0, s0, s12
	s_mul_hi_u32 s0, s12, s0
	s_add_i32 s12, s12, s0
	s_mul_hi_u32 s0, s7, s12
	s_mul_i32 s12, s0, s5
	s_sub_i32 s12, s7, s12
	s_add_i32 s13, s0, 1
	s_sub_i32 s14, s12, s5
	s_cmp_ge_u32 s12, s5
	s_cselect_b32 s0, s13, s0
	s_cselect_b32 s12, s14, s12
	s_add_i32 s13, s0, 1
	s_cmp_ge_u32 s12, s5
	s_cselect_b32 s0, s13, s0
	s_mul_i32 s5, s0, s5
	s_sub_i32 s5, s7, s5
	s_mul_i32 s5, s11, s5
	s_add_i32 s4, s4, -1
	s_add_i32 s1, s5, s1
	s_add_u32 s8, s8, -4
	s_addc_u32 s9, s9, -1
	s_cmp_gt_u32 s4, 2
	s_cbranch_scc1 .LBB91_3
.LBB91_4:
	s_load_dword s5, s[20:21], 0x1c0
	s_add_u32 s8, s20, 0xf0
	s_addc_u32 s9, s21, 0
	s_mov_b32 s65, 0
	s_mov_b32 s7, s79
	s_waitcnt lgkmcnt(0)
	s_cmp_lt_i32 s5, 2
	s_cbranch_scc1 .LBB91_7
; %bb.5:
	s_add_i32 s64, s5, -1
	s_add_i32 s4, s5, 1
	s_lshl_b64 s[12:13], s[64:65], 2
	s_add_u32 s5, s12, s8
	s_addc_u32 s7, s13, s9
	s_add_u32 s12, s5, 8
	s_addc_u32 s13, s7, 0
	s_mov_b32 s7, s79
.LBB91_6:                               ; =>This Inner Loop Header: Depth=1
	s_load_dword s5, s[12:13], 0x0
	s_load_dword s14, s[12:13], 0x64
	s_mov_b32 s11, s7
	s_waitcnt lgkmcnt(0)
	v_cvt_f32_u32_e32 v1, s5
	s_sub_i32 s7, 0, s5
	v_rcp_iflag_f32_e32 v1, v1
	v_mul_f32_e32 v1, 0x4f7ffffe, v1
	v_cvt_u32_f32_e32 v1, v1
	v_readfirstlane_b32 s15, v1
	s_mul_i32 s7, s7, s15
	s_mul_hi_u32 s7, s15, s7
	s_add_i32 s15, s15, s7
	s_mul_hi_u32 s7, s11, s15
	s_mul_i32 s15, s7, s5
	s_sub_i32 s15, s11, s15
	s_add_i32 s16, s7, 1
	s_sub_i32 s17, s15, s5
	s_cmp_ge_u32 s15, s5
	s_cselect_b32 s7, s16, s7
	s_cselect_b32 s15, s17, s15
	s_add_i32 s16, s7, 1
	s_cmp_ge_u32 s15, s5
	s_cselect_b32 s7, s16, s7
	s_mul_i32 s5, s7, s5
	s_sub_i32 s5, s11, s5
	s_mul_i32 s5, s14, s5
	s_add_i32 s4, s4, -1
	s_add_i32 s65, s5, s65
	s_add_u32 s12, s12, -4
	s_addc_u32 s13, s13, -1
	s_cmp_gt_u32 s4, 2
	s_cbranch_scc1 .LBB91_6
.LBB91_7:
	s_load_dword s4, s[20:21], 0x6c
	s_load_dword s13, s[20:21], 0x2a0
	s_add_u32 s11, s20, 0x1d0
	s_addc_u32 s12, s21, 0
	s_mov_b32 s67, 0
	s_waitcnt lgkmcnt(0)
	s_cmp_lt_i32 s13, 2
	s_cbranch_scc1 .LBB91_10
; %bb.8:
	s_add_i32 s66, s13, -1
	s_add_i32 s5, s13, 1
	s_lshl_b64 s[14:15], s[66:67], 2
	s_add_u32 s11, s14, s11
	s_addc_u32 s13, s15, s12
	s_add_u32 s12, s11, 8
	s_addc_u32 s13, s13, 0
.LBB91_9:                               ; =>This Inner Loop Header: Depth=1
	s_load_dword s11, s[12:13], 0x0
	s_load_dword s15, s[12:13], 0x64
	s_mov_b32 s14, s79
	s_waitcnt lgkmcnt(0)
	v_cvt_f32_u32_e32 v1, s11
	s_sub_i32 s16, 0, s11
	v_rcp_iflag_f32_e32 v1, v1
	v_mul_f32_e32 v1, 0x4f7ffffe, v1
	v_cvt_u32_f32_e32 v1, v1
	v_readfirstlane_b32 s17, v1
	s_mul_i32 s16, s16, s17
	s_mul_hi_u32 s16, s17, s16
	s_add_i32 s17, s17, s16
	s_mul_hi_u32 s16, s79, s17
	s_mul_i32 s17, s16, s11
	s_sub_i32 s17, s79, s17
	s_add_i32 s18, s16, 1
	s_sub_i32 s19, s17, s11
	s_cmp_ge_u32 s17, s11
	s_cselect_b32 s16, s18, s16
	s_cselect_b32 s17, s19, s17
	s_add_i32 s18, s16, 1
	s_cmp_ge_u32 s17, s11
	s_cselect_b32 s79, s18, s16
	s_mul_i32 s11, s79, s11
	s_sub_i32 s11, s14, s11
	s_mul_i32 s11, s15, s11
	s_add_i32 s5, s5, -1
	s_add_i32 s67, s11, s67
	s_add_u32 s12, s12, -4
	s_addc_u32 s13, s13, -1
	s_cmp_gt_u32 s5, 2
	s_cbranch_scc1 .LBB91_9
.LBB91_10:
	s_load_dword s5, s[8:9], 0x6c
	s_nop 0
	s_load_dwordx2 s[8:9], s[20:21], 0x0
	s_load_dwordx2 s[12:13], s[20:21], 0xf0
                                        ; implicit-def: $vgpr54 : SGPR spill to VGPR lane
	s_mov_b32 s16, 0
	v_cmp_eq_u32_e64 s[14:15], 0, v0
	s_waitcnt lgkmcnt(0)
	v_writelane_b32 v54, s5, 0
	v_writelane_b32 v54, s12, 1
	;; [unrolled: 1-line block ×3, first 2 shown]
	s_load_dwordx2 s[12:13], s[20:21], 0x1d0
	s_waitcnt lgkmcnt(0)
	v_writelane_b32 v54, s12, 3
	v_writelane_b32 v54, s13, 4
	s_mov_b64 s[12:13], exec
	v_writelane_b32 v54, s14, 5
	v_writelane_b32 v54, s15, 6
	s_and_b64 s[14:15], s[12:13], s[14:15]
	s_mov_b64 exec, s[14:15]
	s_cbranch_execz .LBB91_12
; %bb.11:
	v_mov_b32_e32 v2, 0
	v_mov_b32_e32 v3, s60
	;; [unrolled: 1-line block ×3, first 2 shown]
	ds_write_b96 v2, v[2:4] offset:4096
.LBB91_12:
	s_or_b64 exec, exec, s[12:13]
	v_writelane_b32 v54, s20, 7
	s_load_dword s5, s[20:21], 0x23c
	s_mul_i32 s0, s4, s0
	s_add_i32 s0, s0, s1
	s_mov_b32 s1, s16
	s_lshl_b64 s[0:1], s[0:1], 2
	v_writelane_b32 v54, s21, 8
	s_add_u32 s33, s8, s0
	s_waitcnt lgkmcnt(0)
	v_writelane_b32 v54, s5, 9
	s_mov_b32 s4, 0
	s_addc_u32 s64, s9, s1
	v_writelane_b32 v54, s4, 10
	s_barrier
	s_load_dword s0, s[2:3], 0xc
	s_bitcmp1_b32 s62, 0
	v_writelane_b32 v54, s5, 11
	s_cselect_b64 s[4:5], -1, 0
	v_writelane_b32 v54, s4, 12
	v_writelane_b32 v54, s5, 13
	s_xor_b64 s[4:5], s[4:5], -1
	v_mbcnt_lo_u32_b32 v1, -1, 0
	v_writelane_b32 v54, s4, 14
	v_mbcnt_hi_u32_b32 v1, -1, v1
	v_writelane_b32 v54, s5, 15
	s_waitcnt lgkmcnt(0)
	s_and_b32 s66, s0, 0xffff
	s_bfe_u32 s5, s0, 0xa0006
	v_cmp_gt_u32_e32 vcc, 64, v0
	v_cmp_gt_i32_e64 s[0:1], 4, v1
	s_lshl_b32 s12, s66, 2
	s_and_b64 s[0:1], vcc, s[0:1]
	v_writelane_b32 v54, s0, 16
	s_cmpk_gt_u32 s60, 0x300
	v_writelane_b32 v54, s1, 17
	s_cselect_b64 s[0:1], -1, 0
	v_writelane_b32 v54, s0, 18
	s_cmp_gt_u32 s66, 63
	v_writelane_b32 v54, s1, 19
	s_cselect_b64 s[0:1], -1, 0
	v_writelane_b32 v54, s0, 20
	v_writelane_b32 v54, s1, 21
	s_add_i32 s0, s66, -1
	s_add_i32 s4, s0, s60
	s_cmp_lt_u32 s6, s10
	v_writelane_b32 v54, s0, 22
	s_cselect_b32 s0, 12, 18
	s_add_u32 s0, s2, s0
	s_addc_u32 s1, s3, 0
	v_writelane_b32 v54, s0, 23
	s_add_i32 s2, s5, -2
	v_writelane_b32 v54, s1, 24
	s_lshr_b32 s0, s2, 1
	s_add_i32 s3, s0, 1
	s_cmpk_gt_u32 s66, 0x7f
	v_mov_b32_e32 v11, 0
	s_cselect_b64 s[0:1], -1, 0
	v_writelane_b32 v54, s0, 25
	v_mul_lo_u32 v12, v0, s22
	v_mov_b32_e32 v13, v11
	v_writelane_b32 v54, s1, 26
	v_cmp_gt_u32_e64 s[8:9], s60, v0
	v_lshlrev_b64 v[2:3], 2, v[12:13]
	v_writelane_b32 v54, s8, 27
	v_mov_b32_e32 v21, s64
	v_add_co_u32_e32 v8, vcc, s33, v2
	v_lshrrev_b32_e32 v2, 4, v0
	v_writelane_b32 v54, s9, 28
	v_addc_co_u32_e32 v9, vcc, v21, v3, vcc
	v_and_b32_e32 v22, 60, v2
	v_cmp_gt_u32_e64 s[8:9], 2, v0
	v_lshlrev_b64 v[2:3], v1, -1
	v_writelane_b32 v54, s8, 29
	v_not_b32_e32 v6, v2
	v_cvt_f32_u32_e32 v2, s12
	v_writelane_b32 v54, s9, 30
	s_and_b32 s6, s5, 0x3fe
	s_and_b32 s8, s3, 7
	s_cmp_gt_u32 s2, 13
	s_cselect_b64 s[10:11], -1, 0
	v_writelane_b32 v54, s10, 31
	v_rcp_iflag_f32_e32 v2, v2
	v_writelane_b32 v54, s11, 32
	s_and_b32 s2, s3, -8
	v_writelane_b32 v54, s2, 33
	s_cmp_lg_u32 s8, 0
	v_writelane_b32 v54, s8, 34
	s_cselect_b64 s[2:3], -1, 0
	v_writelane_b32 v54, s2, 35
	v_mul_f32_e32 v2, 0x4f7ffffe, v2
	v_writelane_b32 v54, s3, 36
	v_cvt_u32_f32_e32 v2, v2
	v_writelane_b32 v54, s5, 37
	s_cmp_lg_u32 s6, s5
	v_writelane_b32 v54, s6, 38
	s_cselect_b64 s[2:3], -1, 0
	v_writelane_b32 v54, s2, 39
	v_writelane_b32 v54, s3, 40
	s_sub_i32 s2, 0, s12
	v_readfirstlane_b32 s3, v2
	s_mul_i32 s2, s2, s3
	s_mul_hi_u32 s2, s3, s2
	v_cvt_f32_u32_e32 v2, s66
	s_add_i32 s2, s3, s2
	v_writelane_b32 v54, s2, 41
	s_mul_hi_u32 s2, s60, s2
	s_mul_i32 s2, s2, s12
	s_sub_i32 s2, s60, s2
	v_rcp_iflag_f32_e32 v5, v2
	s_sub_i32 s3, s2, s12
	s_cmp_ge_u32 s2, s12
	s_cselect_b32 s2, s3, s2
	s_sub_i32 s3, s2, s12
	v_mul_f32_e32 v5, 0x4f7ffffe, v5
	s_cmp_ge_u32 s2, s12
	v_cvt_u32_f32_e32 v5, v5
	s_cselect_b32 s2, s3, s2
	v_lshlrev_b32_e32 v20, 2, v0
	s_sub_i32 s13, s60, s2
	v_cmp_gt_u32_e64 s[8:9], s13, v20
	v_writelane_b32 v54, s8, 42
	v_add_u32_e32 v24, s13, v0
	s_sub_i32 s3, 0, s66
	v_readfirstlane_b32 s5, v5
	v_writelane_b32 v54, s9, 43
	v_cmp_gt_u32_e64 s[8:9], s60, v24
	s_mul_i32 s3, s3, s5
	v_writelane_b32 v54, s8, 44
	s_mul_hi_u32 s3, s5, s3
	v_writelane_b32 v54, s9, 45
	s_add_i32 s3, s5, s3
	v_writelane_b32 v54, s3, 46
	s_mul_hi_u32 s3, s4, s3
	s_mul_i32 s3, s3, s66
	s_sub_i32 s3, s4, s3
	s_sub_i32 s5, s3, s66
	s_cmp_ge_u32 s3, s66
	v_mul_lo_u32 v10, v24, s22
	s_cselect_b32 s3, s5, s3
	v_not_b32_e32 v7, v3
	v_lshlrev_b64 v[2:3], 2, v[10:11]
	s_sub_i32 s5, s3, s66
	v_add_co_u32_e32 v14, vcc, s33, v2
	s_cmp_ge_u32 s3, s66
	v_mul_lo_u32 v2, s22, v20
	s_cselect_b32 s3, s5, s3
	v_add_u32_e32 v25, s22, v2
	v_or_b32_e32 v2, 2, v20
	s_sub_i32 s6, s4, s3
	v_mul_lo_u32 v26, s22, v2
	v_or_b32_e32 v2, 3, v20
	s_add_i32 s3, s66, s60
	v_cmp_gt_u32_e64 s[4:5], s6, v0
	v_mul_lo_u32 v27, s22, v2
	v_add_u32_e32 v2, s3, v0
	v_lshlrev_b32_e32 v4, 2, v1
	v_mov_b32_e32 v10, s64
	v_writelane_b32 v54, s4, 47
	s_mul_i32 s78, s22, s66
	v_subrev_u32_e32 v2, s2, v2
	v_cmp_eq_u32_e64 s[0:1], 0, v1
	v_add_u32_e32 v23, 0xc00, v20
	v_and_b32_e32 v13, 0x100, v4
	v_addc_co_u32_e32 v15, vcc, v10, v3, vcc
	v_writelane_b32 v54, s5, 48
	s_lshl_b32 s72, s78, 2
	v_lshlrev_b32_e32 v28, 2, v12
	v_mul_lo_u32 v29, s22, v2
	v_lshlrev_b32_e32 v30, 4, v0
	s_lshl_b32 s73, s66, 4
	v_or_b32_e32 v31, 0xc00, v4
	s_mov_b32 s10, 30
	s_mov_b64 s[90:91], 0
	v_mov_b32_e32 v36, s61
	v_mov_b32_e32 v16, 1.0
	v_bfrev_b32_e32 v32, 1
	v_mov_b32_e32 v33, 0xc00
	v_mov_b32_e32 v19, 0
	s_mov_b32 s11, 0
	v_mov_b32_e32 v35, 0
	v_mov_b32_e32 v34, 0
	v_writelane_b32 v54, s22, 49
                                        ; implicit-def: $sgpr92_sgpr93
                                        ; implicit-def: $sgpr94_sgpr95
                                        ; implicit-def: $sgpr70_sgpr71
                                        ; implicit-def: $sgpr2_sgpr3
                                        ; implicit-def: $sgpr68_sgpr69
                                        ; implicit-def: $sgpr84_sgpr85
                                        ; implicit-def: $sgpr86_sgpr87
                                        ; implicit-def: $sgpr88_sgpr89
                                        ; implicit-def: $sgpr80_sgpr81
                                        ; implicit-def: $sgpr82_sgpr83
	s_branch .LBB91_15
.LBB91_13:                              ;   in Loop: Header=BB91_15 Depth=1
	s_or_b64 exec, exec, s[20:21]
	s_andn2_b64 s[4:5], s[82:83], exec
	s_and_b64 s[14:15], s[18:19], exec
	s_or_b64 s[82:83], s[4:5], s[14:15]
	s_andn2_b64 s[80:81], s[80:81], exec
	s_andn2_b64 s[88:89], s[88:89], exec
	;; [unrolled: 1-line block ×4, first 2 shown]
	s_orn2_b64 s[16:17], s[16:17], exec
	v_mov_b32_e32 v34, v5
	v_mov_b32_e32 v35, v4
	;; [unrolled: 1-line block ×4, first 2 shown]
.LBB91_14:                              ;   in Loop: Header=BB91_15 Depth=1
	s_or_b64 exec, exec, s[8:9]
	s_and_b64 s[4:5], exec, s[16:17]
	s_or_b64 s[90:91], s[4:5], s[90:91]
	s_andn2_b64 s[4:5], s[68:69], exec
	s_and_b64 s[8:9], s[82:83], exec
	s_or_b64 s[68:69], s[4:5], s[8:9]
	s_andn2_b64 s[2:3], s[2:3], exec
	s_and_b64 s[4:5], s[80:81], exec
	;; [unrolled: 3-line block ×5, first 2 shown]
	s_or_b64 s[92:93], s[4:5], s[8:9]
	s_andn2_b64 exec, exec, s[90:91]
	s_cbranch_execz .LBB91_419
.LBB91_15:                              ; =>This Loop Header: Depth=1
                                        ;     Child Loop BB91_23 Depth 2
                                        ;     Child Loop BB91_41 Depth 2
	;; [unrolled: 1-line block ×25, first 2 shown]
	ds_read_b64 v[2:3], v11 offset:4096
	s_waitcnt lgkmcnt(0)
	v_readfirstlane_b32 s4, v2
	s_cmp_lg_u32 s4, 0
	s_cbranch_scc1 .LBB91_48
; %bb.16:                               ;   in Loop: Header=BB91_15 Depth=1
	v_readlane_b32 s4, v54, 18
	v_readlane_b32 s5, v54, 19
	s_and_b64 vcc, exec, s[4:5]
	s_cbranch_vccz .LBB91_31
; %bb.17:                               ;   in Loop: Header=BB91_15 Depth=1
	s_movk_i32 s4, 0x301
	v_cmp_gt_u32_e32 vcc, s4, v3
	s_mov_b64 s[8:9], 0
	s_mov_b64 s[16:17], 0
	s_cbranch_vccz .LBB91_32
; %bb.18:                               ;   in Loop: Header=BB91_15 Depth=1
	v_mov_b32_e32 v2, 0
	s_mov_b64 s[16:17], exec
	v_readlane_b32 s4, v54, 27
	v_readlane_b32 s5, v54, 28
	s_and_b64 s[4:5], s[16:17], s[4:5]
	s_mov_b64 exec, s[4:5]
	s_cbranch_execz .LBB91_20
; %bb.19:                               ;   in Loop: Header=BB91_15 Depth=1
	global_load_dword v2, v[8:9], off
.LBB91_20:                              ;   in Loop: Header=BB91_15 Depth=1
	s_or_b64 exec, exec, s[16:17]
	s_mov_b64 s[16:17], exec
	v_readlane_b32 s4, v54, 27
	v_readlane_b32 s5, v54, 28
	s_and_b64 s[4:5], s[16:17], s[4:5]
	s_mov_b64 exec, s[4:5]
	s_cbranch_execz .LBB91_33
; %bb.21:                               ;   in Loop: Header=BB91_15 Depth=1
	v_readlane_b32 s4, v54, 23
	v_readlane_b32 s5, v54, 24
	s_mov_b64 s[22:23], 0
	s_nop 3
	global_load_ushort v3, v11, s[4:5]
	v_readlane_b32 s4, v54, 49
	s_waitcnt vmcnt(0)
	v_add_u32_e32 v5, v0, v3
	v_mul_lo_u32 v4, s4, v3
	v_mul_lo_u32 v10, s4, v5
	v_mov_b32_e32 v5, v0
	s_branch .LBB91_23
.LBB91_22:                              ;   in Loop: Header=BB91_23 Depth=2
	s_or_b64 exec, exec, s[20:21]
	v_add_u32_e32 v10, v10, v4
	s_waitcnt vmcnt(0)
	v_mov_b32_e32 v2, v17
	s_andn2_b64 exec, exec, s[22:23]
	s_cbranch_execz .LBB91_33
.LBB91_23:                              ;   Parent Loop BB91_15 Depth=1
                                        ; =>  This Inner Loop Header: Depth=2
	v_add_u32_e32 v5, v5, v3
	v_cmp_gt_u32_e64 s[18:19], s60, v5
	v_cmp_le_u32_e32 vcc, s60, v5
	s_waitcnt lgkmcnt(0)
	v_mov_b32_e32 v18, 0
	v_mov_b32_e32 v17, 0
	s_and_saveexec_b64 s[20:21], s[18:19]
	s_cbranch_execz .LBB91_25
; %bb.24:                               ;   in Loop: Header=BB91_23 Depth=2
	v_lshlrev_b64 v[38:39], 2, v[10:11]
	v_add_co_u32_e64 v38, s[18:19], s33, v38
	v_addc_co_u32_e64 v39, s[18:19], v21, v39, s[18:19]
	global_load_dword v17, v[38:39], off
.LBB91_25:                              ;   in Loop: Header=BB91_23 Depth=2
	s_or_b64 exec, exec, s[20:21]
	v_cmp_lt_i32_e64 s[18:19], -1, v2
	v_cndmask_b32_e64 v37, -1, v32, s[18:19]
	v_xor_b32_e32 v37, v37, v2
	v_cmp_o_f32_e64 s[18:19], v2, v2
	v_cndmask_b32_e64 v37, -1, v37, s[18:19]
	v_and_b32_e32 v37, v37, v34
	v_cmp_eq_u32_e64 s[18:19], v37, v35
	s_cmp_lg_u64 s[18:19], 0
	s_cselect_b64 s[4:5], -1, 0
	s_and_b64 s[4:5], s[0:1], s[4:5]
	s_and_saveexec_b64 s[24:25], s[4:5]
	s_cbranch_execz .LBB91_29
; %bb.26:                               ;   in Loop: Header=BB91_23 Depth=2
	s_mov_b64 s[28:29], exec
	v_mbcnt_lo_u32_b32 v18, s28, 0
	v_mbcnt_hi_u32_b32 v18, s29, v18
	s_bcnt1_i32_b64 s4, s[18:19]
	v_cmp_eq_u32_e64 s[20:21], 0, v18
                                        ; implicit-def: $vgpr37
	s_and_saveexec_b64 s[26:27], s[20:21]
	s_cbranch_execz .LBB91_28
; %bb.27:                               ;   in Loop: Header=BB91_23 Depth=2
	s_bcnt1_i32_b64 s5, s[28:29]
	s_mul_i32 s5, s4, s5
	v_mov_b32_e32 v37, s5
	ds_add_rtn_u32 v37, v11, v37 offset:4104
.LBB91_28:                              ;   in Loop: Header=BB91_23 Depth=2
	s_or_b64 exec, exec, s[26:27]
	s_waitcnt lgkmcnt(0)
	v_readfirstlane_b32 s5, v37
	v_mov_b32_e32 v37, s5
	v_mad_u32_u24 v18, s4, v18, v37
.LBB91_29:                              ;   in Loop: Header=BB91_23 Depth=2
	s_or_b64 exec, exec, s[24:25]
	ds_bpermute_b32 v18, v13, v18
	s_and_b64 s[4:5], exec, vcc
	s_or_b64 s[22:23], s[4:5], s[22:23]
	s_and_saveexec_b64 s[20:21], s[18:19]
	s_cbranch_execz .LBB91_22
; %bb.30:                               ;   in Loop: Header=BB91_23 Depth=2
	v_and_b32_e32 v38, s18, v6
	v_and_b32_e32 v37, s19, v7
	v_bcnt_u32_b32 v38, v38, 0
	v_bcnt_u32_b32 v37, v37, v38
	v_lshlrev_b32_e32 v37, 2, v37
	s_waitcnt lgkmcnt(0)
	v_lshl_add_u32 v18, v18, 2, v37
	ds_write_b32 v18, v2
	s_branch .LBB91_22
.LBB91_31:                              ;   in Loop: Header=BB91_15 Depth=1
	s_mov_b64 s[16:17], 0
                                        ; implicit-def: $sgpr4
	s_cbranch_execnz .LBB91_36
	s_branch .LBB91_46
.LBB91_32:                              ;   in Loop: Header=BB91_15 Depth=1
	s_mov_b32 s4, 0
	s_and_b64 vcc, exec, s[8:9]
	s_cbranch_vccnz .LBB91_36
	s_branch .LBB91_46
.LBB91_33:                              ;   in Loop: Header=BB91_15 Depth=1
	s_or_b64 exec, exec, s[16:17]
	s_waitcnt lgkmcnt(0)
	s_barrier
	s_mov_b64 s[16:17], exec
	v_readlane_b32 s4, v54, 5
	v_readlane_b32 s5, v54, 6
	s_and_b64 s[4:5], s[16:17], s[4:5]
	s_mov_b64 exec, s[4:5]
	s_cbranch_execz .LBB91_35
; %bb.34:                               ;   in Loop: Header=BB91_15 Depth=1
	s_waitcnt vmcnt(0)
	ds_read_b32 v2, v11 offset:4104
	s_waitcnt lgkmcnt(0)
	ds_write_b32 v11, v2 offset:4096
.LBB91_35:                              ;   in Loop: Header=BB91_15 Depth=1
	s_or_b64 exec, exec, s[16:17]
	s_waitcnt lgkmcnt(0)
	s_barrier
	s_mov_b64 s[16:17], -1
	s_mov_b32 s4, 0
	s_and_b64 vcc, exec, s[8:9]
	s_cbranch_vccz .LBB91_46
.LBB91_36:                              ;   in Loop: Header=BB91_15 Depth=1
	s_waitcnt vmcnt(0)
	v_mov_b32_e32 v2, 0
	s_mov_b64 s[8:9], exec
	v_readlane_b32 s4, v54, 27
	v_readlane_b32 s5, v54, 28
	s_and_b64 s[4:5], s[8:9], s[4:5]
	s_mov_b64 exec, s[4:5]
	s_cbranch_execz .LBB91_38
; %bb.37:                               ;   in Loop: Header=BB91_15 Depth=1
	global_load_dword v2, v[8:9], off
.LBB91_38:                              ;   in Loop: Header=BB91_15 Depth=1
	s_or_b64 exec, exec, s[8:9]
	s_mov_b64 s[8:9], exec
	v_readlane_b32 s4, v54, 27
	v_readlane_b32 s5, v54, 28
	s_and_b64 s[4:5], s[8:9], s[4:5]
	s_mov_b64 exec, s[4:5]
	s_cbranch_execz .LBB91_43
; %bb.39:                               ;   in Loop: Header=BB91_15 Depth=1
	v_readlane_b32 s4, v54, 23
	v_readlane_b32 s5, v54, 24
	s_mov_b64 s[16:17], 0
	v_mov_b32_e32 v4, v20
	v_mov_b32_e32 v18, v0
	s_nop 1
	global_load_ushort v3, v11, s[4:5]
	v_readlane_b32 s4, v54, 49
	s_waitcnt vmcnt(0)
	v_add_u32_e32 v10, v0, v3
	v_lshlrev_b32_e32 v5, 2, v3
	v_mul_lo_u32 v17, s4, v3
	v_mul_lo_u32 v10, s4, v10
	s_branch .LBB91_41
.LBB91_40:                              ;   in Loop: Header=BB91_41 Depth=2
	s_or_b64 exec, exec, s[20:21]
	s_and_b64 s[4:5], exec, vcc
	s_or_b64 s[16:17], s[4:5], s[16:17]
	ds_write_b32 v4, v2
	v_add_u32_e32 v4, v4, v5
	v_add_u32_e32 v10, v10, v17
	s_waitcnt vmcnt(0)
	v_mov_b32_e32 v2, v37
	s_andn2_b64 exec, exec, s[16:17]
	s_cbranch_execz .LBB91_43
.LBB91_41:                              ;   Parent Loop BB91_15 Depth=1
                                        ; =>  This Inner Loop Header: Depth=2
	v_add_u32_e32 v18, v18, v3
	v_cmp_gt_u32_e64 s[18:19], s60, v18
	v_cmp_le_u32_e32 vcc, s60, v18
	v_mov_b32_e32 v37, 0
	s_and_saveexec_b64 s[20:21], s[18:19]
	s_cbranch_execz .LBB91_40
; %bb.42:                               ;   in Loop: Header=BB91_41 Depth=2
	v_lshlrev_b64 v[38:39], 2, v[10:11]
	v_mov_b32_e32 v37, s64
	v_add_co_u32_e64 v38, s[18:19], s33, v38
	v_addc_co_u32_e64 v39, s[18:19], v37, v39, s[18:19]
	global_load_dword v37, v[38:39], off
	s_branch .LBB91_40
.LBB91_43:                              ;   in Loop: Header=BB91_15 Depth=1
	s_or_b64 exec, exec, s[8:9]
	s_waitcnt lgkmcnt(0)
	s_barrier
	s_mov_b64 s[8:9], exec
	v_readlane_b32 s4, v54, 5
	v_readlane_b32 s5, v54, 6
	s_and_b64 s[4:5], s[8:9], s[4:5]
	s_mov_b64 exec, s[4:5]
	s_cbranch_execz .LBB91_45
; %bb.44:                               ;   in Loop: Header=BB91_15 Depth=1
	s_waitcnt vmcnt(0)
	v_mov_b32_e32 v2, s60
	ds_write_b32 v11, v2 offset:4096
.LBB91_45:                              ;   in Loop: Header=BB91_15 Depth=1
	s_or_b64 exec, exec, s[8:9]
	s_mov_b64 s[16:17], -1
	s_waitcnt lgkmcnt(0)
	s_barrier
                                        ; implicit-def: $sgpr4
.LBB91_46:                              ;   in Loop: Header=BB91_15 Depth=1
	s_and_b64 vcc, exec, s[16:17]
	s_cbranch_vccz .LBB91_48
; %bb.47:                               ;   in Loop: Header=BB91_15 Depth=1
	s_waitcnt vmcnt(0)
	ds_read_b32 v2, v11 offset:4096
	s_waitcnt lgkmcnt(0)
	v_readfirstlane_b32 s4, v2
.LBB91_48:                              ;   in Loop: Header=BB91_15 Depth=1
	s_cmp_lt_i32 s4, 1
	s_cbranch_scc0 .LBB91_60
; %bb.49:                               ;   in Loop: Header=BB91_15 Depth=1
	s_waitcnt vmcnt(0)
	v_mov_b32_e32 v2, 0
	s_mov_b32 s5, 0
	v_mov_b32_e32 v3, 0
	v_mov_b32_e32 v4, v2
	;; [unrolled: 1-line block ×3, first 2 shown]
	s_mov_b64 s[16:17], exec
	v_readlane_b32 s8, v54, 42
	v_readlane_b32 s9, v54, 43
	s_and_b64 s[8:9], s[16:17], s[8:9]
	s_mov_b64 exec, s[8:9]
	s_cbranch_execz .LBB91_53
; %bb.50:                               ;   in Loop: Header=BB91_15 Depth=1
	s_and_b32 s8, s10, 0xfe
	s_mov_b64 s[48:49], 0
	s_mov_b32 s9, 0
	s_mov_b32 s14, 0
	;; [unrolled: 1-line block ×4, first 2 shown]
	v_mov_b32_e32 v17, v20
.LBB91_51:                              ;   Parent Loop BB91_15 Depth=1
                                        ; =>  This Inner Loop Header: Depth=2
	v_add_u32_e32 v10, s5, v28
	v_lshlrev_b64 v[2:3], 2, v[10:11]
	v_mov_b32_e32 v18, s64
	v_add_u32_e32 v10, s5, v25
	v_add_co_u32_e64 v2, s[18:19], s33, v2
	v_lshlrev_b64 v[4:5], 2, v[10:11]
	v_addc_co_u32_e64 v3, s[18:19], v18, v3, s[18:19]
	v_add_u32_e32 v10, s5, v26
	global_load_dword v37, v[2:3], off
	v_add_co_u32_e64 v2, s[18:19], s33, v4
	v_lshlrev_b64 v[38:39], 2, v[10:11]
	v_add_u32_e32 v10, s5, v27
	v_addc_co_u32_e64 v3, s[18:19], v18, v5, s[18:19]
	v_lshlrev_b64 v[4:5], 2, v[10:11]
	global_load_dword v10, v[2:3], off
	v_add_co_u32_e64 v2, s[18:19], s33, v38
	v_addc_co_u32_e64 v3, s[18:19], v18, v39, s[18:19]
	global_load_dword v38, v[2:3], off
	v_add_co_u32_e64 v2, s[18:19], s33, v4
	v_addc_co_u32_e64 v3, s[18:19], v18, v5, s[18:19]
	global_load_dword v2, v[2:3], off
	v_add_u32_e32 v17, s12, v17
	v_cmp_le_u32_e32 vcc, s13, v17
	s_add_i32 s5, s5, s72
	s_waitcnt vmcnt(3)
	v_cmp_lt_i32_e64 s[18:19], -1, v37
	v_cndmask_b32_e64 v3, -1, v32, s[18:19]
	v_xor_b32_e32 v3, v3, v37
	s_waitcnt vmcnt(2)
	v_cmp_lt_i32_e64 s[18:19], -1, v10
	v_cndmask_b32_e64 v4, -1, v32, s[18:19]
	v_cmp_o_f32_e64 s[18:19], v37, v37
	v_cndmask_b32_e64 v3, -1, v3, s[18:19]
	v_xor_b32_e32 v4, v4, v10
	s_waitcnt vmcnt(1)
	v_cmp_lt_i32_e64 s[18:19], -1, v38
	v_cndmask_b32_e64 v5, -1, v32, s[18:19]
	v_cmp_o_f32_e64 s[18:19], v10, v10
	v_cndmask_b32_e64 v4, -1, v4, s[18:19]
	v_xor_b32_e32 v5, v5, v38
	s_waitcnt vmcnt(0)
	v_cmp_lt_i32_e64 s[18:19], -1, v2
	v_cndmask_b32_e64 v10, -1, v32, s[18:19]
	v_and_b32_e32 v18, v3, v34
	v_bfe_u32 v3, v3, s8, 2
	v_cmp_o_f32_e64 s[18:19], v38, v38
	v_cndmask_b32_e64 v5, -1, v5, s[18:19]
	v_cmp_eq_u32_e64 s[18:19], v18, v35
	v_cmp_eq_u32_e64 s[20:21], 0, v3
	v_and_b32_e32 v18, v4, v34
	v_bfe_u32 v4, v4, s8, 2
	v_cmp_eq_u32_e64 s[22:23], 1, v3
	s_and_b64 s[20:21], s[18:19], s[20:21]
	v_xor_b32_e32 v10, v10, v2
	v_cmp_eq_u32_e64 s[24:25], 2, v3
	v_cmp_eq_u32_e64 s[26:27], 3, v3
	v_cmp_o_f32_e64 s[28:29], v2, v2
	v_cmp_eq_u32_e64 s[30:31], 0, v4
	v_cmp_eq_u32_e64 s[34:35], 1, v4
	;; [unrolled: 1-line block ×4, first 2 shown]
	v_cndmask_b32_e64 v4, 0, 1, s[20:21]
	s_and_b64 s[20:21], s[18:19], s[22:23]
	v_cndmask_b32_e64 v2, -1, v10, s[28:29]
	v_cmp_eq_u32_e64 s[28:29], v18, v35
	v_and_b32_e32 v3, v5, v34
	v_bfe_u32 v5, v5, s8, 2
	v_cndmask_b32_e64 v10, 0, 1, s[20:21]
	s_and_b64 s[20:21], s[18:19], s[24:25]
	s_and_b64 s[18:19], s[18:19], s[26:27]
	v_cndmask_b32_e64 v18, 0, 1, s[20:21]
	v_cndmask_b32_e64 v37, 0, 1, s[18:19]
	v_cmp_eq_u32_e64 s[18:19], v3, v35
	v_and_b32_e32 v3, v2, v34
	v_bfe_u32 v2, v2, s8, 2
	v_cmp_eq_u32_e64 s[20:21], 0, v5
	s_and_b64 s[30:31], s[28:29], s[30:31]
	s_and_b64 s[34:35], s[28:29], s[34:35]
	;; [unrolled: 1-line block ×4, first 2 shown]
	v_cmp_eq_u32_e64 s[22:23], 1, v5
	v_cmp_eq_u32_e64 s[24:25], 2, v5
	;; [unrolled: 1-line block ×3, first 2 shown]
	v_cndmask_b32_e64 v5, 0, 1, s[34:35]
	v_cmp_ne_u32_e64 s[34:35], 0, v18
	v_cndmask_b32_e64 v18, 0, 1, s[28:29]
	v_cmp_eq_u32_e64 s[28:29], v3, v35
	v_cmp_eq_u32_e64 s[38:39], 0, v2
	s_and_b64 s[20:21], s[18:19], s[20:21]
	v_cmp_eq_u32_e64 s[42:43], 1, v2
	v_cmp_eq_u32_e64 s[44:45], 2, v2
	;; [unrolled: 1-line block ×3, first 2 shown]
	v_cndmask_b32_e64 v2, 0, 1, s[20:21]
	s_and_b64 s[22:23], s[18:19], s[22:23]
	s_and_b64 s[24:25], s[18:19], s[24:25]
	s_and_b64 s[18:19], s[18:19], s[26:27]
	s_and_b64 s[26:27], s[28:29], s[38:39]
	v_cmp_ne_u32_e64 s[40:41], 0, v4
	v_cndmask_b32_e64 v4, 0, 1, s[30:31]
	v_cmp_ne_u32_e64 s[30:31], 0, v10
	v_cndmask_b32_e64 v10, 0, 1, s[36:37]
	v_cmp_ne_u32_e64 s[36:37], 0, v37
	v_cmp_ne_u32_e64 s[20:21], 0, v5
	v_cndmask_b32_e64 v3, 0, 1, s[22:23]
	v_cndmask_b32_e64 v5, 0, 1, s[18:19]
	v_cmp_ne_u32_e64 s[18:19], 0, v2
	v_cndmask_b32_e64 v2, 0, 1, s[26:27]
	s_and_b64 s[26:27], s[28:29], s[42:43]
	s_bcnt1_i32_b64 s51, s[40:41]
	v_cmp_ne_u32_e64 s[40:41], 0, v4
	s_bcnt1_i32_b64 s30, s[30:31]
	s_bcnt1_i32_b64 s31, s[34:35]
	v_cmp_ne_u32_e64 s[22:23], 0, v10
	v_cndmask_b32_e64 v4, 0, 1, s[24:25]
	s_bcnt1_i32_b64 s34, s[36:37]
	s_bcnt1_i32_b64 s37, s[20:21]
	v_cmp_ne_u32_e64 s[20:21], 0, v3
	v_cndmask_b32_e64 v3, 0, 1, s[26:27]
	s_and_b64 s[26:27], s[28:29], s[44:45]
	v_cmp_ne_u32_e64 s[24:25], 0, v18
	s_add_i32 s30, s15, s30
	s_bcnt1_i32_b64 s38, s[22:23]
	v_cmp_ne_u32_e64 s[22:23], 0, v4
	v_cndmask_b32_e64 v4, 0, 1, s[26:27]
	s_add_i32 s26, s14, s31
	s_and_b64 s[14:15], s[28:29], s[46:47]
	s_bcnt1_i32_b64 s35, s[40:41]
	s_add_i32 s36, s50, s51
	s_bcnt1_i32_b64 s27, s[24:25]
	v_cmp_ne_u32_e64 s[24:25], 0, v5
	v_cndmask_b32_e64 v5, 0, 1, s[14:15]
	s_add_i32 s9, s9, s34
	s_bcnt1_i32_b64 s14, s[18:19]
	v_cmp_ne_u32_e64 s[18:19], 0, v2
	s_add_i32 s15, s36, s35
	s_bcnt1_i32_b64 s28, s[20:21]
	v_cmp_ne_u32_e64 s[20:21], 0, v3
	;; [unrolled: 3-line block ×4, first 2 shown]
	s_add_i32 s9, s9, s27
	s_bcnt1_i32_b64 s18, s[18:19]
	s_add_i32 s14, s15, s14
	s_bcnt1_i32_b64 s15, s[20:21]
	;; [unrolled: 2-line block ×4, first 2 shown]
	s_add_i32 s9, s9, s31
	s_add_i32 s50, s14, s18
	;; [unrolled: 1-line block ×5, first 2 shown]
	s_or_b64 s[48:49], vcc, s[48:49]
	v_mov_b32_e32 v2, s50
	v_mov_b32_e32 v3, s15
	;; [unrolled: 1-line block ×4, first 2 shown]
	s_andn2_b64 exec, exec, s[48:49]
	s_cbranch_execnz .LBB91_51
; %bb.52:                               ;   in Loop: Header=BB91_15 Depth=1
	s_or_b64 exec, exec, s[48:49]
.LBB91_53:                              ;   in Loop: Header=BB91_15 Depth=1
	s_or_b64 exec, exec, s[16:17]
	v_mov_b32_e32 v17, 0
	s_mov_b64 s[8:9], exec
	v_readlane_b32 s14, v54, 44
	v_readlane_b32 s15, v54, 45
	s_and_b64 s[14:15], s[8:9], s[14:15]
	s_mov_b64 exec, s[14:15]
	s_cbranch_execz .LBB91_55
; %bb.54:                               ;   in Loop: Header=BB91_15 Depth=1
	global_load_dword v17, v[14:15], off
.LBB91_55:                              ;   in Loop: Header=BB91_15 Depth=1
	s_or_b64 exec, exec, s[8:9]
	s_mov_b64 s[8:9], 0
	s_mov_b64 s[16:17], 0
	s_mov_b64 s[20:21], exec
	v_readlane_b32 s14, v54, 44
	v_readlane_b32 s15, v54, 45
	s_and_b64 s[14:15], s[20:21], s[14:15]
	s_mov_b64 exec, s[14:15]
	s_cbranch_execz .LBB91_62
; %bb.56:                               ;   in Loop: Header=BB91_15 Depth=1
	s_and_b32 s5, s10, 0xfe
	v_mov_b32_e32 v10, v29
	v_mov_b32_e32 v18, v24
	s_branch .LBB91_58
.LBB91_57:                              ;   in Loop: Header=BB91_58 Depth=2
	s_or_b64 exec, exec, s[22:23]
	s_and_b64 s[14:15], exec, vcc
	s_waitcnt vmcnt(0)
	v_cmp_lt_i32_e32 vcc, -1, v17
	v_cndmask_b32_e32 v38, -1, v32, vcc
	v_xor_b32_e32 v38, v38, v17
	v_cmp_o_f32_e32 vcc, v17, v17
	v_cndmask_b32_e32 v17, -1, v38, vcc
	v_and_b32_e32 v38, v17, v34
	v_bfe_u32 v17, v17, s5, 2
	s_or_b64 s[16:17], s[14:15], s[16:17]
	v_cmp_eq_u32_e32 vcc, v38, v35
	v_cmp_eq_u32_e64 s[18:19], 0, v17
	s_and_b64 s[14:15], vcc, s[18:19]
	v_cndmask_b32_e64 v38, 0, 1, s[14:15]
	v_cmp_ne_u32_e64 s[18:19], 0, v38
	s_bcnt1_i32_b64 s14, s[18:19]
	v_cmp_eq_u32_e64 s[18:19], 1, v17
	v_add_u32_e32 v2, s14, v2
	s_and_b64 s[14:15], vcc, s[18:19]
	v_cndmask_b32_e64 v38, 0, 1, s[14:15]
	v_cmp_ne_u32_e64 s[18:19], 0, v38
	s_bcnt1_i32_b64 s14, s[18:19]
	v_cmp_eq_u32_e64 s[18:19], 2, v17
	v_add_u32_e32 v3, s14, v3
	;; [unrolled: 6-line block ×3, first 2 shown]
	s_and_b64 s[14:15], vcc, s[18:19]
	v_cndmask_b32_e64 v17, 0, 1, s[14:15]
	v_cmp_ne_u32_e32 vcc, 0, v17
	s_bcnt1_i32_b64 s14, vcc
	v_add_u32_e32 v5, s14, v5
	v_add_u32_e32 v10, s78, v10
	v_mov_b32_e32 v17, v37
	s_andn2_b64 exec, exec, s[16:17]
	s_cbranch_execz .LBB91_61
.LBB91_58:                              ;   Parent Loop BB91_15 Depth=1
                                        ; =>  This Inner Loop Header: Depth=2
	v_add_u32_e32 v18, s66, v18
	v_cmp_gt_u32_e64 s[18:19], s60, v18
	v_cmp_le_u32_e32 vcc, s60, v18
	v_mov_b32_e32 v37, 0
	s_and_saveexec_b64 s[22:23], s[18:19]
	s_cbranch_execz .LBB91_57
; %bb.59:                               ;   in Loop: Header=BB91_58 Depth=2
	v_lshlrev_b64 v[38:39], 2, v[10:11]
	v_mov_b32_e32 v37, s64
	v_add_co_u32_e64 v38, s[18:19], s33, v38
	v_addc_co_u32_e64 v39, s[18:19], v37, v39, s[18:19]
	global_load_dword v37, v[38:39], off
	s_branch .LBB91_57
.LBB91_60:                              ;   in Loop: Header=BB91_15 Depth=1
	s_mov_b64 s[16:17], 0
                                        ; implicit-def: $vgpr5
	s_cbranch_execnz .LBB91_63
	s_branch .LBB91_72
.LBB91_61:                              ;   in Loop: Header=BB91_15 Depth=1
	s_or_b64 exec, exec, s[16:17]
	s_mov_b64 s[16:17], exec
.LBB91_62:                              ;   in Loop: Header=BB91_15 Depth=1
	s_or_b64 exec, exec, s[20:21]
	s_and_b64 vcc, exec, s[8:9]
	s_cbranch_vccz .LBB91_72
.LBB91_63:                              ;   in Loop: Header=BB91_15 Depth=1
	v_readlane_b32 s5, v54, 41
	s_mul_hi_u32 s5, s4, s5
	s_mul_i32 s5, s5, s12
	s_sub_i32 s5, s4, s5
	s_sub_i32 s8, s5, s12
	s_cmp_ge_u32 s5, s12
	s_cselect_b32 s5, s8, s5
	s_sub_i32 s8, s5, s12
	s_cmp_ge_u32 s5, s12
	s_cselect_b32 s5, s8, s5
	s_sub_i32 s5, s4, s5
	v_cmp_gt_u32_e32 vcc, s5, v20
	s_mov_b32 s15, 0
	s_waitcnt vmcnt(0)
	v_mov_b32_e32 v2, 0
	v_mov_b32_e32 v3, 0
	;; [unrolled: 1-line block ×4, first 2 shown]
	s_and_saveexec_b64 s[8:9], vcc
	s_cbranch_execz .LBB91_67
; %bb.64:                               ;   in Loop: Header=BB91_15 Depth=1
	s_and_b32 s14, s10, 0xfe
	s_mov_b64 s[76:77], 0
	v_mov_b32_e32 v10, v30
	s_mov_b32 s62, 0
	s_mov_b32 s63, 0
	;; [unrolled: 1-line block ×3, first 2 shown]
	v_mov_b32_e32 v17, v20
.LBB91_65:                              ;   Parent Loop BB91_15 Depth=1
                                        ; =>  This Inner Loop Header: Depth=2
	ds_read_b128 v[2:5], v10
	v_add_u32_e32 v17, s12, v17
	v_cmp_le_u32_e32 vcc, s5, v17
	v_add_u32_e32 v10, s73, v10
	s_waitcnt lgkmcnt(0)
	v_cmp_lt_i32_e64 s[18:19], -1, v2
	v_cndmask_b32_e64 v18, -1, v32, s[18:19]
	v_cmp_lt_i32_e64 s[18:19], -1, v3
	v_cndmask_b32_e64 v37, -1, v32, s[18:19]
	;; [unrolled: 2-line block ×4, first 2 shown]
	v_xor_b32_e32 v37, v37, v3
	v_cmp_o_f32_e64 s[18:19], v3, v3
	v_xor_b32_e32 v3, v38, v4
	v_cmp_o_f32_e64 s[20:21], v4, v4
	;; [unrolled: 2-line block ×4, first 2 shown]
	v_cndmask_b32_e64 v2, -1, v5, s[24:25]
	v_cndmask_b32_e64 v5, -1, v37, s[18:19]
	v_and_b32_e32 v18, v2, v34
	v_bfe_u32 v2, v2, s14, 2
	v_cndmask_b32_e64 v3, -1, v3, s[20:21]
	v_and_b32_e32 v37, v5, v34
	v_bfe_u32 v5, v5, s14, 2
	v_cmp_eq_u32_e64 s[18:19], v18, v35
	v_cmp_eq_u32_e64 s[26:27], 0, v2
	v_cndmask_b32_e64 v4, -1, v4, s[22:23]
	v_and_b32_e32 v38, v3, v34
	v_bfe_u32 v3, v3, s14, 2
	v_cmp_eq_u32_e64 s[20:21], v37, v35
	v_cmp_eq_u32_e64 s[28:29], 0, v5
	s_and_b64 s[26:27], s[18:19], s[26:27]
	v_and_b32_e32 v39, v4, v34
	v_bfe_u32 v4, v4, s14, 2
	v_cmp_eq_u32_e64 s[22:23], v38, v35
	v_cmp_eq_u32_e64 s[30:31], 0, v3
	;; [unrolled: 1-line block ×5, first 2 shown]
	v_cndmask_b32_e64 v2, 0, 1, s[26:27]
	s_and_b64 s[26:27], s[20:21], s[28:29]
	v_cmp_eq_u32_e64 s[24:25], v39, v35
	v_cmp_eq_u32_e64 s[34:35], 0, v4
	;; [unrolled: 1-line block ×5, first 2 shown]
	v_cndmask_b32_e64 v3, 0, 1, s[26:27]
	s_and_b64 s[26:27], s[22:23], s[30:31]
	v_cmp_eq_u32_e64 s[42:43], 1, v4
	v_cmp_eq_u32_e64 s[50:51], 2, v4
	;; [unrolled: 1-line block ×3, first 2 shown]
	v_cndmask_b32_e64 v4, 0, 1, s[26:27]
	s_and_b64 s[26:27], s[24:25], s[34:35]
	v_cmp_eq_u32_e64 s[38:39], 1, v5
	v_cmp_eq_u32_e64 s[46:47], 2, v5
	;; [unrolled: 1-line block ×3, first 2 shown]
	v_cndmask_b32_e64 v5, 0, 1, s[26:27]
	s_and_b64 s[26:27], s[18:19], s[36:37]
	v_cndmask_b32_e64 v18, 0, 1, s[26:27]
	s_and_b64 s[26:27], s[20:21], s[38:39]
	v_cndmask_b32_e64 v37, 0, 1, s[26:27]
	s_and_b64 s[26:27], s[22:23], s[40:41]
	v_cndmask_b32_e64 v38, 0, 1, s[26:27]
	s_and_b64 s[26:27], s[24:25], s[42:43]
	v_cndmask_b32_e64 v39, 0, 1, s[26:27]
	s_and_b64 s[26:27], s[18:19], s[44:45]
	s_and_b64 s[18:19], s[18:19], s[52:53]
	v_cndmask_b32_e64 v40, 0, 1, s[26:27]
	s_and_b64 s[26:27], s[20:21], s[46:47]
	v_cndmask_b32_e64 v44, 0, 1, s[18:19]
	;; [unrolled: 2-line block ×7, first 2 shown]
	v_cndmask_b32_e64 v47, 0, 1, s[18:19]
	v_cmp_ne_u32_e64 s[18:19], 0, v2
	v_cmp_ne_u32_e64 s[20:21], 0, v3
	;; [unrolled: 1-line block ×11, first 2 shown]
	s_bcnt1_i32_b64 s18, s[18:19]
	s_bcnt1_i32_b64 s19, s[20:21]
	;; [unrolled: 1-line block ×8, first 2 shown]
	v_cmp_ne_u32_e64 s[34:35], 0, v39
	v_cmp_ne_u32_e64 s[40:41], 0, v42
	;; [unrolled: 1-line block ×3, first 2 shown]
	s_bcnt1_i32_b64 s23, s[28:29]
	s_bcnt1_i32_b64 s27, s[38:39]
	;; [unrolled: 1-line block ×3, first 2 shown]
	s_add_i32 s18, s74, s18
	s_add_i32 s22, s63, s22
	;; [unrolled: 1-line block ×4, first 2 shown]
	v_cmp_ne_u32_e64 s[42:43], 0, v43
	v_cmp_ne_u32_e64 s[50:51], 0, v47
	s_bcnt1_i32_b64 s25, s[34:35]
	s_bcnt1_i32_b64 s28, s[40:41]
	;; [unrolled: 1-line block ×3, first 2 shown]
	s_add_i32 s18, s18, s19
	s_add_i32 s19, s22, s23
	;; [unrolled: 1-line block ×4, first 2 shown]
	s_bcnt1_i32_b64 s29, s[42:43]
	s_bcnt1_i32_b64 s35, s[50:51]
	s_add_i32 s18, s18, s20
	s_add_i32 s19, s19, s24
	;; [unrolled: 1-line block ×8, first 2 shown]
	s_or_b64 s[76:77], vcc, s[76:77]
	v_mov_b32_e32 v2, s74
	v_mov_b32_e32 v3, s63
	;; [unrolled: 1-line block ×4, first 2 shown]
	s_andn2_b64 exec, exec, s[76:77]
	s_cbranch_execnz .LBB91_65
; %bb.66:                               ;   in Loop: Header=BB91_15 Depth=1
	s_or_b64 exec, exec, s[76:77]
.LBB91_67:                              ;   in Loop: Header=BB91_15 Depth=1
	s_or_b64 exec, exec, s[8:9]
	v_add_u32_e32 v10, s5, v0
	v_cmp_gt_u32_e32 vcc, s4, v10
	s_and_saveexec_b64 s[8:9], vcc
	s_cbranch_execz .LBB91_71
; %bb.68:                               ;   in Loop: Header=BB91_15 Depth=1
	s_and_b32 s5, s10, 0xfe
	v_lshlrev_b32_e32 v17, 2, v10
	s_mov_b64 s[28:29], 0
.LBB91_69:                              ;   Parent Loop BB91_15 Depth=1
                                        ; =>  This Inner Loop Header: Depth=2
	ds_read_b32 v18, v17
	v_add_u32_e32 v10, s66, v10
	v_cmp_le_u32_e32 vcc, s4, v10
	v_add_u32_e32 v17, s12, v17
	s_waitcnt lgkmcnt(0)
	v_cmp_lt_i32_e64 s[18:19], -1, v18
	v_cndmask_b32_e64 v37, -1, v32, s[18:19]
	v_xor_b32_e32 v37, v37, v18
	v_cmp_o_f32_e64 s[18:19], v18, v18
	v_cndmask_b32_e64 v18, -1, v37, s[18:19]
	v_and_b32_e32 v37, v18, v34
	v_bfe_u32 v18, v18, s5, 2
	v_cmp_eq_u32_e64 s[18:19], v37, v35
	v_cmp_eq_u32_e64 s[20:21], 0, v18
	;; [unrolled: 1-line block ×3, first 2 shown]
	s_and_b64 s[14:15], s[18:19], s[20:21]
	v_cmp_eq_u32_e64 s[24:25], 2, v18
	v_cmp_eq_u32_e64 s[26:27], 3, v18
	v_cndmask_b32_e64 v18, 0, 1, s[14:15]
	s_and_b64 s[14:15], s[18:19], s[22:23]
	v_cndmask_b32_e64 v37, 0, 1, s[14:15]
	s_and_b64 s[14:15], s[18:19], s[24:25]
	;; [unrolled: 2-line block ×3, first 2 shown]
	v_cndmask_b32_e64 v39, 0, 1, s[14:15]
	v_cmp_ne_u32_e64 s[18:19], 0, v18
	v_cmp_ne_u32_e64 s[20:21], 0, v37
	;; [unrolled: 1-line block ×4, first 2 shown]
	s_bcnt1_i32_b64 s14, s[18:19]
	s_bcnt1_i32_b64 s15, s[20:21]
	;; [unrolled: 1-line block ×4, first 2 shown]
	v_add_u32_e32 v2, s14, v2
	v_add_u32_e32 v3, s15, v3
	;; [unrolled: 1-line block ×3, first 2 shown]
	s_or_b64 s[28:29], vcc, s[28:29]
	v_add_u32_e32 v5, s19, v5
	s_andn2_b64 exec, exec, s[28:29]
	s_cbranch_execnz .LBB91_69
; %bb.70:                               ;   in Loop: Header=BB91_15 Depth=1
	s_or_b64 exec, exec, s[28:29]
	s_or_b64 s[16:17], s[16:17], exec
.LBB91_71:                              ;   in Loop: Header=BB91_15 Depth=1
	s_or_b64 exec, exec, s[8:9]
.LBB91_72:                              ;   in Loop: Header=BB91_15 Depth=1
	s_and_saveexec_b64 s[8:9], s[16:17]
	s_or_b64 exec, exec, s[8:9]
	s_lshl_b32 s4, s11, 6
	s_and_saveexec_b64 s[8:9], s[0:1]
	s_cbranch_execz .LBB91_74
; %bb.73:                               ;   in Loop: Header=BB91_15 Depth=1
	v_or_b32_e32 v10, s4, v22
	v_lshlrev_b32_e32 v10, 2, v10
	s_waitcnt vmcnt(0)
	ds_write_b128 v10, v[2:5] offset:3072
.LBB91_74:                              ;   in Loop: Header=BB91_15 Depth=1
	s_or_b64 exec, exec, s[8:9]
	s_waitcnt lgkmcnt(0)
	s_barrier
	s_mov_b64 s[8:9], exec
	v_readlane_b32 s14, v54, 16
	v_readlane_b32 s15, v54, 17
	s_and_b64 s[14:15], s[8:9], s[14:15]
	s_mov_b64 exec, s[14:15]
	s_cbranch_execz .LBB91_88
; %bb.75:                               ;   in Loop: Header=BB91_15 Depth=1
	v_readlane_b32 s14, v54, 20
	v_readlane_b32 s15, v54, 21
	v_add_u32_e32 v4, s4, v1
	s_andn2_b64 vcc, exec, s[14:15]
	s_waitcnt vmcnt(0)
	v_mov_b32_e32 v2, 0
	s_cbranch_vccnz .LBB91_87
; %bb.76:                               ;   in Loop: Header=BB91_15 Depth=1
	v_readlane_b32 s14, v54, 25
	v_readlane_b32 s15, v54, 26
	s_mov_b32 s5, 0
	s_and_b64 vcc, exec, s[14:15]
	v_mov_b32_e32 v2, 0
	s_cbranch_vccz .LBB91_80
; %bb.77:                               ;   in Loop: Header=BB91_15 Depth=1
	v_readlane_b32 s14, v54, 31
	v_readlane_b32 s16, v54, 10
	;; [unrolled: 1-line block ×3, first 2 shown]
	v_lshl_add_u32 v5, v4, 2, v33
	v_readlane_b32 s17, v54, 11
	s_andn2_b64 vcc, exec, s[14:15]
	s_cbranch_vccnz .LBB91_81
; %bb.78:                               ;   in Loop: Header=BB91_15 Depth=1
	v_writelane_b32 v54, s16, 10
	v_writelane_b32 v54, s17, 11
	s_mov_b32 s17, 1
	s_mov_b32 s16, 0
	v_mov_b32_e32 v2, 0
	v_readlane_b32 s5, v54, 33
	v_mov_b32_e32 v3, 0
.LBB91_79:                              ;   Parent Loop BB91_15 Depth=1
                                        ; =>  This Inner Loop Header: Depth=2
	v_lshl_add_u32 v10, s16, 4, v5
	v_lshl_add_u32 v17, s17, 4, v5
	ds_read2_b32 v[38:39], v10 offset1:8
	ds_read2_b32 v[40:41], v17 offset1:8
	ds_read2_b32 v[42:43], v10 offset0:16 offset1:24
	ds_read2_b32 v[44:45], v17 offset0:16 offset1:24
	;; [unrolled: 1-line block ×6, first 2 shown]
	s_waitcnt lgkmcnt(7)
	v_add3_u32 v2, v38, v2, v39
	s_waitcnt lgkmcnt(6)
	v_add3_u32 v3, v40, v3, v41
	;; [unrolled: 2-line block ×3, first 2 shown]
	v_add3_u32 v2, v42, v2, v43
	s_add_i32 s17, s17, 16
	s_add_i32 s16, s16, 16
	s_add_i32 s5, s5, -8
	s_waitcnt lgkmcnt(3)
	v_add3_u32 v2, v46, v2, v47
	s_waitcnt lgkmcnt(2)
	v_add3_u32 v3, v48, v3, v49
	s_cmp_lg_u32 s5, 0
	s_waitcnt lgkmcnt(0)
	v_add3_u32 v3, v52, v3, v53
	v_add3_u32 v2, v50, v2, v51
	s_cbranch_scc1 .LBB91_79
	s_branch .LBB91_82
.LBB91_80:                              ;   in Loop: Header=BB91_15 Depth=1
	s_cbranch_execnz .LBB91_85
	s_branch .LBB91_87
.LBB91_81:                              ;   in Loop: Header=BB91_15 Depth=1
	s_mov_b32 s14, s16
	s_mov_b32 s17, s16
	v_writelane_b32 v54, s14, 10
	v_pk_mov_b32 v[2:3], s[16:17], s[16:17] op_sel:[0,1]
	s_mov_b32 s17, 1
	v_writelane_b32 v54, s15, 11
.LBB91_82:                              ;   in Loop: Header=BB91_15 Depth=1
	v_readlane_b32 s14, v54, 35
	v_readlane_b32 s15, v54, 36
	s_andn2_b64 vcc, exec, s[14:15]
	v_readlane_b32 s5, v54, 34
	s_cbranch_vccnz .LBB91_84
.LBB91_83:                              ;   Parent Loop BB91_15 Depth=1
                                        ; =>  This Inner Loop Header: Depth=2
	v_lshl_add_u32 v10, s16, 4, v5
	v_lshl_add_u32 v17, s17, 4, v5
	ds_read_b32 v17, v17
	ds_read_b32 v10, v10
	s_add_i32 s17, s17, 2
	s_add_i32 s16, s16, 2
	s_add_i32 s5, s5, -1
	s_cmp_lg_u32 s5, 0
	s_waitcnt lgkmcnt(1)
	v_add_u32_e32 v3, v17, v3
	s_waitcnt lgkmcnt(0)
	v_add_u32_e32 v2, v10, v2
	s_cbranch_scc1 .LBB91_83
.LBB91_84:                              ;   in Loop: Header=BB91_15 Depth=1
	v_readlane_b32 s16, v54, 39
	v_add_u32_e32 v2, v2, v3
	v_readlane_b32 s5, v54, 38
	v_readlane_b32 s17, v54, 40
	s_and_b64 vcc, exec, s[16:17]
	s_cbranch_vccz .LBB91_87
.LBB91_85:                              ;   in Loop: Header=BB91_15 Depth=1
	s_lshl_b32 s14, s11, 8
	s_lshl_b32 s15, s5, 4
	s_add_i32 s14, s14, s15
	v_add_u32_e32 v3, s14, v31
	v_readlane_b32 s14, v54, 37
	s_sub_i32 s5, s14, s5
.LBB91_86:                              ;   Parent Loop BB91_15 Depth=1
                                        ; =>  This Inner Loop Header: Depth=2
	ds_read_b32 v5, v3
	s_add_i32 s5, s5, -1
	v_add_u32_e32 v3, 16, v3
	s_cmp_eq_u32 s5, 0
	s_waitcnt lgkmcnt(0)
	v_add_u32_e32 v2, v5, v2
	s_cbranch_scc0 .LBB91_86
.LBB91_87:                              ;   in Loop: Header=BB91_15 Depth=1
	v_lshlrev_b32_e32 v3, 2, v4
	ds_write_b32 v3, v2 offset:3072
.LBB91_88:                              ;   in Loop: Header=BB91_15 Depth=1
	s_or_b64 exec, exec, s[8:9]
	s_lshl_b32 s4, s4, 2
	s_waitcnt vmcnt(0)
	v_mov_b32_e32 v2, s4
	s_waitcnt lgkmcnt(0)
	s_barrier
	ds_read_b128 v[2:5], v2 offset:3072
	s_and_b32 s74, s10, 0xfe
	v_readlane_b32 s8, v54, 14
	s_lshl_b32 s63, 3, s74
	v_readlane_b32 s9, v54, 15
	s_waitcnt lgkmcnt(0)
	v_readfirstlane_b32 s62, v2
	v_readfirstlane_b32 s5, v3
	;; [unrolled: 1-line block ×4, first 2 shown]
	s_not_b32 s4, s63
	s_andn2_b64 vcc, exec, s[8:9]
	v_cmp_eq_u32_e64 s[18:19], 1, v36
	s_cbranch_vccnz .LBB91_101
; %bb.89:                               ;   in Loop: Header=BB91_15 Depth=1
	s_cmp_eq_u32 s62, 1
	s_cselect_b64 s[8:9], -1, 0
	s_and_b64 s[16:17], s[8:9], s[18:19]
	s_mov_b64 s[36:37], -1
	v_mov_b32_e32 v4, v35
	v_mov_b32_e32 v5, v34
	;; [unrolled: 1-line block ×3, first 2 shown]
                                        ; implicit-def: $sgpr22_sgpr23
                                        ; implicit-def: $sgpr28_sgpr29
                                        ; implicit-def: $sgpr26_sgpr27
	s_and_saveexec_b64 s[8:9], s[16:17]
	s_cbranch_execz .LBB91_117
; %bb.90:                               ;   in Loop: Header=BB91_15 Depth=1
	ds_read_b32 v2, v11 offset:4096
	s_waitcnt lgkmcnt(0)
	s_barrier
	v_readfirstlane_b32 s15, v2
	s_mov_b64 s[20:21], exec
	v_readlane_b32 s22, v54, 29
	v_readlane_b32 s23, v54, 30
	s_and_b64 s[22:23], s[20:21], s[22:23]
	s_mov_b64 exec, s[22:23]
	s_cbranch_execz .LBB91_92
; %bb.91:                               ;   in Loop: Header=BB91_15 Depth=1
	ds_write_b32 v23, v11
.LBB91_92:                              ;   in Loop: Header=BB91_15 Depth=1
	s_or_b64 exec, exec, s[20:21]
	v_and_b32_e32 v4, s4, v35
	v_or_b32_e32 v5, s63, v34
	s_cmp_eq_u32 s15, 0
	s_waitcnt lgkmcnt(0)
	s_barrier
	s_cbranch_scc1 .LBB91_103
; %bb.93:                               ;   in Loop: Header=BB91_15 Depth=1
	v_readlane_b32 s20, v54, 22
	s_add_i32 s20, s15, s20
	v_readlane_b32 s21, v54, 46
	s_mul_hi_u32 s21, s20, s21
	s_mul_i32 s21, s21, s66
	s_sub_i32 s21, s20, s21
	s_sub_i32 s22, s21, s66
	s_cmp_ge_u32 s21, s66
	s_cselect_b32 s21, s22, s21
	s_sub_i32 s22, s21, s66
	s_cmp_ge_u32 s21, s66
	s_cselect_b32 s21, s22, s21
	s_sub_i32 s28, s20, s21
	v_cmp_gt_u32_e32 vcc, s28, v0
	s_mov_b64 s[20:21], 0
                                        ; implicit-def: $vgpr3
	s_and_saveexec_b64 s[22:23], vcc
	s_cbranch_execz .LBB91_105
; %bb.94:                               ;   in Loop: Header=BB91_15 Depth=1
	s_mov_b64 s[24:25], 0
	v_mov_b32_e32 v10, v20
	v_mov_b32_e32 v18, v0
                                        ; implicit-def: $sgpr26_sgpr27
	s_branch .LBB91_96
.LBB91_95:                              ;   in Loop: Header=BB91_96 Depth=2
	s_or_b64 exec, exec, s[20:21]
	s_waitcnt lgkmcnt(0)
	s_barrier
	ds_read_b64 v[2:3], v11 offset:3072
	v_add_u32_e32 v18, s66, v18
	v_cmp_le_u32_e64 s[20:21], s28, v18
	v_add_u32_e32 v10, s12, v10
	s_waitcnt lgkmcnt(0)
	v_cmp_neq_f32_e32 vcc, 0, v2
	s_or_b64 s[20:21], s[20:21], vcc
	s_and_b64 s[20:21], exec, s[20:21]
	s_or_b64 s[24:25], s[20:21], s[24:25]
	s_andn2_b64 s[20:21], s[26:27], exec
	s_and_b64 s[26:27], vcc, exec
	s_or_b64 s[26:27], s[20:21], s[26:27]
	s_barrier
	s_andn2_b64 exec, exec, s[24:25]
	s_cbranch_execz .LBB91_104
.LBB91_96:                              ;   Parent Loop BB91_15 Depth=1
                                        ; =>  This Inner Loop Header: Depth=2
	v_cmp_gt_u32_e32 vcc, s15, v18
	v_mov_b32_e32 v17, 0
	s_and_saveexec_b64 s[20:21], vcc
	s_cbranch_execz .LBB91_98
; %bb.97:                               ;   in Loop: Header=BB91_96 Depth=2
	ds_read_b32 v17, v10
.LBB91_98:                              ;   in Loop: Header=BB91_96 Depth=2
	s_or_b64 exec, exec, s[20:21]
	s_and_saveexec_b64 s[20:21], vcc
	s_cbranch_execz .LBB91_95
; %bb.99:                               ;   in Loop: Header=BB91_96 Depth=2
	s_waitcnt lgkmcnt(0)
	v_cmp_lt_i32_e32 vcc, -1, v17
	v_cndmask_b32_e32 v2, -1, v32, vcc
	v_xor_b32_e32 v2, v2, v17
	v_cmp_o_f32_e32 vcc, v17, v17
	v_cndmask_b32_e32 v2, -1, v2, vcc
	v_and_b32_e32 v2, v2, v5
	v_cmp_eq_u32_e32 vcc, v2, v4
	s_and_b64 exec, exec, vcc
	s_cbranch_execz .LBB91_95
; %bb.100:                              ;   in Loop: Header=BB91_96 Depth=2
	ds_write_b64 v11, v[16:17] offset:3072
	s_branch .LBB91_95
.LBB91_101:                             ;   in Loop: Header=BB91_15 Depth=1
	s_mov_b64 s[24:25], 0
	s_mov_b64 s[20:21], 0
                                        ; implicit-def: $sgpr26_sgpr27
                                        ; implicit-def: $sgpr28_sgpr29
                                        ; implicit-def: $sgpr22_sgpr23
                                        ; implicit-def: $vgpr2
                                        ; implicit-def: $vgpr37
                                        ; implicit-def: $vgpr4
                                        ; implicit-def: $vgpr5
                                        ; implicit-def: $vgpr3
	s_cbranch_execnz .LBB91_253
.LBB91_102:                             ;   in Loop: Header=BB91_15 Depth=1
	s_mov_b64 s[30:31], s[22:23]
	s_mov_b64 s[34:35], s[22:23]
	s_and_saveexec_b64 s[8:9], s[24:25]
	s_cbranch_execnz .LBB91_415
	s_branch .LBB91_416
.LBB91_103:                             ;   in Loop: Header=BB91_15 Depth=1
	s_mov_b64 s[22:23], -1
	s_mov_b64 s[20:21], 0
                                        ; implicit-def: $sgpr26_sgpr27
                                        ; implicit-def: $vgpr3
	s_mov_b64 s[28:29], s[22:23]
	s_cbranch_execnz .LBB91_106
	s_branch .LBB91_116
.LBB91_104:                             ;   in Loop: Header=BB91_15 Depth=1
	s_or_b64 exec, exec, s[24:25]
	s_and_b64 s[20:21], s[26:27], exec
.LBB91_105:                             ;   in Loop: Header=BB91_15 Depth=1
	s_or_b64 exec, exec, s[22:23]
	s_mov_b64 s[26:27], -1
	s_mov_b64 s[22:23], 0
	s_mov_b64 s[28:29], s[22:23]
	s_branch .LBB91_116
.LBB91_106:                             ;   in Loop: Header=BB91_15 Depth=1
	s_mov_b64 s[20:21], 0
                                        ; implicit-def: $vgpr3
	s_mov_b64 s[22:23], exec
	v_readlane_b32 s24, v54, 47
	v_readlane_b32 s25, v54, 48
	s_and_b64 s[24:25], s[22:23], s[24:25]
	s_mov_b64 exec, s[24:25]
	s_cbranch_execz .LBB91_115
; %bb.107:                              ;   in Loop: Header=BB91_15 Depth=1
	s_mov_b64 s[24:25], 0
	v_mov_b32_e32 v10, v12
	v_mov_b32_e32 v18, v0
                                        ; implicit-def: $sgpr26_sgpr27
	s_branch .LBB91_109
.LBB91_108:                             ;   in Loop: Header=BB91_109 Depth=2
	s_or_b64 exec, exec, s[20:21]
	s_waitcnt lgkmcnt(0)
	s_barrier
	ds_read_b64 v[2:3], v11 offset:3072
	v_add_u32_e32 v18, s66, v18
	v_cmp_le_u32_e64 s[20:21], s6, v18
	v_add_u32_e32 v10, s78, v10
	s_waitcnt lgkmcnt(0)
	v_cmp_neq_f32_e32 vcc, 0, v2
	s_or_b64 s[20:21], s[20:21], vcc
	s_and_b64 s[20:21], exec, s[20:21]
	s_or_b64 s[24:25], s[20:21], s[24:25]
	s_andn2_b64 s[20:21], s[26:27], exec
	s_and_b64 s[26:27], vcc, exec
	s_or_b64 s[26:27], s[20:21], s[26:27]
	s_barrier
	s_andn2_b64 exec, exec, s[24:25]
	s_cbranch_execz .LBB91_114
.LBB91_109:                             ;   Parent Loop BB91_15 Depth=1
                                        ; =>  This Inner Loop Header: Depth=2
	v_cmp_gt_u32_e32 vcc, s60, v18
	s_waitcnt vmcnt(0)
	v_mov_b32_e32 v17, 0
	s_and_saveexec_b64 s[28:29], vcc
	s_cbranch_execz .LBB91_111
; %bb.110:                              ;   in Loop: Header=BB91_109 Depth=2
	v_lshlrev_b64 v[2:3], 2, v[10:11]
	v_mov_b32_e32 v17, s64
	v_add_co_u32_e64 v2, s[20:21], s33, v2
	v_addc_co_u32_e64 v3, s[20:21], v17, v3, s[20:21]
	global_load_dword v17, v[2:3], off
.LBB91_111:                             ;   in Loop: Header=BB91_109 Depth=2
	s_or_b64 exec, exec, s[28:29]
	s_and_saveexec_b64 s[20:21], vcc
	s_cbranch_execz .LBB91_108
; %bb.112:                              ;   in Loop: Header=BB91_109 Depth=2
	s_waitcnt vmcnt(0)
	v_cmp_lt_i32_e32 vcc, -1, v17
	v_cndmask_b32_e32 v2, -1, v32, vcc
	v_xor_b32_e32 v2, v2, v17
	v_cmp_o_f32_e32 vcc, v17, v17
	v_cndmask_b32_e32 v2, -1, v2, vcc
	v_and_b32_e32 v2, v2, v5
	v_cmp_eq_u32_e32 vcc, v2, v4
	s_and_b64 exec, exec, vcc
	s_cbranch_execz .LBB91_108
; %bb.113:                              ;   in Loop: Header=BB91_109 Depth=2
	ds_write_b64 v11, v[16:17] offset:3072
	s_branch .LBB91_108
.LBB91_114:                             ;   in Loop: Header=BB91_15 Depth=1
	s_or_b64 exec, exec, s[24:25]
	s_and_b64 s[20:21], s[26:27], exec
.LBB91_115:                             ;   in Loop: Header=BB91_15 Depth=1
	s_or_b64 exec, exec, s[22:23]
	s_mov_b64 s[28:29], -1
	s_mov_b64 s[22:23], 0
	s_mov_b64 s[26:27], 0
.LBB91_116:                             ;   in Loop: Header=BB91_15 Depth=1
	s_orn2_b64 s[36:37], s[20:21], exec
.LBB91_117:                             ;   in Loop: Header=BB91_15 Depth=1
	s_or_b64 exec, exec, s[8:9]
	s_mov_b64 s[30:31], 0
	s_mov_b64 s[24:25], 0
	;; [unrolled: 1-line block ×3, first 2 shown]
                                        ; implicit-def: $vgpr2
                                        ; implicit-def: $vgpr37
	s_and_saveexec_b64 s[34:35], s[36:37]
	s_cbranch_execz .LBB91_252
; %bb.118:                              ;   in Loop: Header=BB91_15 Depth=1
	s_xor_b64 s[16:17], s[16:17], -1
	v_mov_b32_e32 v37, 1
	v_mov_b32_e32 v2, 1
	s_and_saveexec_b64 s[8:9], s[16:17]
	s_cbranch_execz .LBB91_128
; %bb.119:                              ;   in Loop: Header=BB91_15 Depth=1
	v_cmp_ge_u32_e32 vcc, s62, v36
                                        ; implicit-def: $sgpr15
                                        ; implicit-def: $sgpr16_sgpr17
	s_and_saveexec_b64 s[20:21], vcc
	s_xor_b64 s[20:21], exec, s[20:21]
	s_cbranch_execz .LBB91_125
; %bb.120:                              ;   in Loop: Header=BB91_15 Depth=1
	ds_read_b32 v2, v11 offset:4096
	s_waitcnt lgkmcnt(0)
	v_cmp_ne_u32_e32 vcc, 0, v2
	s_cbranch_vccnz .LBB91_124
; %bb.121:                              ;   in Loop: Header=BB91_15 Depth=1
	s_mov_b64 s[16:17], exec
	v_readlane_b32 s24, v54, 5
	v_readlane_b32 s25, v54, 6
	s_and_b64 s[24:25], s[16:17], s[24:25]
	s_mov_b64 exec, s[24:25]
	s_cbranch_execz .LBB91_123
; %bb.122:                              ;   in Loop: Header=BB91_15 Depth=1
	v_mov_b32_e32 v2, s62
	ds_write_b32 v11, v2 offset:4100
.LBB91_123:                             ;   in Loop: Header=BB91_15 Depth=1
	s_or_b64 exec, exec, s[16:17]
	s_waitcnt lgkmcnt(0)
	s_barrier
.LBB91_124:                             ;   in Loop: Header=BB91_15 Depth=1
	v_and_b32_e32 v4, s4, v4
	v_or_b32_e32 v5, s63, v5
	s_mov_b64 s[16:17], 0
	s_mov_b32 s15, 8
.LBB91_125:                             ;   in Loop: Header=BB91_15 Depth=1
	s_or_saveexec_b64 s[20:21], s[20:21]
	v_mov_b32_e32 v2, s15
	v_mov_b32_e32 v37, v36
	s_xor_b64 exec, exec, s[20:21]
; %bb.126:                              ;   in Loop: Header=BB91_15 Depth=1
	v_subrev_u32_e32 v37, s62, v36
	v_mov_b32_e32 v2, 0
	s_or_b64 s[16:17], s[16:17], exec
; %bb.127:                              ;   in Loop: Header=BB91_15 Depth=1
	s_or_b64 exec, exec, s[20:21]
	s_and_b64 s[20:21], s[16:17], exec
.LBB91_128:                             ;   in Loop: Header=BB91_15 Depth=1
	s_or_b64 exec, exec, s[8:9]
	s_mov_b64 s[38:39], -1
                                        ; implicit-def: $sgpr8_sgpr9
                                        ; implicit-def: $sgpr16_sgpr17
                                        ; implicit-def: $sgpr36_sgpr37
	s_and_saveexec_b64 s[24:25], s[20:21]
	s_xor_b64 s[24:25], exec, s[24:25]
	s_cbranch_execz .LBB91_249
; %bb.129:                              ;   in Loop: Header=BB91_15 Depth=1
	s_cmp_eq_u32 s5, 1
	s_cselect_b64 s[8:9], -1, 0
	v_cmp_eq_u32_e32 vcc, 1, v37
	s_and_b64 s[8:9], s[8:9], vcc
	s_mov_b64 s[44:45], -1
                                        ; implicit-def: $sgpr36_sgpr37
                                        ; implicit-def: $sgpr40_sgpr41
                                        ; implicit-def: $sgpr38_sgpr39
	s_and_saveexec_b64 s[16:17], s[8:9]
	s_cbranch_execz .LBB91_155
; %bb.130:                              ;   in Loop: Header=BB91_15 Depth=1
	ds_read_b32 v2, v11 offset:4096
	s_waitcnt lgkmcnt(0)
	s_barrier
	v_readfirstlane_b32 s15, v2
	s_mov_b64 s[20:21], exec
	v_readlane_b32 s36, v54, 29
	v_readlane_b32 s37, v54, 30
	s_and_b64 s[36:37], s[20:21], s[36:37]
	s_mov_b64 exec, s[36:37]
	s_cbranch_execz .LBB91_132
; %bb.131:                              ;   in Loop: Header=BB91_15 Depth=1
	ds_write_b32 v23, v11
.LBB91_132:                             ;   in Loop: Header=BB91_15 Depth=1
	s_or_b64 exec, exec, s[20:21]
	v_and_b32_e32 v2, s4, v4
	v_lshl_or_b32 v4, 1, s74, v2
	v_or_b32_e32 v5, s63, v5
	s_cmp_eq_u32 s15, 0
	s_waitcnt lgkmcnt(0)
	s_barrier
	s_cbranch_scc1 .LBB91_141
; %bb.133:                              ;   in Loop: Header=BB91_15 Depth=1
	v_readlane_b32 s20, v54, 22
	s_add_i32 s20, s15, s20
	v_readlane_b32 s21, v54, 46
	s_mul_hi_u32 s21, s20, s21
	s_mul_i32 s21, s21, s66
	s_sub_i32 s21, s20, s21
	s_sub_i32 s36, s21, s66
	s_cmp_ge_u32 s21, s66
	s_cselect_b32 s21, s36, s21
	s_sub_i32 s36, s21, s66
	s_cmp_ge_u32 s21, s66
	s_cselect_b32 s21, s36, s21
	s_sub_i32 s42, s20, s21
	v_cmp_gt_u32_e32 vcc, s42, v0
	s_mov_b64 s[20:21], 0
                                        ; implicit-def: $vgpr3
	s_and_saveexec_b64 s[36:37], vcc
	s_cbranch_execz .LBB91_143
; %bb.134:                              ;   in Loop: Header=BB91_15 Depth=1
	s_mov_b64 s[38:39], 0
	v_mov_b32_e32 v10, v20
	v_mov_b32_e32 v18, v0
                                        ; implicit-def: $sgpr40_sgpr41
	s_branch .LBB91_136
.LBB91_135:                             ;   in Loop: Header=BB91_136 Depth=2
	s_or_b64 exec, exec, s[20:21]
	s_waitcnt lgkmcnt(0)
	s_barrier
	ds_read_b64 v[2:3], v11 offset:3072
	v_add_u32_e32 v18, s66, v18
	v_cmp_le_u32_e64 s[20:21], s42, v18
	v_add_u32_e32 v10, s12, v10
	s_waitcnt lgkmcnt(0)
	v_cmp_neq_f32_e32 vcc, 0, v2
	s_or_b64 s[20:21], s[20:21], vcc
	s_and_b64 s[20:21], exec, s[20:21]
	s_or_b64 s[38:39], s[20:21], s[38:39]
	s_andn2_b64 s[20:21], s[40:41], exec
	s_and_b64 s[40:41], vcc, exec
	s_or_b64 s[40:41], s[20:21], s[40:41]
	s_barrier
	s_andn2_b64 exec, exec, s[38:39]
	s_cbranch_execz .LBB91_142
.LBB91_136:                             ;   Parent Loop BB91_15 Depth=1
                                        ; =>  This Inner Loop Header: Depth=2
	v_cmp_gt_u32_e32 vcc, s15, v18
	s_waitcnt vmcnt(0)
	v_mov_b32_e32 v17, 0
	s_and_saveexec_b64 s[20:21], vcc
	s_cbranch_execz .LBB91_138
; %bb.137:                              ;   in Loop: Header=BB91_136 Depth=2
	ds_read_b32 v17, v10
.LBB91_138:                             ;   in Loop: Header=BB91_136 Depth=2
	s_or_b64 exec, exec, s[20:21]
	s_and_saveexec_b64 s[20:21], vcc
	s_cbranch_execz .LBB91_135
; %bb.139:                              ;   in Loop: Header=BB91_136 Depth=2
	s_waitcnt lgkmcnt(0)
	v_cmp_lt_i32_e32 vcc, -1, v17
	v_cndmask_b32_e32 v2, -1, v32, vcc
	v_xor_b32_e32 v2, v2, v17
	v_cmp_o_f32_e32 vcc, v17, v17
	v_cndmask_b32_e32 v2, -1, v2, vcc
	v_and_b32_e32 v2, v2, v5
	v_cmp_eq_u32_e32 vcc, v2, v4
	s_and_b64 exec, exec, vcc
	s_cbranch_execz .LBB91_135
; %bb.140:                              ;   in Loop: Header=BB91_136 Depth=2
	ds_write_b64 v11, v[16:17] offset:3072
	s_branch .LBB91_135
.LBB91_141:                             ;   in Loop: Header=BB91_15 Depth=1
	s_mov_b64 s[36:37], -1
	s_mov_b64 s[20:21], 0
                                        ; implicit-def: $sgpr38_sgpr39
                                        ; implicit-def: $vgpr3
	s_mov_b64 s[40:41], s[36:37]
	s_cbranch_execnz .LBB91_144
	s_branch .LBB91_154
.LBB91_142:                             ;   in Loop: Header=BB91_15 Depth=1
	s_or_b64 exec, exec, s[38:39]
	s_and_b64 s[20:21], s[40:41], exec
.LBB91_143:                             ;   in Loop: Header=BB91_15 Depth=1
	s_or_b64 exec, exec, s[36:37]
	s_mov_b64 s[38:39], -1
	s_mov_b64 s[36:37], 0
	s_mov_b64 s[40:41], s[36:37]
	s_branch .LBB91_154
.LBB91_144:                             ;   in Loop: Header=BB91_15 Depth=1
	s_mov_b64 s[20:21], 0
                                        ; implicit-def: $vgpr3
	s_mov_b64 s[36:37], exec
	v_readlane_b32 s38, v54, 47
	v_readlane_b32 s39, v54, 48
	s_and_b64 s[38:39], s[36:37], s[38:39]
	s_mov_b64 exec, s[38:39]
	s_cbranch_execz .LBB91_153
; %bb.145:                              ;   in Loop: Header=BB91_15 Depth=1
	s_mov_b64 s[38:39], 0
	v_mov_b32_e32 v10, v12
	v_mov_b32_e32 v18, v0
                                        ; implicit-def: $sgpr40_sgpr41
	s_branch .LBB91_147
.LBB91_146:                             ;   in Loop: Header=BB91_147 Depth=2
	s_or_b64 exec, exec, s[20:21]
	s_waitcnt lgkmcnt(0)
	s_barrier
	ds_read_b64 v[2:3], v11 offset:3072
	v_add_u32_e32 v18, s66, v18
	v_cmp_le_u32_e64 s[20:21], s6, v18
	v_add_u32_e32 v10, s78, v10
	s_waitcnt lgkmcnt(0)
	v_cmp_neq_f32_e32 vcc, 0, v2
	s_or_b64 s[20:21], s[20:21], vcc
	s_and_b64 s[20:21], exec, s[20:21]
	s_or_b64 s[38:39], s[20:21], s[38:39]
	s_andn2_b64 s[20:21], s[40:41], exec
	s_and_b64 s[40:41], vcc, exec
	s_or_b64 s[40:41], s[20:21], s[40:41]
	s_barrier
	s_andn2_b64 exec, exec, s[38:39]
	s_cbranch_execz .LBB91_152
.LBB91_147:                             ;   Parent Loop BB91_15 Depth=1
                                        ; =>  This Inner Loop Header: Depth=2
	v_cmp_gt_u32_e32 vcc, s60, v18
	s_waitcnt vmcnt(0)
	v_mov_b32_e32 v17, 0
	s_and_saveexec_b64 s[42:43], vcc
	s_cbranch_execz .LBB91_149
; %bb.148:                              ;   in Loop: Header=BB91_147 Depth=2
	v_lshlrev_b64 v[2:3], 2, v[10:11]
	v_mov_b32_e32 v17, s64
	v_add_co_u32_e64 v2, s[20:21], s33, v2
	v_addc_co_u32_e64 v3, s[20:21], v17, v3, s[20:21]
	global_load_dword v17, v[2:3], off
.LBB91_149:                             ;   in Loop: Header=BB91_147 Depth=2
	s_or_b64 exec, exec, s[42:43]
	s_and_saveexec_b64 s[20:21], vcc
	s_cbranch_execz .LBB91_146
; %bb.150:                              ;   in Loop: Header=BB91_147 Depth=2
	s_waitcnt vmcnt(0)
	v_cmp_lt_i32_e32 vcc, -1, v17
	v_cndmask_b32_e32 v2, -1, v32, vcc
	v_xor_b32_e32 v2, v2, v17
	v_cmp_o_f32_e32 vcc, v17, v17
	v_cndmask_b32_e32 v2, -1, v2, vcc
	v_and_b32_e32 v2, v2, v5
	v_cmp_eq_u32_e32 vcc, v2, v4
	s_and_b64 exec, exec, vcc
	s_cbranch_execz .LBB91_146
; %bb.151:                              ;   in Loop: Header=BB91_147 Depth=2
	ds_write_b64 v11, v[16:17] offset:3072
	s_branch .LBB91_146
.LBB91_152:                             ;   in Loop: Header=BB91_15 Depth=1
	s_or_b64 exec, exec, s[38:39]
	s_and_b64 s[20:21], s[40:41], exec
.LBB91_153:                             ;   in Loop: Header=BB91_15 Depth=1
	s_or_b64 exec, exec, s[36:37]
	s_mov_b64 s[40:41], -1
	s_mov_b64 s[36:37], 0
	s_mov_b64 s[38:39], 0
.LBB91_154:                             ;   in Loop: Header=BB91_15 Depth=1
	s_orn2_b64 s[44:45], s[20:21], exec
.LBB91_155:                             ;   in Loop: Header=BB91_15 Depth=1
	s_or_b64 exec, exec, s[16:17]
	s_mov_b64 s[20:21], 0
                                        ; implicit-def: $vgpr2
	s_and_saveexec_b64 s[42:43], s[44:45]
	s_cbranch_execz .LBB91_248
; %bb.156:                              ;   in Loop: Header=BB91_15 Depth=1
	s_xor_b64 s[16:17], s[8:9], -1
	v_mov_b32_e32 v18, 1
	v_mov_b32_e32 v2, 1
	s_and_saveexec_b64 s[8:9], s[16:17]
	s_cbranch_execz .LBB91_166
; %bb.157:                              ;   in Loop: Header=BB91_15 Depth=1
	v_cmp_ge_u32_e32 vcc, s5, v37
                                        ; implicit-def: $sgpr15
                                        ; implicit-def: $sgpr16_sgpr17
	s_and_saveexec_b64 s[20:21], vcc
	s_xor_b64 s[20:21], exec, s[20:21]
	s_cbranch_execz .LBB91_163
; %bb.158:                              ;   in Loop: Header=BB91_15 Depth=1
	ds_read_b32 v2, v11 offset:4096
	s_waitcnt lgkmcnt(0)
	v_cmp_ne_u32_e32 vcc, 0, v2
	s_cbranch_vccnz .LBB91_162
; %bb.159:                              ;   in Loop: Header=BB91_15 Depth=1
	s_mov_b64 s[16:17], exec
	v_readlane_b32 s44, v54, 5
	v_readlane_b32 s45, v54, 6
	s_and_b64 s[44:45], s[16:17], s[44:45]
	s_mov_b64 exec, s[44:45]
	s_cbranch_execz .LBB91_161
; %bb.160:                              ;   in Loop: Header=BB91_15 Depth=1
	v_mov_b32_e32 v2, s5
	ds_write_b32 v11, v2 offset:4100
.LBB91_161:                             ;   in Loop: Header=BB91_15 Depth=1
	s_or_b64 exec, exec, s[16:17]
	s_waitcnt lgkmcnt(0)
	s_barrier
.LBB91_162:                             ;   in Loop: Header=BB91_15 Depth=1
	v_and_b32_e32 v2, s4, v4
	v_lshl_or_b32 v4, 1, s74, v2
	v_or_b32_e32 v5, s63, v5
	s_mov_b64 s[16:17], 0
	s_mov_b32 s15, 8
.LBB91_163:                             ;   in Loop: Header=BB91_15 Depth=1
	s_or_saveexec_b64 s[20:21], s[20:21]
	v_mov_b32_e32 v2, s15
	s_xor_b64 exec, exec, s[20:21]
; %bb.164:                              ;   in Loop: Header=BB91_15 Depth=1
	v_subrev_u32_e32 v37, s5, v37
	v_mov_b32_e32 v2, 0
	s_or_b64 s[16:17], s[16:17], exec
; %bb.165:                              ;   in Loop: Header=BB91_15 Depth=1
	s_or_b64 exec, exec, s[20:21]
	s_and_b64 s[20:21], s[16:17], exec
	v_mov_b32_e32 v18, v37
.LBB91_166:                             ;   in Loop: Header=BB91_15 Depth=1
	s_or_b64 exec, exec, s[8:9]
	s_mov_b64 s[8:9], -1
                                        ; implicit-def: $sgpr16_sgpr17
                                        ; implicit-def: $sgpr46_sgpr47
                                        ; implicit-def: $sgpr52_sgpr53
	s_and_saveexec_b64 s[44:45], s[20:21]
	s_cbranch_execz .LBB91_247
; %bb.167:                              ;   in Loop: Header=BB91_15 Depth=1
	s_cmp_eq_u32 s75, 1
	s_cselect_b64 s[8:9], -1, 0
	v_cmp_eq_u32_e32 vcc, 1, v18
	s_and_b64 s[8:9], s[8:9], vcc
	s_mov_b64 s[54:55], -1
                                        ; implicit-def: $sgpr46_sgpr47
                                        ; implicit-def: $sgpr50_sgpr51
                                        ; implicit-def: $sgpr48_sgpr49
	s_and_saveexec_b64 s[16:17], s[8:9]
	s_cbranch_execz .LBB91_193
; %bb.168:                              ;   in Loop: Header=BB91_15 Depth=1
	ds_read_b32 v2, v11 offset:4096
	s_waitcnt lgkmcnt(0)
	s_barrier
	v_readfirstlane_b32 s15, v2
	s_mov_b64 s[20:21], exec
	v_readlane_b32 s46, v54, 29
	v_readlane_b32 s47, v54, 30
	s_and_b64 s[46:47], s[20:21], s[46:47]
	s_mov_b64 exec, s[46:47]
	s_cbranch_execz .LBB91_170
; %bb.169:                              ;   in Loop: Header=BB91_15 Depth=1
	ds_write_b32 v23, v11
.LBB91_170:                             ;   in Loop: Header=BB91_15 Depth=1
	s_or_b64 exec, exec, s[20:21]
	v_and_b32_e32 v2, s4, v4
	v_lshl_or_b32 v4, 2, s74, v2
	v_or_b32_e32 v5, s63, v5
	s_cmp_eq_u32 s15, 0
	s_waitcnt lgkmcnt(0)
	s_barrier
	s_cbranch_scc1 .LBB91_179
; %bb.171:                              ;   in Loop: Header=BB91_15 Depth=1
	v_readlane_b32 s20, v54, 22
	s_add_i32 s20, s15, s20
	v_readlane_b32 s21, v54, 46
	s_mul_hi_u32 s21, s20, s21
	s_mul_i32 s21, s21, s66
	s_sub_i32 s21, s20, s21
	s_sub_i32 s46, s21, s66
	s_cmp_ge_u32 s21, s66
	s_cselect_b32 s21, s46, s21
	s_sub_i32 s46, s21, s66
	s_cmp_ge_u32 s21, s66
	s_cselect_b32 s21, s46, s21
	s_sub_i32 s52, s20, s21
	v_cmp_gt_u32_e32 vcc, s52, v0
	s_mov_b64 s[20:21], 0
                                        ; implicit-def: $vgpr3
	s_and_saveexec_b64 s[46:47], vcc
	s_cbranch_execz .LBB91_181
; %bb.172:                              ;   in Loop: Header=BB91_15 Depth=1
	s_mov_b64 s[48:49], 0
	v_mov_b32_e32 v10, v20
	v_mov_b32_e32 v37, v0
                                        ; implicit-def: $sgpr50_sgpr51
	s_branch .LBB91_174
.LBB91_173:                             ;   in Loop: Header=BB91_174 Depth=2
	s_or_b64 exec, exec, s[20:21]
	s_waitcnt lgkmcnt(0)
	s_barrier
	ds_read_b64 v[2:3], v11 offset:3072
	v_add_u32_e32 v37, s66, v37
	v_cmp_le_u32_e64 s[20:21], s52, v37
	v_add_u32_e32 v10, s12, v10
	s_waitcnt lgkmcnt(0)
	v_cmp_neq_f32_e32 vcc, 0, v2
	s_or_b64 s[20:21], s[20:21], vcc
	s_and_b64 s[20:21], exec, s[20:21]
	s_or_b64 s[48:49], s[20:21], s[48:49]
	s_andn2_b64 s[20:21], s[50:51], exec
	s_and_b64 s[50:51], vcc, exec
	s_or_b64 s[50:51], s[20:21], s[50:51]
	s_barrier
	s_andn2_b64 exec, exec, s[48:49]
	s_cbranch_execz .LBB91_180
.LBB91_174:                             ;   Parent Loop BB91_15 Depth=1
                                        ; =>  This Inner Loop Header: Depth=2
	v_cmp_gt_u32_e32 vcc, s15, v37
	s_waitcnt vmcnt(0)
	v_mov_b32_e32 v17, 0
	s_and_saveexec_b64 s[20:21], vcc
	s_cbranch_execz .LBB91_176
; %bb.175:                              ;   in Loop: Header=BB91_174 Depth=2
	ds_read_b32 v17, v10
.LBB91_176:                             ;   in Loop: Header=BB91_174 Depth=2
	s_or_b64 exec, exec, s[20:21]
	s_and_saveexec_b64 s[20:21], vcc
	s_cbranch_execz .LBB91_173
; %bb.177:                              ;   in Loop: Header=BB91_174 Depth=2
	s_waitcnt lgkmcnt(0)
	v_cmp_lt_i32_e32 vcc, -1, v17
	v_cndmask_b32_e32 v2, -1, v32, vcc
	v_xor_b32_e32 v2, v2, v17
	v_cmp_o_f32_e32 vcc, v17, v17
	v_cndmask_b32_e32 v2, -1, v2, vcc
	v_and_b32_e32 v2, v2, v5
	v_cmp_eq_u32_e32 vcc, v2, v4
	s_and_b64 exec, exec, vcc
	s_cbranch_execz .LBB91_173
; %bb.178:                              ;   in Loop: Header=BB91_174 Depth=2
	ds_write_b64 v11, v[16:17] offset:3072
	s_branch .LBB91_173
.LBB91_179:                             ;   in Loop: Header=BB91_15 Depth=1
	s_mov_b64 s[46:47], -1
	s_mov_b64 s[20:21], 0
                                        ; implicit-def: $sgpr48_sgpr49
                                        ; implicit-def: $vgpr3
	s_mov_b64 s[50:51], s[46:47]
	s_cbranch_execnz .LBB91_182
	s_branch .LBB91_192
.LBB91_180:                             ;   in Loop: Header=BB91_15 Depth=1
	s_or_b64 exec, exec, s[48:49]
	s_and_b64 s[20:21], s[50:51], exec
.LBB91_181:                             ;   in Loop: Header=BB91_15 Depth=1
	s_or_b64 exec, exec, s[46:47]
	s_mov_b64 s[48:49], -1
	s_mov_b64 s[46:47], 0
	s_mov_b64 s[50:51], s[46:47]
	s_branch .LBB91_192
.LBB91_182:                             ;   in Loop: Header=BB91_15 Depth=1
	s_mov_b64 s[20:21], 0
                                        ; implicit-def: $vgpr3
	s_mov_b64 s[46:47], exec
	v_readlane_b32 s48, v54, 47
	v_readlane_b32 s49, v54, 48
	s_and_b64 s[48:49], s[46:47], s[48:49]
	s_mov_b64 exec, s[48:49]
	s_cbranch_execz .LBB91_191
; %bb.183:                              ;   in Loop: Header=BB91_15 Depth=1
	s_mov_b64 s[48:49], 0
	v_mov_b32_e32 v10, v12
	v_mov_b32_e32 v37, v0
                                        ; implicit-def: $sgpr50_sgpr51
	s_branch .LBB91_185
.LBB91_184:                             ;   in Loop: Header=BB91_185 Depth=2
	s_or_b64 exec, exec, s[20:21]
	s_waitcnt lgkmcnt(0)
	s_barrier
	ds_read_b64 v[2:3], v11 offset:3072
	v_add_u32_e32 v37, s66, v37
	v_cmp_le_u32_e64 s[20:21], s6, v37
	v_add_u32_e32 v10, s78, v10
	s_waitcnt lgkmcnt(0)
	v_cmp_neq_f32_e32 vcc, 0, v2
	s_or_b64 s[20:21], s[20:21], vcc
	s_and_b64 s[20:21], exec, s[20:21]
	s_or_b64 s[48:49], s[20:21], s[48:49]
	s_andn2_b64 s[20:21], s[50:51], exec
	s_and_b64 s[50:51], vcc, exec
	s_or_b64 s[50:51], s[20:21], s[50:51]
	s_barrier
	s_andn2_b64 exec, exec, s[48:49]
	s_cbranch_execz .LBB91_190
.LBB91_185:                             ;   Parent Loop BB91_15 Depth=1
                                        ; =>  This Inner Loop Header: Depth=2
	v_cmp_gt_u32_e32 vcc, s60, v37
	s_waitcnt vmcnt(0)
	v_mov_b32_e32 v17, 0
	s_and_saveexec_b64 s[52:53], vcc
	s_cbranch_execz .LBB91_187
; %bb.186:                              ;   in Loop: Header=BB91_185 Depth=2
	v_lshlrev_b64 v[2:3], 2, v[10:11]
	v_mov_b32_e32 v17, s64
	v_add_co_u32_e64 v2, s[20:21], s33, v2
	v_addc_co_u32_e64 v3, s[20:21], v17, v3, s[20:21]
	global_load_dword v17, v[2:3], off
.LBB91_187:                             ;   in Loop: Header=BB91_185 Depth=2
	s_or_b64 exec, exec, s[52:53]
	s_and_saveexec_b64 s[20:21], vcc
	s_cbranch_execz .LBB91_184
; %bb.188:                              ;   in Loop: Header=BB91_185 Depth=2
	s_waitcnt vmcnt(0)
	v_cmp_lt_i32_e32 vcc, -1, v17
	v_cndmask_b32_e32 v2, -1, v32, vcc
	v_xor_b32_e32 v2, v2, v17
	v_cmp_o_f32_e32 vcc, v17, v17
	v_cndmask_b32_e32 v2, -1, v2, vcc
	v_and_b32_e32 v2, v2, v5
	v_cmp_eq_u32_e32 vcc, v2, v4
	s_and_b64 exec, exec, vcc
	s_cbranch_execz .LBB91_184
; %bb.189:                              ;   in Loop: Header=BB91_185 Depth=2
	ds_write_b64 v11, v[16:17] offset:3072
	s_branch .LBB91_184
.LBB91_190:                             ;   in Loop: Header=BB91_15 Depth=1
	s_or_b64 exec, exec, s[48:49]
	s_and_b64 s[20:21], s[50:51], exec
.LBB91_191:                             ;   in Loop: Header=BB91_15 Depth=1
	s_or_b64 exec, exec, s[46:47]
	s_mov_b64 s[50:51], -1
	s_mov_b64 s[46:47], 0
	s_mov_b64 s[48:49], 0
.LBB91_192:                             ;   in Loop: Header=BB91_15 Depth=1
	s_orn2_b64 s[54:55], s[20:21], exec
.LBB91_193:                             ;   in Loop: Header=BB91_15 Depth=1
	s_or_b64 exec, exec, s[16:17]
	s_mov_b64 s[20:21], 0
                                        ; implicit-def: $vgpr2
	s_and_saveexec_b64 s[52:53], s[54:55]
	s_cbranch_execz .LBB91_246
; %bb.194:                              ;   in Loop: Header=BB91_15 Depth=1
	s_xor_b64 s[16:17], s[8:9], -1
	s_mov_b64 s[54:55], 0
	v_mov_b32_e32 v37, 1
	v_mov_b32_e32 v2, 1
	s_and_saveexec_b64 s[8:9], s[16:17]
	s_cbranch_execz .LBB91_204
; %bb.195:                              ;   in Loop: Header=BB91_15 Depth=1
	v_cmp_ge_u32_e32 vcc, s75, v18
                                        ; implicit-def: $sgpr15
                                        ; implicit-def: $sgpr16_sgpr17
	s_and_saveexec_b64 s[20:21], vcc
	s_xor_b64 s[20:21], exec, s[20:21]
	s_cbranch_execz .LBB91_201
; %bb.196:                              ;   in Loop: Header=BB91_15 Depth=1
	ds_read_b32 v2, v11 offset:4096
	s_waitcnt lgkmcnt(0)
	v_cmp_ne_u32_e32 vcc, 0, v2
	s_cbranch_vccnz .LBB91_200
; %bb.197:                              ;   in Loop: Header=BB91_15 Depth=1
	s_mov_b64 s[16:17], exec
	v_readlane_b32 s54, v54, 5
	v_readlane_b32 s55, v54, 6
	s_and_b64 s[54:55], s[16:17], s[54:55]
	s_mov_b64 exec, s[54:55]
	s_cbranch_execz .LBB91_199
; %bb.198:                              ;   in Loop: Header=BB91_15 Depth=1
	v_mov_b32_e32 v2, s75
	ds_write_b32 v11, v2 offset:4100
.LBB91_199:                             ;   in Loop: Header=BB91_15 Depth=1
	s_or_b64 exec, exec, s[16:17]
	s_waitcnt lgkmcnt(0)
	s_barrier
.LBB91_200:                             ;   in Loop: Header=BB91_15 Depth=1
	v_and_b32_e32 v2, s4, v4
	v_lshl_or_b32 v4, 2, s74, v2
	v_or_b32_e32 v5, s63, v5
	s_mov_b64 s[16:17], 0
	s_mov_b32 s15, 8
.LBB91_201:                             ;   in Loop: Header=BB91_15 Depth=1
	s_or_saveexec_b64 s[20:21], s[20:21]
	v_mov_b32_e32 v2, s15
	s_xor_b64 exec, exec, s[20:21]
; %bb.202:                              ;   in Loop: Header=BB91_15 Depth=1
	v_subrev_u32_e32 v18, s75, v18
	v_mov_b32_e32 v2, 0
	s_or_b64 s[16:17], s[16:17], exec
; %bb.203:                              ;   in Loop: Header=BB91_15 Depth=1
	s_or_b64 exec, exec, s[20:21]
	s_and_b64 s[54:55], s[16:17], exec
	v_mov_b32_e32 v37, v18
.LBB91_204:                             ;   in Loop: Header=BB91_15 Depth=1
	s_or_b64 exec, exec, s[8:9]
	s_mov_b64 s[8:9], -1
                                        ; implicit-def: $sgpr20_sgpr21
                                        ; implicit-def: $sgpr58_sgpr59
                                        ; implicit-def: $sgpr56_sgpr57
	s_and_saveexec_b64 s[16:17], s[54:55]
	s_cbranch_execz .LBB91_245
; %bb.205:                              ;   in Loop: Header=BB91_15 Depth=1
	s_cmp_eq_u32 s14, 1
	s_cselect_b64 s[8:9], -1, 0
	v_cmp_eq_u32_e32 vcc, 1, v37
	s_mov_b64 s[76:77], -1
	s_and_b64 s[8:9], s[8:9], vcc
                                        ; implicit-def: $sgpr20_sgpr21
                                        ; implicit-def: $sgpr58_sgpr59
                                        ; implicit-def: $sgpr56_sgpr57
	s_mov_b64 s[54:55], exec
	v_writelane_b32 v54, s8, 50
	v_writelane_b32 v54, s9, 51
	s_and_b64 s[8:9], s[54:55], s[8:9]
	s_mov_b64 exec, s[8:9]
	s_cbranch_execz .LBB91_232
; %bb.206:                              ;   in Loop: Header=BB91_15 Depth=1
	ds_read_b32 v2, v11 offset:4096
	s_waitcnt lgkmcnt(0)
	s_barrier
	v_readfirstlane_b32 s15, v2
	s_mov_b64 s[20:21], exec
	v_readlane_b32 s8, v54, 29
	v_readlane_b32 s9, v54, 30
	s_and_b64 s[8:9], s[20:21], s[8:9]
	s_mov_b64 exec, s[8:9]
	s_cbranch_execz .LBB91_208
; %bb.207:                              ;   in Loop: Header=BB91_15 Depth=1
	ds_write_b32 v23, v11
.LBB91_208:                             ;   in Loop: Header=BB91_15 Depth=1
	s_or_b64 exec, exec, s[20:21]
	v_or_b32_e32 v4, s63, v4
	v_or_b32_e32 v5, s63, v5
	s_cmp_eq_u32 s15, 0
	s_waitcnt lgkmcnt(0)
	s_barrier
	s_cbranch_scc1 .LBB91_217
; %bb.209:                              ;   in Loop: Header=BB91_15 Depth=1
	v_readlane_b32 s8, v54, 22
	s_add_i32 s8, s15, s8
	v_readlane_b32 s9, v54, 46
	s_mul_hi_u32 s9, s8, s9
	s_mul_i32 s9, s9, s66
	s_sub_i32 s9, s8, s9
	s_sub_i32 s20, s9, s66
	s_cmp_ge_u32 s9, s66
	s_cselect_b32 s9, s20, s9
	s_sub_i32 s20, s9, s66
	s_cmp_ge_u32 s9, s66
	s_cselect_b32 s9, s20, s9
	s_sub_i32 s8, s8, s9
	s_mov_b64 s[76:77], 0
	v_cmp_gt_u32_e32 vcc, s8, v0
                                        ; implicit-def: $vgpr3
	s_mov_b64 s[20:21], exec
	v_writelane_b32 v54, s20, 52
	v_writelane_b32 v54, s21, 53
	s_and_b64 s[20:21], s[20:21], vcc
	s_mov_b64 exec, s[20:21]
	s_cbranch_execz .LBB91_219
; %bb.210:                              ;   in Loop: Header=BB91_15 Depth=1
	s_mov_b64 s[58:59], 0
	v_mov_b32_e32 v10, v20
	v_mov_b32_e32 v18, v0
                                        ; implicit-def: $sgpr76_sgpr77
	s_branch .LBB91_212
.LBB91_211:                             ;   in Loop: Header=BB91_212 Depth=2
	s_or_b64 exec, exec, s[20:21]
	s_waitcnt lgkmcnt(0)
	s_barrier
	ds_read_b64 v[2:3], v11 offset:3072
	v_add_u32_e32 v18, s66, v18
	v_cmp_le_u32_e64 s[20:21], s8, v18
	v_add_u32_e32 v10, s12, v10
	s_waitcnt lgkmcnt(0)
	v_cmp_neq_f32_e32 vcc, 0, v2
	s_or_b64 s[20:21], s[20:21], vcc
	s_and_b64 s[20:21], exec, s[20:21]
	s_or_b64 s[58:59], s[20:21], s[58:59]
	s_andn2_b64 s[20:21], s[76:77], exec
	s_and_b64 s[56:57], vcc, exec
	s_or_b64 s[76:77], s[20:21], s[56:57]
	s_barrier
	s_andn2_b64 exec, exec, s[58:59]
	s_cbranch_execz .LBB91_218
.LBB91_212:                             ;   Parent Loop BB91_15 Depth=1
                                        ; =>  This Inner Loop Header: Depth=2
	v_cmp_gt_u32_e32 vcc, s15, v18
	s_waitcnt vmcnt(0)
	v_mov_b32_e32 v17, 0
	s_and_saveexec_b64 s[20:21], vcc
	s_cbranch_execz .LBB91_214
; %bb.213:                              ;   in Loop: Header=BB91_212 Depth=2
	ds_read_b32 v17, v10
.LBB91_214:                             ;   in Loop: Header=BB91_212 Depth=2
	s_or_b64 exec, exec, s[20:21]
	s_and_saveexec_b64 s[20:21], vcc
	s_cbranch_execz .LBB91_211
; %bb.215:                              ;   in Loop: Header=BB91_212 Depth=2
	s_waitcnt lgkmcnt(0)
	v_cmp_lt_i32_e32 vcc, -1, v17
	v_cndmask_b32_e32 v2, -1, v32, vcc
	v_xor_b32_e32 v2, v2, v17
	v_cmp_o_f32_e32 vcc, v17, v17
	v_cndmask_b32_e32 v2, -1, v2, vcc
	v_and_b32_e32 v2, v2, v5
	v_cmp_eq_u32_e32 vcc, v2, v4
	s_and_b64 exec, exec, vcc
	s_cbranch_execz .LBB91_211
; %bb.216:                              ;   in Loop: Header=BB91_212 Depth=2
	ds_write_b64 v11, v[16:17] offset:3072
	s_branch .LBB91_211
.LBB91_217:                             ;   in Loop: Header=BB91_15 Depth=1
	s_mov_b64 s[20:21], -1
	s_mov_b64 s[76:77], 0
                                        ; implicit-def: $sgpr56_sgpr57
                                        ; implicit-def: $vgpr3
	s_branch .LBB91_220
.LBB91_218:                             ;   in Loop: Header=BB91_15 Depth=1
	s_or_b64 exec, exec, s[58:59]
	s_and_b64 s[76:77], s[76:77], exec
.LBB91_219:                             ;   in Loop: Header=BB91_15 Depth=1
	v_readlane_b32 s8, v54, 52
	v_readlane_b32 s9, v54, 53
	s_or_b64 exec, exec, s[8:9]
	s_mov_b64 s[56:57], -1
	s_mov_b64 s[20:21], 0
.LBB91_220:                             ;   in Loop: Header=BB91_15 Depth=1
	s_and_b64 vcc, exec, s[20:21]
	s_mov_b64 s[58:59], s[20:21]
	s_cbranch_vccz .LBB91_231
; %bb.221:                              ;   in Loop: Header=BB91_15 Depth=1
	s_mov_b64 s[76:77], 0
                                        ; implicit-def: $vgpr3
	s_mov_b64 s[20:21], exec
	v_readlane_b32 s8, v54, 47
	v_readlane_b32 s9, v54, 48
	v_writelane_b32 v54, s20, 54
	s_and_b64 s[8:9], s[20:21], s[8:9]
	v_writelane_b32 v54, s21, 55
	s_mov_b64 exec, s[8:9]
	s_cbranch_execz .LBB91_230
; %bb.222:                              ;   in Loop: Header=BB91_15 Depth=1
	s_mov_b64 s[58:59], 0
	v_mov_b32_e32 v10, v12
	v_mov_b32_e32 v18, v0
                                        ; implicit-def: $sgpr76_sgpr77
	s_branch .LBB91_224
.LBB91_223:                             ;   in Loop: Header=BB91_224 Depth=2
	s_or_b64 exec, exec, s[20:21]
	s_waitcnt lgkmcnt(0)
	s_barrier
	ds_read_b64 v[2:3], v11 offset:3072
	v_add_u32_e32 v18, s66, v18
	v_cmp_le_u32_e64 s[20:21], s6, v18
	v_add_u32_e32 v10, s78, v10
	s_waitcnt lgkmcnt(0)
	v_cmp_neq_f32_e32 vcc, 0, v2
	s_or_b64 s[8:9], s[20:21], vcc
	s_and_b64 s[8:9], exec, s[8:9]
	s_or_b64 s[58:59], s[8:9], s[58:59]
	s_andn2_b64 s[8:9], s[76:77], exec
	s_and_b64 s[20:21], vcc, exec
	s_or_b64 s[76:77], s[8:9], s[20:21]
	s_barrier
	s_andn2_b64 exec, exec, s[58:59]
	s_cbranch_execz .LBB91_229
.LBB91_224:                             ;   Parent Loop BB91_15 Depth=1
                                        ; =>  This Inner Loop Header: Depth=2
	v_cmp_gt_u32_e32 vcc, s60, v18
	s_waitcnt vmcnt(0)
	v_mov_b32_e32 v17, 0
	s_and_saveexec_b64 s[56:57], vcc
	s_cbranch_execz .LBB91_226
; %bb.225:                              ;   in Loop: Header=BB91_224 Depth=2
	v_lshlrev_b64 v[2:3], 2, v[10:11]
	v_mov_b32_e32 v17, s64
	v_add_co_u32_e64 v2, s[20:21], s33, v2
	v_addc_co_u32_e64 v3, s[20:21], v17, v3, s[20:21]
	global_load_dword v17, v[2:3], off
.LBB91_226:                             ;   in Loop: Header=BB91_224 Depth=2
	s_or_b64 exec, exec, s[56:57]
	s_and_saveexec_b64 s[20:21], vcc
	s_cbranch_execz .LBB91_223
; %bb.227:                              ;   in Loop: Header=BB91_224 Depth=2
	s_waitcnt vmcnt(0)
	v_cmp_lt_i32_e32 vcc, -1, v17
	v_cndmask_b32_e32 v2, -1, v32, vcc
	v_xor_b32_e32 v2, v2, v17
	v_cmp_o_f32_e32 vcc, v17, v17
	v_cndmask_b32_e32 v2, -1, v2, vcc
	v_and_b32_e32 v2, v2, v5
	v_cmp_eq_u32_e32 vcc, v2, v4
	s_and_b64 exec, exec, vcc
	s_cbranch_execz .LBB91_223
; %bb.228:                              ;   in Loop: Header=BB91_224 Depth=2
	ds_write_b64 v11, v[16:17] offset:3072
	s_branch .LBB91_223
.LBB91_229:                             ;   in Loop: Header=BB91_15 Depth=1
	s_or_b64 exec, exec, s[58:59]
	s_and_b64 s[76:77], s[76:77], exec
.LBB91_230:                             ;   in Loop: Header=BB91_15 Depth=1
	v_readlane_b32 s8, v54, 54
	v_readlane_b32 s9, v54, 55
	s_or_b64 exec, exec, s[8:9]
	s_mov_b64 s[58:59], -1
	s_mov_b64 s[20:21], 0
	s_mov_b64 s[56:57], 0
.LBB91_231:                             ;   in Loop: Header=BB91_15 Depth=1
	s_orn2_b64 s[76:77], s[76:77], exec
.LBB91_232:                             ;   in Loop: Header=BB91_15 Depth=1
	s_or_b64 exec, exec, s[54:55]
	s_mov_b64 vcc, 0
                                        ; implicit-def: $vgpr2
                                        ; implicit-def: $vgpr10
	s_and_saveexec_b64 s[54:55], s[76:77]
	s_cbranch_execz .LBB91_244
; %bb.233:                              ;   in Loop: Header=BB91_15 Depth=1
	v_readlane_b32 s8, v54, 50
	v_readlane_b32 s9, v54, 51
	s_xor_b64 s[76:77], s[8:9], -1
	v_mov_b32_e32 v2, 1
	v_mov_b32_e32 v10, 1
	s_and_saveexec_b64 s[8:9], s[76:77]
	s_cbranch_execz .LBB91_243
; %bb.234:                              ;   in Loop: Header=BB91_15 Depth=1
	v_cmp_ge_u32_e32 vcc, s14, v37
                                        ; implicit-def: $sgpr15
	s_and_saveexec_b64 s[76:77], vcc
	s_xor_b64 s[76:77], exec, s[76:77]
	s_cbranch_execz .LBB91_240
; %bb.235:                              ;   in Loop: Header=BB91_15 Depth=1
	ds_read_b32 v2, v11 offset:4096
	s_waitcnt lgkmcnt(0)
	v_cmp_ne_u32_e32 vcc, 0, v2
	s_cbranch_vccnz .LBB91_239
; %bb.236:                              ;   in Loop: Header=BB91_15 Depth=1
	v_writelane_b32 v54, s76, 56
	v_writelane_b32 v54, s77, 57
	s_mov_b64 s[76:77], exec
	v_writelane_b32 v54, s76, 58
	v_writelane_b32 v54, s77, 59
	v_readlane_b32 vcc_lo, v54, 5
	v_readlane_b32 s76, v54, 58
	v_readlane_b32 vcc_hi, v54, 6
	v_readlane_b32 s77, v54, 59
	s_and_b64 vcc, s[76:77], vcc
	s_mov_b64 exec, vcc
	s_cbranch_execz .LBB91_238
; %bb.237:                              ;   in Loop: Header=BB91_15 Depth=1
	v_mov_b32_e32 v2, s14
	ds_write_b32 v11, v2 offset:4100
.LBB91_238:                             ;   in Loop: Header=BB91_15 Depth=1
	v_readlane_b32 vcc_lo, v54, 58
	v_readlane_b32 vcc_hi, v54, 59
	s_or_b64 exec, exec, vcc
	v_readlane_b32 s76, v54, 56
	v_readlane_b32 s77, v54, 57
	s_waitcnt lgkmcnt(0)
	s_barrier
.LBB91_239:                             ;   in Loop: Header=BB91_15 Depth=1
	v_or_b32_e32 v4, s63, v4
	v_or_b32_e32 v5, s63, v5
	s_mov_b32 s15, 8
.LBB91_240:                             ;   in Loop: Header=BB91_15 Depth=1
	s_or_saveexec_b64 s[76:77], s[76:77]
	v_mov_b32_e32 v2, s15
	s_xor_b64 exec, exec, s[76:77]
; %bb.241:                              ;   in Loop: Header=BB91_15 Depth=1
	v_subrev_u32_e32 v37, s14, v37
	v_mov_b32_e32 v2, 8
; %bb.242:                              ;   in Loop: Header=BB91_15 Depth=1
	s_or_b64 exec, exec, s[76:77]
	v_mov_b32_e32 v10, v37
.LBB91_243:                             ;   in Loop: Header=BB91_15 Depth=1
	s_or_b64 exec, exec, s[8:9]
	s_mov_b64 vcc, exec
.LBB91_244:                             ;   in Loop: Header=BB91_15 Depth=1
	s_or_b64 exec, exec, s[54:55]
	s_orn2_b64 s[8:9], vcc, exec
	v_mov_b32_e32 v37, v10
.LBB91_245:                             ;   in Loop: Header=BB91_15 Depth=1
	s_or_b64 exec, exec, s[16:17]
	s_andn2_b64 s[16:17], s[46:47], exec
	s_and_b64 s[20:21], s[20:21], exec
	s_or_b64 s[46:47], s[16:17], s[20:21]
	s_andn2_b64 s[16:17], s[50:51], exec
	s_and_b64 s[20:21], s[58:59], exec
	s_or_b64 s[50:51], s[16:17], s[20:21]
	;; [unrolled: 3-line block ×3, first 2 shown]
	s_and_b64 s[20:21], s[8:9], exec
	v_mov_b32_e32 v18, v37
.LBB91_246:                             ;   in Loop: Header=BB91_15 Depth=1
	s_or_b64 exec, exec, s[52:53]
	s_and_b64 s[52:53], s[46:47], exec
	s_and_b64 s[46:47], s[50:51], exec
	;; [unrolled: 1-line block ×3, first 2 shown]
	s_orn2_b64 s[8:9], s[20:21], exec
.LBB91_247:                             ;   in Loop: Header=BB91_15 Depth=1
	s_or_b64 exec, exec, s[44:45]
	s_andn2_b64 s[20:21], s[36:37], exec
	s_and_b64 s[36:37], s[52:53], exec
	s_or_b64 s[36:37], s[20:21], s[36:37]
	s_andn2_b64 s[20:21], s[40:41], exec
	s_and_b64 s[40:41], s[46:47], exec
	s_or_b64 s[40:41], s[20:21], s[40:41]
	;; [unrolled: 3-line block ×3, first 2 shown]
	s_and_b64 s[20:21], s[8:9], exec
	v_mov_b32_e32 v37, v18
.LBB91_248:                             ;   in Loop: Header=BB91_15 Depth=1
	s_or_b64 exec, exec, s[42:43]
	s_and_b64 s[36:37], s[36:37], exec
	s_and_b64 s[16:17], s[40:41], exec
	s_and_b64 s[8:9], s[38:39], exec
	s_orn2_b64 s[38:39], s[20:21], exec
.LBB91_249:                             ;   in Loop: Header=BB91_15 Depth=1
	s_or_b64 exec, exec, s[24:25]
	s_mov_b64 s[24:25], 0
	s_mov_b64 s[20:21], 0
	s_and_saveexec_b64 s[40:41], s[38:39]
	s_xor_b64 s[38:39], exec, s[40:41]
; %bb.250:                              ;   in Loop: Header=BB91_15 Depth=1
	v_cmp_eq_u32_e32 vcc, 8, v2
	v_cmp_ne_u32_e64 s[20:21], 8, v2
	s_andn2_b64 s[36:37], s[36:37], exec
	s_andn2_b64 s[16:17], s[16:17], exec
	;; [unrolled: 1-line block ×3, first 2 shown]
	s_and_b64 s[20:21], s[20:21], exec
	s_and_b64 s[24:25], vcc, exec
; %bb.251:                              ;   in Loop: Header=BB91_15 Depth=1
	s_or_b64 exec, exec, s[38:39]
	s_andn2_b64 s[28:29], s[28:29], exec
	s_and_b64 s[16:17], s[16:17], exec
	s_andn2_b64 s[22:23], s[22:23], exec
	s_and_b64 s[36:37], s[36:37], exec
	s_or_b64 s[28:29], s[28:29], s[16:17]
	s_andn2_b64 s[16:17], s[26:27], exec
	s_and_b64 s[8:9], s[8:9], exec
	s_or_b64 s[22:23], s[22:23], s[36:37]
	s_or_b64 s[26:27], s[16:17], s[8:9]
	s_and_b64 s[20:21], s[20:21], exec
	s_and_b64 s[24:25], s[24:25], exec
.LBB91_252:                             ;   in Loop: Header=BB91_15 Depth=1
	s_or_b64 exec, exec, s[34:35]
	s_and_b64 vcc, exec, s[30:31]
	s_cbranch_vccz .LBB91_102
.LBB91_253:                             ;   in Loop: Header=BB91_15 Depth=1
	s_cmp_eq_u32 s14, 1
	s_cselect_b64 s[8:9], -1, 0
	s_and_b64 s[8:9], s[8:9], s[18:19]
	s_mov_b64 s[18:19], -1
                                        ; implicit-def: $sgpr30_sgpr31
                                        ; implicit-def: $sgpr34_sgpr35
                                        ; implicit-def: $sgpr22_sgpr23
	s_and_saveexec_b64 s[16:17], s[8:9]
	s_cbranch_execz .LBB91_279
; %bb.254:                              ;   in Loop: Header=BB91_15 Depth=1
	ds_read_b32 v2, v11 offset:4096
	s_waitcnt lgkmcnt(0)
	s_barrier
	v_readfirstlane_b32 s15, v2
	s_mov_b64 s[18:19], exec
	v_readlane_b32 s22, v54, 29
	v_readlane_b32 s23, v54, 30
	s_and_b64 s[22:23], s[18:19], s[22:23]
	s_mov_b64 exec, s[22:23]
	s_cbranch_execz .LBB91_256
; %bb.255:                              ;   in Loop: Header=BB91_15 Depth=1
	ds_write_b32 v23, v11
.LBB91_256:                             ;   in Loop: Header=BB91_15 Depth=1
	s_or_b64 exec, exec, s[18:19]
	v_or_b32_e32 v35, s63, v35
	v_or_b32_e32 v34, s63, v34
	s_cmp_eq_u32 s15, 0
	s_waitcnt lgkmcnt(0)
	s_barrier
	s_cbranch_scc1 .LBB91_265
; %bb.257:                              ;   in Loop: Header=BB91_15 Depth=1
	v_readlane_b32 s18, v54, 22
	s_add_i32 s18, s15, s18
	v_readlane_b32 s19, v54, 46
	s_mul_hi_u32 s19, s18, s19
	s_mul_i32 s19, s19, s66
	s_sub_i32 s19, s18, s19
	s_sub_i32 s22, s19, s66
	s_cmp_ge_u32 s19, s66
	s_cselect_b32 s19, s22, s19
	s_sub_i32 s22, s19, s66
	s_cmp_ge_u32 s19, s66
	s_cselect_b32 s19, s22, s19
	s_sub_i32 s30, s18, s19
	v_cmp_gt_u32_e32 vcc, s30, v0
	s_mov_b64 s[18:19], 0
                                        ; implicit-def: $vgpr19
	s_and_saveexec_b64 s[22:23], vcc
	s_cbranch_execz .LBB91_267
; %bb.258:                              ;   in Loop: Header=BB91_15 Depth=1
	s_mov_b64 s[26:27], 0
	v_mov_b32_e32 v2, v20
	v_mov_b32_e32 v3, v0
                                        ; implicit-def: $sgpr28_sgpr29
	s_branch .LBB91_260
.LBB91_259:                             ;   in Loop: Header=BB91_260 Depth=2
	s_or_b64 exec, exec, s[18:19]
	s_waitcnt lgkmcnt(0)
	s_barrier
	ds_read_b64 v[18:19], v11 offset:3072
	v_add_u32_e32 v3, s66, v3
	v_cmp_le_u32_e64 s[18:19], s30, v3
	v_add_u32_e32 v2, s12, v2
	s_waitcnt lgkmcnt(0)
	v_cmp_neq_f32_e32 vcc, 0, v18
	s_or_b64 s[18:19], s[18:19], vcc
	s_and_b64 s[18:19], exec, s[18:19]
	s_or_b64 s[26:27], s[18:19], s[26:27]
	s_andn2_b64 s[18:19], s[28:29], exec
	s_and_b64 s[28:29], vcc, exec
	s_or_b64 s[28:29], s[18:19], s[28:29]
	s_barrier
	s_andn2_b64 exec, exec, s[26:27]
	s_cbranch_execz .LBB91_266
.LBB91_260:                             ;   Parent Loop BB91_15 Depth=1
                                        ; =>  This Inner Loop Header: Depth=2
	v_cmp_gt_u32_e32 vcc, s15, v3
	s_waitcnt vmcnt(0)
	v_mov_b32_e32 v17, 0
	s_and_saveexec_b64 s[18:19], vcc
	s_cbranch_execz .LBB91_262
; %bb.261:                              ;   in Loop: Header=BB91_260 Depth=2
	ds_read_b32 v17, v2
.LBB91_262:                             ;   in Loop: Header=BB91_260 Depth=2
	s_or_b64 exec, exec, s[18:19]
	s_and_saveexec_b64 s[18:19], vcc
	s_cbranch_execz .LBB91_259
; %bb.263:                              ;   in Loop: Header=BB91_260 Depth=2
	s_waitcnt lgkmcnt(0)
	v_cmp_lt_i32_e32 vcc, -1, v17
	v_cndmask_b32_e32 v4, -1, v32, vcc
	v_xor_b32_e32 v4, v4, v17
	v_cmp_o_f32_e32 vcc, v17, v17
	v_cndmask_b32_e32 v4, -1, v4, vcc
	v_and_b32_e32 v4, v4, v34
	v_cmp_eq_u32_e32 vcc, v4, v35
	s_and_b64 exec, exec, vcc
	s_cbranch_execz .LBB91_259
; %bb.264:                              ;   in Loop: Header=BB91_260 Depth=2
	ds_write_b64 v11, v[16:17] offset:3072
	s_branch .LBB91_259
.LBB91_265:                             ;   in Loop: Header=BB91_15 Depth=1
	s_mov_b64 s[30:31], -1
	s_mov_b64 s[18:19], 0
                                        ; implicit-def: $sgpr34_sgpr35
                                        ; implicit-def: $vgpr19
	s_mov_b64 s[22:23], s[30:31]
	s_cbranch_execnz .LBB91_268
	s_branch .LBB91_278
.LBB91_266:                             ;   in Loop: Header=BB91_15 Depth=1
	s_or_b64 exec, exec, s[26:27]
	s_and_b64 s[18:19], s[28:29], exec
.LBB91_267:                             ;   in Loop: Header=BB91_15 Depth=1
	s_or_b64 exec, exec, s[22:23]
	s_mov_b64 s[30:31], 0
	s_mov_b64 s[34:35], -1
	s_mov_b64 s[22:23], s[30:31]
	s_branch .LBB91_278
.LBB91_268:                             ;   in Loop: Header=BB91_15 Depth=1
	s_mov_b64 s[18:19], 0
                                        ; implicit-def: $vgpr19
	s_mov_b64 s[22:23], exec
	v_readlane_b32 s26, v54, 47
	v_readlane_b32 s27, v54, 48
	s_and_b64 s[26:27], s[22:23], s[26:27]
	s_mov_b64 exec, s[26:27]
	s_cbranch_execz .LBB91_277
; %bb.269:                              ;   in Loop: Header=BB91_15 Depth=1
	s_mov_b64 s[26:27], 0
	v_mov_b32_e32 v10, v12
	v_mov_b32_e32 v2, v0
                                        ; implicit-def: $sgpr28_sgpr29
	s_branch .LBB91_271
.LBB91_270:                             ;   in Loop: Header=BB91_271 Depth=2
	s_or_b64 exec, exec, s[18:19]
	s_waitcnt lgkmcnt(0)
	s_barrier
	ds_read_b64 v[18:19], v11 offset:3072
	v_add_u32_e32 v2, s66, v2
	v_cmp_le_u32_e64 s[18:19], s6, v2
	v_add_u32_e32 v10, s78, v10
	s_waitcnt lgkmcnt(0)
	v_cmp_neq_f32_e32 vcc, 0, v18
	s_or_b64 s[18:19], s[18:19], vcc
	s_and_b64 s[18:19], exec, s[18:19]
	s_or_b64 s[26:27], s[18:19], s[26:27]
	s_andn2_b64 s[18:19], s[28:29], exec
	s_and_b64 s[28:29], vcc, exec
	s_or_b64 s[28:29], s[18:19], s[28:29]
	s_barrier
	s_andn2_b64 exec, exec, s[26:27]
	s_cbranch_execz .LBB91_276
.LBB91_271:                             ;   Parent Loop BB91_15 Depth=1
                                        ; =>  This Inner Loop Header: Depth=2
	v_cmp_gt_u32_e32 vcc, s60, v2
	s_waitcnt vmcnt(0)
	v_mov_b32_e32 v17, 0
	s_and_saveexec_b64 s[30:31], vcc
	s_cbranch_execz .LBB91_273
; %bb.272:                              ;   in Loop: Header=BB91_271 Depth=2
	v_lshlrev_b64 v[4:5], 2, v[10:11]
	v_mov_b32_e32 v3, s64
	v_add_co_u32_e64 v4, s[18:19], s33, v4
	v_addc_co_u32_e64 v5, s[18:19], v3, v5, s[18:19]
	global_load_dword v17, v[4:5], off
.LBB91_273:                             ;   in Loop: Header=BB91_271 Depth=2
	s_or_b64 exec, exec, s[30:31]
	s_and_saveexec_b64 s[18:19], vcc
	s_cbranch_execz .LBB91_270
; %bb.274:                              ;   in Loop: Header=BB91_271 Depth=2
	s_waitcnt vmcnt(0)
	v_cmp_lt_i32_e32 vcc, -1, v17
	v_cndmask_b32_e32 v3, -1, v32, vcc
	v_xor_b32_e32 v3, v3, v17
	v_cmp_o_f32_e32 vcc, v17, v17
	v_cndmask_b32_e32 v3, -1, v3, vcc
	v_and_b32_e32 v3, v3, v34
	v_cmp_eq_u32_e32 vcc, v3, v35
	s_and_b64 exec, exec, vcc
	s_cbranch_execz .LBB91_270
; %bb.275:                              ;   in Loop: Header=BB91_271 Depth=2
	ds_write_b64 v11, v[16:17] offset:3072
	s_branch .LBB91_270
.LBB91_276:                             ;   in Loop: Header=BB91_15 Depth=1
	s_or_b64 exec, exec, s[26:27]
	s_and_b64 s[18:19], s[28:29], exec
.LBB91_277:                             ;   in Loop: Header=BB91_15 Depth=1
	s_or_b64 exec, exec, s[22:23]
	s_mov_b64 s[34:35], 0
	s_mov_b64 s[30:31], -1
	s_mov_b64 s[22:23], 0
.LBB91_278:                             ;   in Loop: Header=BB91_15 Depth=1
	s_orn2_b64 s[18:19], s[18:19], exec
.LBB91_279:                             ;   in Loop: Header=BB91_15 Depth=1
	s_or_b64 exec, exec, s[16:17]
                                        ; implicit-def: $vgpr2
                                        ; implicit-def: $vgpr37
                                        ; implicit-def: $vgpr4
                                        ; implicit-def: $vgpr5
                                        ; implicit-def: $vgpr3
	s_and_saveexec_b64 s[26:27], s[18:19]
	s_cbranch_execz .LBB91_414
; %bb.280:                              ;   in Loop: Header=BB91_15 Depth=1
	s_xor_b64 s[16:17], s[8:9], -1
	s_mov_b64 s[18:19], 0
	v_mov_b32_e32 v37, 1
	v_mov_b32_e32 v2, 1
	s_and_saveexec_b64 s[8:9], s[16:17]
	s_cbranch_execz .LBB91_290
; %bb.281:                              ;   in Loop: Header=BB91_15 Depth=1
	v_cmp_ge_u32_e32 vcc, s14, v36
                                        ; implicit-def: $sgpr15
                                        ; implicit-def: $sgpr16_sgpr17
	s_and_saveexec_b64 s[18:19], vcc
	s_xor_b64 s[18:19], exec, s[18:19]
	s_cbranch_execz .LBB91_287
; %bb.282:                              ;   in Loop: Header=BB91_15 Depth=1
	ds_read_b32 v2, v11 offset:4096
	s_waitcnt lgkmcnt(0)
	v_cmp_ne_u32_e32 vcc, 0, v2
	s_cbranch_vccnz .LBB91_286
; %bb.283:                              ;   in Loop: Header=BB91_15 Depth=1
	s_mov_b64 s[16:17], exec
	v_readlane_b32 s28, v54, 5
	v_readlane_b32 s29, v54, 6
	s_and_b64 s[28:29], s[16:17], s[28:29]
	s_mov_b64 exec, s[28:29]
	s_cbranch_execz .LBB91_285
; %bb.284:                              ;   in Loop: Header=BB91_15 Depth=1
	v_mov_b32_e32 v2, s14
	ds_write_b32 v11, v2 offset:4100
.LBB91_285:                             ;   in Loop: Header=BB91_15 Depth=1
	s_or_b64 exec, exec, s[16:17]
	s_waitcnt lgkmcnt(0)
	s_barrier
.LBB91_286:                             ;   in Loop: Header=BB91_15 Depth=1
	v_or_b32_e32 v35, s63, v35
	v_or_b32_e32 v34, s63, v34
	s_mov_b64 s[16:17], 0
	s_mov_b32 s15, 5
.LBB91_287:                             ;   in Loop: Header=BB91_15 Depth=1
	s_or_saveexec_b64 s[18:19], s[18:19]
	v_mov_b32_e32 v2, s15
	s_xor_b64 exec, exec, s[18:19]
; %bb.288:                              ;   in Loop: Header=BB91_15 Depth=1
	v_subrev_u32_e32 v36, s14, v36
	v_mov_b32_e32 v2, 0
	s_or_b64 s[16:17], s[16:17], exec
; %bb.289:                              ;   in Loop: Header=BB91_15 Depth=1
	s_or_b64 exec, exec, s[18:19]
	s_and_b64 s[18:19], s[16:17], exec
	v_mov_b32_e32 v37, v36
.LBB91_290:                             ;   in Loop: Header=BB91_15 Depth=1
	s_or_b64 exec, exec, s[8:9]
	s_mov_b64 s[38:39], -1
                                        ; implicit-def: $sgpr8_sgpr9
                                        ; implicit-def: $sgpr16_sgpr17
                                        ; implicit-def: $sgpr36_sgpr37
	s_and_saveexec_b64 s[14:15], s[18:19]
	s_xor_b64 s[28:29], exec, s[14:15]
	s_cbranch_execz .LBB91_411
; %bb.291:                              ;   in Loop: Header=BB91_15 Depth=1
	s_cmp_eq_u32 s75, 1
	s_cselect_b64 s[8:9], -1, 0
	v_cmp_eq_u32_e32 vcc, 1, v37
	s_and_b64 s[8:9], s[8:9], vcc
	s_mov_b64 s[44:45], -1
                                        ; implicit-def: $sgpr36_sgpr37
                                        ; implicit-def: $sgpr38_sgpr39
                                        ; implicit-def: $sgpr40_sgpr41
	s_and_saveexec_b64 s[16:17], s[8:9]
	s_cbranch_execz .LBB91_317
; %bb.292:                              ;   in Loop: Header=BB91_15 Depth=1
	ds_read_b32 v2, v11 offset:4096
	s_waitcnt lgkmcnt(0)
	s_barrier
	v_readfirstlane_b32 s14, v2
	s_mov_b64 s[18:19], exec
	v_readlane_b32 s36, v54, 29
	v_readlane_b32 s37, v54, 30
	s_and_b64 s[36:37], s[18:19], s[36:37]
	s_mov_b64 exec, s[36:37]
	s_cbranch_execz .LBB91_294
; %bb.293:                              ;   in Loop: Header=BB91_15 Depth=1
	ds_write_b32 v23, v11
.LBB91_294:                             ;   in Loop: Header=BB91_15 Depth=1
	s_or_b64 exec, exec, s[18:19]
	v_and_b32_e32 v2, s4, v35
	v_lshl_or_b32 v35, 2, s74, v2
	v_or_b32_e32 v34, s63, v34
	s_cmp_eq_u32 s14, 0
	s_waitcnt lgkmcnt(0)
	s_barrier
	s_cbranch_scc1 .LBB91_303
; %bb.295:                              ;   in Loop: Header=BB91_15 Depth=1
	v_readlane_b32 s15, v54, 22
	s_add_i32 s15, s14, s15
	v_readlane_b32 s18, v54, 46
	s_mul_hi_u32 s18, s15, s18
	s_mul_i32 s18, s18, s66
	s_sub_i32 s18, s15, s18
	s_sub_i32 s19, s18, s66
	s_cmp_ge_u32 s18, s66
	s_cselect_b32 s18, s19, s18
	s_sub_i32 s19, s18, s66
	s_cmp_ge_u32 s18, s66
	s_cselect_b32 s18, s19, s18
	s_sub_i32 s15, s15, s18
	v_cmp_gt_u32_e32 vcc, s15, v0
	s_mov_b64 s[18:19], 0
                                        ; implicit-def: $vgpr19
	s_and_saveexec_b64 s[36:37], vcc
	s_cbranch_execz .LBB91_305
; %bb.296:                              ;   in Loop: Header=BB91_15 Depth=1
	s_mov_b64 s[38:39], 0
	v_mov_b32_e32 v2, v20
	v_mov_b32_e32 v3, v0
                                        ; implicit-def: $sgpr40_sgpr41
	s_branch .LBB91_298
.LBB91_297:                             ;   in Loop: Header=BB91_298 Depth=2
	s_or_b64 exec, exec, s[18:19]
	s_waitcnt lgkmcnt(0)
	s_barrier
	ds_read_b64 v[18:19], v11 offset:3072
	v_add_u32_e32 v3, s66, v3
	v_cmp_le_u32_e64 s[18:19], s15, v3
	v_add_u32_e32 v2, s12, v2
	s_waitcnt lgkmcnt(0)
	v_cmp_neq_f32_e32 vcc, 0, v18
	s_or_b64 s[18:19], s[18:19], vcc
	s_and_b64 s[18:19], exec, s[18:19]
	s_or_b64 s[38:39], s[18:19], s[38:39]
	s_andn2_b64 s[18:19], s[40:41], exec
	s_and_b64 s[40:41], vcc, exec
	s_or_b64 s[40:41], s[18:19], s[40:41]
	s_barrier
	s_andn2_b64 exec, exec, s[38:39]
	s_cbranch_execz .LBB91_304
.LBB91_298:                             ;   Parent Loop BB91_15 Depth=1
                                        ; =>  This Inner Loop Header: Depth=2
	v_cmp_gt_u32_e32 vcc, s14, v3
	s_waitcnt vmcnt(0)
	v_mov_b32_e32 v17, 0
	s_and_saveexec_b64 s[18:19], vcc
	s_cbranch_execz .LBB91_300
; %bb.299:                              ;   in Loop: Header=BB91_298 Depth=2
	ds_read_b32 v17, v2
.LBB91_300:                             ;   in Loop: Header=BB91_298 Depth=2
	s_or_b64 exec, exec, s[18:19]
	s_and_saveexec_b64 s[18:19], vcc
	s_cbranch_execz .LBB91_297
; %bb.301:                              ;   in Loop: Header=BB91_298 Depth=2
	s_waitcnt lgkmcnt(0)
	v_cmp_lt_i32_e32 vcc, -1, v17
	v_cndmask_b32_e32 v4, -1, v32, vcc
	v_xor_b32_e32 v4, v4, v17
	v_cmp_o_f32_e32 vcc, v17, v17
	v_cndmask_b32_e32 v4, -1, v4, vcc
	v_and_b32_e32 v4, v4, v34
	v_cmp_eq_u32_e32 vcc, v4, v35
	s_and_b64 exec, exec, vcc
	s_cbranch_execz .LBB91_297
; %bb.302:                              ;   in Loop: Header=BB91_298 Depth=2
	ds_write_b64 v11, v[16:17] offset:3072
	s_branch .LBB91_297
.LBB91_303:                             ;   in Loop: Header=BB91_15 Depth=1
	s_mov_b64 s[36:37], -1
	s_mov_b64 s[18:19], 0
                                        ; implicit-def: $sgpr38_sgpr39
                                        ; implicit-def: $vgpr19
	s_mov_b64 s[40:41], s[36:37]
	s_cbranch_execnz .LBB91_306
	s_branch .LBB91_316
.LBB91_304:                             ;   in Loop: Header=BB91_15 Depth=1
	s_or_b64 exec, exec, s[38:39]
	s_and_b64 s[18:19], s[40:41], exec
.LBB91_305:                             ;   in Loop: Header=BB91_15 Depth=1
	s_or_b64 exec, exec, s[36:37]
	s_mov_b64 s[36:37], 0
	s_mov_b64 s[38:39], -1
	s_mov_b64 s[40:41], s[36:37]
	s_branch .LBB91_316
.LBB91_306:                             ;   in Loop: Header=BB91_15 Depth=1
	s_mov_b64 s[18:19], 0
                                        ; implicit-def: $vgpr19
	s_mov_b64 s[36:37], exec
	v_readlane_b32 s14, v54, 47
	v_readlane_b32 s15, v54, 48
	s_and_b64 s[14:15], s[36:37], s[14:15]
	s_mov_b64 exec, s[14:15]
	s_cbranch_execz .LBB91_315
; %bb.307:                              ;   in Loop: Header=BB91_15 Depth=1
	s_mov_b64 s[38:39], 0
	v_mov_b32_e32 v10, v12
	v_mov_b32_e32 v2, v0
                                        ; implicit-def: $sgpr40_sgpr41
	s_branch .LBB91_309
.LBB91_308:                             ;   in Loop: Header=BB91_309 Depth=2
	s_or_b64 exec, exec, s[18:19]
	s_waitcnt lgkmcnt(0)
	s_barrier
	ds_read_b64 v[18:19], v11 offset:3072
	v_add_u32_e32 v2, s66, v2
	v_cmp_le_u32_e64 s[18:19], s6, v2
	v_add_u32_e32 v10, s78, v10
	s_waitcnt lgkmcnt(0)
	v_cmp_neq_f32_e32 vcc, 0, v18
	s_or_b64 s[14:15], s[18:19], vcc
	s_and_b64 s[14:15], exec, s[14:15]
	s_or_b64 s[38:39], s[14:15], s[38:39]
	s_andn2_b64 s[14:15], s[40:41], exec
	s_and_b64 s[18:19], vcc, exec
	s_or_b64 s[40:41], s[14:15], s[18:19]
	s_barrier
	s_andn2_b64 exec, exec, s[38:39]
	s_cbranch_execz .LBB91_314
.LBB91_309:                             ;   Parent Loop BB91_15 Depth=1
                                        ; =>  This Inner Loop Header: Depth=2
	v_cmp_gt_u32_e32 vcc, s60, v2
	s_waitcnt vmcnt(0)
	v_mov_b32_e32 v17, 0
	s_and_saveexec_b64 s[42:43], vcc
	s_cbranch_execz .LBB91_311
; %bb.310:                              ;   in Loop: Header=BB91_309 Depth=2
	v_lshlrev_b64 v[4:5], 2, v[10:11]
	v_mov_b32_e32 v3, s64
	v_add_co_u32_e64 v4, s[18:19], s33, v4
	v_addc_co_u32_e64 v5, s[18:19], v3, v5, s[18:19]
	global_load_dword v17, v[4:5], off
.LBB91_311:                             ;   in Loop: Header=BB91_309 Depth=2
	s_or_b64 exec, exec, s[42:43]
	s_and_saveexec_b64 s[18:19], vcc
	s_cbranch_execz .LBB91_308
; %bb.312:                              ;   in Loop: Header=BB91_309 Depth=2
	s_waitcnt vmcnt(0)
	v_cmp_lt_i32_e32 vcc, -1, v17
	v_cndmask_b32_e32 v3, -1, v32, vcc
	v_xor_b32_e32 v3, v3, v17
	v_cmp_o_f32_e32 vcc, v17, v17
	v_cndmask_b32_e32 v3, -1, v3, vcc
	v_and_b32_e32 v3, v3, v34
	v_cmp_eq_u32_e32 vcc, v3, v35
	s_and_b64 exec, exec, vcc
	s_cbranch_execz .LBB91_308
; %bb.313:                              ;   in Loop: Header=BB91_309 Depth=2
	ds_write_b64 v11, v[16:17] offset:3072
	s_branch .LBB91_308
.LBB91_314:                             ;   in Loop: Header=BB91_15 Depth=1
	s_or_b64 exec, exec, s[38:39]
	s_and_b64 s[18:19], s[40:41], exec
.LBB91_315:                             ;   in Loop: Header=BB91_15 Depth=1
	s_or_b64 exec, exec, s[36:37]
	s_mov_b64 s[38:39], 0
	s_mov_b64 s[36:37], -1
	s_mov_b64 s[40:41], 0
.LBB91_316:                             ;   in Loop: Header=BB91_15 Depth=1
	s_orn2_b64 s[44:45], s[18:19], exec
.LBB91_317:                             ;   in Loop: Header=BB91_15 Depth=1
	s_or_b64 exec, exec, s[16:17]
	s_mov_b64 s[18:19], 0
                                        ; implicit-def: $vgpr2
	s_and_saveexec_b64 s[42:43], s[44:45]
	s_cbranch_execz .LBB91_410
; %bb.318:                              ;   in Loop: Header=BB91_15 Depth=1
	s_xor_b64 s[14:15], s[8:9], -1
	v_mov_b32_e32 v3, 1
	v_mov_b32_e32 v2, 1
	s_and_saveexec_b64 s[8:9], s[14:15]
	s_cbranch_execz .LBB91_328
; %bb.319:                              ;   in Loop: Header=BB91_15 Depth=1
	v_cmp_ge_u32_e32 vcc, s75, v37
                                        ; implicit-def: $sgpr14
                                        ; implicit-def: $sgpr16_sgpr17
	s_and_saveexec_b64 s[18:19], vcc
	s_xor_b64 s[18:19], exec, s[18:19]
	s_cbranch_execz .LBB91_325
; %bb.320:                              ;   in Loop: Header=BB91_15 Depth=1
	ds_read_b32 v2, v11 offset:4096
	s_waitcnt lgkmcnt(0)
	v_cmp_ne_u32_e32 vcc, 0, v2
	s_cbranch_vccnz .LBB91_324
; %bb.321:                              ;   in Loop: Header=BB91_15 Depth=1
	s_mov_b64 s[16:17], exec
	v_readlane_b32 s14, v54, 5
	v_readlane_b32 s15, v54, 6
	s_and_b64 s[14:15], s[16:17], s[14:15]
	s_mov_b64 exec, s[14:15]
	s_cbranch_execz .LBB91_323
; %bb.322:                              ;   in Loop: Header=BB91_15 Depth=1
	v_mov_b32_e32 v2, s75
	ds_write_b32 v11, v2 offset:4100
.LBB91_323:                             ;   in Loop: Header=BB91_15 Depth=1
	s_or_b64 exec, exec, s[16:17]
	s_waitcnt lgkmcnt(0)
	s_barrier
.LBB91_324:                             ;   in Loop: Header=BB91_15 Depth=1
	v_and_b32_e32 v2, s4, v35
	v_lshl_or_b32 v35, 2, s74, v2
	v_or_b32_e32 v34, s63, v34
	s_mov_b64 s[16:17], 0
	s_mov_b32 s14, 5
.LBB91_325:                             ;   in Loop: Header=BB91_15 Depth=1
	s_or_saveexec_b64 s[18:19], s[18:19]
	v_mov_b32_e32 v2, s14
	s_xor_b64 exec, exec, s[18:19]
; %bb.326:                              ;   in Loop: Header=BB91_15 Depth=1
	v_subrev_u32_e32 v37, s75, v37
	v_mov_b32_e32 v2, 0
	s_or_b64 s[16:17], s[16:17], exec
; %bb.327:                              ;   in Loop: Header=BB91_15 Depth=1
	s_or_b64 exec, exec, s[18:19]
	s_and_b64 s[18:19], s[16:17], exec
	v_mov_b32_e32 v3, v37
.LBB91_328:                             ;   in Loop: Header=BB91_15 Depth=1
	s_or_b64 exec, exec, s[8:9]
	s_mov_b64 s[8:9], -1
                                        ; implicit-def: $sgpr16_sgpr17
                                        ; implicit-def: $sgpr46_sgpr47
                                        ; implicit-def: $sgpr52_sgpr53
	s_and_saveexec_b64 s[44:45], s[18:19]
	s_cbranch_execz .LBB91_409
; %bb.329:                              ;   in Loop: Header=BB91_15 Depth=1
	s_cmp_eq_u32 s5, 1
	s_cselect_b64 s[8:9], -1, 0
	v_cmp_eq_u32_e32 vcc, 1, v3
	s_and_b64 s[8:9], s[8:9], vcc
	s_mov_b64 s[54:55], -1
                                        ; implicit-def: $sgpr46_sgpr47
                                        ; implicit-def: $sgpr48_sgpr49
                                        ; implicit-def: $sgpr50_sgpr51
	s_and_saveexec_b64 s[16:17], s[8:9]
	s_cbranch_execz .LBB91_355
; %bb.330:                              ;   in Loop: Header=BB91_15 Depth=1
	ds_read_b32 v2, v11 offset:4096
	s_waitcnt lgkmcnt(0)
	s_barrier
	v_readfirstlane_b32 s14, v2
	s_mov_b64 s[18:19], exec
	v_readlane_b32 s46, v54, 29
	v_readlane_b32 s47, v54, 30
	s_and_b64 s[46:47], s[18:19], s[46:47]
	s_mov_b64 exec, s[46:47]
	s_cbranch_execz .LBB91_332
; %bb.331:                              ;   in Loop: Header=BB91_15 Depth=1
	ds_write_b32 v23, v11
.LBB91_332:                             ;   in Loop: Header=BB91_15 Depth=1
	s_or_b64 exec, exec, s[18:19]
	v_and_b32_e32 v2, s4, v35
	v_lshl_or_b32 v35, 1, s74, v2
	v_or_b32_e32 v34, s63, v34
	s_cmp_eq_u32 s14, 0
	s_waitcnt lgkmcnt(0)
	s_barrier
	s_cbranch_scc1 .LBB91_341
; %bb.333:                              ;   in Loop: Header=BB91_15 Depth=1
	v_readlane_b32 s15, v54, 22
	s_add_i32 s15, s14, s15
	v_readlane_b32 s18, v54, 46
	s_mul_hi_u32 s18, s15, s18
	s_mul_i32 s18, s18, s66
	s_sub_i32 s18, s15, s18
	s_sub_i32 s19, s18, s66
	s_cmp_ge_u32 s18, s66
	s_cselect_b32 s18, s19, s18
	s_sub_i32 s19, s18, s66
	s_cmp_ge_u32 s18, s66
	s_cselect_b32 s18, s19, s18
	s_sub_i32 s15, s15, s18
	v_cmp_gt_u32_e32 vcc, s15, v0
	s_mov_b64 s[18:19], 0
                                        ; implicit-def: $vgpr19
	s_and_saveexec_b64 s[46:47], vcc
	s_cbranch_execz .LBB91_343
; %bb.334:                              ;   in Loop: Header=BB91_15 Depth=1
	s_mov_b64 s[48:49], 0
	v_mov_b32_e32 v2, v20
	v_mov_b32_e32 v4, v0
                                        ; implicit-def: $sgpr50_sgpr51
	s_branch .LBB91_336
.LBB91_335:                             ;   in Loop: Header=BB91_336 Depth=2
	s_or_b64 exec, exec, s[18:19]
	s_waitcnt lgkmcnt(0)
	s_barrier
	ds_read_b64 v[18:19], v11 offset:3072
	v_add_u32_e32 v4, s66, v4
	v_cmp_le_u32_e64 s[18:19], s15, v4
	v_add_u32_e32 v2, s12, v2
	s_waitcnt lgkmcnt(0)
	v_cmp_neq_f32_e32 vcc, 0, v18
	s_or_b64 s[18:19], s[18:19], vcc
	s_and_b64 s[18:19], exec, s[18:19]
	s_or_b64 s[48:49], s[18:19], s[48:49]
	s_andn2_b64 s[18:19], s[50:51], exec
	s_and_b64 s[50:51], vcc, exec
	s_or_b64 s[50:51], s[18:19], s[50:51]
	s_barrier
	s_andn2_b64 exec, exec, s[48:49]
	s_cbranch_execz .LBB91_342
.LBB91_336:                             ;   Parent Loop BB91_15 Depth=1
                                        ; =>  This Inner Loop Header: Depth=2
	v_cmp_gt_u32_e32 vcc, s14, v4
	s_waitcnt vmcnt(0)
	v_mov_b32_e32 v17, 0
	s_and_saveexec_b64 s[18:19], vcc
	s_cbranch_execz .LBB91_338
; %bb.337:                              ;   in Loop: Header=BB91_336 Depth=2
	ds_read_b32 v17, v2
.LBB91_338:                             ;   in Loop: Header=BB91_336 Depth=2
	s_or_b64 exec, exec, s[18:19]
	s_and_saveexec_b64 s[18:19], vcc
	s_cbranch_execz .LBB91_335
; %bb.339:                              ;   in Loop: Header=BB91_336 Depth=2
	s_waitcnt lgkmcnt(0)
	v_cmp_lt_i32_e32 vcc, -1, v17
	v_cndmask_b32_e32 v5, -1, v32, vcc
	v_xor_b32_e32 v5, v5, v17
	v_cmp_o_f32_e32 vcc, v17, v17
	v_cndmask_b32_e32 v5, -1, v5, vcc
	v_and_b32_e32 v5, v5, v34
	v_cmp_eq_u32_e32 vcc, v5, v35
	s_and_b64 exec, exec, vcc
	s_cbranch_execz .LBB91_335
; %bb.340:                              ;   in Loop: Header=BB91_336 Depth=2
	ds_write_b64 v11, v[16:17] offset:3072
	s_branch .LBB91_335
.LBB91_341:                             ;   in Loop: Header=BB91_15 Depth=1
	s_mov_b64 s[46:47], -1
	s_mov_b64 s[18:19], 0
                                        ; implicit-def: $sgpr48_sgpr49
                                        ; implicit-def: $vgpr19
	s_mov_b64 s[50:51], s[46:47]
	s_cbranch_execnz .LBB91_344
	s_branch .LBB91_354
.LBB91_342:                             ;   in Loop: Header=BB91_15 Depth=1
	s_or_b64 exec, exec, s[48:49]
	s_and_b64 s[18:19], s[50:51], exec
.LBB91_343:                             ;   in Loop: Header=BB91_15 Depth=1
	s_or_b64 exec, exec, s[46:47]
	s_mov_b64 s[46:47], 0
	s_mov_b64 s[48:49], -1
	s_mov_b64 s[50:51], s[46:47]
	s_branch .LBB91_354
.LBB91_344:                             ;   in Loop: Header=BB91_15 Depth=1
	s_mov_b64 s[18:19], 0
                                        ; implicit-def: $vgpr19
	s_mov_b64 s[46:47], exec
	v_readlane_b32 s14, v54, 47
	v_readlane_b32 s15, v54, 48
	s_and_b64 s[14:15], s[46:47], s[14:15]
	s_mov_b64 exec, s[14:15]
	s_cbranch_execz .LBB91_353
; %bb.345:                              ;   in Loop: Header=BB91_15 Depth=1
	s_mov_b64 s[48:49], 0
	v_mov_b32_e32 v10, v12
	v_mov_b32_e32 v2, v0
                                        ; implicit-def: $sgpr50_sgpr51
	s_branch .LBB91_347
.LBB91_346:                             ;   in Loop: Header=BB91_347 Depth=2
	s_or_b64 exec, exec, s[18:19]
	s_waitcnt lgkmcnt(0)
	s_barrier
	ds_read_b64 v[18:19], v11 offset:3072
	v_add_u32_e32 v2, s66, v2
	v_cmp_le_u32_e64 s[18:19], s6, v2
	v_add_u32_e32 v10, s78, v10
	s_waitcnt lgkmcnt(0)
	v_cmp_neq_f32_e32 vcc, 0, v18
	s_or_b64 s[14:15], s[18:19], vcc
	s_and_b64 s[14:15], exec, s[14:15]
	s_or_b64 s[48:49], s[14:15], s[48:49]
	s_andn2_b64 s[14:15], s[50:51], exec
	s_and_b64 s[18:19], vcc, exec
	s_or_b64 s[50:51], s[14:15], s[18:19]
	s_barrier
	s_andn2_b64 exec, exec, s[48:49]
	s_cbranch_execz .LBB91_352
.LBB91_347:                             ;   Parent Loop BB91_15 Depth=1
                                        ; =>  This Inner Loop Header: Depth=2
	v_cmp_gt_u32_e32 vcc, s60, v2
	s_waitcnt vmcnt(0)
	v_mov_b32_e32 v17, 0
	s_and_saveexec_b64 s[52:53], vcc
	s_cbranch_execz .LBB91_349
; %bb.348:                              ;   in Loop: Header=BB91_347 Depth=2
	v_lshlrev_b64 v[4:5], 2, v[10:11]
	v_mov_b32_e32 v17, s64
	v_add_co_u32_e64 v4, s[18:19], s33, v4
	v_addc_co_u32_e64 v5, s[18:19], v17, v5, s[18:19]
	global_load_dword v17, v[4:5], off
.LBB91_349:                             ;   in Loop: Header=BB91_347 Depth=2
	s_or_b64 exec, exec, s[52:53]
	s_and_saveexec_b64 s[18:19], vcc
	s_cbranch_execz .LBB91_346
; %bb.350:                              ;   in Loop: Header=BB91_347 Depth=2
	s_waitcnt vmcnt(0)
	v_cmp_lt_i32_e32 vcc, -1, v17
	v_cndmask_b32_e32 v4, -1, v32, vcc
	v_xor_b32_e32 v4, v4, v17
	v_cmp_o_f32_e32 vcc, v17, v17
	v_cndmask_b32_e32 v4, -1, v4, vcc
	v_and_b32_e32 v4, v4, v34
	v_cmp_eq_u32_e32 vcc, v4, v35
	s_and_b64 exec, exec, vcc
	s_cbranch_execz .LBB91_346
; %bb.351:                              ;   in Loop: Header=BB91_347 Depth=2
	ds_write_b64 v11, v[16:17] offset:3072
	s_branch .LBB91_346
.LBB91_352:                             ;   in Loop: Header=BB91_15 Depth=1
	s_or_b64 exec, exec, s[48:49]
	s_and_b64 s[18:19], s[50:51], exec
.LBB91_353:                             ;   in Loop: Header=BB91_15 Depth=1
	s_or_b64 exec, exec, s[46:47]
	s_mov_b64 s[48:49], 0
	s_mov_b64 s[46:47], -1
	s_mov_b64 s[50:51], 0
.LBB91_354:                             ;   in Loop: Header=BB91_15 Depth=1
	s_orn2_b64 s[54:55], s[18:19], exec
.LBB91_355:                             ;   in Loop: Header=BB91_15 Depth=1
	s_or_b64 exec, exec, s[16:17]
	s_mov_b64 s[18:19], 0
                                        ; implicit-def: $vgpr2
	s_and_saveexec_b64 s[52:53], s[54:55]
	s_cbranch_execz .LBB91_408
; %bb.356:                              ;   in Loop: Header=BB91_15 Depth=1
	s_xor_b64 s[14:15], s[8:9], -1
	s_mov_b64 s[54:55], 0
	v_mov_b32_e32 v4, 1
	v_mov_b32_e32 v2, 1
	s_and_saveexec_b64 s[8:9], s[14:15]
	s_cbranch_execz .LBB91_366
; %bb.357:                              ;   in Loop: Header=BB91_15 Depth=1
	v_cmp_ge_u32_e32 vcc, s5, v3
                                        ; implicit-def: $sgpr14
                                        ; implicit-def: $sgpr16_sgpr17
	s_and_saveexec_b64 s[18:19], vcc
	s_xor_b64 s[18:19], exec, s[18:19]
	s_cbranch_execz .LBB91_363
; %bb.358:                              ;   in Loop: Header=BB91_15 Depth=1
	ds_read_b32 v2, v11 offset:4096
	s_waitcnt lgkmcnt(0)
	v_cmp_ne_u32_e32 vcc, 0, v2
	s_cbranch_vccnz .LBB91_362
; %bb.359:                              ;   in Loop: Header=BB91_15 Depth=1
	s_mov_b64 s[16:17], exec
	v_readlane_b32 s14, v54, 5
	v_readlane_b32 s15, v54, 6
	s_and_b64 s[14:15], s[16:17], s[14:15]
	s_mov_b64 exec, s[14:15]
	s_cbranch_execz .LBB91_361
; %bb.360:                              ;   in Loop: Header=BB91_15 Depth=1
	v_mov_b32_e32 v2, s5
	ds_write_b32 v11, v2 offset:4100
.LBB91_361:                             ;   in Loop: Header=BB91_15 Depth=1
	s_or_b64 exec, exec, s[16:17]
	s_waitcnt lgkmcnt(0)
	s_barrier
.LBB91_362:                             ;   in Loop: Header=BB91_15 Depth=1
	v_and_b32_e32 v2, s4, v35
	v_lshl_or_b32 v35, 1, s74, v2
	v_or_b32_e32 v34, s63, v34
	s_mov_b64 s[16:17], 0
	s_mov_b32 s14, 5
.LBB91_363:                             ;   in Loop: Header=BB91_15 Depth=1
	s_or_saveexec_b64 s[18:19], s[18:19]
	v_mov_b32_e32 v2, s14
	s_xor_b64 exec, exec, s[18:19]
; %bb.364:                              ;   in Loop: Header=BB91_15 Depth=1
	v_subrev_u32_e32 v3, s5, v3
	v_mov_b32_e32 v2, 0
	s_or_b64 s[16:17], s[16:17], exec
; %bb.365:                              ;   in Loop: Header=BB91_15 Depth=1
	s_or_b64 exec, exec, s[18:19]
	s_and_b64 s[54:55], s[16:17], exec
	v_mov_b32_e32 v4, v3
.LBB91_366:                             ;   in Loop: Header=BB91_15 Depth=1
	s_or_b64 exec, exec, s[8:9]
	s_mov_b64 s[8:9], -1
                                        ; implicit-def: $sgpr18_sgpr19
                                        ; implicit-def: $sgpr56_sgpr57
                                        ; implicit-def: $sgpr58_sgpr59
	s_and_saveexec_b64 s[16:17], s[54:55]
	s_cbranch_execz .LBB91_407
; %bb.367:                              ;   in Loop: Header=BB91_15 Depth=1
	s_cmp_eq_u32 s62, 1
	s_cselect_b64 s[8:9], -1, 0
	v_cmp_eq_u32_e32 vcc, 1, v4
	s_and_b64 s[8:9], s[8:9], vcc
	s_mov_b64 s[76:77], -1
                                        ; implicit-def: $sgpr18_sgpr19
                                        ; implicit-def: $sgpr56_sgpr57
                                        ; implicit-def: $sgpr58_sgpr59
	s_and_saveexec_b64 s[54:55], s[8:9]
	s_cbranch_execz .LBB91_394
; %bb.368:                              ;   in Loop: Header=BB91_15 Depth=1
	ds_read_b32 v2, v11 offset:4096
	s_waitcnt lgkmcnt(0)
	s_barrier
	v_readfirstlane_b32 s5, v2
	s_mov_b64 s[18:19], exec
	v_readlane_b32 s14, v54, 29
	v_readlane_b32 s15, v54, 30
	s_and_b64 s[14:15], s[18:19], s[14:15]
	s_mov_b64 exec, s[14:15]
	s_cbranch_execz .LBB91_370
; %bb.369:                              ;   in Loop: Header=BB91_15 Depth=1
	ds_write_b32 v23, v11
.LBB91_370:                             ;   in Loop: Header=BB91_15 Depth=1
	s_or_b64 exec, exec, s[18:19]
	v_and_b32_e32 v35, s4, v35
	v_or_b32_e32 v34, s63, v34
	s_cmp_eq_u32 s5, 0
	s_waitcnt lgkmcnt(0)
	s_barrier
	s_cbranch_scc1 .LBB91_379
; %bb.371:                              ;   in Loop: Header=BB91_15 Depth=1
	v_readlane_b32 s14, v54, 22
	s_add_i32 s14, s5, s14
	v_readlane_b32 s15, v54, 46
	s_mul_hi_u32 s15, s14, s15
	s_mul_i32 s15, s15, s66
	s_sub_i32 s15, s14, s15
	s_sub_i32 s18, s15, s66
	s_cmp_ge_u32 s15, s66
	s_cselect_b32 s15, s18, s15
	s_sub_i32 s18, s15, s66
	s_cmp_ge_u32 s15, s66
	s_cselect_b32 s15, s18, s15
	s_sub_i32 s14, s14, s15
	v_cmp_gt_u32_e32 vcc, s14, v0
	s_mov_b64 s[76:77], 0
                                        ; implicit-def: $vgpr19
	s_and_saveexec_b64 s[56:57], vcc
	s_cbranch_execz .LBB91_381
; %bb.372:                              ;   in Loop: Header=BB91_15 Depth=1
	s_mov_b64 s[58:59], 0
	v_mov_b32_e32 v2, v20
	v_mov_b32_e32 v3, v0
                                        ; implicit-def: $sgpr76_sgpr77
	s_branch .LBB91_374
.LBB91_373:                             ;   in Loop: Header=BB91_374 Depth=2
	s_or_b64 exec, exec, s[18:19]
	s_waitcnt lgkmcnt(0)
	s_barrier
	ds_read_b64 v[18:19], v11 offset:3072
	v_add_u32_e32 v3, s66, v3
	v_cmp_le_u32_e64 s[18:19], s14, v3
	v_add_u32_e32 v2, s12, v2
	s_waitcnt lgkmcnt(0)
	v_cmp_neq_f32_e32 vcc, 0, v18
	s_or_b64 s[18:19], s[18:19], vcc
	s_and_b64 s[18:19], exec, s[18:19]
	s_or_b64 s[58:59], s[18:19], s[58:59]
	s_andn2_b64 s[18:19], s[76:77], exec
	s_and_b64 s[74:75], vcc, exec
	s_or_b64 s[76:77], s[18:19], s[74:75]
	s_barrier
	s_andn2_b64 exec, exec, s[58:59]
	s_cbranch_execz .LBB91_380
.LBB91_374:                             ;   Parent Loop BB91_15 Depth=1
                                        ; =>  This Inner Loop Header: Depth=2
	v_cmp_gt_u32_e32 vcc, s5, v3
	s_waitcnt vmcnt(0)
	v_mov_b32_e32 v17, 0
	s_and_saveexec_b64 s[18:19], vcc
	s_cbranch_execz .LBB91_376
; %bb.375:                              ;   in Loop: Header=BB91_374 Depth=2
	ds_read_b32 v17, v2
.LBB91_376:                             ;   in Loop: Header=BB91_374 Depth=2
	s_or_b64 exec, exec, s[18:19]
	s_and_saveexec_b64 s[18:19], vcc
	s_cbranch_execz .LBB91_373
; %bb.377:                              ;   in Loop: Header=BB91_374 Depth=2
	s_waitcnt lgkmcnt(0)
	v_cmp_lt_i32_e32 vcc, -1, v17
	v_cndmask_b32_e32 v5, -1, v32, vcc
	v_xor_b32_e32 v5, v5, v17
	v_cmp_o_f32_e32 vcc, v17, v17
	v_cndmask_b32_e32 v5, -1, v5, vcc
	v_and_b32_e32 v5, v5, v34
	v_cmp_eq_u32_e32 vcc, v5, v35
	s_and_b64 exec, exec, vcc
	s_cbranch_execz .LBB91_373
; %bb.378:                              ;   in Loop: Header=BB91_374 Depth=2
	ds_write_b64 v11, v[16:17] offset:3072
	s_branch .LBB91_373
.LBB91_379:                             ;   in Loop: Header=BB91_15 Depth=1
	s_mov_b64 s[18:19], -1
	s_mov_b64 s[76:77], 0
                                        ; implicit-def: $sgpr56_sgpr57
                                        ; implicit-def: $vgpr19
	s_branch .LBB91_382
.LBB91_380:                             ;   in Loop: Header=BB91_15 Depth=1
	s_or_b64 exec, exec, s[58:59]
	s_and_b64 s[76:77], s[76:77], exec
.LBB91_381:                             ;   in Loop: Header=BB91_15 Depth=1
	s_or_b64 exec, exec, s[56:57]
	s_mov_b64 s[18:19], 0
	s_mov_b64 s[56:57], -1
.LBB91_382:                             ;   in Loop: Header=BB91_15 Depth=1
	s_and_b64 vcc, exec, s[18:19]
	s_mov_b64 s[58:59], s[18:19]
	s_cbranch_vccz .LBB91_393
; %bb.383:                              ;   in Loop: Header=BB91_15 Depth=1
	s_mov_b64 s[76:77], 0
                                        ; implicit-def: $vgpr19
	s_mov_b64 s[74:75], exec
	v_readlane_b32 s14, v54, 47
	v_readlane_b32 s15, v54, 48
	s_and_b64 s[14:15], s[74:75], s[14:15]
	s_mov_b64 exec, s[14:15]
	s_cbranch_execz .LBB91_392
; %bb.384:                              ;   in Loop: Header=BB91_15 Depth=1
	s_mov_b64 s[58:59], 0
	v_mov_b32_e32 v10, v12
	v_mov_b32_e32 v2, v0
                                        ; implicit-def: $sgpr76_sgpr77
	s_branch .LBB91_386
.LBB91_385:                             ;   in Loop: Header=BB91_386 Depth=2
	s_or_b64 exec, exec, s[18:19]
	s_waitcnt lgkmcnt(0)
	s_barrier
	ds_read_b64 v[18:19], v11 offset:3072
	v_add_u32_e32 v2, s66, v2
	v_cmp_le_u32_e64 s[18:19], s6, v2
	v_add_u32_e32 v10, s78, v10
	s_waitcnt lgkmcnt(0)
	v_cmp_neq_f32_e32 vcc, 0, v18
	s_or_b64 s[14:15], s[18:19], vcc
	s_and_b64 s[14:15], exec, s[14:15]
	s_or_b64 s[58:59], s[14:15], s[58:59]
	s_andn2_b64 s[14:15], s[76:77], exec
	s_and_b64 s[18:19], vcc, exec
	s_or_b64 s[76:77], s[14:15], s[18:19]
	s_barrier
	s_andn2_b64 exec, exec, s[58:59]
	s_cbranch_execz .LBB91_391
.LBB91_386:                             ;   Parent Loop BB91_15 Depth=1
                                        ; =>  This Inner Loop Header: Depth=2
	v_cmp_gt_u32_e32 vcc, s60, v2
	s_waitcnt vmcnt(0)
	v_mov_b32_e32 v17, 0
	s_and_saveexec_b64 s[56:57], vcc
	s_cbranch_execz .LBB91_388
; %bb.387:                              ;   in Loop: Header=BB91_386 Depth=2
	v_lshlrev_b64 v[18:19], 2, v[10:11]
	v_mov_b32_e32 v3, s64
	v_add_co_u32_e64 v18, s[18:19], s33, v18
	v_addc_co_u32_e64 v19, s[18:19], v3, v19, s[18:19]
	global_load_dword v17, v[18:19], off
.LBB91_388:                             ;   in Loop: Header=BB91_386 Depth=2
	s_or_b64 exec, exec, s[56:57]
	s_and_saveexec_b64 s[18:19], vcc
	s_cbranch_execz .LBB91_385
; %bb.389:                              ;   in Loop: Header=BB91_386 Depth=2
	s_waitcnt vmcnt(0)
	v_cmp_lt_i32_e32 vcc, -1, v17
	v_cndmask_b32_e32 v3, -1, v32, vcc
	v_xor_b32_e32 v3, v3, v17
	v_cmp_o_f32_e32 vcc, v17, v17
	v_cndmask_b32_e32 v3, -1, v3, vcc
	v_and_b32_e32 v3, v3, v34
	v_cmp_eq_u32_e32 vcc, v3, v35
	s_and_b64 exec, exec, vcc
	s_cbranch_execz .LBB91_385
; %bb.390:                              ;   in Loop: Header=BB91_386 Depth=2
	ds_write_b64 v11, v[16:17] offset:3072
	s_branch .LBB91_385
.LBB91_391:                             ;   in Loop: Header=BB91_15 Depth=1
	s_or_b64 exec, exec, s[58:59]
	s_and_b64 s[76:77], s[76:77], exec
.LBB91_392:                             ;   in Loop: Header=BB91_15 Depth=1
	s_or_b64 exec, exec, s[74:75]
	s_mov_b64 s[56:57], 0
	s_mov_b64 s[18:19], -1
	s_mov_b64 s[58:59], 0
.LBB91_393:                             ;   in Loop: Header=BB91_15 Depth=1
	s_orn2_b64 s[76:77], s[76:77], exec
.LBB91_394:                             ;   in Loop: Header=BB91_15 Depth=1
	s_or_b64 exec, exec, s[54:55]
	s_mov_b64 vcc, 0
                                        ; implicit-def: $vgpr2
                                        ; implicit-def: $vgpr3
	s_and_saveexec_b64 s[54:55], s[76:77]
	s_cbranch_execz .LBB91_406
; %bb.395:                              ;   in Loop: Header=BB91_15 Depth=1
	s_xor_b64 s[14:15], s[8:9], -1
	v_mov_b32_e32 v2, 1
	v_mov_b32_e32 v3, 1
	s_and_saveexec_b64 s[8:9], s[14:15]
	s_cbranch_execz .LBB91_405
; %bb.396:                              ;   in Loop: Header=BB91_15 Depth=1
	v_cmp_ge_u32_e32 vcc, s62, v4
                                        ; implicit-def: $sgpr5
	s_and_saveexec_b64 s[14:15], vcc
	s_xor_b64 s[76:77], exec, s[14:15]
	s_cbranch_execz .LBB91_402
; %bb.397:                              ;   in Loop: Header=BB91_15 Depth=1
	ds_read_b32 v2, v11 offset:4096
	s_waitcnt lgkmcnt(0)
	v_cmp_ne_u32_e32 vcc, 0, v2
	s_cbranch_vccnz .LBB91_401
; %bb.398:                              ;   in Loop: Header=BB91_15 Depth=1
	s_mov_b64 vcc, exec
	v_readlane_b32 s14, v54, 5
	v_readlane_b32 s15, v54, 6
	s_and_b64 s[14:15], vcc, s[14:15]
	s_mov_b64 exec, s[14:15]
	s_cbranch_execz .LBB91_400
; %bb.399:                              ;   in Loop: Header=BB91_15 Depth=1
	v_mov_b32_e32 v2, s62
	ds_write_b32 v11, v2 offset:4100
.LBB91_400:                             ;   in Loop: Header=BB91_15 Depth=1
	s_or_b64 exec, exec, vcc
	s_waitcnt lgkmcnt(0)
	s_barrier
.LBB91_401:                             ;   in Loop: Header=BB91_15 Depth=1
	v_and_b32_e32 v35, s4, v35
	v_or_b32_e32 v34, s63, v34
	s_mov_b32 s5, 5
.LBB91_402:                             ;   in Loop: Header=BB91_15 Depth=1
	s_or_saveexec_b64 s[76:77], s[76:77]
	v_mov_b32_e32 v2, s5
	s_xor_b64 exec, exec, s[76:77]
; %bb.403:                              ;   in Loop: Header=BB91_15 Depth=1
	v_subrev_u32_e32 v4, s62, v4
	v_mov_b32_e32 v2, 5
; %bb.404:                              ;   in Loop: Header=BB91_15 Depth=1
	s_or_b64 exec, exec, s[76:77]
	v_mov_b32_e32 v3, v4
.LBB91_405:                             ;   in Loop: Header=BB91_15 Depth=1
	s_or_b64 exec, exec, s[8:9]
	s_mov_b64 vcc, exec
.LBB91_406:                             ;   in Loop: Header=BB91_15 Depth=1
	s_or_b64 exec, exec, s[54:55]
	s_orn2_b64 s[8:9], vcc, exec
	v_mov_b32_e32 v4, v3
.LBB91_407:                             ;   in Loop: Header=BB91_15 Depth=1
	s_or_b64 exec, exec, s[16:17]
	s_andn2_b64 s[4:5], s[46:47], exec
	s_and_b64 s[14:15], s[18:19], exec
	s_or_b64 s[46:47], s[4:5], s[14:15]
	s_andn2_b64 s[4:5], s[48:49], exec
	s_and_b64 s[14:15], s[56:57], exec
	s_or_b64 s[48:49], s[4:5], s[14:15]
	;; [unrolled: 3-line block ×3, first 2 shown]
	s_and_b64 s[18:19], s[8:9], exec
	v_mov_b32_e32 v3, v4
.LBB91_408:                             ;   in Loop: Header=BB91_15 Depth=1
	s_or_b64 exec, exec, s[52:53]
	s_and_b64 s[52:53], s[46:47], exec
	s_and_b64 s[46:47], s[48:49], exec
	;; [unrolled: 1-line block ×3, first 2 shown]
	s_orn2_b64 s[8:9], s[18:19], exec
.LBB91_409:                             ;   in Loop: Header=BB91_15 Depth=1
	s_or_b64 exec, exec, s[44:45]
	s_andn2_b64 s[4:5], s[36:37], exec
	s_and_b64 s[14:15], s[52:53], exec
	s_or_b64 s[36:37], s[4:5], s[14:15]
	s_andn2_b64 s[4:5], s[38:39], exec
	s_and_b64 s[14:15], s[46:47], exec
	s_or_b64 s[38:39], s[4:5], s[14:15]
	;; [unrolled: 3-line block ×3, first 2 shown]
	s_and_b64 s[18:19], s[8:9], exec
	v_mov_b32_e32 v37, v3
.LBB91_410:                             ;   in Loop: Header=BB91_15 Depth=1
	s_or_b64 exec, exec, s[42:43]
	s_and_b64 s[36:37], s[36:37], exec
	s_and_b64 s[16:17], s[38:39], exec
	;; [unrolled: 1-line block ×3, first 2 shown]
	s_orn2_b64 s[38:39], s[18:19], exec
.LBB91_411:                             ;   in Loop: Header=BB91_15 Depth=1
	s_or_b64 exec, exec, s[28:29]
	s_mov_b64 s[18:19], s[24:25]
	s_mov_b64 s[28:29], s[20:21]
	s_and_saveexec_b64 s[40:41], s[38:39]
; %bb.412:                              ;   in Loop: Header=BB91_15 Depth=1
	v_cmp_ne_u32_e64 s[18:19], 5, v2
	v_cmp_eq_u32_e32 vcc, 5, v2
	s_andn2_b64 s[4:5], s[20:21], exec
	s_and_b64 s[14:15], s[18:19], exec
	s_or_b64 s[28:29], s[4:5], s[14:15]
	s_andn2_b64 s[4:5], s[24:25], exec
	s_and_b64 s[14:15], vcc, exec
	s_andn2_b64 s[36:37], s[36:37], exec
	s_andn2_b64 s[16:17], s[16:17], exec
	;; [unrolled: 1-line block ×3, first 2 shown]
	s_or_b64 s[18:19], s[4:5], s[14:15]
; %bb.413:                              ;   in Loop: Header=BB91_15 Depth=1
	s_or_b64 exec, exec, s[40:41]
	s_andn2_b64 s[4:5], s[30:31], exec
	s_and_b64 s[14:15], s[36:37], exec
	s_or_b64 s[30:31], s[4:5], s[14:15]
	s_andn2_b64 s[4:5], s[34:35], exec
	s_and_b64 s[14:15], s[16:17], exec
	s_or_b64 s[34:35], s[4:5], s[14:15]
	s_andn2_b64 s[4:5], s[22:23], exec
	s_and_b64 s[8:9], s[8:9], exec
	s_or_b64 s[22:23], s[4:5], s[8:9]
	s_andn2_b64 s[4:5], s[20:21], exec
	s_and_b64 s[8:9], s[28:29], exec
	s_or_b64 s[20:21], s[4:5], s[8:9]
	s_andn2_b64 s[4:5], s[24:25], exec
	s_and_b64 s[8:9], s[18:19], exec
	s_or_b64 s[24:25], s[4:5], s[8:9]
	v_mov_b32_e32 v4, v35
	v_mov_b32_e32 v5, v34
	;; [unrolled: 1-line block ×3, first 2 shown]
.LBB91_414:                             ;   in Loop: Header=BB91_15 Depth=1
	s_or_b64 exec, exec, s[26:27]
	s_mov_b64 s[28:29], s[22:23]
	s_mov_b64 s[26:27], s[22:23]
	s_and_saveexec_b64 s[8:9], s[24:25]
.LBB91_415:                             ;   in Loop: Header=BB91_15 Depth=1
	v_mov_b32_e32 v2, 0
	s_andn2_b64 s[22:23], s[22:23], exec
	s_andn2_b64 s[30:31], s[30:31], exec
	;; [unrolled: 1-line block ×5, first 2 shown]
	s_or_b64 s[20:21], s[20:21], exec
.LBB91_416:                             ;   in Loop: Header=BB91_15 Depth=1
	s_or_b64 exec, exec, s[8:9]
	s_andn2_b64 s[4:5], s[82:83], exec
	s_and_b64 s[8:9], s[22:23], exec
	s_or_b64 s[82:83], s[4:5], s[8:9]
	s_andn2_b64 s[4:5], s[80:81], exec
	s_and_b64 s[8:9], s[30:31], exec
	s_or_b64 s[80:81], s[4:5], s[8:9]
	;; [unrolled: 3-line block ×4, first 2 shown]
	s_andn2_b64 s[4:5], s[84:85], exec
	s_and_b64 s[8:9], s[26:27], exec
	s_mov_b64 s[16:17], -1
	s_or_b64 s[84:85], s[4:5], s[8:9]
                                        ; implicit-def: $vgpr34
                                        ; implicit-def: $vgpr35
                                        ; implicit-def: $vgpr36
                                        ; implicit-def: $vgpr19
	s_and_saveexec_b64 s[4:5], s[20:21]
	s_xor_b64 s[8:9], exec, s[4:5]
	s_cbranch_execz .LBB91_14
; %bb.417:                              ;   in Loop: Header=BB91_15 Depth=1
	v_cmp_eq_u32_e32 vcc, 0, v2
	s_mov_b64 s[18:19], -1
	s_and_saveexec_b64 s[20:21], vcc
	s_cbranch_execz .LBB91_13
; %bb.418:                              ;   in Loop: Header=BB91_15 Depth=1
	s_xor_b32 s11, s11, 1
	s_add_i32 s14, s10, -2
	s_cmp_eq_u32 s10, 0
	s_cselect_b64 s[4:5], -1, 0
	s_xor_b64 s[18:19], exec, -1
	s_orn2_b64 s[16:17], s[4:5], exec
	s_mov_b32 s10, s14
	s_branch .LBB91_13
.LBB91_419:
	s_or_b64 exec, exec, s[90:91]
	s_xor_b64 s[8:9], s[2:3], -1
	s_xor_b64 s[18:19], s[70:71], -1
	;; [unrolled: 1-line block ×5, first 2 shown]
	s_mov_b64 s[12:13], 0
	s_and_saveexec_b64 s[10:11], s[4:5]
	s_xor_b64 s[10:11], exec, s[10:11]
	s_cbranch_execnz .LBB91_424
; %bb.420:
	s_andn2_saveexec_b64 s[0:1], s[10:11]
	s_cbranch_execnz .LBB91_443
.LBB91_421:
	s_or_b64 exec, exec, s[0:1]
	s_and_saveexec_b64 s[0:1], s[12:13]
.LBB91_422:
	; divergent unreachable
.LBB91_423:
	s_endpgm
.LBB91_424:
	s_mov_b64 s[14:15], 0
	s_and_saveexec_b64 s[4:5], s[16:17]
	s_xor_b64 s[12:13], exec, s[4:5]
	s_cbranch_execz .LBB91_441
; %bb.425:
	s_mov_b64 s[16:17], 0
	s_and_saveexec_b64 s[4:5], s[18:19]
	s_xor_b64 s[14:15], exec, s[4:5]
	s_cbranch_execz .LBB91_439
; %bb.426:
	;; [unrolled: 5-line block ×3, first 2 shown]
	s_and_saveexec_b64 s[4:5], s[2:3]
	s_xor_b64 s[2:3], exec, s[4:5]
; %bb.428:
	v_bfrev_b32_e32 v1, 1
	v_cmp_lt_i32_e32 vcc, -1, v4
	v_cndmask_b32_e64 v1, v1, -1, vcc
	v_xor_b32_e32 v3, v1, v4
; %bb.429:
	s_or_b64 exec, exec, s[2:3]
	s_mov_b64 s[2:3], exec
	v_readlane_b32 s4, v54, 5
	v_readlane_b32 s5, v54, 6
	v_readlane_b32 s8, v54, 7
	v_readlane_b32 s30, v54, 12
	s_and_b64 s[4:5], s[2:3], s[4:5]
	v_readlane_b32 s9, v54, 8
	v_readlane_b32 s20, v54, 49
	;; [unrolled: 1-line block ×3, first 2 shown]
	s_mov_b64 exec, s[4:5]
	s_cbranch_execz .LBB91_431
; %bb.430:
	v_mov_b32_e32 v1, 0
	ds_write_b32 v1, v1 offset:4108
.LBB91_431:
	s_or_b64 exec, exec, s[2:3]
	v_mov_b32_e32 v11, 0
	s_waitcnt lgkmcnt(0)
	s_barrier
	s_mov_b64 s[2:3], exec
	v_readlane_b32 s4, v54, 27
	v_readlane_b32 s5, v54, 28
	s_and_b64 s[4:5], s[2:3], s[4:5]
	s_mov_b64 exec, s[4:5]
	s_cbranch_execz .LBB91_433
; %bb.432:
	global_load_dword v11, v[8:9], off
.LBB91_433:
	s_or_b64 exec, exec, s[2:3]
	v_readlane_b32 s2, v54, 0
	v_readlane_b32 s3, v54, 9
	s_mul_i32 s2, s2, s7
	s_mul_i32 s3, s3, s79
	s_add_i32 s40, s60, 63
	s_add_i32 s2, s2, s65
	;; [unrolled: 1-line block ×3, first 2 shown]
	s_mov_b32 s3, 0
	s_andn2_b32 s40, s40, 63
	s_lshl_b64 s[6:7], s[2:3], 2
	v_readlane_b32 s18, v54, 1
	s_load_dword s45, s[8:9], 0x1c8
	s_load_dword s46, s[8:9], 0x2a8
	v_bfrev_b32_e32 v1, 1
	v_cmp_lt_i32_e32 vcc, -1, v3
	v_readlane_b32 s19, v54, 2
	s_add_u32 s41, s18, s6
	s_mov_b32 s5, s3
	v_cndmask_b32_e32 v2, -1, v1, vcc
	s_addc_u32 s42, s19, s7
	s_lshl_b64 s[2:3], s[4:5], 3
	v_readlane_b32 s4, v54, 3
	v_xor_b32_e32 v2, v2, v3
	v_cmp_o_f32_e32 vcc, v3, v3
	v_readlane_b32 s5, v54, 4
	s_add_u32 s43, s4, s2
	v_add_u32_e32 v3, s66, v0
	v_cndmask_b32_e32 v12, -1, v2, vcc
	s_addc_u32 s44, s5, s3
	v_cmp_gt_u32_e32 vcc, s40, v0
	s_mov_b64 s[18:19], -1
	s_mov_b64 s[2:3], 0
	v_mul_lo_u32 v2, s20, v3
	s_mov_b64 s[4:5], 0
	s_and_saveexec_b64 s[8:9], vcc
	s_cbranch_execnz .LBB91_444
; %bb.434:
	s_or_b64 exec, exec, s[8:9]
	s_and_saveexec_b64 s[8:9], s[18:19]
	s_cbranch_execnz .LBB91_461
.LBB91_435:
	s_or_b64 exec, exec, s[8:9]
	s_and_saveexec_b64 s[0:1], s[4:5]
	s_xor_b64 s[0:1], exec, s[0:1]
	s_cbranch_execnz .LBB91_483
.LBB91_436:
	s_or_b64 exec, exec, s[0:1]
	s_and_b64 s[18:19], s[2:3], exec
.LBB91_437:
	s_andn2_saveexec_b64 s[0:1], s[16:17]
	s_cbranch_execnz .LBB91_486
.LBB91_438:
	s_or_b64 exec, exec, s[0:1]
	s_and_b64 s[16:17], s[18:19], exec
.LBB91_439:
	s_andn2_saveexec_b64 s[0:1], s[14:15]
	s_cbranch_execnz .LBB91_485
.LBB91_440:
	s_or_b64 exec, exec, s[0:1]
	s_and_b64 s[14:15], s[16:17], exec
.LBB91_441:
	s_andn2_saveexec_b64 s[0:1], s[12:13]
	s_cbranch_execnz .LBB91_484
.LBB91_442:
	s_or_b64 exec, exec, s[0:1]
	s_and_b64 s[12:13], s[14:15], exec
	s_andn2_saveexec_b64 s[0:1], s[10:11]
	s_cbranch_execz .LBB91_421
.LBB91_443:
	s_or_b64 s[12:13], s[12:13], exec
	s_trap 2
	s_or_b64 exec, exec, s[0:1]
	s_and_saveexec_b64 s[0:1], s[12:13]
	s_cbranch_execnz .LBB91_422
	s_branch .LBB91_423
.LBB91_444:
	v_mul_lo_u32 v4, s20, v3
	s_mov_b64 s[18:19], 0
	v_mov_b32_e32 v5, 0
	v_mov_b32_e32 v10, v0
                                        ; implicit-def: $sgpr20_sgpr21
                                        ; implicit-def: $vgpr14
	s_branch .LBB91_446
.LBB91_445:                             ;   in Loop: Header=BB91_446 Depth=1
	s_or_b64 exec, exec, s[22:23]
	s_xor_b64 s[6:7], s[26:27], -1
	s_and_b64 s[4:5], exec, s[4:5]
	s_or_b64 s[18:19], s[4:5], s[18:19]
	s_andn2_b64 s[4:5], s[20:21], exec
	s_and_b64 s[6:7], s[6:7], exec
	s_or_b64 s[20:21], s[4:5], s[6:7]
	s_waitcnt vmcnt(0)
	v_mov_b32_e32 v11, v15
	v_mov_b32_e32 v10, v3
	s_andn2_b64 exec, exec, s[18:19]
	s_cbranch_execz .LBB91_460
.LBB91_446:                             ; =>This Inner Loop Header: Depth=1
	v_add_u32_e32 v3, s66, v10
	v_cmp_gt_u32_e32 vcc, s60, v3
	v_mov_b32_e32 v15, 0
	s_and_saveexec_b64 s[4:5], vcc
	s_cbranch_execz .LBB91_448
; %bb.447:                              ;   in Loop: Header=BB91_446 Depth=1
	s_waitcnt vmcnt(0)
	v_lshlrev_b64 v[16:17], 2, v[4:5]
	v_mov_b32_e32 v15, s64
	v_add_co_u32_e32 v16, vcc, s33, v16
	v_addc_co_u32_e32 v17, vcc, v15, v17, vcc
	global_load_dword v15, v[16:17], off
.LBB91_448:                             ;   in Loop: Header=BB91_446 Depth=1
	s_or_b64 exec, exec, s[4:5]
	v_cmp_gt_u32_e32 vcc, s60, v10
	s_mov_b64 s[22:23], 0
	s_and_saveexec_b64 s[4:5], vcc
	s_cbranch_execz .LBB91_450
; %bb.449:                              ;   in Loop: Header=BB91_446 Depth=1
	s_waitcnt vmcnt(0)
	v_cmp_lt_i32_e32 vcc, -1, v11
	v_cndmask_b32_e32 v16, -1, v1, vcc
	v_xor_b32_e32 v16, v16, v11
	v_cmp_o_f32_e32 vcc, v11, v11
	v_cndmask_b32_e32 v16, -1, v16, vcc
	v_cmp_gt_u32_e32 vcc, v16, v12
	v_cndmask_b32_e64 v17, 0, 1, vcc
	v_cmp_lt_u32_e32 vcc, v16, v12
	v_cndmask_b32_e64 v16, 0, 1, vcc
	v_cndmask_b32_e64 v16, v16, v17, s[30:31]
	v_and_b32_e32 v16, 1, v16
	v_cmp_eq_u32_e32 vcc, 1, v16
	s_and_b64 s[22:23], vcc, exec
.LBB91_450:                             ;   in Loop: Header=BB91_446 Depth=1
	s_or_b64 exec, exec, s[4:5]
	v_cndmask_b32_e64 v16, 0, 1, s[22:23]
	v_cmp_ne_u32_e32 vcc, 0, v16
	s_cmp_lg_u64 vcc, 0
	s_cselect_b64 s[4:5], -1, 0
	s_and_b64 s[4:5], s[0:1], s[4:5]
	s_and_saveexec_b64 s[24:25], s[4:5]
	s_cbranch_execz .LBB91_454
; %bb.451:                              ;   in Loop: Header=BB91_446 Depth=1
	s_mov_b64 s[28:29], exec
	s_waitcnt lgkmcnt(0)
	v_mbcnt_lo_u32_b32 v14, s28, 0
	v_mbcnt_hi_u32_b32 v14, s29, v14
	s_bcnt1_i32_b64 s6, vcc
	v_cmp_eq_u32_e64 s[4:5], 0, v14
                                        ; implicit-def: $vgpr16
	s_and_saveexec_b64 s[26:27], s[4:5]
	s_cbranch_execz .LBB91_453
; %bb.452:                              ;   in Loop: Header=BB91_446 Depth=1
	s_bcnt1_i32_b64 s4, s[28:29]
	s_mul_i32 s4, s6, s4
	v_mov_b32_e32 v16, s4
	ds_add_rtn_u32 v16, v5, v16 offset:4108
.LBB91_453:                             ;   in Loop: Header=BB91_446 Depth=1
	s_or_b64 exec, exec, s[26:27]
	s_waitcnt lgkmcnt(0)
	v_readfirstlane_b32 s4, v16
	v_mov_b32_e32 v16, s4
	v_mad_u32_u24 v14, s6, v14, v16
.LBB91_454:                             ;   in Loop: Header=BB91_446 Depth=1
	s_or_b64 exec, exec, s[24:25]
	s_waitcnt lgkmcnt(0)
	ds_bpermute_b32 v14, v13, v14
	s_mov_b64 s[4:5], -1
	s_mov_b64 s[28:29], -1
                                        ; implicit-def: $sgpr26_sgpr27
	s_and_saveexec_b64 s[24:25], s[22:23]
	s_cbranch_execz .LBB91_458
; %bb.455:                              ;   in Loop: Header=BB91_446 Depth=1
	s_waitcnt vmcnt(0)
	v_and_b32_e32 v17, vcc_lo, v6
	v_and_b32_e32 v16, vcc_hi, v7
	v_bcnt_u32_b32 v17, v17, 0
	v_bcnt_u32_b32 v16, v16, v17
	s_waitcnt lgkmcnt(0)
	v_add_u32_e32 v16, v14, v16
	v_cmp_gt_u32_e32 vcc, s61, v16
	s_mov_b64 s[22:23], 0
	s_and_saveexec_b64 s[26:27], vcc
	s_cbranch_execz .LBB91_457
; %bb.456:                              ;   in Loop: Header=BB91_446 Depth=1
	v_mul_lo_u32 v18, v16, s45
	v_mov_b32_e32 v19, v5
	v_lshlrev_b64 v[18:19], 2, v[18:19]
	v_mov_b32_e32 v17, s42
	v_add_co_u32_e32 v18, vcc, s41, v18
	v_mul_lo_u32 v16, v16, s46
	v_addc_co_u32_e32 v19, vcc, v17, v19, vcc
	v_mov_b32_e32 v17, v5
	v_lshlrev_b64 v[16:17], 3, v[16:17]
	global_store_dword v[18:19], v11, off
	v_mov_b32_e32 v18, s44
	v_add_co_u32_e32 v16, vcc, s43, v16
	s_mov_b64 s[22:23], exec
	v_mov_b32_e32 v11, v5
	v_addc_co_u32_e32 v17, vcc, v18, v17, vcc
	global_store_dwordx2 v[16:17], v[10:11], off
.LBB91_457:                             ;   in Loop: Header=BB91_446 Depth=1
	s_or_b64 exec, exec, s[26:27]
	s_mov_b64 s[26:27], -1
	s_orn2_b64 s[28:29], s[22:23], exec
.LBB91_458:                             ;   in Loop: Header=BB91_446 Depth=1
	s_or_b64 exec, exec, s[24:25]
	s_and_saveexec_b64 s[22:23], s[28:29]
	s_cbranch_execz .LBB91_445
; %bb.459:                              ;   in Loop: Header=BB91_446 Depth=1
	v_cmp_le_u32_e32 vcc, s40, v3
	v_add_u32_e32 v4, s78, v4
	s_andn2_b64 s[26:27], s[26:27], exec
	s_orn2_b64 s[4:5], vcc, exec
	s_branch .LBB91_445
.LBB91_460:
	s_or_b64 exec, exec, s[18:19]
	s_mov_b64 s[4:5], exec
	s_orn2_b64 s[18:19], s[20:21], exec
	s_or_b64 exec, exec, s[8:9]
	s_and_saveexec_b64 s[8:9], s[18:19]
	s_cbranch_execz .LBB91_435
.LBB91_461:
	v_mov_b32_e32 v3, 0
	v_mov_b32_e32 v1, 0
	s_waitcnt lgkmcnt(0)
	s_barrier
	s_mov_b64 s[2:3], exec
	v_readlane_b32 s6, v54, 27
	v_readlane_b32 s7, v54, 28
	s_and_b64 s[6:7], s[2:3], s[6:7]
	s_mov_b64 exec, s[6:7]
	s_cbranch_execz .LBB91_463
; %bb.462:
	global_load_dword v1, v[8:9], off
.LBB91_463:
	s_or_b64 exec, exec, s[2:3]
	s_mov_b64 s[6:7], 0
	v_bfrev_b32_e32 v4, 1
                                        ; implicit-def: $sgpr18_sgpr19
                                        ; implicit-def: $sgpr20_sgpr21
                                        ; implicit-def: $sgpr22_sgpr23
                                        ; implicit-def: $vgpr5
	s_branch .LBB91_466
.LBB91_464:                             ;   in Loop: Header=BB91_466 Depth=1
	s_or_b64 exec, exec, s[28:29]
	s_andn2_b64 s[2:3], s[22:23], exec
	s_and_b64 s[22:23], s[34:35], exec
	s_or_b64 s[22:23], s[2:3], s[22:23]
	s_andn2_b64 s[2:3], s[20:21], exec
	s_and_b64 s[20:21], s[26:27], exec
	s_or_b64 s[20:21], s[2:3], s[20:21]
	v_mov_b32_e32 v0, v8
	v_mov_b32_e32 v1, v10
.LBB91_465:                             ;   in Loop: Header=BB91_466 Depth=1
	s_or_b64 exec, exec, s[24:25]
	s_xor_b64 s[2:3], s[22:23], -1
	s_and_b64 s[24:25], exec, s[20:21]
	s_or_b64 s[6:7], s[24:25], s[6:7]
	s_andn2_b64 s[18:19], s[18:19], exec
	s_and_b64 s[2:3], s[2:3], exec
	s_or_b64 s[18:19], s[18:19], s[2:3]
	s_andn2_b64 exec, exec, s[6:7]
	s_cbranch_execz .LBB91_481
.LBB91_466:                             ; =>This Inner Loop Header: Depth=1
	v_cmp_gt_u32_e32 vcc, s40, v0
	s_or_b64 s[22:23], s[22:23], exec
	s_or_b64 s[20:21], s[20:21], exec
	s_and_saveexec_b64 s[24:25], vcc
	s_cbranch_execz .LBB91_465
; %bb.467:                              ;   in Loop: Header=BB91_466 Depth=1
	v_add_u32_e32 v8, s66, v0
	v_cmp_gt_u32_e32 vcc, s60, v8
	v_mov_b32_e32 v9, 0
	s_and_saveexec_b64 s[2:3], vcc
	s_cbranch_execz .LBB91_469
; %bb.468:                              ;   in Loop: Header=BB91_466 Depth=1
	s_waitcnt vmcnt(0)
	v_lshlrev_b64 v[10:11], 2, v[2:3]
	v_mov_b32_e32 v9, s64
	v_add_co_u32_e32 v10, vcc, s33, v10
	v_addc_co_u32_e32 v11, vcc, v9, v11, vcc
	global_load_dword v9, v[10:11], off
.LBB91_469:                             ;   in Loop: Header=BB91_466 Depth=1
	s_or_b64 exec, exec, s[2:3]
	s_waitcnt vmcnt(0)
	v_cmp_lt_i32_e64 s[2:3], -1, v1
	v_cndmask_b32_e64 v10, -1, v4, s[2:3]
	v_xor_b32_e32 v10, v10, v1
	v_cmp_o_f32_e64 s[2:3], v1, v1
	v_cndmask_b32_e64 v10, -1, v10, s[2:3]
	v_cmp_gt_u32_e32 vcc, s60, v0
	v_cmp_eq_u32_e64 s[2:3], v10, v12
	s_and_b64 s[28:29], vcc, s[2:3]
	v_cndmask_b32_e64 v10, 0, 1, s[28:29]
	v_cmp_ne_u32_e32 vcc, 0, v10
	s_cmp_lg_u64 vcc, 0
	s_cselect_b64 s[2:3], -1, 0
	s_and_b64 s[2:3], s[0:1], s[2:3]
	s_and_saveexec_b64 s[26:27], s[2:3]
	s_cbranch_execz .LBB91_473
; %bb.470:                              ;   in Loop: Header=BB91_466 Depth=1
	s_mov_b64 s[34:35], exec
	v_mbcnt_lo_u32_b32 v5, s34, 0
	v_mbcnt_hi_u32_b32 v5, s35, v5
	s_bcnt1_i32_b64 s36, vcc
	v_cmp_eq_u32_e64 s[2:3], 0, v5
                                        ; implicit-def: $vgpr10
	s_and_saveexec_b64 s[30:31], s[2:3]
	s_cbranch_execz .LBB91_472
; %bb.471:                              ;   in Loop: Header=BB91_466 Depth=1
	s_bcnt1_i32_b64 s2, s[34:35]
	s_mul_i32 s2, s36, s2
	v_mov_b32_e32 v10, s2
	ds_add_rtn_u32 v10, v3, v10 offset:4108
.LBB91_472:                             ;   in Loop: Header=BB91_466 Depth=1
	s_or_b64 exec, exec, s[30:31]
	s_waitcnt lgkmcnt(0)
	v_readfirstlane_b32 s2, v10
	v_mov_b32_e32 v10, s2
	v_mad_u32_u24 v5, s36, v5, v10
.LBB91_473:                             ;   in Loop: Header=BB91_466 Depth=1
	s_or_b64 exec, exec, s[26:27]
	ds_bpermute_b32 v5, v13, v5
	s_cmp_eq_u64 vcc, 0
	s_cselect_b64 s[30:31], -1, 0
	s_mov_b64 s[26:27], -1
	s_mov_b64 s[34:35], -1
	s_waitcnt lgkmcnt(0)
	v_cmp_gt_u32_e64 s[2:3], s61, v5
	s_or_b64 s[2:3], s[30:31], s[2:3]
	v_cndmask_b32_e64 v10, v1, v9, s[2:3]
	s_and_b64 s[36:37], s[28:29], s[2:3]
	s_mov_b64 s[30:31], -1
	s_and_saveexec_b64 s[28:29], s[36:37]
	s_cbranch_execz .LBB91_479
; %bb.474:                              ;   in Loop: Header=BB91_466 Depth=1
	v_and_b32_e32 v11, vcc_lo, v6
	v_and_b32_e32 v10, vcc_hi, v7
	v_bcnt_u32_b32 v11, v11, 0
	v_bcnt_u32_b32 v10, v10, v11
	v_sub_u32_e32 v11, s61, v5
	v_cmp_le_u32_e64 s[30:31], v11, v10
	v_cmp_gt_u32_e32 vcc, v11, v10
	s_mov_b64 s[36:37], -1
	s_and_saveexec_b64 s[34:35], vcc
	s_cbranch_execz .LBB91_478
; %bb.475:                              ;   in Loop: Header=BB91_466 Depth=1
	v_add_u32_e32 v10, v5, v10
	v_cmp_gt_u32_e32 vcc, s61, v10
	s_mov_b64 s[38:39], s[30:31]
	s_and_saveexec_b64 s[36:37], vcc
	s_cbranch_execz .LBB91_477
; %bb.476:                              ;   in Loop: Header=BB91_466 Depth=1
	v_mul_lo_u32 v14, v10, s45
	v_mov_b32_e32 v15, v3
	v_lshlrev_b64 v[14:15], 2, v[14:15]
	v_mov_b32_e32 v11, s42
	v_add_co_u32_e32 v14, vcc, s41, v14
	v_mul_lo_u32 v10, v10, s46
	v_addc_co_u32_e32 v15, vcc, v11, v15, vcc
	v_mov_b32_e32 v11, v3
	v_lshlrev_b64 v[10:11], 3, v[10:11]
	global_store_dword v[14:15], v1, off
	v_mov_b32_e32 v14, s44
	v_add_co_u32_e32 v10, vcc, s43, v10
	v_mov_b32_e32 v1, v3
	v_addc_co_u32_e32 v11, vcc, v14, v11, vcc
	s_or_b64 s[38:39], s[30:31], exec
	global_store_dwordx2 v[10:11], v[0:1], off
.LBB91_477:                             ;   in Loop: Header=BB91_466 Depth=1
	s_or_b64 exec, exec, s[36:37]
	s_andn2_b64 s[30:31], s[30:31], exec
	s_and_b64 s[38:39], s[38:39], exec
	s_xor_b64 s[36:37], exec, -1
	s_or_b64 s[30:31], s[30:31], s[38:39]
.LBB91_478:                             ;   in Loop: Header=BB91_466 Depth=1
	s_or_b64 exec, exec, s[34:35]
	s_orn2_b64 s[34:35], s[36:37], exec
	s_or_b64 s[2:3], s[2:3], exec
	s_orn2_b64 s[30:31], s[30:31], exec
	v_mov_b32_e32 v10, v9
.LBB91_479:                             ;   in Loop: Header=BB91_466 Depth=1
	s_or_b64 exec, exec, s[28:29]
	s_and_saveexec_b64 s[28:29], s[30:31]
	s_cbranch_execz .LBB91_464
; %bb.480:                              ;   in Loop: Header=BB91_466 Depth=1
	s_xor_b64 s[2:3], s[2:3], -1
	v_add_u32_e32 v2, s78, v2
	s_or_b64 s[34:35], s[34:35], exec
	s_orn2_b64 s[26:27], s[2:3], exec
	s_branch .LBB91_464
.LBB91_481:
	s_or_b64 exec, exec, s[6:7]
	s_mov_b64 s[0:1], 0
	s_and_saveexec_b64 s[2:3], s[18:19]
	s_xor_b64 s[2:3], exec, s[2:3]
	s_cbranch_execnz .LBB91_487
.LBB91_482:
	s_or_b64 exec, exec, s[2:3]
	s_and_b64 s[2:3], s[0:1], exec
	s_andn2_b64 s[4:5], s[4:5], exec
	s_or_b64 exec, exec, s[8:9]
	s_and_saveexec_b64 s[0:1], s[4:5]
	s_xor_b64 s[0:1], exec, s[0:1]
	s_cbranch_execz .LBB91_436
.LBB91_483:
	s_or_b64 s[2:3], s[2:3], exec
	s_trap 2
	s_branch .LBB91_436
.LBB91_484:
	s_or_b64 s[14:15], s[14:15], exec
	s_trap 2
	s_branch .LBB91_442
.LBB91_485:
	s_or_b64 s[16:17], s[16:17], exec
	s_trap 2
	s_branch .LBB91_440
.LBB91_486:
	s_trap 2
	s_or_b64 s[18:19], s[18:19], exec
	s_branch .LBB91_438
.LBB91_487:
	s_mov_b64 s[0:1], exec
	s_trap 2
	s_branch .LBB91_482
	.section	.rodata,"a",@progbits
	.p2align	6, 0x0
	.amdhsa_kernel _ZN2at6native6sbtopk10gatherTopKIfjLin1ELb0EEEvNS_4cuda6detail10TensorInfoIKT_T0_EES8_S8_bS8_S8_NS5_IS6_S8_EES8_NS5_IlS8_EES8_PS6_
		.amdhsa_group_segment_fixed_size 4112
		.amdhsa_private_segment_fixed_size 0
		.amdhsa_kernarg_size 952
		.amdhsa_user_sgpr_count 6
		.amdhsa_user_sgpr_private_segment_buffer 1
		.amdhsa_user_sgpr_dispatch_ptr 0
		.amdhsa_user_sgpr_queue_ptr 0
		.amdhsa_user_sgpr_kernarg_segment_ptr 1
		.amdhsa_user_sgpr_dispatch_id 0
		.amdhsa_user_sgpr_flat_scratch_init 0
		.amdhsa_user_sgpr_kernarg_preload_length 0
		.amdhsa_user_sgpr_kernarg_preload_offset 0
		.amdhsa_user_sgpr_private_segment_size 0
		.amdhsa_uses_dynamic_stack 0
		.amdhsa_system_sgpr_private_segment_wavefront_offset 0
		.amdhsa_system_sgpr_workgroup_id_x 1
		.amdhsa_system_sgpr_workgroup_id_y 1
		.amdhsa_system_sgpr_workgroup_id_z 1
		.amdhsa_system_sgpr_workgroup_info 0
		.amdhsa_system_vgpr_workitem_id 0
		.amdhsa_next_free_vgpr 55
		.amdhsa_next_free_sgpr 96
		.amdhsa_accum_offset 56
		.amdhsa_reserve_vcc 1
		.amdhsa_reserve_flat_scratch 0
		.amdhsa_float_round_mode_32 0
		.amdhsa_float_round_mode_16_64 0
		.amdhsa_float_denorm_mode_32 3
		.amdhsa_float_denorm_mode_16_64 3
		.amdhsa_dx10_clamp 1
		.amdhsa_ieee_mode 1
		.amdhsa_fp16_overflow 0
		.amdhsa_tg_split 0
		.amdhsa_exception_fp_ieee_invalid_op 0
		.amdhsa_exception_fp_denorm_src 0
		.amdhsa_exception_fp_ieee_div_zero 0
		.amdhsa_exception_fp_ieee_overflow 0
		.amdhsa_exception_fp_ieee_underflow 0
		.amdhsa_exception_fp_ieee_inexact 0
		.amdhsa_exception_int_div_zero 0
	.end_amdhsa_kernel
	.section	.text._ZN2at6native6sbtopk10gatherTopKIfjLin1ELb0EEEvNS_4cuda6detail10TensorInfoIKT_T0_EES8_S8_bS8_S8_NS5_IS6_S8_EES8_NS5_IlS8_EES8_PS6_,"axG",@progbits,_ZN2at6native6sbtopk10gatherTopKIfjLin1ELb0EEEvNS_4cuda6detail10TensorInfoIKT_T0_EES8_S8_bS8_S8_NS5_IS6_S8_EES8_NS5_IlS8_EES8_PS6_,comdat
.Lfunc_end91:
	.size	_ZN2at6native6sbtopk10gatherTopKIfjLin1ELb0EEEvNS_4cuda6detail10TensorInfoIKT_T0_EES8_S8_bS8_S8_NS5_IS6_S8_EES8_NS5_IlS8_EES8_PS6_, .Lfunc_end91-_ZN2at6native6sbtopk10gatherTopKIfjLin1ELb0EEEvNS_4cuda6detail10TensorInfoIKT_T0_EES8_S8_bS8_S8_NS5_IS6_S8_EES8_NS5_IlS8_EES8_PS6_
                                        ; -- End function
	.section	.AMDGPU.csdata,"",@progbits
; Kernel info:
; codeLenInByte = 16796
; NumSgprs: 100
; NumVgprs: 55
; NumAgprs: 0
; TotalNumVgprs: 55
; ScratchSize: 0
; MemoryBound: 0
; FloatMode: 240
; IeeeMode: 1
; LDSByteSize: 4112 bytes/workgroup (compile time only)
; SGPRBlocks: 12
; VGPRBlocks: 6
; NumSGPRsForWavesPerEU: 100
; NumVGPRsForWavesPerEU: 55
; AccumOffset: 56
; Occupancy: 8
; WaveLimiterHint : 1
; COMPUTE_PGM_RSRC2:SCRATCH_EN: 0
; COMPUTE_PGM_RSRC2:USER_SGPR: 6
; COMPUTE_PGM_RSRC2:TRAP_HANDLER: 0
; COMPUTE_PGM_RSRC2:TGID_X_EN: 1
; COMPUTE_PGM_RSRC2:TGID_Y_EN: 1
; COMPUTE_PGM_RSRC2:TGID_Z_EN: 1
; COMPUTE_PGM_RSRC2:TIDIG_COMP_CNT: 0
; COMPUTE_PGM_RSRC3_GFX90A:ACCUM_OFFSET: 13
; COMPUTE_PGM_RSRC3_GFX90A:TG_SPLIT: 0
	.section	.text._ZN2at6native6mbtopk23computeBlockDigitCountsIN3c104HalfEjjLi1EEEvNS_4cuda6detail10TensorInfoIKT_T0_EEjPjjSA_iijT1_PSD_Ps,"axG",@progbits,_ZN2at6native6mbtopk23computeBlockDigitCountsIN3c104HalfEjjLi1EEEvNS_4cuda6detail10TensorInfoIKT_T0_EEjPjjSA_iijT1_PSD_Ps,comdat
	.protected	_ZN2at6native6mbtopk23computeBlockDigitCountsIN3c104HalfEjjLi1EEEvNS_4cuda6detail10TensorInfoIKT_T0_EEjPjjSA_iijT1_PSD_Ps ; -- Begin function _ZN2at6native6mbtopk23computeBlockDigitCountsIN3c104HalfEjjLi1EEEvNS_4cuda6detail10TensorInfoIKT_T0_EEjPjjSA_iijT1_PSD_Ps
	.globl	_ZN2at6native6mbtopk23computeBlockDigitCountsIN3c104HalfEjjLi1EEEvNS_4cuda6detail10TensorInfoIKT_T0_EEjPjjSA_iijT1_PSD_Ps
	.p2align	8
	.type	_ZN2at6native6mbtopk23computeBlockDigitCountsIN3c104HalfEjjLi1EEEvNS_4cuda6detail10TensorInfoIKT_T0_EEjPjjSA_iijT1_PSD_Ps,@function
_ZN2at6native6mbtopk23computeBlockDigitCountsIN3c104HalfEjjLi1EEEvNS_4cuda6detail10TensorInfoIKT_T0_EEjPjjSA_iijT1_PSD_Ps: ; @_ZN2at6native6mbtopk23computeBlockDigitCountsIN3c104HalfEjjLi1EEEvNS_4cuda6detail10TensorInfoIKT_T0_EEjPjjSA_iijT1_PSD_Ps
; %bb.0:
	s_load_dwordx2 s[10:11], s[4:5], 0xf8
	s_load_dwordx4 s[12:15], s[4:5], 0xe8
	s_load_dwordx2 s[0:1], s[4:5], 0x110
	s_waitcnt lgkmcnt(0)
	v_cvt_f32_u32_e32 v1, s10
	s_sub_i32 s2, 0, s10
	s_mul_i32 s1, s1, s8
	s_add_i32 s1, s1, s7
	v_rcp_iflag_f32_e32 v1, v1
	s_mul_i32 s16, s1, s0
	s_add_i32 s16, s16, s6
	s_mov_b32 s7, 0
	v_mul_f32_e32 v1, 0x4f7ffffe, v1
	v_cvt_u32_f32_e32 v1, v1
	v_readfirstlane_b32 s0, v1
	s_mul_i32 s2, s2, s0
	s_mul_hi_u32 s1, s0, s2
	s_add_i32 s0, s0, s1
	s_mul_hi_u32 s0, s16, s0
	s_mul_i32 s1, s0, s10
	s_sub_i32 s1, s16, s1
	s_add_i32 s2, s0, 1
	s_sub_i32 s3, s1, s10
	s_cmp_ge_u32 s1, s10
	s_cselect_b32 s0, s2, s0
	s_cselect_b32 s1, s3, s1
	s_add_i32 s2, s0, 1
	s_cmp_ge_u32 s1, s10
	s_cselect_b32 s6, s2, s0
	s_cmp_ge_u32 s6, s12
	s_cbranch_scc1 .LBB92_29
; %bb.1:
	s_load_dwordx4 s[0:3], s[4:5], 0x100
	s_lshl_b64 s[8:9], s[6:7], 2
	s_movk_i32 s7, 0x100
	v_cmp_gt_u32_e32 vcc, s7, v0
	v_lshlrev_b32_e32 v1, 2, v0
	s_waitcnt lgkmcnt(0)
	s_add_u32 s0, s0, s8
	s_addc_u32 s1, s1, s9
	s_and_saveexec_b64 s[8:9], vcc
	s_cbranch_execz .LBB92_3
; %bb.2:
	v_mov_b32_e32 v2, 0
	ds_write_b32 v1, v2
.LBB92_3:
	s_or_b64 exec, exec, s[8:9]
	s_load_dword s8, s[4:5], 0xd8
	s_mul_i32 s7, s6, s10
	s_sub_i32 s7, s16, s7
	s_add_i32 s9, s7, 1
	s_mul_i32 s7, s15, s7
	s_lshl_b32 s17, s7, 8
	s_waitcnt lgkmcnt(0)
	s_sub_i32 s7, s8, s17
	s_add_u32 s7, s7, 0xff
	s_addc_u32 s12, 0, 0
	v_mov_b32_e32 v2, s7
	v_alignbit_b32 v2, s12, v2, 8
	s_cmp_lt_u32 s9, s10
	v_readfirstlane_b32 s7, v2
	s_cselect_b32 s15, s15, s7
	s_cmp_lt_i32 s15, 1
	s_mov_b32 s7, 0
	s_barrier
	s_cbranch_scc1 .LBB92_25
; %bb.4:
	s_load_dword s10, s[4:5], 0x6c
	s_load_dwordx2 s[18:19], s[4:5], 0x0
	s_load_dword s9, s[0:1], 0x0
	s_waitcnt lgkmcnt(0)
	s_mul_i32 s6, s10, s6
	s_lshl_b64 s[0:1], s[6:7], 1
	s_add_u32 s6, s18, s0
	s_addc_u32 s10, s19, s1
	s_and_b32 s12, s14, 0xff
	s_cmp_lt_u32 s15, 4
	s_cbranch_scc1 .LBB92_19
; %bb.5:
	v_add_u32_e32 v2, s17, v0
	v_add_u32_e32 v3, 0x200, v2
	;; [unrolled: 1-line block ×3, first 2 shown]
	v_mul_lo_u32 v6, s13, v3
	v_add_u32_e32 v3, 0x100, v2
	s_and_b32 s7, s15, 0x7ffffffc
	v_mul_lo_u32 v5, s13, v4
	s_lshl_b32 s14, s13, 10
	v_mul_lo_u32 v7, s13, v3
	v_mul_lo_u32 v8, s13, v2
	s_mov_b32 s18, 0
	v_mov_b32_e32 v3, 0
	v_mov_b32_e32 v9, 1
	;; [unrolled: 1-line block ×4, first 2 shown]
	s_mov_b32 s19, 0
	s_branch .LBB92_7
.LBB92_6:                               ;   in Loop: Header=BB92_7 Depth=1
	s_or_b64 exec, exec, s[4:5]
	s_add_i32 s19, s19, 4
	s_add_i32 s18, s18, s14
	s_cmp_eq_u32 s7, s19
	v_add_u32_e32 v4, 0x400, v4
	s_cbranch_scc1 .LBB92_19
.LBB92_7:                               ; =>This Inner Loop Header: Depth=1
	v_add_u32_e32 v2, 0xfffffd00, v4
	v_cmp_gt_u32_e64 s[0:1], s8, v2
	s_and_saveexec_b64 s[4:5], s[0:1]
	s_cbranch_execz .LBB92_10
; %bb.8:                                ;   in Loop: Header=BB92_7 Depth=1
	v_add_u32_e32 v2, s18, v8
	v_lshlrev_b64 v[12:13], 1, v[2:3]
	v_mov_b32_e32 v2, s10
	v_add_co_u32_e64 v12, s[0:1], s6, v12
	v_addc_co_u32_e64 v13, s[0:1], v2, v13, s[0:1]
	global_load_ushort v2, v[12:13], off
	s_waitcnt vmcnt(0)
	v_cmp_lt_i16_e64 s[0:1], -1, v2
	v_cndmask_b32_e64 v12, v10, v11, s[0:1]
	v_xor_b32_sdwa v12, v12, v2 dst_sel:DWORD dst_unused:UNUSED_PAD src0_sel:DWORD src1_sel:WORD_0
	v_cmp_o_f16_e64 s[0:1], v2, v2
	v_cndmask_b32_e64 v2, v10, v12, s[0:1]
	v_xor_b32_e32 v12, s9, v2
	v_and_b32_e32 v12, s11, v12
	v_cmp_eq_u32_e64 s[0:1], 0, v12
	s_and_b64 exec, exec, s[0:1]
	s_cbranch_execz .LBB92_10
; %bb.9:                                ;   in Loop: Header=BB92_7 Depth=1
	v_bfe_u32 v2, v2, s12, 8
	v_lshlrev_b32_e32 v2, 2, v2
	ds_add_u32 v2, v9
.LBB92_10:                              ;   in Loop: Header=BB92_7 Depth=1
	s_or_b64 exec, exec, s[4:5]
	v_add_u32_e32 v2, 0xfffffe00, v4
	v_cmp_gt_u32_e64 s[0:1], s8, v2
	s_and_saveexec_b64 s[4:5], s[0:1]
	s_cbranch_execz .LBB92_13
; %bb.11:                               ;   in Loop: Header=BB92_7 Depth=1
	v_add_u32_e32 v2, s18, v7
	v_lshlrev_b64 v[12:13], 1, v[2:3]
	v_mov_b32_e32 v2, s10
	v_add_co_u32_e64 v12, s[0:1], s6, v12
	v_addc_co_u32_e64 v13, s[0:1], v2, v13, s[0:1]
	global_load_ushort v2, v[12:13], off
	s_waitcnt vmcnt(0)
	v_cmp_lt_i16_e64 s[0:1], -1, v2
	v_cndmask_b32_e64 v12, v10, v11, s[0:1]
	v_xor_b32_sdwa v12, v12, v2 dst_sel:DWORD dst_unused:UNUSED_PAD src0_sel:DWORD src1_sel:WORD_0
	v_cmp_o_f16_e64 s[0:1], v2, v2
	v_cndmask_b32_e64 v2, v10, v12, s[0:1]
	v_xor_b32_e32 v12, s9, v2
	v_and_b32_e32 v12, s11, v12
	v_cmp_eq_u32_e64 s[0:1], 0, v12
	s_and_b64 exec, exec, s[0:1]
	s_cbranch_execz .LBB92_13
; %bb.12:                               ;   in Loop: Header=BB92_7 Depth=1
	v_bfe_u32 v2, v2, s12, 8
	v_lshlrev_b32_e32 v2, 2, v2
	ds_add_u32 v2, v9
.LBB92_13:                              ;   in Loop: Header=BB92_7 Depth=1
	s_or_b64 exec, exec, s[4:5]
	v_add_u32_e32 v2, 0xffffff00, v4
	v_cmp_gt_u32_e64 s[0:1], s8, v2
	s_and_saveexec_b64 s[4:5], s[0:1]
	s_cbranch_execz .LBB92_16
; %bb.14:                               ;   in Loop: Header=BB92_7 Depth=1
	v_add_u32_e32 v2, s18, v6
	v_lshlrev_b64 v[12:13], 1, v[2:3]
	v_mov_b32_e32 v2, s10
	v_add_co_u32_e64 v12, s[0:1], s6, v12
	v_addc_co_u32_e64 v13, s[0:1], v2, v13, s[0:1]
	global_load_ushort v2, v[12:13], off
	s_waitcnt vmcnt(0)
	v_cmp_lt_i16_e64 s[0:1], -1, v2
	v_cndmask_b32_e64 v12, v10, v11, s[0:1]
	v_xor_b32_sdwa v12, v12, v2 dst_sel:DWORD dst_unused:UNUSED_PAD src0_sel:DWORD src1_sel:WORD_0
	v_cmp_o_f16_e64 s[0:1], v2, v2
	v_cndmask_b32_e64 v2, v10, v12, s[0:1]
	v_xor_b32_e32 v12, s9, v2
	v_and_b32_e32 v12, s11, v12
	v_cmp_eq_u32_e64 s[0:1], 0, v12
	s_and_b64 exec, exec, s[0:1]
	s_cbranch_execz .LBB92_16
; %bb.15:                               ;   in Loop: Header=BB92_7 Depth=1
	v_bfe_u32 v2, v2, s12, 8
	v_lshlrev_b32_e32 v2, 2, v2
	ds_add_u32 v2, v9
.LBB92_16:                              ;   in Loop: Header=BB92_7 Depth=1
	s_or_b64 exec, exec, s[4:5]
	v_cmp_gt_u32_e64 s[0:1], s8, v4
	s_and_saveexec_b64 s[4:5], s[0:1]
	s_cbranch_execz .LBB92_6
; %bb.17:                               ;   in Loop: Header=BB92_7 Depth=1
	v_add_u32_e32 v2, s18, v5
	v_lshlrev_b64 v[12:13], 1, v[2:3]
	v_mov_b32_e32 v2, s10
	v_add_co_u32_e64 v12, s[0:1], s6, v12
	v_addc_co_u32_e64 v13, s[0:1], v2, v13, s[0:1]
	global_load_ushort v2, v[12:13], off
	s_waitcnt vmcnt(0)
	v_cmp_lt_i16_e64 s[0:1], -1, v2
	v_cndmask_b32_e64 v12, v10, v11, s[0:1]
	v_xor_b32_sdwa v12, v12, v2 dst_sel:DWORD dst_unused:UNUSED_PAD src0_sel:DWORD src1_sel:WORD_0
	v_cmp_o_f16_e64 s[0:1], v2, v2
	v_cndmask_b32_e64 v2, v10, v12, s[0:1]
	v_xor_b32_e32 v12, s9, v2
	v_and_b32_e32 v12, s11, v12
	v_cmp_eq_u32_e64 s[0:1], 0, v12
	s_and_b64 exec, exec, s[0:1]
	s_cbranch_execz .LBB92_6
; %bb.18:                               ;   in Loop: Header=BB92_7 Depth=1
	v_bfe_u32 v2, v2, s12, 8
	v_lshlrev_b32_e32 v2, 2, v2
	ds_add_u32 v2, v9
	s_branch .LBB92_6
.LBB92_19:
	s_and_b32 s14, s15, 3
	s_cmp_eq_u32 s14, 0
	s_cbranch_scc1 .LBB92_25
; %bb.20:
	s_lshl_b32 s0, s7, 8
	s_add_i32 s0, s0, s17
	v_add_u32_e32 v4, s0, v0
	v_mul_lo_u32 v2, s13, v4
	s_lshl_b32 s7, s13, 8
	v_mov_b32_e32 v3, 0
	v_mov_b32_e32 v5, 1
	;; [unrolled: 1-line block ×4, first 2 shown]
	s_branch .LBB92_22
.LBB92_21:                              ;   in Loop: Header=BB92_22 Depth=1
	s_or_b64 exec, exec, s[4:5]
	s_add_i32 s14, s14, -1
	v_add_u32_e32 v2, s7, v2
	s_cmp_lg_u32 s14, 0
	v_add_u32_e32 v4, 0x100, v4
	s_cbranch_scc0 .LBB92_25
.LBB92_22:                              ; =>This Inner Loop Header: Depth=1
	v_cmp_gt_u32_e64 s[0:1], s8, v4
	s_and_saveexec_b64 s[4:5], s[0:1]
	s_cbranch_execz .LBB92_21
; %bb.23:                               ;   in Loop: Header=BB92_22 Depth=1
	v_lshlrev_b64 v[8:9], 1, v[2:3]
	v_mov_b32_e32 v10, s10
	v_add_co_u32_e64 v8, s[0:1], s6, v8
	v_addc_co_u32_e64 v9, s[0:1], v10, v9, s[0:1]
	global_load_ushort v8, v[8:9], off
	s_waitcnt vmcnt(0)
	v_cmp_lt_i16_e64 s[0:1], -1, v8
	v_cndmask_b32_e64 v9, v6, v7, s[0:1]
	v_xor_b32_sdwa v9, v9, v8 dst_sel:DWORD dst_unused:UNUSED_PAD src0_sel:DWORD src1_sel:WORD_0
	v_cmp_o_f16_e64 s[0:1], v8, v8
	v_cndmask_b32_e64 v8, v6, v9, s[0:1]
	v_xor_b32_e32 v9, s9, v8
	v_and_b32_e32 v9, s11, v9
	v_cmp_eq_u32_e64 s[0:1], 0, v9
	s_and_b64 exec, exec, s[0:1]
	s_cbranch_execz .LBB92_21
; %bb.24:                               ;   in Loop: Header=BB92_22 Depth=1
	v_bfe_u32 v8, v8, s12, 8
	v_lshlrev_b32_e32 v8, 2, v8
	ds_add_u32 v8, v5
	s_branch .LBB92_21
.LBB92_25:
	v_mov_b32_e32 v2, 0
	s_waitcnt lgkmcnt(0)
	s_barrier
	s_and_saveexec_b64 s[0:1], vcc
	s_cbranch_execz .LBB92_27
; %bb.26:
	ds_read_b32 v2, v1
.LBB92_27:
	s_or_b64 exec, exec, s[0:1]
	s_and_saveexec_b64 s[0:1], vcc
	s_cbranch_execz .LBB92_29
; %bb.28:
	v_lshl_or_b32 v0, s16, 8, v0
	v_mov_b32_e32 v1, 0
	v_lshlrev_b64 v[0:1], 1, v[0:1]
	v_mov_b32_e32 v3, s3
	v_add_co_u32_e32 v0, vcc, s2, v0
	v_addc_co_u32_e32 v1, vcc, v3, v1, vcc
	s_waitcnt lgkmcnt(0)
	global_store_short v[0:1], v2, off
.LBB92_29:
	s_endpgm
	.section	.rodata,"a",@progbits
	.p2align	6, 0x0
	.amdhsa_kernel _ZN2at6native6mbtopk23computeBlockDigitCountsIN3c104HalfEjjLi1EEEvNS_4cuda6detail10TensorInfoIKT_T0_EEjPjjSA_iijT1_PSD_Ps
		.amdhsa_group_segment_fixed_size 1024
		.amdhsa_private_segment_fixed_size 0
		.amdhsa_kernarg_size 528
		.amdhsa_user_sgpr_count 6
		.amdhsa_user_sgpr_private_segment_buffer 1
		.amdhsa_user_sgpr_dispatch_ptr 0
		.amdhsa_user_sgpr_queue_ptr 0
		.amdhsa_user_sgpr_kernarg_segment_ptr 1
		.amdhsa_user_sgpr_dispatch_id 0
		.amdhsa_user_sgpr_flat_scratch_init 0
		.amdhsa_user_sgpr_kernarg_preload_length 0
		.amdhsa_user_sgpr_kernarg_preload_offset 0
		.amdhsa_user_sgpr_private_segment_size 0
		.amdhsa_uses_dynamic_stack 0
		.amdhsa_system_sgpr_private_segment_wavefront_offset 0
		.amdhsa_system_sgpr_workgroup_id_x 1
		.amdhsa_system_sgpr_workgroup_id_y 1
		.amdhsa_system_sgpr_workgroup_id_z 1
		.amdhsa_system_sgpr_workgroup_info 0
		.amdhsa_system_vgpr_workitem_id 0
		.amdhsa_next_free_vgpr 14
		.amdhsa_next_free_sgpr 20
		.amdhsa_accum_offset 16
		.amdhsa_reserve_vcc 1
		.amdhsa_reserve_flat_scratch 0
		.amdhsa_float_round_mode_32 0
		.amdhsa_float_round_mode_16_64 0
		.amdhsa_float_denorm_mode_32 3
		.amdhsa_float_denorm_mode_16_64 3
		.amdhsa_dx10_clamp 1
		.amdhsa_ieee_mode 1
		.amdhsa_fp16_overflow 0
		.amdhsa_tg_split 0
		.amdhsa_exception_fp_ieee_invalid_op 0
		.amdhsa_exception_fp_denorm_src 0
		.amdhsa_exception_fp_ieee_div_zero 0
		.amdhsa_exception_fp_ieee_overflow 0
		.amdhsa_exception_fp_ieee_underflow 0
		.amdhsa_exception_fp_ieee_inexact 0
		.amdhsa_exception_int_div_zero 0
	.end_amdhsa_kernel
	.section	.text._ZN2at6native6mbtopk23computeBlockDigitCountsIN3c104HalfEjjLi1EEEvNS_4cuda6detail10TensorInfoIKT_T0_EEjPjjSA_iijT1_PSD_Ps,"axG",@progbits,_ZN2at6native6mbtopk23computeBlockDigitCountsIN3c104HalfEjjLi1EEEvNS_4cuda6detail10TensorInfoIKT_T0_EEjPjjSA_iijT1_PSD_Ps,comdat
.Lfunc_end92:
	.size	_ZN2at6native6mbtopk23computeBlockDigitCountsIN3c104HalfEjjLi1EEEvNS_4cuda6detail10TensorInfoIKT_T0_EEjPjjSA_iijT1_PSD_Ps, .Lfunc_end92-_ZN2at6native6mbtopk23computeBlockDigitCountsIN3c104HalfEjjLi1EEEvNS_4cuda6detail10TensorInfoIKT_T0_EEjPjjSA_iijT1_PSD_Ps
                                        ; -- End function
	.section	.AMDGPU.csdata,"",@progbits
; Kernel info:
; codeLenInByte = 1424
; NumSgprs: 24
; NumVgprs: 14
; NumAgprs: 0
; TotalNumVgprs: 14
; ScratchSize: 0
; MemoryBound: 0
; FloatMode: 240
; IeeeMode: 1
; LDSByteSize: 1024 bytes/workgroup (compile time only)
; SGPRBlocks: 2
; VGPRBlocks: 1
; NumSGPRsForWavesPerEU: 24
; NumVGPRsForWavesPerEU: 14
; AccumOffset: 16
; Occupancy: 8
; WaveLimiterHint : 1
; COMPUTE_PGM_RSRC2:SCRATCH_EN: 0
; COMPUTE_PGM_RSRC2:USER_SGPR: 6
; COMPUTE_PGM_RSRC2:TRAP_HANDLER: 0
; COMPUTE_PGM_RSRC2:TGID_X_EN: 1
; COMPUTE_PGM_RSRC2:TGID_Y_EN: 1
; COMPUTE_PGM_RSRC2:TGID_Z_EN: 1
; COMPUTE_PGM_RSRC2:TIDIG_COMP_CNT: 0
; COMPUTE_PGM_RSRC3_GFX90A:ACCUM_OFFSET: 3
; COMPUTE_PGM_RSRC3_GFX90A:TG_SPLIT: 0
	.section	.text._ZN2at6native6mbtopk29computeBlockwiseWithinKCountsIjN3c104HalfEEEvPT_PsPjjibS8_PT0_S8_S6_S8_j,"axG",@progbits,_ZN2at6native6mbtopk29computeBlockwiseWithinKCountsIjN3c104HalfEEEvPT_PsPjjibS8_PT0_S8_S6_S8_j,comdat
	.protected	_ZN2at6native6mbtopk29computeBlockwiseWithinKCountsIjN3c104HalfEEEvPT_PsPjjibS8_PT0_S8_S6_S8_j ; -- Begin function _ZN2at6native6mbtopk29computeBlockwiseWithinKCountsIjN3c104HalfEEEvPT_PsPjjibS8_PT0_S8_S6_S8_j
	.globl	_ZN2at6native6mbtopk29computeBlockwiseWithinKCountsIjN3c104HalfEEEvPT_PsPjjibS8_PT0_S8_S6_S8_j
	.p2align	8
	.type	_ZN2at6native6mbtopk29computeBlockwiseWithinKCountsIjN3c104HalfEEEvPT_PsPjjibS8_PT0_S8_S6_S8_j,@function
_ZN2at6native6mbtopk29computeBlockwiseWithinKCountsIjN3c104HalfEEEvPT_PsPjjibS8_PT0_S8_S6_S8_j: ; @_ZN2at6native6mbtopk29computeBlockwiseWithinKCountsIjN3c104HalfEEEvPT_PsPjjibS8_PT0_S8_S6_S8_j
; %bb.0:
	s_load_dwordx4 s[16:19], s[4:5], 0x18
	s_load_dword s2, s[4:5], 0x50
	s_load_dwordx2 s[0:1], s[4:5], 0x58
	s_waitcnt lgkmcnt(0)
	v_cvt_f32_u32_e32 v1, s16
	s_mul_i32 s1, s1, s8
	s_add_i32 s1, s1, s7
	v_rcp_iflag_f32_e32 v1, v1
	s_mul_i32 s0, s1, s0
	s_add_i32 s6, s0, s6
	s_cmp_ge_u32 s6, s2
	v_mul_f32_e32 v1, 0x4f7ffffe, v1
	v_cvt_u32_f32_e32 v1, v1
	v_readfirstlane_b32 s0, v1
	s_cbranch_scc1 .LBB93_49
; %bb.1:
	s_sub_i32 s1, 0, s16
	s_mul_i32 s1, s1, s0
	s_mul_hi_u32 s1, s0, s1
	s_add_i32 s0, s0, s1
	s_mul_hi_u32 s2, s6, s0
	s_mul_i32 s3, s2, s16
	s_sub_i32 s3, s6, s3
	s_add_i32 s8, s2, 1
	s_sub_i32 s9, s3, s16
	s_cmp_ge_u32 s3, s16
	s_load_dwordx4 s[20:23], s[4:5], 0x0
	s_load_dwordx2 s[0:1], s[4:5], 0x10
	s_cselect_b32 s2, s8, s2
	s_cselect_b32 s3, s9, s3
	s_add_i32 s8, s2, 1
	s_mov_b32 s7, 0
	s_cmp_ge_u32 s3, s16
	s_cselect_b32 s26, s8, s2
	s_mov_b32 s27, s7
	s_lshl_b64 s[24:25], s[26:27], 2
	s_waitcnt lgkmcnt(0)
	s_add_u32 s0, s0, s24
	s_addc_u32 s1, s1, s25
	s_load_dword s19, s[0:1], 0x0
	s_movk_i32 s0, 0x100
	v_cmp_gt_u32_e64 s[0:1], s0, v0
	s_and_saveexec_b64 s[2:3], s[0:1]
	s_cbranch_execz .LBB93_17
; %bb.2:
	s_mul_i32 s8, s26, s16
	s_lshl_b32 s8, s8, 8
	s_mov_b32 s9, s7
	s_lshl_b64 s[12:13], s[8:9], 1
	s_add_u32 s8, s22, s12
	s_addc_u32 s9, s23, s13
	v_lshlrev_b32_e32 v4, 1, v0
	v_mov_b32_e32 v3, s9
	v_add_co_u32_e32 v2, vcc, s8, v4
	v_mov_b32_e32 v1, 0
	s_cmp_lt_u32 s16, 4
	v_addc_co_u32_e32 v3, vcc, 0, v3, vcc
	s_cbranch_scc1 .LBB93_7
; %bb.3:
	s_add_i32 s8, s16, -4
	s_mov_b32 s14, 0
	s_cmp_gt_u32 s8, 3
	v_mov_b32_e32 v1, 0
	s_cbranch_scc0 .LBB93_8
; %bb.4:
	s_lshr_b32 s8, s8, 2
	s_add_i32 s8, s8, 1
	s_and_b32 s10, s8, 0x7ffffffe
	s_add_u32 s12, s22, s12
	s_addc_u32 s13, s23, s13
	v_mov_b32_e32 v5, s13
	v_add_co_u32_e32 v4, vcc, s12, v4
	s_mov_b32 s9, 0
	v_addc_co_u32_e32 v5, vcc, 0, v5, vcc
	s_mov_b32 s11, s9
	v_add_co_u32_e32 v4, vcc, 0xe00, v4
	v_mov_b32_e32 v1, 0
	v_addc_co_u32_e32 v5, vcc, 0, v5, vcc
	s_mov_b64 s[12:13], s[10:11]
	v_mov_b32_e32 v6, 0
.LBB93_5:                               ; =>This Inner Loop Header: Depth=1
	global_load_sshort v7, v[4:5], off offset:-3584
	global_load_sshort v8, v[4:5], off offset:-3072
	;; [unrolled: 1-line block ×6, first 2 shown]
	global_load_sshort v13, v[4:5], off
	global_load_sshort v14, v[4:5], off offset:-2048
	s_add_u32 s12, s12, -2
	v_add_co_u32_e32 v4, vcc, 0x1000, v4
	s_addc_u32 s13, s13, -1
	v_addc_co_u32_e32 v5, vcc, 0, v5, vcc
	s_cmp_lg_u64 s[12:13], 0
	s_waitcnt vmcnt(6)
	v_add3_u32 v1, v1, v7, v8
	s_waitcnt vmcnt(3)
	v_add3_u32 v6, v6, v10, v11
	;; [unrolled: 2-line block ×4, first 2 shown]
	s_cbranch_scc1 .LBB93_5
; %bb.6:
	s_lshl_b64 s[12:13], s[10:11], 11
	s_lshl_b32 s14, s10, 2
	v_mov_b32_e32 v4, s13
	v_add_co_u32_e32 v2, vcc, s12, v2
	s_cmp_lg_u64 s[10:11], s[8:9]
	v_addc_co_u32_e32 v3, vcc, v3, v4, vcc
	v_add_u32_e32 v1, v1, v6
	s_cselect_b64 s[8:9], -1, 0
	s_and_b64 vcc, exec, s[8:9]
	s_cbranch_vccnz .LBB93_9
	s_branch .LBB93_10
.LBB93_7:
	s_mov_b32 s14, s7
	s_branch .LBB93_10
.LBB93_8:
	s_cbranch_execz .LBB93_10
.LBB93_9:                               ; =>This Inner Loop Header: Depth=1
	global_load_sshort v4, v[2:3], off
	global_load_sshort v5, v[2:3], off offset:512
	global_load_sshort v6, v[2:3], off offset:1024
	;; [unrolled: 1-line block ×3, first 2 shown]
	s_mov_b32 s8, s14
	v_add_co_u32_e32 v2, vcc, 0x800, v2
	s_add_i32 s14, s14, 4
	s_add_i32 s8, s8, 7
	v_addc_co_u32_e32 v3, vcc, 0, v3, vcc
	s_cmp_ge_u32 s8, s16
	s_waitcnt vmcnt(2)
	v_add3_u32 v1, v1, v4, v5
	s_waitcnt vmcnt(0)
	v_add3_u32 v1, v1, v6, v7
	s_cbranch_scc0 .LBB93_9
.LBB93_10:
	s_cmp_ge_u32 s14, s16
	s_cbranch_scc1 .LBB93_16
; %bb.11:
	s_not_b32 s8, s14
	s_add_i32 s8, s8, s16
	s_cmp_lg_u32 s8, 0
	s_cbranch_scc0 .LBB93_50
; %bb.12:
	s_add_u32 s8, s8, 1
	s_addc_u32 s9, 0, 0
	s_and_b32 s10, s8, -2
	s_mov_b32 s11, s9
	v_add_co_u32_e32 v4, vcc, 0x200, v2
	v_addc_co_u32_e32 v5, vcc, 0, v3, vcc
	v_mov_b32_e32 v6, 0
	s_mov_b64 s[12:13], s[10:11]
.LBB93_13:                              ; =>This Inner Loop Header: Depth=1
	global_load_sshort v7, v[4:5], off
	global_load_sshort v8, v[4:5], off offset:-512
	s_add_u32 s12, s12, -2
	v_add_co_u32_e32 v4, vcc, 0x400, v4
	s_addc_u32 s13, s13, -1
	v_addc_co_u32_e32 v5, vcc, 0, v5, vcc
	s_cmp_lg_u64 s[12:13], 0
	s_waitcnt vmcnt(1)
	v_add_u32_e32 v6, v6, v7
	s_waitcnt vmcnt(0)
	v_add_u32_e32 v1, v1, v8
	s_cbranch_scc1 .LBB93_13
; %bb.14:
	s_lshl_b64 s[12:13], s[10:11], 9
	s_add_i32 s14, s14, s10
	v_mov_b32_e32 v4, s13
	v_add_co_u32_e32 v2, vcc, s12, v2
	s_cmp_lg_u64 s[8:9], s[10:11]
	v_addc_co_u32_e32 v3, vcc, v3, v4, vcc
	v_add_u32_e32 v1, v1, v6
	s_cselect_b64 s[8:9], -1, 0
	s_and_b64 vcc, exec, s[8:9]
	s_cbranch_vccz .LBB93_16
.LBB93_15:                              ; =>This Inner Loop Header: Depth=1
	global_load_sshort v4, v[2:3], off
	v_add_co_u32_e32 v2, vcc, 0x200, v2
	s_add_i32 s14, s14, 1
	v_addc_co_u32_e32 v3, vcc, 0, v3, vcc
	s_cmp_lt_u32 s14, s16
	s_waitcnt vmcnt(0)
	v_add_u32_e32 v1, v1, v4
	s_cbranch_scc1 .LBB93_15
.LBB93_16:
	v_lshlrev_b32_e32 v2, 2, v0
	ds_write_b32 v2, v1 offset:1056
.LBB93_17:
	s_or_b64 exec, exec, s[2:3]
	v_mov_b32_e32 v3, 0
	s_waitcnt lgkmcnt(0)
	s_barrier
	s_and_saveexec_b64 s[2:3], s[0:1]
	s_cbranch_execz .LBB93_19
; %bb.18:
	v_lshlrev_b32_e32 v1, 2, v0
	ds_read_b32 v3, v1 offset:1056
.LBB93_19:
	s_or_b64 exec, exec, s[2:3]
	v_lshrrev_b32_e32 v1, 5, v0
	v_add_lshl_u32 v2, v1, v0, 2
	v_cmp_gt_u32_e64 s[2:3], 64, v0
	v_mbcnt_lo_u32_b32 v1, -1, 0
	s_waitcnt lgkmcnt(0)
	ds_write_b32 v2, v3
	s_waitcnt lgkmcnt(0)
	s_barrier
	s_and_saveexec_b64 s[8:9], s[2:3]
	s_cbranch_execz .LBB93_21
; %bb.20:
	v_lshlrev_b32_e32 v4, 2, v0
	v_lshrrev_b32_e32 v5, 3, v0
	v_add_lshl_u32 v8, v5, v4, 2
	ds_read2_b32 v[4:5], v8 offset1:1
	ds_read2_b32 v[6:7], v8 offset0:2 offset1:3
	v_mbcnt_hi_u32_b32 v9, -1, v1
	v_and_b32_e32 v10, 15, v9
	v_cmp_ne_u32_e32 vcc, 0, v10
	s_waitcnt lgkmcnt(1)
	v_add_u32_e32 v5, v5, v4
	s_waitcnt lgkmcnt(0)
	v_add3_u32 v5, v5, v6, v7
	v_bfe_i32 v7, v9, 4, 1
	s_nop 0
	v_mov_b32_dpp v6, v5 row_shr:1 row_mask:0xf bank_mask:0xf
	v_cndmask_b32_e32 v6, 0, v6, vcc
	v_add_u32_e32 v5, v6, v5
	v_cmp_lt_u32_e32 vcc, 1, v10
	; wave barrier
	s_nop 0
	v_mov_b32_dpp v6, v5 row_shr:2 row_mask:0xf bank_mask:0xf
	v_cndmask_b32_e32 v6, 0, v6, vcc
	v_add_u32_e32 v5, v5, v6
	v_cmp_lt_u32_e32 vcc, 3, v10
	s_nop 0
	v_mov_b32_dpp v6, v5 row_shr:4 row_mask:0xf bank_mask:0xf
	v_cndmask_b32_e32 v6, 0, v6, vcc
	v_add_u32_e32 v5, v5, v6
	v_cmp_lt_u32_e32 vcc, 7, v10
	;; [unrolled: 5-line block ×3, first 2 shown]
	s_nop 0
	v_mov_b32_dpp v6, v5 row_bcast:15 row_mask:0xf bank_mask:0xf
	v_and_b32_e32 v6, v7, v6
	v_add_u32_e32 v5, v5, v6
	v_and_b32_e32 v7, 64, v9
	s_nop 0
	v_mov_b32_dpp v6, v5 row_bcast:31 row_mask:0xf bank_mask:0xf
	v_cndmask_b32_e32 v6, 0, v6, vcc
	v_add_u32_e32 v5, v5, v6
	v_add_u32_e32 v6, -1, v9
	v_cmp_lt_i32_e32 vcc, v6, v7
	v_cndmask_b32_e32 v6, v6, v9, vcc
	v_lshlrev_b32_e32 v6, 2, v6
	ds_bpermute_b32 v5, v6, v5
	v_cmp_eq_u32_e32 vcc, 0, v0
	s_waitcnt lgkmcnt(0)
	v_add_u32_e32 v4, v5, v4
	v_cndmask_b32_e32 v3, v4, v3, vcc
	ds_write_b32 v8, v3
	; wave barrier
	ds_read2_b32 v[4:5], v8 offset0:1 offset1:2
	ds_read_b32 v6, v8 offset:12
	s_waitcnt lgkmcnt(1)
	v_add_u32_e32 v3, v4, v3
	v_add_u32_e32 v4, v5, v3
	ds_write2_b32 v8, v3, v4 offset0:1 offset1:2
	s_waitcnt lgkmcnt(1)
	v_add_u32_e32 v3, v6, v4
	ds_write_b32 v8, v3 offset:12
.LBB93_21:
	s_or_b64 exec, exec, s[8:9]
	s_waitcnt lgkmcnt(0)
	s_barrier
	ds_read_b32 v3, v2
	s_waitcnt lgkmcnt(0)
	s_barrier
	s_and_saveexec_b64 s[8:9], s[0:1]
	s_cbranch_execz .LBB93_23
; %bb.22:
	v_lshlrev_b32_e32 v2, 2, v0
	ds_write_b32 v2, v3 offset:1056
.LBB93_23:
	s_or_b64 exec, exec, s[8:9]
	s_load_dwordx8 s[8:15], s[4:5], 0x28
	s_load_dwordx2 s[28:29], s[4:5], 0x48
	s_waitcnt lgkmcnt(0)
	s_barrier
	s_and_saveexec_b64 s[4:5], s[0:1]
	s_cbranch_execz .LBB93_32
; %bb.24:
	v_cmp_ne_u32_e32 vcc, 0, v0
	v_mov_b32_e32 v2, 0
	s_and_saveexec_b64 s[0:1], vcc
	s_cbranch_execz .LBB93_26
; %bb.25:
	v_lshlrev_b32_e32 v2, 2, v0
	ds_read_b32 v2, v2 offset:1052
.LBB93_26:
	s_or_b64 exec, exec, s[0:1]
	s_waitcnt lgkmcnt(0)
	v_cmp_gt_u32_e32 vcc, s19, v2
	v_cmp_le_u32_e64 s[0:1], s19, v3
	s_and_b64 s[0:1], vcc, s[0:1]
	s_and_b64 exec, exec, s[0:1]
	s_cbranch_execz .LBB93_32
; %bb.27:
	s_add_u32 s0, s20, s24
	s_addc_u32 s1, s21, s25
	v_mov_b32_e32 v4, 0
	global_load_dword v3, v4, s[0:1]
	s_lshl_b32 s1, 0xff, s17
	v_not_b32_e32 v6, s1
	v_lshlrev_b32_e32 v5, s17, v0
	s_mul_i32 s0, s26, s16
	s_cmp_lg_u32 s6, s0
	s_waitcnt vmcnt(0)
	v_and_b32_e32 v3, v3, v6
	v_or_b32_e32 v3, v3, v5
	ds_write_b32 v4, v3 offset:2096
	s_cbranch_scc1 .LBB93_32
; %bb.28:
	s_add_u32 s0, s14, s24
	s_addc_u32 s1, s15, s25
	global_store_dword v4, v3, s[0:1]
	s_cmp_lt_i32 s17, 1
	s_mov_b64 s[0:1], -1
	s_cbranch_scc0 .LBB93_30
; %bb.29:
	v_and_b32_e32 v4, 0x8000, v3
	v_mov_b32_e32 v5, 0x8000
	v_mov_b32_e32 v6, 0xffff
	v_cmp_eq_u32_e32 vcc, 0, v4
	s_lshl_b64 s[0:1], s[26:27], 1
	v_cndmask_b32_e32 v4, v5, v6, vcc
	s_add_u32 s0, s10, s0
	v_xor_b32_e32 v3, v4, v3
	s_addc_u32 s1, s11, s1
	v_mov_b32_e32 v4, 0
	global_store_short v4, v3, s[0:1]
	s_mov_b64 s[0:1], 0
.LBB93_30:
	s_andn2_b64 vcc, exec, s[0:1]
	s_cbranch_vccnz .LBB93_32
; %bb.31:
	s_add_u32 s0, s12, s24
	v_sub_u32_e32 v2, s19, v2
	s_addc_u32 s1, s13, s25
	v_mov_b32_e32 v3, 0
	global_store_dword v3, v2, s[0:1]
.LBB93_32:
	s_or_b64 exec, exec, s[4:5]
	v_mov_b32_e32 v2, 0
	s_waitcnt lgkmcnt(0)
	s_barrier
	ds_read_b32 v2, v2 offset:2096
	s_bitcmp0_b32 s18, 0
	s_waitcnt lgkmcnt(0)
	v_lshrrev_b32_e32 v2, s17, v2
	s_cbranch_scc0 .LBB93_34
; %bb.33:
	v_and_b32_e32 v3, 0xc0, v0
	v_cmp_lt_u32_sdwa s[4:5], v3, v2 src0_sel:DWORD src1_sel:BYTE_0
	v_cmp_lt_u32_sdwa s[12:13], v0, v2 src0_sel:DWORD src1_sel:BYTE_0
	s_and_b64 s[10:11], s[4:5], exec
	s_and_b64 s[4:5], s[12:13], exec
	s_cbranch_execz .LBB93_35
	s_branch .LBB93_36
.LBB93_34:
                                        ; implicit-def: $sgpr4_sgpr5
                                        ; implicit-def: $sgpr10_sgpr11
.LBB93_35:
	v_or_b32_e32 v3, 63, v0
	v_cmp_gt_u32_sdwa s[0:1], v3, v2 src0_sel:DWORD src1_sel:BYTE_0
	v_cmp_gt_u32_sdwa s[12:13], v0, v2 src0_sel:DWORD src1_sel:BYTE_0
	s_andn2_b64 s[4:5], s[4:5], exec
	s_and_b64 s[12:13], s[12:13], exec
	s_andn2_b64 s[10:11], s[10:11], exec
	s_and_b64 s[0:1], s[0:1], exec
	s_or_b64 s[4:5], s[4:5], s[12:13]
	s_or_b64 s[10:11], s[10:11], s[0:1]
.LBB93_36:
	v_mov_b32_e32 v2, 0
	s_and_saveexec_b64 s[0:1], s[10:11]
	s_cbranch_execz .LBB93_40
; %bb.37:
	v_mov_b32_e32 v2, 0
	s_and_saveexec_b64 s[10:11], s[4:5]
	s_cbranch_execz .LBB93_39
; %bb.38:
	s_lshl_b32 s4, s6, 8
	s_mov_b32 s5, 0
	s_lshl_b64 s[4:5], s[4:5], 1
	s_add_u32 s4, s22, s4
	s_addc_u32 s5, s23, s5
	v_lshlrev_b32_e32 v2, 1, v0
	global_load_sshort v2, v2, s[4:5]
.LBB93_39:
	s_or_b64 exec, exec, s[10:11]
	v_mbcnt_hi_u32_b32 v3, -1, v1
	v_and_b32_e32 v4, 63, v3
	v_cmp_gt_u32_e32 vcc, 32, v4
	v_cndmask_b32_e64 v5, 0, 1, vcc
	v_lshlrev_b32_e32 v5, 5, v5
	v_add_lshl_u32 v5, v5, v3, 2
	s_waitcnt vmcnt(0)
	ds_bpermute_b32 v5, v5, v2
	v_cmp_gt_u32_e32 vcc, 48, v4
	v_cndmask_b32_e64 v6, 0, 1, vcc
	v_lshlrev_b32_e32 v6, 4, v6
	v_cmp_gt_u32_e32 vcc, 56, v4
	s_waitcnt lgkmcnt(0)
	v_add_u32_e32 v2, v5, v2
	v_add_lshl_u32 v5, v6, v3, 2
	ds_bpermute_b32 v5, v5, v2
	v_cndmask_b32_e64 v6, 0, 1, vcc
	v_lshlrev_b32_e32 v6, 3, v6
	v_cmp_gt_u32_e32 vcc, 60, v4
	s_waitcnt lgkmcnt(0)
	v_add_u32_e32 v2, v5, v2
	v_add_lshl_u32 v5, v6, v3, 2
	ds_bpermute_b32 v5, v5, v2
	;; [unrolled: 7-line block ×3, first 2 shown]
	v_cndmask_b32_e64 v6, 0, 1, vcc
	v_lshlrev_b32_e32 v6, 1, v6
	v_cmp_ne_u32_e32 vcc, 63, v4
	s_waitcnt lgkmcnt(0)
	v_add_u32_e32 v2, v5, v2
	v_add_lshl_u32 v5, v6, v3, 2
	ds_bpermute_b32 v5, v5, v2
	v_addc_co_u32_e32 v3, vcc, 0, v3, vcc
	v_lshlrev_b32_e32 v3, 2, v3
	s_waitcnt lgkmcnt(0)
	v_add_u32_e32 v2, v5, v2
	ds_bpermute_b32 v3, v3, v2
	s_waitcnt lgkmcnt(0)
	v_add_u32_e32 v2, v3, v2
.LBB93_40:
	s_or_b64 exec, exec, s[0:1]
	v_and_b32_e32 v3, 63, v0
	v_cmp_eq_u32_e32 vcc, 0, v3
	s_and_saveexec_b64 s[0:1], vcc
	s_cbranch_execz .LBB93_42
; %bb.41:
	v_lshrrev_b32_e32 v3, 4, v0
	v_and_b32_e32 v3, 12, v3
	ds_write_b32 v3, v2 offset:2080
.LBB93_42:
	s_or_b64 exec, exec, s[0:1]
	s_waitcnt lgkmcnt(0)
	s_barrier
	s_and_saveexec_b64 s[0:1], s[2:3]
	s_cbranch_execz .LBB93_49
; %bb.43:
	v_cmp_gt_u32_e32 vcc, 4, v0
	v_mov_b32_e32 v2, 0
	s_and_saveexec_b64 s[0:1], vcc
	s_cbranch_execz .LBB93_45
; %bb.44:
	v_lshlrev_b32_e32 v2, 2, v0
	ds_read_b32 v2, v2 offset:2080
.LBB93_45:
	s_or_b64 exec, exec, s[0:1]
	v_mbcnt_hi_u32_b32 v1, -1, v1
	v_and_b32_e32 v3, 63, v1
	v_cmp_gt_u32_e32 vcc, 62, v3
	v_cndmask_b32_e64 v4, 0, 1, vcc
	v_lshlrev_b32_e32 v4, 1, v4
	v_add_lshl_u32 v4, v4, v1, 2
	s_waitcnt lgkmcnt(0)
	ds_bpermute_b32 v4, v4, v2
	v_cmp_ne_u32_e32 vcc, 63, v3
	v_addc_co_u32_e32 v3, vcc, 0, v1, vcc
	v_cmp_eq_u32_e32 vcc, 0, v0
	s_waitcnt lgkmcnt(0)
	v_add_u32_e32 v1, v4, v2
	v_lshlrev_b32_e32 v2, 2, v3
	ds_bpermute_b32 v2, v2, v1
	s_and_saveexec_b64 s[0:1], vcc
	s_cbranch_execz .LBB93_47
; %bb.46:
	s_lshl_b64 s[2:3], s[6:7], 2
	s_add_u32 s2, s8, s2
	s_addc_u32 s3, s9, s3
	v_mov_b32_e32 v3, 0
	global_load_dword v4, v3, s[2:3]
	s_waitcnt vmcnt(0) lgkmcnt(0)
	v_add3_u32 v1, v2, v1, v4
	global_store_dword v3, v1, s[2:3]
.LBB93_47:
	s_or_b64 exec, exec, s[0:1]
	v_or_b32_e32 v0, s17, v0
	v_cmp_eq_u32_e32 vcc, 0, v0
	s_and_b64 exec, exec, vcc
	s_cbranch_execz .LBB93_49
; %bb.48:
	v_mov_b32_e32 v0, 0
	ds_read_b32 v1, v0 offset:2096
	s_lshl_b32 s0, s6, 8
	s_mov_b32 s1, 0
	s_lshl_b64 s[0:1], s[0:1], 1
	s_add_u32 s0, s22, s0
	s_waitcnt lgkmcnt(1)
	v_mov_b32_e32 v2, 1
	s_addc_u32 s1, s23, s1
	s_waitcnt lgkmcnt(0)
	v_lshlrev_b32_sdwa v1, v2, v1 dst_sel:DWORD dst_unused:UNUSED_PAD src0_sel:DWORD src1_sel:BYTE_0
	global_load_sshort v1, v1, s[0:1]
	s_lshl_b64 s[0:1], s[6:7], 2
	s_add_u32 s0, s28, s0
	s_addc_u32 s1, s29, s1
	s_waitcnt vmcnt(0)
	global_store_dword v0, v1, s[0:1]
.LBB93_49:
	s_endpgm
.LBB93_50:
	s_cbranch_execnz .LBB93_15
	s_branch .LBB93_16
	.section	.rodata,"a",@progbits
	.p2align	6, 0x0
	.amdhsa_kernel _ZN2at6native6mbtopk29computeBlockwiseWithinKCountsIjN3c104HalfEEEvPT_PsPjjibS8_PT0_S8_S6_S8_j
		.amdhsa_group_segment_fixed_size 2100
		.amdhsa_private_segment_fixed_size 0
		.amdhsa_kernarg_size 344
		.amdhsa_user_sgpr_count 6
		.amdhsa_user_sgpr_private_segment_buffer 1
		.amdhsa_user_sgpr_dispatch_ptr 0
		.amdhsa_user_sgpr_queue_ptr 0
		.amdhsa_user_sgpr_kernarg_segment_ptr 1
		.amdhsa_user_sgpr_dispatch_id 0
		.amdhsa_user_sgpr_flat_scratch_init 0
		.amdhsa_user_sgpr_kernarg_preload_length 0
		.amdhsa_user_sgpr_kernarg_preload_offset 0
		.amdhsa_user_sgpr_private_segment_size 0
		.amdhsa_uses_dynamic_stack 0
		.amdhsa_system_sgpr_private_segment_wavefront_offset 0
		.amdhsa_system_sgpr_workgroup_id_x 1
		.amdhsa_system_sgpr_workgroup_id_y 1
		.amdhsa_system_sgpr_workgroup_id_z 1
		.amdhsa_system_sgpr_workgroup_info 0
		.amdhsa_system_vgpr_workitem_id 0
		.amdhsa_next_free_vgpr 15
		.amdhsa_next_free_sgpr 30
		.amdhsa_accum_offset 16
		.amdhsa_reserve_vcc 1
		.amdhsa_reserve_flat_scratch 0
		.amdhsa_float_round_mode_32 0
		.amdhsa_float_round_mode_16_64 0
		.amdhsa_float_denorm_mode_32 3
		.amdhsa_float_denorm_mode_16_64 3
		.amdhsa_dx10_clamp 1
		.amdhsa_ieee_mode 1
		.amdhsa_fp16_overflow 0
		.amdhsa_tg_split 0
		.amdhsa_exception_fp_ieee_invalid_op 0
		.amdhsa_exception_fp_denorm_src 0
		.amdhsa_exception_fp_ieee_div_zero 0
		.amdhsa_exception_fp_ieee_overflow 0
		.amdhsa_exception_fp_ieee_underflow 0
		.amdhsa_exception_fp_ieee_inexact 0
		.amdhsa_exception_int_div_zero 0
	.end_amdhsa_kernel
	.section	.text._ZN2at6native6mbtopk29computeBlockwiseWithinKCountsIjN3c104HalfEEEvPT_PsPjjibS8_PT0_S8_S6_S8_j,"axG",@progbits,_ZN2at6native6mbtopk29computeBlockwiseWithinKCountsIjN3c104HalfEEEvPT_PsPjjibS8_PT0_S8_S6_S8_j,comdat
.Lfunc_end93:
	.size	_ZN2at6native6mbtopk29computeBlockwiseWithinKCountsIjN3c104HalfEEEvPT_PsPjjibS8_PT0_S8_S6_S8_j, .Lfunc_end93-_ZN2at6native6mbtopk29computeBlockwiseWithinKCountsIjN3c104HalfEEEvPT_PsPjjibS8_PT0_S8_S6_S8_j
                                        ; -- End function
	.section	.AMDGPU.csdata,"",@progbits
; Kernel info:
; codeLenInByte = 2352
; NumSgprs: 34
; NumVgprs: 15
; NumAgprs: 0
; TotalNumVgprs: 15
; ScratchSize: 0
; MemoryBound: 0
; FloatMode: 240
; IeeeMode: 1
; LDSByteSize: 2100 bytes/workgroup (compile time only)
; SGPRBlocks: 4
; VGPRBlocks: 1
; NumSGPRsForWavesPerEU: 34
; NumVGPRsForWavesPerEU: 15
; AccumOffset: 16
; Occupancy: 8
; WaveLimiterHint : 1
; COMPUTE_PGM_RSRC2:SCRATCH_EN: 0
; COMPUTE_PGM_RSRC2:USER_SGPR: 6
; COMPUTE_PGM_RSRC2:TRAP_HANDLER: 0
; COMPUTE_PGM_RSRC2:TGID_X_EN: 1
; COMPUTE_PGM_RSRC2:TGID_Y_EN: 1
; COMPUTE_PGM_RSRC2:TGID_Z_EN: 1
; COMPUTE_PGM_RSRC2:TIDIG_COMP_CNT: 0
; COMPUTE_PGM_RSRC3_GFX90A:ACCUM_OFFSET: 3
; COMPUTE_PGM_RSRC3_GFX90A:TG_SPLIT: 0
	.section	.text._ZN2at6native6mbtopk10gatherTopKIN3c104HalfEjLi1EEEvNS_4cuda6detail10TensorInfoIKT_T0_EESA_SA_bjSA_NS7_IS8_SA_EESA_NS7_IlSA_EESA_jjPS8_PjSF_j,"axG",@progbits,_ZN2at6native6mbtopk10gatherTopKIN3c104HalfEjLi1EEEvNS_4cuda6detail10TensorInfoIKT_T0_EESA_SA_bjSA_NS7_IS8_SA_EESA_NS7_IlSA_EESA_jjPS8_PjSF_j,comdat
	.protected	_ZN2at6native6mbtopk10gatherTopKIN3c104HalfEjLi1EEEvNS_4cuda6detail10TensorInfoIKT_T0_EESA_SA_bjSA_NS7_IS8_SA_EESA_NS7_IlSA_EESA_jjPS8_PjSF_j ; -- Begin function _ZN2at6native6mbtopk10gatherTopKIN3c104HalfEjLi1EEEvNS_4cuda6detail10TensorInfoIKT_T0_EESA_SA_bjSA_NS7_IS8_SA_EESA_NS7_IlSA_EESA_jjPS8_PjSF_j
	.globl	_ZN2at6native6mbtopk10gatherTopKIN3c104HalfEjLi1EEEvNS_4cuda6detail10TensorInfoIKT_T0_EESA_SA_bjSA_NS7_IS8_SA_EESA_NS7_IlSA_EESA_jjPS8_PjSF_j
	.p2align	8
	.type	_ZN2at6native6mbtopk10gatherTopKIN3c104HalfEjLi1EEEvNS_4cuda6detail10TensorInfoIKT_T0_EESA_SA_bjSA_NS7_IS8_SA_EESA_NS7_IlSA_EESA_jjPS8_PjSF_j,@function
_ZN2at6native6mbtopk10gatherTopKIN3c104HalfEjLi1EEEvNS_4cuda6detail10TensorInfoIKT_T0_EESA_SA_bjSA_NS7_IS8_SA_EESA_NS7_IlSA_EESA_jjPS8_PjSF_j: ; @_ZN2at6native6mbtopk10gatherTopKIN3c104HalfEjLi1EEEvNS_4cuda6detail10TensorInfoIKT_T0_EESA_SA_bjSA_NS7_IS8_SA_EESA_NS7_IlSA_EESA_jjPS8_PjSF_j
; %bb.0:
	s_load_dwordx2 s[0:1], s[4:5], 0x2d8
	s_load_dword s2, s[4:5], 0x2d0
	s_waitcnt lgkmcnt(0)
	s_mul_i32 s1, s1, s8
	s_add_i32 s1, s1, s7
	s_mul_i32 s0, s1, s0
	s_add_i32 s0, s0, s6
	s_cmp_ge_u32 s0, s2
	s_cbranch_scc1 .LBB94_40
; %bb.1:
	s_load_dwordx8 s[8:15], s[4:5], 0x2a8
	s_mov_b32 s7, 0
	v_mov_b32_e32 v2, 0
	s_waitcnt lgkmcnt(0)
	v_cvt_f32_u32_e32 v1, s10
	s_sub_i32 s1, 0, s10
	v_rcp_iflag_f32_e32 v1, v1
	v_mul_f32_e32 v1, 0x4f7ffffe, v1
	v_cvt_u32_f32_e32 v1, v1
	v_readfirstlane_b32 s2, v1
	s_mul_i32 s1, s1, s2
	s_mul_hi_u32 s1, s2, s1
	s_add_i32 s2, s2, s1
	s_mul_hi_u32 s1, s0, s2
	s_mul_i32 s2, s1, s10
	s_sub_i32 s2, s0, s2
	s_add_i32 s3, s1, 1
	s_sub_i32 s6, s2, s10
	s_cmp_ge_u32 s2, s10
	s_cselect_b32 s1, s3, s1
	s_cselect_b32 s2, s6, s2
	s_add_i32 s3, s1, 1
	s_cmp_ge_u32 s2, s10
	s_cselect_b32 s6, s3, s1
	s_mul_i32 s16, s6, s10
	s_lshl_b64 s[2:3], s[6:7], 1
	s_sub_i32 s11, s0, s16
	s_add_u32 s0, s12, s2
	s_addc_u32 s1, s13, s3
	global_load_ushort v1, v2, s[0:1]
	s_load_dwordx2 s[20:21], s[4:5], 0x1d0
	s_load_dwordx2 s[22:23], s[4:5], 0xf0
	s_load_dwordx2 s[24:25], s[4:5], 0x0
	v_cmp_ne_u32_e64 s[0:1], 0, v0
	v_cmp_eq_u32_e64 s[2:3], 0, v0
	s_waitcnt vmcnt(0)
	v_readfirstlane_b32 s33, v1
	s_and_saveexec_b64 s[12:13], s[2:3]
	s_cbranch_execz .LBB94_17
; %bb.2:
	s_load_dwordx2 s[26:27], s[4:5], 0x2c8
	s_mov_b32 s17, s7
	s_lshl_b64 s[28:29], s[16:17], 2
	s_add_u32 s16, s14, s28
	s_addc_u32 s17, s15, s29
	s_waitcnt lgkmcnt(0)
	s_add_u32 s18, s26, s28
	s_addc_u32 s19, s27, s29
	s_cmp_lt_u32 s10, 4
	s_cbranch_scc1 .LBB94_14
; %bb.3:
	s_mov_b32 s34, s7
	s_mov_b32 s35, s7
	;; [unrolled: 1-line block ×3, first 2 shown]
.LBB94_4:                               ; =>This Inner Loop Header: Depth=1
	s_add_u32 s16, s14, s28
	s_addc_u32 s17, s15, s29
	s_load_dwordx4 s[16:19], s[16:17], 0x0
	s_add_u32 s30, s26, s28
	s_addc_u32 s31, s27, s29
	s_cmp_ge_u32 s36, s11
	s_cbranch_scc0 .LBB94_11
; %bb.5:                                ;   in Loop: Header=BB94_4 Depth=1
	s_add_i32 s37, s36, 1
	s_cmp_ge_u32 s37, s11
	s_cbranch_scc0 .LBB94_12
.LBB94_6:                               ;   in Loop: Header=BB94_4 Depth=1
	s_add_i32 s37, s37, 1
	s_cmp_ge_u32 s37, s11
	s_cbranch_scc0 .LBB94_13
.LBB94_7:                               ;   in Loop: Header=BB94_4 Depth=1
	s_add_i32 s37, s37, 1
	s_cmp_ge_u32 s37, s11
	s_cbranch_scc1 .LBB94_9
.LBB94_8:                               ;   in Loop: Header=BB94_4 Depth=1
	s_load_dword s30, s[30:31], 0xc
	s_waitcnt lgkmcnt(0)
	s_add_i32 s7, s7, s19
	s_add_i32 s34, s30, s34
.LBB94_9:                               ;   in Loop: Header=BB94_4 Depth=1
	s_waitcnt lgkmcnt(0)
	s_add_i32 s16, s16, s35
	s_add_i32 s16, s16, s17
	;; [unrolled: 1-line block ×4, first 2 shown]
	s_add_u32 s14, s14, 16
	s_addc_u32 s15, s15, 0
	s_add_u32 s26, s26, 16
	s_addc_u32 s27, s27, 0
	s_add_i32 s31, s37, 4
	s_add_u32 s18, s26, s28
	s_addc_u32 s19, s27, s29
	s_add_u32 s16, s14, s28
	s_addc_u32 s17, s15, s29
	s_add_i32 s30, s37, 1
	s_cmp_ge_u32 s31, s10
	s_cbranch_scc1 .LBB94_15
; %bb.10:                               ;   in Loop: Header=BB94_4 Depth=1
	s_mov_b32 s36, s30
	s_branch .LBB94_4
.LBB94_11:                              ;   in Loop: Header=BB94_4 Depth=1
	s_load_dword s37, s[30:31], 0x0
	s_waitcnt lgkmcnt(0)
	s_add_i32 s7, s16, s7
	s_add_i32 s34, s37, s34
	s_add_i32 s37, s36, 1
	s_cmp_ge_u32 s37, s11
	s_cbranch_scc1 .LBB94_6
.LBB94_12:                              ;   in Loop: Header=BB94_4 Depth=1
	s_load_dword s38, s[30:31], 0x4
	s_waitcnt lgkmcnt(0)
	s_add_i32 s7, s7, s17
	s_add_i32 s34, s38, s34
	;; [unrolled: 1-line block ×3, first 2 shown]
	s_cmp_ge_u32 s37, s11
	s_cbranch_scc1 .LBB94_7
.LBB94_13:                              ;   in Loop: Header=BB94_4 Depth=1
	s_load_dword s38, s[30:31], 0x8
	s_waitcnt lgkmcnt(0)
	s_add_i32 s7, s7, s18
	s_add_i32 s34, s38, s34
	;; [unrolled: 1-line block ×3, first 2 shown]
	s_cmp_ge_u32 s37, s11
	s_cbranch_scc0 .LBB94_8
	s_branch .LBB94_9
.LBB94_14:
	s_mov_b32 s34, 0
	s_mov_b32 s35, 0
	;; [unrolled: 1-line block ×3, first 2 shown]
	s_cmp_ge_u32 s14, s10
	s_cbranch_scc0 .LBB94_38
	s_branch .LBB94_16
.LBB94_15:
	s_add_i32 s14, s36, 4
	s_cmp_ge_u32 s14, s10
	s_cbranch_scc0 .LBB94_38
.LBB94_16:
	v_mov_b32_e32 v2, s34
	v_mov_b32_e32 v3, s35
	;; [unrolled: 1-line block ×4, first 2 shown]
	ds_write_b96 v1, v[2:4] offset:1056
.LBB94_17:
	s_or_b64 exec, exec, s[12:13]
	s_load_dword s7, s[4:5], 0x23c
	s_load_dword s16, s[4:5], 0x15c
	;; [unrolled: 1-line block ×3, first 2 shown]
	s_load_dwordx4 s[12:15], s[4:5], 0xd8
	s_mul_i32 s18, s9, s11
	s_lshl_b32 s26, s18, 8
	s_waitcnt lgkmcnt(0)
	s_add_i32 s15, s11, 1
	s_mov_b32 s11, 0
	s_sub_i32 s18, s12, s26
	s_add_u32 s18, s18, 0xff
	s_addc_u32 s19, 0, 0
	v_mov_b32_e32 v1, s18
	v_alignbit_b32 v1, s19, v1, 8
	s_cmp_lt_u32 s15, s10
	v_readfirstlane_b32 s10, v1
	s_cselect_b32 s9, s9, s10
	s_cmp_eq_u32 s9, 0
	s_barrier
	s_cbranch_scc1 .LBB94_40
; %bb.18:
	s_mul_i32 s10, s6, s17
	s_mul_i32 s18, s6, s16
	s_lshl_b64 s[16:17], s[10:11], 1
	s_add_u32 s15, s24, s16
	s_mov_b32 s19, s11
	s_addc_u32 s16, s25, s17
	s_lshl_b64 s[18:19], s[18:19], 1
	s_mul_i32 s6, s6, s7
	s_add_u32 s17, s22, s18
	s_mov_b32 s7, s11
	v_mov_b32_e32 v1, 0
	s_addc_u32 s18, s23, s19
	s_lshl_b64 s[6:7], s[6:7], 3
	ds_read_b96 v[2:4], v1 offset:1056
	s_add_u32 s19, s20, s6
	s_addc_u32 s20, s21, s7
	s_and_b32 s10, 0xffff, s33
	s_sext_i32_i16 s6, s33
	s_cmp_gt_i32 s6, -1
	s_mov_b32 s6, 0x8000
	s_cselect_b32 s11, s6, 0xffff
	v_cmp_o_f16_e64 s[6:7], s33, s33
	s_xor_b32 s10, s11, s10
	s_waitcnt lgkmcnt(0)
	v_add_u32_e32 v5, v2, v3
	v_lshrrev_b32_e32 v2, 5, v0
	s_and_b64 s[6:7], s[6:7], exec
	v_add_lshl_u32 v6, v2, v0, 2
	v_lshlrev_b32_e32 v2, 2, v0
	v_lshrrev_b32_e32 v3, 3, v0
	s_cselect_b32 s21, s10, 0xffff
	s_bitcmp1_b32 s14, 0
	s_load_dword s10, s[4:5], 0xe8
	s_load_dword s14, s[4:5], 0x1c8
	v_add_lshl_u32 v7, v3, v2, 2
	v_add_u32_e32 v2, -1, v0
	v_lshrrev_b32_e32 v3, 5, v2
	v_add_lshl_u32 v8, v3, v2, 2
	v_mbcnt_lo_u32_b32 v3, -1, 0
	v_add_u32_e32 v2, s26, v0
	v_mbcnt_hi_u32_b32 v11, -1, v3
	s_cselect_b64 s[6:7], -1, 0
	v_cmp_gt_u32_e64 s[4:5], 64, v0
	s_waitcnt lgkmcnt(0)
	v_mul_lo_u32 v0, s10, v2
	s_lshl_b32 s22, s10, 8
	v_mov_b32_e32 v9, 0xffff
	v_mov_b32_e32 v10, 0x8000
	v_and_b32_e32 v12, 15, v11
	v_bfe_i32 v13, v11, 4, 1
	v_add_u32_e32 v14, -1, v11
	v_and_b32_e32 v15, 64, v11
                                        ; implicit-def: $vgpr16
	s_branch .LBB94_21
.LBB94_19:                              ;   in Loop: Header=BB94_21 Depth=1
	s_or_b64 exec, exec, s[10:11]
	v_add_u32_e32 v5, v19, v5
.LBB94_20:                              ;   in Loop: Header=BB94_21 Depth=1
	s_add_i32 s9, s9, -1
	v_add_u32_e32 v4, v18, v4
	v_add_u32_e32 v0, s22, v0
	s_cmp_lg_u32 s9, 0
	v_add_u32_e32 v2, 0x100, v2
	s_cbranch_scc0 .LBB94_40
.LBB94_21:                              ; =>This Inner Loop Header: Depth=1
	v_cmp_gt_u32_e32 vcc, s12, v2
	v_mov_b32_e32 v3, 0
	v_mov_b32_e32 v17, 0
	s_and_saveexec_b64 s[10:11], vcc
	s_cbranch_execz .LBB94_23
; %bb.22:                               ;   in Loop: Header=BB94_21 Depth=1
	v_lshlrev_b64 v[16:17], 1, v[0:1]
	v_mov_b32_e32 v3, s16
	v_add_co_u32_e32 v16, vcc, s15, v16
	v_addc_co_u32_e32 v17, vcc, v3, v17, vcc
	global_load_ushort v16, v[16:17], off
	s_waitcnt vmcnt(0)
	v_cmp_lt_i16_e32 vcc, -1, v16
	v_cndmask_b32_e32 v3, v9, v10, vcc
	v_xor_b32_sdwa v3, v3, v16 dst_sel:DWORD dst_unused:UNUSED_PAD src0_sel:DWORD src1_sel:WORD_0
	v_cmp_o_f16_e32 vcc, v16, v16
	v_cndmask_b32_e32 v17, v9, v3, vcc
	v_cmp_lt_u32_e32 vcc, s21, v17
	v_cndmask_b32_e64 v3, 0, 1, vcc
	v_cmp_gt_u32_e32 vcc, s21, v17
	v_cndmask_b32_e64 v18, 0, 1, vcc
	v_cndmask_b32_e64 v3, v18, v3, s[6:7]
	v_cmp_eq_u32_e32 vcc, s21, v17
	v_and_b32_e32 v3, 1, v3
	v_cndmask_b32_e64 v17, 0, 1, vcc
.LBB94_23:                              ;   in Loop: Header=BB94_21 Depth=1
	s_or_b64 exec, exec, s[10:11]
	ds_write_b32 v6, v3
	s_waitcnt lgkmcnt(0)
	s_barrier
	s_and_saveexec_b64 s[10:11], s[4:5]
	s_cbranch_execz .LBB94_25
; %bb.24:                               ;   in Loop: Header=BB94_21 Depth=1
	ds_read2_b32 v[18:19], v7 offset1:1
	ds_read2_b32 v[20:21], v7 offset0:2 offset1:3
	v_cmp_ne_u32_e32 vcc, 0, v12
	; wave barrier
	s_waitcnt lgkmcnt(1)
	v_add_u32_e32 v19, v19, v18
	s_waitcnt lgkmcnt(0)
	v_add3_u32 v19, v19, v20, v21
	s_nop 1
	v_mov_b32_dpp v20, v19 row_shr:1 row_mask:0xf bank_mask:0xf
	v_cndmask_b32_e32 v20, 0, v20, vcc
	v_add_u32_e32 v19, v20, v19
	v_cmp_lt_u32_e32 vcc, 1, v12
	s_nop 0
	v_mov_b32_dpp v20, v19 row_shr:2 row_mask:0xf bank_mask:0xf
	v_cndmask_b32_e32 v20, 0, v20, vcc
	v_add_u32_e32 v19, v19, v20
	v_cmp_lt_u32_e32 vcc, 3, v12
	;; [unrolled: 5-line block ×4, first 2 shown]
	s_nop 0
	v_mov_b32_dpp v20, v19 row_bcast:15 row_mask:0xf bank_mask:0xf
	v_and_b32_e32 v20, v13, v20
	v_add_u32_e32 v19, v19, v20
	s_nop 1
	v_mov_b32_dpp v20, v19 row_bcast:31 row_mask:0xf bank_mask:0xf
	v_cndmask_b32_e32 v20, 0, v20, vcc
	v_cmp_lt_i32_e32 vcc, v14, v15
	v_add_u32_e32 v19, v19, v20
	v_cndmask_b32_e32 v20, v14, v11, vcc
	v_lshlrev_b32_e32 v20, 2, v20
	ds_bpermute_b32 v19, v20, v19
	s_waitcnt lgkmcnt(0)
	v_add_u32_e32 v18, v19, v18
	v_cndmask_b32_e64 v20, v18, v3, s[2:3]
	ds_write_b32 v7, v20
	; wave barrier
	ds_read2_b32 v[18:19], v7 offset0:1 offset1:2
	ds_read_b32 v21, v7 offset:12
	s_waitcnt lgkmcnt(1)
	v_add_u32_e32 v18, v18, v20
	v_add_u32_e32 v19, v19, v18
	ds_write2_b32 v7, v18, v19 offset0:1 offset1:2
	s_waitcnt lgkmcnt(1)
	v_add_u32_e32 v18, v21, v19
	ds_write_b32 v7, v18 offset:12
.LBB94_25:                              ;   in Loop: Header=BB94_21 Depth=1
	s_or_b64 exec, exec, s[10:11]
	v_mov_b32_e32 v19, 0
	s_waitcnt lgkmcnt(0)
	s_barrier
	s_and_saveexec_b64 s[10:11], s[0:1]
	s_cbranch_execz .LBB94_27
; %bb.26:                               ;   in Loop: Header=BB94_21 Depth=1
	ds_read_b32 v19, v8
.LBB94_27:                              ;   in Loop: Header=BB94_21 Depth=1
	s_or_b64 exec, exec, s[10:11]
	ds_read_b32 v18, v1 offset:1048
	v_cmp_ne_u32_e32 vcc, 0, v3
	s_waitcnt lgkmcnt(0)
	s_barrier
	s_and_saveexec_b64 s[10:11], vcc
	s_cbranch_execz .LBB94_29
; %bb.28:                               ;   in Loop: Header=BB94_21 Depth=1
	v_add_u32_e32 v19, v19, v4
	v_mul_lo_u32 v20, v19, s14
	v_mov_b32_e32 v21, v1
	v_lshlrev_b64 v[20:21], 1, v[20:21]
	v_mov_b32_e32 v3, s18
	v_add_co_u32_e32 v20, vcc, s17, v20
	v_addc_co_u32_e32 v21, vcc, v3, v21, vcc
	global_store_short v[20:21], v16, off
	v_mul_lo_u32 v20, v19, s8
	v_mov_b32_e32 v21, v1
	v_lshlrev_b64 v[20:21], 3, v[20:21]
	v_mov_b32_e32 v19, s20
	v_add_co_u32_e32 v20, vcc, s19, v20
	v_mov_b32_e32 v3, v1
	v_addc_co_u32_e32 v21, vcc, v19, v21, vcc
	global_store_dwordx2 v[20:21], v[2:3], off
.LBB94_29:                              ;   in Loop: Header=BB94_21 Depth=1
	s_or_b64 exec, exec, s[10:11]
	v_cmp_le_u32_e32 vcc, s13, v5
	s_cbranch_vccnz .LBB94_20
; %bb.30:                               ;   in Loop: Header=BB94_21 Depth=1
	ds_write_b32 v6, v17
	s_waitcnt lgkmcnt(0)
	s_barrier
	s_and_saveexec_b64 s[10:11], s[4:5]
	s_cbranch_execz .LBB94_32
; %bb.31:                               ;   in Loop: Header=BB94_21 Depth=1
	ds_read2_b32 v[20:21], v7 offset1:1
	ds_read2_b32 v[22:23], v7 offset0:2 offset1:3
	v_cmp_ne_u32_e32 vcc, 0, v12
	; wave barrier
	s_waitcnt lgkmcnt(1)
	v_add_u32_e32 v3, v21, v20
	s_waitcnt lgkmcnt(0)
	v_add3_u32 v3, v3, v22, v23
	s_nop 1
	v_mov_b32_dpp v19, v3 row_shr:1 row_mask:0xf bank_mask:0xf
	v_cndmask_b32_e32 v19, 0, v19, vcc
	v_add_u32_e32 v3, v19, v3
	v_cmp_lt_u32_e32 vcc, 1, v12
	s_nop 0
	v_mov_b32_dpp v19, v3 row_shr:2 row_mask:0xf bank_mask:0xf
	v_cndmask_b32_e32 v19, 0, v19, vcc
	v_add_u32_e32 v3, v3, v19
	v_cmp_lt_u32_e32 vcc, 3, v12
	;; [unrolled: 5-line block ×4, first 2 shown]
	s_nop 0
	v_mov_b32_dpp v19, v3 row_bcast:15 row_mask:0xf bank_mask:0xf
	v_and_b32_e32 v19, v13, v19
	v_add_u32_e32 v3, v3, v19
	s_nop 1
	v_mov_b32_dpp v19, v3 row_bcast:31 row_mask:0xf bank_mask:0xf
	v_cndmask_b32_e32 v19, 0, v19, vcc
	v_cmp_lt_i32_e32 vcc, v14, v15
	v_add_u32_e32 v3, v3, v19
	v_cndmask_b32_e32 v19, v14, v11, vcc
	v_lshlrev_b32_e32 v19, 2, v19
	ds_bpermute_b32 v3, v19, v3
	s_waitcnt lgkmcnt(0)
	v_add_u32_e32 v3, v3, v20
	v_cndmask_b32_e64 v3, v3, v17, s[2:3]
	ds_write_b32 v7, v3
	; wave barrier
	ds_read2_b32 v[20:21], v7 offset0:1 offset1:2
	ds_read_b32 v19, v7 offset:12
	s_waitcnt lgkmcnt(1)
	v_add_u32_e32 v3, v20, v3
	v_add_u32_e32 v20, v21, v3
	ds_write2_b32 v7, v3, v20 offset0:1 offset1:2
	s_waitcnt lgkmcnt(1)
	v_add_u32_e32 v3, v19, v20
	ds_write_b32 v7, v3 offset:12
.LBB94_32:                              ;   in Loop: Header=BB94_21 Depth=1
	s_or_b64 exec, exec, s[10:11]
	v_mov_b32_e32 v3, 0
	s_waitcnt lgkmcnt(0)
	s_barrier
	s_and_saveexec_b64 s[10:11], s[0:1]
	s_cbranch_execz .LBB94_34
; %bb.33:                               ;   in Loop: Header=BB94_21 Depth=1
	ds_read_b32 v3, v8
.LBB94_34:                              ;   in Loop: Header=BB94_21 Depth=1
	s_or_b64 exec, exec, s[10:11]
	ds_read_b32 v19, v1 offset:1048
	v_cmp_ne_u32_e32 vcc, 0, v17
	s_waitcnt lgkmcnt(0)
	s_barrier
	s_and_saveexec_b64 s[10:11], vcc
	s_cbranch_execz .LBB94_19
; %bb.35:                               ;   in Loop: Header=BB94_21 Depth=1
	v_add_u32_e32 v17, v3, v5
	v_cmp_gt_u32_e32 vcc, s13, v17
	s_and_b64 exec, exec, vcc
	s_cbranch_execz .LBB94_19
; %bb.36:                               ;   in Loop: Header=BB94_21 Depth=1
	v_mul_lo_u32 v20, v17, s14
	v_mov_b32_e32 v21, v1
	v_lshlrev_b64 v[20:21], 1, v[20:21]
	v_mov_b32_e32 v3, s18
	v_add_co_u32_e32 v20, vcc, s17, v20
	v_addc_co_u32_e32 v21, vcc, v3, v21, vcc
	global_store_short v[20:21], v16, off
	v_mul_lo_u32 v20, v17, s8
	v_mov_b32_e32 v21, v1
	v_lshlrev_b64 v[20:21], 3, v[20:21]
	v_mov_b32_e32 v17, s20
	v_add_co_u32_e32 v20, vcc, s19, v20
	v_mov_b32_e32 v3, v1
	v_addc_co_u32_e32 v21, vcc, v17, v21, vcc
	global_store_dwordx2 v[20:21], v[2:3], off
	s_branch .LBB94_19
.LBB94_37:                              ;   in Loop: Header=BB94_38 Depth=1
	s_add_u32 s16, s16, 4
	s_addc_u32 s17, s17, 0
	s_waitcnt lgkmcnt(0)
	s_add_i32 s35, s15, s35
	s_add_u32 s18, s18, 4
	s_addc_u32 s19, s19, 0
	s_add_i32 s14, s14, 1
	s_cmp_lt_u32 s14, s10
	s_cbranch_scc0 .LBB94_16
.LBB94_38:                              ; =>This Inner Loop Header: Depth=1
	s_load_dword s15, s[16:17], 0x0
	s_cmp_ge_u32 s14, s11
	s_cbranch_scc1 .LBB94_37
; %bb.39:                               ;   in Loop: Header=BB94_38 Depth=1
	s_load_dword s26, s[18:19], 0x0
	s_waitcnt lgkmcnt(0)
	s_add_i32 s7, s15, s7
	s_add_i32 s34, s26, s34
	s_branch .LBB94_37
.LBB94_40:
	s_endpgm
	.section	.rodata,"a",@progbits
	.p2align	6, 0x0
	.amdhsa_kernel _ZN2at6native6mbtopk10gatherTopKIN3c104HalfEjLi1EEEvNS_4cuda6detail10TensorInfoIKT_T0_EESA_SA_bjSA_NS7_IS8_SA_EESA_NS7_IlSA_EESA_jjPS8_PjSF_j
		.amdhsa_group_segment_fixed_size 1068
		.amdhsa_private_segment_fixed_size 0
		.amdhsa_kernarg_size 984
		.amdhsa_user_sgpr_count 6
		.amdhsa_user_sgpr_private_segment_buffer 1
		.amdhsa_user_sgpr_dispatch_ptr 0
		.amdhsa_user_sgpr_queue_ptr 0
		.amdhsa_user_sgpr_kernarg_segment_ptr 1
		.amdhsa_user_sgpr_dispatch_id 0
		.amdhsa_user_sgpr_flat_scratch_init 0
		.amdhsa_user_sgpr_kernarg_preload_length 0
		.amdhsa_user_sgpr_kernarg_preload_offset 0
		.amdhsa_user_sgpr_private_segment_size 0
		.amdhsa_uses_dynamic_stack 0
		.amdhsa_system_sgpr_private_segment_wavefront_offset 0
		.amdhsa_system_sgpr_workgroup_id_x 1
		.amdhsa_system_sgpr_workgroup_id_y 1
		.amdhsa_system_sgpr_workgroup_id_z 1
		.amdhsa_system_sgpr_workgroup_info 0
		.amdhsa_system_vgpr_workitem_id 0
		.amdhsa_next_free_vgpr 24
		.amdhsa_next_free_sgpr 39
		.amdhsa_accum_offset 24
		.amdhsa_reserve_vcc 1
		.amdhsa_reserve_flat_scratch 0
		.amdhsa_float_round_mode_32 0
		.amdhsa_float_round_mode_16_64 0
		.amdhsa_float_denorm_mode_32 3
		.amdhsa_float_denorm_mode_16_64 3
		.amdhsa_dx10_clamp 1
		.amdhsa_ieee_mode 1
		.amdhsa_fp16_overflow 0
		.amdhsa_tg_split 0
		.amdhsa_exception_fp_ieee_invalid_op 0
		.amdhsa_exception_fp_denorm_src 0
		.amdhsa_exception_fp_ieee_div_zero 0
		.amdhsa_exception_fp_ieee_overflow 0
		.amdhsa_exception_fp_ieee_underflow 0
		.amdhsa_exception_fp_ieee_inexact 0
		.amdhsa_exception_int_div_zero 0
	.end_amdhsa_kernel
	.section	.text._ZN2at6native6mbtopk10gatherTopKIN3c104HalfEjLi1EEEvNS_4cuda6detail10TensorInfoIKT_T0_EESA_SA_bjSA_NS7_IS8_SA_EESA_NS7_IlSA_EESA_jjPS8_PjSF_j,"axG",@progbits,_ZN2at6native6mbtopk10gatherTopKIN3c104HalfEjLi1EEEvNS_4cuda6detail10TensorInfoIKT_T0_EESA_SA_bjSA_NS7_IS8_SA_EESA_NS7_IlSA_EESA_jjPS8_PjSF_j,comdat
.Lfunc_end94:
	.size	_ZN2at6native6mbtopk10gatherTopKIN3c104HalfEjLi1EEEvNS_4cuda6detail10TensorInfoIKT_T0_EESA_SA_bjSA_NS7_IS8_SA_EESA_NS7_IlSA_EESA_jjPS8_PjSF_j, .Lfunc_end94-_ZN2at6native6mbtopk10gatherTopKIN3c104HalfEjLi1EEEvNS_4cuda6detail10TensorInfoIKT_T0_EESA_SA_bjSA_NS7_IS8_SA_EESA_NS7_IlSA_EESA_jjPS8_PjSF_j
                                        ; -- End function
	.section	.AMDGPU.csdata,"",@progbits
; Kernel info:
; codeLenInByte = 2172
; NumSgprs: 43
; NumVgprs: 24
; NumAgprs: 0
; TotalNumVgprs: 24
; ScratchSize: 0
; MemoryBound: 0
; FloatMode: 240
; IeeeMode: 1
; LDSByteSize: 1068 bytes/workgroup (compile time only)
; SGPRBlocks: 5
; VGPRBlocks: 2
; NumSGPRsForWavesPerEU: 43
; NumVGPRsForWavesPerEU: 24
; AccumOffset: 24
; Occupancy: 8
; WaveLimiterHint : 1
; COMPUTE_PGM_RSRC2:SCRATCH_EN: 0
; COMPUTE_PGM_RSRC2:USER_SGPR: 6
; COMPUTE_PGM_RSRC2:TRAP_HANDLER: 0
; COMPUTE_PGM_RSRC2:TGID_X_EN: 1
; COMPUTE_PGM_RSRC2:TGID_Y_EN: 1
; COMPUTE_PGM_RSRC2:TGID_Z_EN: 1
; COMPUTE_PGM_RSRC2:TIDIG_COMP_CNT: 0
; COMPUTE_PGM_RSRC3_GFX90A:ACCUM_OFFSET: 5
; COMPUTE_PGM_RSRC3_GFX90A:TG_SPLIT: 0
	.section	.text._ZN2at6native6sbtopk10gatherTopKIN3c104HalfEjLi1ELb0EEEvNS_4cuda6detail10TensorInfoIKT_T0_EESA_SA_bSA_SA_NS7_IS8_SA_EESA_NS7_IlSA_EESA_PS8_,"axG",@progbits,_ZN2at6native6sbtopk10gatherTopKIN3c104HalfEjLi1ELb0EEEvNS_4cuda6detail10TensorInfoIKT_T0_EESA_SA_bSA_SA_NS7_IS8_SA_EESA_NS7_IlSA_EESA_PS8_,comdat
	.protected	_ZN2at6native6sbtopk10gatherTopKIN3c104HalfEjLi1ELb0EEEvNS_4cuda6detail10TensorInfoIKT_T0_EESA_SA_bSA_SA_NS7_IS8_SA_EESA_NS7_IlSA_EESA_PS8_ ; -- Begin function _ZN2at6native6sbtopk10gatherTopKIN3c104HalfEjLi1ELb0EEEvNS_4cuda6detail10TensorInfoIKT_T0_EESA_SA_bSA_SA_NS7_IS8_SA_EESA_NS7_IlSA_EESA_PS8_
	.globl	_ZN2at6native6sbtopk10gatherTopKIN3c104HalfEjLi1ELb0EEEvNS_4cuda6detail10TensorInfoIKT_T0_EESA_SA_bSA_SA_NS7_IS8_SA_EESA_NS7_IlSA_EESA_PS8_
	.p2align	8
	.type	_ZN2at6native6sbtopk10gatherTopKIN3c104HalfEjLi1ELb0EEEvNS_4cuda6detail10TensorInfoIKT_T0_EESA_SA_bSA_SA_NS7_IS8_SA_EESA_NS7_IlSA_EESA_PS8_,@function
_ZN2at6native6sbtopk10gatherTopKIN3c104HalfEjLi1ELb0EEEvNS_4cuda6detail10TensorInfoIKT_T0_EESA_SA_bSA_SA_NS7_IS8_SA_EESA_NS7_IlSA_EESA_PS8_: ; @_ZN2at6native6sbtopk10gatherTopKIN3c104HalfEjLi1ELb0EEEvNS_4cuda6detail10TensorInfoIKT_T0_EESA_SA_bSA_SA_NS7_IS8_SA_EESA_NS7_IlSA_EESA_PS8_
; %bb.0:
	s_load_dwordx2 s[10:11], s[4:5], 0x2b8
	s_load_dwordx4 s[60:63], s[4:5], 0xd8
	s_add_u32 s2, s4, 0x2b8
	s_addc_u32 s3, s5, 0
	s_waitcnt lgkmcnt(0)
	s_mul_i32 s0, s11, s8
	s_add_i32 s0, s0, s7
	s_mul_i32 s0, s0, s10
	s_add_i32 s11, s0, s6
	s_cmp_ge_u32 s11, s63
	s_cbranch_scc1 .LBB95_411
; %bb.1:
	s_load_dwordx2 s[0:1], s[4:5], 0x1d0
                                        ; implicit-def: $vgpr54 : SGPR spill to VGPR lane
	s_mov_b32 s14, 0
	v_cmp_eq_u32_e64 s[8:9], 0, v0
	s_waitcnt lgkmcnt(0)
	v_writelane_b32 v54, s0, 0
	v_writelane_b32 v54, s1, 1
	s_load_dwordx2 s[0:1], s[4:5], 0xf0
	s_waitcnt lgkmcnt(0)
	v_writelane_b32 v54, s0, 2
	v_writelane_b32 v54, s1, 3
	s_load_dword s0, s[4:5], 0xe8
	s_waitcnt lgkmcnt(0)
	v_writelane_b32 v54, s0, 4
	s_load_dword s7, s[4:5], 0x6c
	s_load_dwordx2 s[0:1], s[4:5], 0x0
	s_mov_b64 s[12:13], exec
	v_writelane_b32 v54, s8, 5
	v_writelane_b32 v54, s9, 6
	s_and_b64 s[8:9], s[12:13], s[8:9]
	s_mov_b64 exec, s[8:9]
	s_cbranch_execz .LBB95_3
; %bb.2:
	v_mov_b32_e32 v2, 0
	v_mov_b32_e32 v3, s60
	;; [unrolled: 1-line block ×3, first 2 shown]
	ds_write_b96 v2, v[2:4] offset:4096
.LBB95_3:
	s_or_b64 exec, exec, s[12:13]
	s_load_dword s8, s[4:5], 0x23c
	s_mov_b32 s9, s14
	s_mov_b32 s12, 0
	s_waitcnt lgkmcnt(0)
	s_barrier
	v_writelane_b32 v54, s8, 7
	s_load_dword s8, s[4:5], 0x15c
	s_waitcnt lgkmcnt(0)
	v_mbcnt_lo_u32_b32 v1, -1, 0
	v_mbcnt_hi_u32_b32 v1, -1, v1
	v_cmp_gt_u32_e32 vcc, 64, v0
	v_writelane_b32 v54, s8, 8
	s_mul_i32 s8, s7, s11
	s_lshl_b64 s[8:9], s[8:9], 1
	s_add_u32 s33, s0, s8
	v_writelane_b32 v54, s11, 9
	s_addc_u32 s7, s1, s9
	v_writelane_b32 v54, s12, 10
	s_load_dword s0, s[2:3], 0xc
	s_bitcmp1_b32 s62, 0
	v_writelane_b32 v54, s13, 11
	s_cselect_b64 s[8:9], -1, 0
	v_writelane_b32 v54, s8, 12
	v_writelane_b32 v54, s9, 13
	s_xor_b64 s[8:9], s[8:9], -1
	v_writelane_b32 v54, s8, 14
	v_writelane_b32 v54, s9, 15
	s_waitcnt lgkmcnt(0)
	s_and_b32 s72, s0, 0xffff
	s_bfe_u32 s8, s0, 0xa0006
	v_cmp_gt_i32_e64 s[0:1], 4, v1
	s_lshl_b32 s73, s72, 2
	s_and_b64 s[0:1], vcc, s[0:1]
	v_writelane_b32 v54, s0, 16
	s_cmpk_gt_u32 s60, 0x600
	v_writelane_b32 v54, s1, 17
	s_cselect_b64 s[0:1], -1, 0
	v_writelane_b32 v54, s0, 18
	s_cmp_gt_u32 s72, 63
	v_writelane_b32 v54, s1, 19
	s_cselect_b64 s[0:1], -1, 0
	v_writelane_b32 v54, s0, 20
	v_writelane_b32 v54, s1, 21
	s_add_i32 s0, s72, -1
	s_add_i32 s12, s0, s60
	s_cmp_lt_u32 s6, s10
	v_writelane_b32 v54, s0, 22
	s_cselect_b32 s0, 12, 18
	s_add_u32 s0, s2, s0
	s_addc_u32 s1, s3, 0
	v_writelane_b32 v54, s0, 23
	s_add_i32 s2, s8, -2
	v_writelane_b32 v54, s1, 24
	s_lshr_b32 s0, s2, 1
	s_add_i32 s3, s0, 1
	s_cmpk_gt_u32 s72, 0x7f
	s_cselect_b64 s[0:1], -1, 0
	v_writelane_b32 v54, s0, 25
	v_writelane_b32 v54, s1, 26
	;; [unrolled: 1-line block ×3, first 2 shown]
	s_load_dword s9, s[4:5], 0xe8
	v_mov_b32_e32 v11, 0
	v_mov_b32_e32 v13, v11
	v_writelane_b32 v54, s5, 28
	v_cmp_gt_u32_e64 s[10:11], s60, v0
	s_waitcnt lgkmcnt(0)
	v_mul_lo_u32 v12, v0, s9
	v_lshlrev_b64 v[2:3], 1, v[12:13]
	v_mov_b32_e32 v17, s7
	v_add_co_u32_e32 v8, vcc, s33, v2
	v_writelane_b32 v54, s10, 29
	v_lshrrev_b32_e32 v2, 4, v0
	v_addc_co_u32_e32 v9, vcc, v17, v3, vcc
	v_writelane_b32 v54, s11, 30
	v_and_b32_e32 v18, 60, v2
	v_cmp_gt_u32_e64 s[4:5], 2, v0
	v_lshlrev_b64 v[2:3], v1, -1
	v_writelane_b32 v54, s4, 31
	v_not_b32_e32 v6, v2
	v_cvt_f32_u32_e32 v2, s73
	v_writelane_b32 v54, s5, 32
	s_and_b32 s4, s8, 0x3fe
	s_and_b32 s5, s3, 7
	s_cmp_gt_u32 s2, 13
	s_cselect_b64 s[10:11], -1, 0
	v_writelane_b32 v54, s10, 33
	v_rcp_iflag_f32_e32 v2, v2
	v_writelane_b32 v54, s11, 34
	s_and_b32 s2, s3, -8
	v_writelane_b32 v54, s2, 35
	s_cmp_lg_u32 s5, 0
	v_writelane_b32 v54, s5, 36
	s_cselect_b64 s[2:3], -1, 0
	v_writelane_b32 v54, s2, 37
	v_mul_f32_e32 v2, 0x4f7ffffe, v2
	v_writelane_b32 v54, s3, 38
	v_cvt_u32_f32_e32 v2, v2
	v_writelane_b32 v54, s8, 39
	s_cmp_lg_u32 s4, s8
	v_writelane_b32 v54, s4, 40
	s_cselect_b64 s[2:3], -1, 0
	v_writelane_b32 v54, s2, 41
	v_writelane_b32 v54, s3, 42
	s_sub_i32 s2, 0, s73
	v_readfirstlane_b32 s3, v2
	s_mul_i32 s2, s2, s3
	s_mul_hi_u32 s2, s3, s2
	s_add_i32 s2, s3, s2
	v_cvt_f32_u32_e32 v2, s72
	v_writelane_b32 v54, s2, 43
	s_mul_hi_u32 s2, s60, s2
	s_mul_i32 s2, s2, s73
	s_sub_i32 s2, s60, s2
	s_sub_i32 s3, s2, s73
	v_rcp_iflag_f32_e32 v5, v2
	s_cmp_ge_u32 s2, s73
	s_cselect_b32 s2, s3, s2
	s_sub_i32 s3, s2, s73
	s_cmp_ge_u32 s2, s73
	v_mul_f32_e32 v5, 0x4f7ffffe, v5
	s_cselect_b32 s2, s3, s2
	v_cvt_u32_f32_e32 v5, v5
	v_lshlrev_b32_e32 v16, 2, v0
	s_sub_i32 s8, s60, s2
	v_cmp_gt_u32_e64 s[4:5], s8, v16
	v_writelane_b32 v54, s4, 44
	v_writelane_b32 v54, s5, 45
	s_sub_i32 s3, 0, s72
	v_readfirstlane_b32 s5, v5
	s_mul_i32 s3, s3, s5
	s_mul_hi_u32 s3, s5, s3
	s_add_i32 s3, s5, s3
	v_writelane_b32 v54, s3, 46
	s_mul_hi_u32 s3, s12, s3
	s_mul_i32 s3, s3, s72
	s_sub_i32 s3, s12, s3
	s_sub_i32 s5, s3, s72
	v_add_u32_e32 v21, s8, v0
	s_cmp_ge_u32 s3, s72
	v_mul_lo_u32 v10, v21, s9
	s_cselect_b32 s3, s5, s3
	v_not_b32_e32 v7, v3
	v_lshlrev_b64 v[2:3], 1, v[10:11]
	s_sub_i32 s5, s3, s72
	v_add_co_u32_e32 v14, vcc, s33, v2
	s_cmp_ge_u32 s3, s72
	v_mul_lo_u32 v2, s9, v16
	s_cselect_b32 s3, s5, s3
	v_add_u32_e32 v22, s9, v2
	v_or_b32_e32 v2, 2, v16
	s_sub_i32 s74, s12, s3
	v_mul_lo_u32 v23, s9, v2
	v_or_b32_e32 v2, 3, v16
	s_add_i32 s3, s72, s60
	v_cmp_gt_u32_e64 s[4:5], s74, v0
	v_mul_lo_u32 v24, s9, v2
	v_add_u32_e32 v2, s3, v0
	v_lshlrev_b32_e32 v19, 1, v0
	v_lshlrev_b32_e32 v4, 2, v1
	v_mov_b32_e32 v10, s7
	v_writelane_b32 v54, s4, 47
	s_mul_i32 s6, s9, s72
	v_subrev_u32_e32 v2, s2, v2
	v_cmp_eq_u32_e64 s[0:1], 0, v1
	v_add_u32_e32 v20, 0xc00, v19
	v_and_b32_e32 v13, 0x100, v4
	v_cmp_gt_u32_e64 s[14:15], s60, v21
	v_addc_co_u32_e32 v15, vcc, v10, v3, vcc
	v_writelane_b32 v54, s5, 48
	s_lshl_b32 s75, s6, 2
	v_lshlrev_b32_e32 v25, 2, v12
	v_mul_lo_u32 v26, s9, v2
	v_lshlrev_b32_e32 v27, 3, v0
	s_lshl_b32 s4, s72, 3
	s_lshl_b32 s5, s72, 1
	v_or_b32_e32 v28, 0xc00, v4
	s_mov_b32 s13, 14
	s_mov_b64 s[86:87], 0
	v_mov_b32_e32 v37, s61
	s_movk_i32 s12, 0x3c00
	v_mov_b32_e32 v29, 0xffff
	v_mov_b32_e32 v30, 0x8000
	v_mov_b32_e32 v31, -1
	v_mov_b32_e32 v32, 0xc00
	v_mov_b32_e32 v33, 0x5040100
	;; [unrolled: 1-line block ×3, first 2 shown]
	s_mov_b32 s9, 0
	v_mov_b32_e32 v35, 0
	v_mov_b32_e32 v34, 0
                                        ; implicit-def: $sgpr88_sgpr89
                                        ; implicit-def: $sgpr90_sgpr91
                                        ; implicit-def: $sgpr92_sgpr93
                                        ; implicit-def: $sgpr94_sgpr95
                                        ; implicit-def: $sgpr64_sgpr65
                                        ; implicit-def: $sgpr66_sgpr67
                                        ; implicit-def: $sgpr2_sgpr3
                                        ; implicit-def: $sgpr80_sgpr81
                                        ; implicit-def: $sgpr82_sgpr83
                                        ; implicit-def: $sgpr84_sgpr85
	s_branch .LBB95_6
.LBB95_4:                               ;   in Loop: Header=BB95_6 Depth=1
	s_or_b64 exec, exec, s[22:23]
	s_andn2_b64 s[10:11], s[84:85], exec
	s_and_b64 s[20:21], s[20:21], exec
	s_or_b64 s[84:85], s[10:11], s[20:21]
	s_andn2_b64 s[82:83], s[82:83], exec
	s_andn2_b64 s[80:81], s[80:81], exec
	;; [unrolled: 1-line block ×4, first 2 shown]
	s_orn2_b64 s[18:19], s[18:19], exec
	v_mov_b32_e32 v34, v3
	v_mov_b32_e32 v35, v2
	;; [unrolled: 1-line block ×4, first 2 shown]
.LBB95_5:                               ;   in Loop: Header=BB95_6 Depth=1
	s_or_b64 exec, exec, s[16:17]
	s_and_b64 s[10:11], exec, s[18:19]
	s_or_b64 s[86:87], s[10:11], s[86:87]
	s_andn2_b64 s[10:11], s[64:65], exec
	s_and_b64 s[16:17], s[84:85], exec
	s_or_b64 s[64:65], s[10:11], s[16:17]
	s_andn2_b64 s[10:11], s[94:95], exec
	s_and_b64 s[16:17], s[82:83], exec
	;; [unrolled: 3-line block ×5, first 2 shown]
	s_or_b64 s[88:89], s[10:11], s[16:17]
	s_andn2_b64 exec, exec, s[86:87]
	s_cbranch_execz .LBB95_407
.LBB95_6:                               ; =>This Loop Header: Depth=1
                                        ;     Child Loop BB95_11 Depth 2
                                        ;     Child Loop BB95_29 Depth 2
	;; [unrolled: 1-line block ×25, first 2 shown]
	ds_read_b64 v[2:3], v11 offset:4096
	s_waitcnt lgkmcnt(0)
	v_readfirstlane_b32 s10, v2
	s_cmp_lg_u32 s10, 0
	s_cbranch_scc1 .LBB95_36
; %bb.7:                                ;   in Loop: Header=BB95_6 Depth=1
	v_readlane_b32 s10, v54, 18
	v_readlane_b32 s11, v54, 19
	s_and_b64 vcc, exec, s[10:11]
	s_cbranch_vccz .LBB95_19
; %bb.8:                                ;   in Loop: Header=BB95_6 Depth=1
	s_movk_i32 s10, 0x601
	v_cmp_gt_u32_e32 vcc, s10, v3
	s_mov_b64 s[16:17], 0
	s_mov_b64 s[18:19], 0
	s_cbranch_vccz .LBB95_20
; %bb.9:                                ;   in Loop: Header=BB95_6 Depth=1
	v_readlane_b32 s10, v54, 23
	v_readlane_b32 s11, v54, 24
	s_nop 4
	global_load_ushort v2, v11, s[10:11]
	global_load_ushort v3, v[8:9], off
	v_readlane_b32 s10, v54, 27
	v_readlane_b32 s11, v54, 28
	s_load_dword s10, s[10:11], 0xe8
	s_mov_b64 s[22:23], 0
	s_waitcnt vmcnt(1)
	v_add_u32_e32 v5, v0, v2
	s_waitcnt lgkmcnt(0)
	v_mul_lo_u32 v4, s10, v2
	v_mul_lo_u32 v10, s10, v5
	v_mov_b32_e32 v5, v0
	s_branch .LBB95_11
.LBB95_10:                              ;   in Loop: Header=BB95_11 Depth=2
	s_or_b64 exec, exec, s[20:21]
	v_add_u32_e32 v10, v10, v4
	v_mov_b32_e32 v3, v38
	s_andn2_b64 exec, exec, s[22:23]
	s_cbranch_execz .LBB95_21
.LBB95_11:                              ;   Parent Loop BB95_6 Depth=1
                                        ; =>  This Inner Loop Header: Depth=2
	v_add_u32_e32 v5, v5, v2
	v_cmp_gt_u32_e64 s[18:19], s60, v5
	v_cmp_le_u32_e32 vcc, s60, v5
	s_waitcnt lgkmcnt(0)
	v_mov_b32_e32 v39, 0
	v_mov_b32_e32 v38, 0
	s_and_saveexec_b64 s[20:21], s[18:19]
	s_cbranch_execz .LBB95_13
; %bb.12:                               ;   in Loop: Header=BB95_11 Depth=2
	v_lshlrev_b64 v[40:41], 1, v[10:11]
	v_add_co_u32_e64 v40, s[18:19], s33, v40
	v_addc_co_u32_e64 v41, s[18:19], v17, v41, s[18:19]
	global_load_ushort v38, v[40:41], off
.LBB95_13:                              ;   in Loop: Header=BB95_11 Depth=2
	s_or_b64 exec, exec, s[20:21]
	s_waitcnt vmcnt(0)
	v_cmp_lt_i16_e64 s[18:19], -1, v3
	v_cndmask_b32_e64 v40, v29, v30, s[18:19]
	v_xor_b32_sdwa v40, v40, v3 dst_sel:DWORD dst_unused:UNUSED_PAD src0_sel:DWORD src1_sel:WORD_0
	v_cmp_o_f16_e64 s[18:19], v3, v3
	v_cndmask_b32_e64 v40, v29, v40, s[18:19]
	v_and_b32_e32 v40, v40, v34
	v_cmp_eq_u32_e64 s[18:19], v40, v35
	s_cmp_lg_u64 s[18:19], 0
	s_cselect_b64 s[10:11], -1, 0
	s_and_b64 s[10:11], s[0:1], s[10:11]
	s_and_saveexec_b64 s[24:25], s[10:11]
	s_cbranch_execz .LBB95_17
; %bb.14:                               ;   in Loop: Header=BB95_11 Depth=2
	s_mov_b64 s[28:29], exec
	v_mbcnt_lo_u32_b32 v39, s28, 0
	v_mbcnt_hi_u32_b32 v39, s29, v39
	s_bcnt1_i32_b64 s10, s[18:19]
	v_cmp_eq_u32_e64 s[20:21], 0, v39
                                        ; implicit-def: $vgpr40
	s_and_saveexec_b64 s[26:27], s[20:21]
	s_cbranch_execz .LBB95_16
; %bb.15:                               ;   in Loop: Header=BB95_11 Depth=2
	s_bcnt1_i32_b64 s11, s[28:29]
	s_mul_i32 s11, s10, s11
	v_mov_b32_e32 v40, s11
	ds_add_rtn_u32 v40, v11, v40 offset:4104
.LBB95_16:                              ;   in Loop: Header=BB95_11 Depth=2
	s_or_b64 exec, exec, s[26:27]
	s_waitcnt lgkmcnt(0)
	v_readfirstlane_b32 s11, v40
	v_mov_b32_e32 v40, s11
	v_mad_u32_u24 v39, s10, v39, v40
.LBB95_17:                              ;   in Loop: Header=BB95_11 Depth=2
	s_or_b64 exec, exec, s[24:25]
	ds_bpermute_b32 v39, v13, v39
	s_and_b64 s[10:11], exec, vcc
	s_or_b64 s[22:23], s[10:11], s[22:23]
	s_and_saveexec_b64 s[20:21], s[18:19]
	s_cbranch_execz .LBB95_10
; %bb.18:                               ;   in Loop: Header=BB95_11 Depth=2
	v_and_b32_e32 v41, s18, v6
	v_and_b32_e32 v40, s19, v7
	v_bcnt_u32_b32 v41, v41, 0
	v_bcnt_u32_b32 v40, v40, v41
	v_lshlrev_b32_e32 v40, 1, v40
	s_waitcnt lgkmcnt(0)
	v_lshl_add_u32 v39, v39, 1, v40
	ds_write_b16 v39, v3
	s_branch .LBB95_10
.LBB95_19:                              ;   in Loop: Header=BB95_6 Depth=1
	s_mov_b64 s[18:19], 0
                                        ; implicit-def: $sgpr10
	s_cbranch_execnz .LBB95_24
	s_branch .LBB95_34
.LBB95_20:                              ;   in Loop: Header=BB95_6 Depth=1
	s_mov_b32 s10, 0
	s_and_b64 vcc, exec, s[16:17]
	s_cbranch_vccnz .LBB95_24
	s_branch .LBB95_34
.LBB95_21:                              ;   in Loop: Header=BB95_6 Depth=1
	s_or_b64 exec, exec, s[22:23]
	s_waitcnt lgkmcnt(0)
	s_barrier
	s_mov_b64 s[18:19], exec
	v_readlane_b32 s10, v54, 5
	v_readlane_b32 s11, v54, 6
	s_and_b64 s[10:11], s[18:19], s[10:11]
	s_mov_b64 exec, s[10:11]
	s_cbranch_execz .LBB95_23
; %bb.22:                               ;   in Loop: Header=BB95_6 Depth=1
	ds_read_b32 v2, v11 offset:4104
	s_waitcnt lgkmcnt(0)
	ds_write_b32 v11, v2 offset:4096
.LBB95_23:                              ;   in Loop: Header=BB95_6 Depth=1
	s_or_b64 exec, exec, s[18:19]
	s_waitcnt lgkmcnt(0)
	s_barrier
	s_mov_b64 s[18:19], -1
	s_mov_b32 s10, 0
	s_and_b64 vcc, exec, s[16:17]
	s_cbranch_vccz .LBB95_34
.LBB95_24:                              ;   in Loop: Header=BB95_6 Depth=1
	v_mov_b32_e32 v2, 0
	s_mov_b64 s[16:17], exec
	v_readlane_b32 s10, v54, 29
	v_readlane_b32 s11, v54, 30
	s_and_b64 s[10:11], s[16:17], s[10:11]
	s_mov_b64 exec, s[10:11]
	s_cbranch_execz .LBB95_26
; %bb.25:                               ;   in Loop: Header=BB95_6 Depth=1
	global_load_ushort v2, v[8:9], off
.LBB95_26:                              ;   in Loop: Header=BB95_6 Depth=1
	s_or_b64 exec, exec, s[16:17]
	s_mov_b64 s[16:17], exec
	v_readlane_b32 s10, v54, 29
	v_readlane_b32 s11, v54, 30
	s_and_b64 s[10:11], s[16:17], s[10:11]
	s_mov_b64 exec, s[10:11]
	s_cbranch_execz .LBB95_31
; %bb.27:                               ;   in Loop: Header=BB95_6 Depth=1
	v_readlane_b32 s10, v54, 23
	v_readlane_b32 s11, v54, 24
	s_mov_b64 s[20:21], 0
	v_mov_b32_e32 v4, v19
	v_mov_b32_e32 v39, v0
	s_nop 1
	global_load_ushort v3, v11, s[10:11]
	v_readlane_b32 s10, v54, 27
	v_readlane_b32 s11, v54, 28
	s_load_dword s10, s[10:11], 0xe8
	s_waitcnt vmcnt(0)
	v_add_u32_e32 v10, v0, v3
	v_lshlrev_b32_e32 v5, 1, v3
	s_waitcnt lgkmcnt(0)
	v_mul_lo_u32 v38, s10, v3
	v_mul_lo_u32 v10, s10, v10
	s_branch .LBB95_29
.LBB95_28:                              ;   in Loop: Header=BB95_29 Depth=2
	s_or_b64 exec, exec, s[22:23]
	s_and_b64 s[10:11], exec, vcc
	s_or_b64 s[20:21], s[10:11], s[20:21]
	ds_write_b16 v4, v2
	v_add_u32_e32 v4, v4, v5
	v_add_u32_e32 v10, v10, v38
	s_waitcnt vmcnt(0)
	v_mov_b32_e32 v2, v40
	s_andn2_b64 exec, exec, s[20:21]
	s_cbranch_execz .LBB95_31
.LBB95_29:                              ;   Parent Loop BB95_6 Depth=1
                                        ; =>  This Inner Loop Header: Depth=2
	v_add_u32_e32 v39, v39, v3
	v_cmp_gt_u32_e64 s[18:19], s60, v39
	v_cmp_le_u32_e32 vcc, s60, v39
	v_mov_b32_e32 v40, 0
	s_and_saveexec_b64 s[22:23], s[18:19]
	s_cbranch_execz .LBB95_28
; %bb.30:                               ;   in Loop: Header=BB95_29 Depth=2
	v_lshlrev_b64 v[40:41], 1, v[10:11]
	v_mov_b32_e32 v42, s7
	v_add_co_u32_e64 v40, s[18:19], s33, v40
	v_addc_co_u32_e64 v41, s[18:19], v42, v41, s[18:19]
	global_load_ushort v40, v[40:41], off
	s_branch .LBB95_28
.LBB95_31:                              ;   in Loop: Header=BB95_6 Depth=1
	s_or_b64 exec, exec, s[16:17]
	s_waitcnt lgkmcnt(0)
	s_barrier
	s_mov_b64 s[16:17], exec
	v_readlane_b32 s10, v54, 5
	v_readlane_b32 s11, v54, 6
	s_and_b64 s[10:11], s[16:17], s[10:11]
	s_mov_b64 exec, s[10:11]
	s_cbranch_execz .LBB95_33
; %bb.32:                               ;   in Loop: Header=BB95_6 Depth=1
	s_waitcnt vmcnt(0)
	v_mov_b32_e32 v2, s60
	ds_write_b32 v11, v2 offset:4096
.LBB95_33:                              ;   in Loop: Header=BB95_6 Depth=1
	s_or_b64 exec, exec, s[16:17]
	s_mov_b64 s[18:19], -1
	s_waitcnt lgkmcnt(0)
	s_barrier
                                        ; implicit-def: $sgpr10
.LBB95_34:                              ;   in Loop: Header=BB95_6 Depth=1
	s_and_b64 vcc, exec, s[18:19]
	s_cbranch_vccz .LBB95_36
; %bb.35:                               ;   in Loop: Header=BB95_6 Depth=1
	s_waitcnt vmcnt(0)
	ds_read_b32 v2, v11 offset:4096
	s_waitcnt lgkmcnt(0)
	v_readfirstlane_b32 s10, v2
.LBB95_36:                              ;   in Loop: Header=BB95_6 Depth=1
	s_cmp_lt_i32 s10, 1
	s_cbranch_scc0 .LBB95_48
; %bb.37:                               ;   in Loop: Header=BB95_6 Depth=1
	s_waitcnt vmcnt(0)
	v_mov_b32_e32 v2, 0
	s_mov_b32 s11, 0
	v_mov_b32_e32 v3, 0
	v_mov_b32_e32 v4, v2
	;; [unrolled: 1-line block ×3, first 2 shown]
	s_mov_b64 s[48:49], exec
	v_readlane_b32 s16, v54, 44
	v_readlane_b32 s17, v54, 45
	s_and_b64 s[16:17], s[48:49], s[16:17]
	s_mov_b64 exec, s[16:17]
	s_cbranch_execz .LBB95_41
; %bb.38:                               ;   in Loop: Header=BB95_6 Depth=1
	s_and_b32 s16, s13, 0xfe
	s_mov_b64 s[50:51], 0
	s_mov_b32 s17, 0
	s_mov_b32 s52, 0
	;; [unrolled: 1-line block ×4, first 2 shown]
	v_mov_b32_e32 v38, v16
.LBB95_39:                              ;   Parent Loop BB95_6 Depth=1
                                        ; =>  This Inner Loop Header: Depth=2
	v_add_u32_e32 v10, s11, v25
	v_lshlrev_b64 v[2:3], 1, v[10:11]
	v_mov_b32_e32 v39, s7
	v_add_u32_e32 v10, s11, v22
	v_add_co_u32_e64 v2, s[18:19], s33, v2
	v_lshlrev_b64 v[4:5], 1, v[10:11]
	v_addc_co_u32_e64 v3, s[18:19], v39, v3, s[18:19]
	v_add_u32_e32 v10, s11, v23
	global_load_ushort v42, v[2:3], off
	v_add_co_u32_e64 v2, s[18:19], s33, v4
	v_lshlrev_b64 v[40:41], 1, v[10:11]
	v_add_u32_e32 v10, s11, v24
	v_addc_co_u32_e64 v3, s[18:19], v39, v5, s[18:19]
	v_lshlrev_b64 v[4:5], 1, v[10:11]
	global_load_ushort v10, v[2:3], off
	v_add_co_u32_e64 v2, s[18:19], s33, v40
	v_addc_co_u32_e64 v3, s[18:19], v39, v41, s[18:19]
	global_load_ushort v40, v[2:3], off
	v_add_co_u32_e64 v2, s[18:19], s33, v4
	v_addc_co_u32_e64 v3, s[18:19], v39, v5, s[18:19]
	global_load_ushort v2, v[2:3], off
	v_add_u32_e32 v38, s73, v38
	v_cmp_le_u32_e32 vcc, s8, v38
	s_add_i32 s11, s11, s75
	s_waitcnt vmcnt(3)
	v_cmp_lt_i16_e64 s[18:19], -1, v42
	v_cndmask_b32_e64 v3, v29, v30, s[18:19]
	v_xor_b32_sdwa v3, v3, v42 dst_sel:DWORD dst_unused:UNUSED_PAD src0_sel:DWORD src1_sel:WORD_0
	s_waitcnt vmcnt(2)
	v_cmp_lt_i16_e64 s[18:19], -1, v10
	v_cndmask_b32_e64 v4, v29, v30, s[18:19]
	v_cmp_o_f16_e64 s[18:19], v42, v42
	v_cndmask_b32_e64 v3, v29, v3, s[18:19]
	v_xor_b32_sdwa v4, v4, v10 dst_sel:DWORD dst_unused:UNUSED_PAD src0_sel:DWORD src1_sel:WORD_0
	s_waitcnt vmcnt(1)
	v_cmp_lt_i16_e64 s[18:19], -1, v40
	v_cndmask_b32_e64 v5, v29, v30, s[18:19]
	v_cmp_o_f16_e64 s[18:19], v10, v10
	v_cndmask_b32_e64 v4, v29, v4, s[18:19]
	v_xor_b32_sdwa v5, v5, v40 dst_sel:DWORD dst_unused:UNUSED_PAD src0_sel:DWORD src1_sel:WORD_0
	s_waitcnt vmcnt(0)
	v_cmp_lt_i16_e64 s[18:19], -1, v2
	v_cndmask_b32_e64 v10, v29, v30, s[18:19]
	v_and_b32_e32 v39, v3, v34
	v_bfe_u32 v3, v3, s16, 2
	v_cmp_o_f16_e64 s[18:19], v40, v40
	v_cndmask_b32_e64 v5, v29, v5, s[18:19]
	v_cmp_eq_u32_e64 s[18:19], v39, v35
	v_cmp_eq_u32_e64 s[20:21], 0, v3
	v_and_b32_e32 v39, v4, v34
	v_bfe_u32 v4, v4, s16, 2
	v_cmp_eq_u32_e64 s[22:23], 1, v3
	s_and_b64 s[20:21], s[18:19], s[20:21]
	v_xor_b32_sdwa v10, v10, v2 dst_sel:DWORD dst_unused:UNUSED_PAD src0_sel:DWORD src1_sel:WORD_0
	v_cmp_eq_u32_e64 s[24:25], 2, v3
	v_cmp_eq_u32_e64 s[26:27], 3, v3
	v_cmp_o_f16_e64 s[28:29], v2, v2
	v_cmp_eq_u32_e64 s[30:31], 0, v4
	v_cmp_eq_u32_e64 s[34:35], 1, v4
	v_cmp_eq_u32_e64 s[36:37], 2, v4
	v_cmp_eq_u32_e64 s[38:39], 3, v4
	v_cndmask_b32_e64 v4, 0, 1, s[20:21]
	s_and_b64 s[20:21], s[18:19], s[22:23]
	v_cndmask_b32_e64 v2, v29, v10, s[28:29]
	v_cmp_eq_u32_e64 s[28:29], v39, v35
	v_and_b32_e32 v3, v5, v34
	v_bfe_u32 v5, v5, s16, 2
	v_cndmask_b32_e64 v10, 0, 1, s[20:21]
	s_and_b64 s[20:21], s[18:19], s[24:25]
	s_and_b64 s[18:19], s[18:19], s[26:27]
	v_cndmask_b32_e64 v39, 0, 1, s[20:21]
	v_cndmask_b32_e64 v40, 0, 1, s[18:19]
	v_cmp_eq_u32_e64 s[18:19], v3, v35
	v_and_b32_e32 v3, v2, v34
	v_bfe_u32 v2, v2, s16, 2
	v_cmp_eq_u32_e64 s[20:21], 0, v5
	s_and_b64 s[30:31], s[28:29], s[30:31]
	s_and_b64 s[34:35], s[28:29], s[34:35]
	;; [unrolled: 1-line block ×4, first 2 shown]
	v_cmp_eq_u32_e64 s[22:23], 1, v5
	v_cmp_eq_u32_e64 s[24:25], 2, v5
	;; [unrolled: 1-line block ×3, first 2 shown]
	v_cndmask_b32_e64 v5, 0, 1, s[34:35]
	v_cmp_ne_u32_e64 s[34:35], 0, v39
	v_cndmask_b32_e64 v39, 0, 1, s[28:29]
	v_cmp_eq_u32_e64 s[28:29], v3, v35
	v_cmp_eq_u32_e64 s[38:39], 0, v2
	s_and_b64 s[20:21], s[18:19], s[20:21]
	v_cmp_eq_u32_e64 s[42:43], 1, v2
	v_cmp_eq_u32_e64 s[44:45], 2, v2
	;; [unrolled: 1-line block ×3, first 2 shown]
	v_cndmask_b32_e64 v2, 0, 1, s[20:21]
	s_and_b64 s[22:23], s[18:19], s[22:23]
	s_and_b64 s[24:25], s[18:19], s[24:25]
	;; [unrolled: 1-line block ×4, first 2 shown]
	v_cmp_ne_u32_e64 s[40:41], 0, v4
	v_cndmask_b32_e64 v4, 0, 1, s[30:31]
	v_cmp_ne_u32_e64 s[30:31], 0, v10
	v_cndmask_b32_e64 v10, 0, 1, s[36:37]
	v_cmp_ne_u32_e64 s[36:37], 0, v40
	v_cmp_ne_u32_e64 s[20:21], 0, v5
	v_cndmask_b32_e64 v3, 0, 1, s[22:23]
	v_cndmask_b32_e64 v5, 0, 1, s[18:19]
	v_cmp_ne_u32_e64 s[18:19], 0, v2
	v_cndmask_b32_e64 v2, 0, 1, s[26:27]
	s_and_b64 s[26:27], s[28:29], s[42:43]
	s_bcnt1_i32_b64 s55, s[40:41]
	v_cmp_ne_u32_e64 s[40:41], 0, v4
	s_bcnt1_i32_b64 s30, s[30:31]
	s_bcnt1_i32_b64 s31, s[34:35]
	v_cmp_ne_u32_e64 s[22:23], 0, v10
	v_cndmask_b32_e64 v4, 0, 1, s[24:25]
	s_bcnt1_i32_b64 s34, s[36:37]
	s_bcnt1_i32_b64 s37, s[20:21]
	v_cmp_ne_u32_e64 s[20:21], 0, v3
	v_cndmask_b32_e64 v3, 0, 1, s[26:27]
	s_and_b64 s[26:27], s[28:29], s[44:45]
	v_cmp_ne_u32_e64 s[24:25], 0, v39
	s_bcnt1_i32_b64 s38, s[22:23]
	v_cmp_ne_u32_e64 s[22:23], 0, v4
	v_cndmask_b32_e64 v4, 0, 1, s[26:27]
	s_and_b64 s[26:27], s[28:29], s[46:47]
	s_bcnt1_i32_b64 s35, s[40:41]
	s_add_i32 s36, s54, s55
	s_add_i32 s30, s53, s30
	;; [unrolled: 1-line block ×3, first 2 shown]
	s_bcnt1_i32_b64 s39, s[24:25]
	v_cmp_ne_u32_e64 s[24:25], 0, v5
	v_cndmask_b32_e64 v5, 0, 1, s[26:27]
	s_add_i32 s17, s17, s34
	s_bcnt1_i32_b64 s26, s[18:19]
	v_cmp_ne_u32_e64 s[18:19], 0, v2
	s_add_i32 s27, s36, s35
	s_bcnt1_i32_b64 s28, s[20:21]
	v_cmp_ne_u32_e64 s[20:21], 0, v3
	;; [unrolled: 3-line block ×4, first 2 shown]
	s_add_i32 s17, s17, s39
	s_bcnt1_i32_b64 s18, s[18:19]
	s_add_i32 s19, s27, s26
	s_bcnt1_i32_b64 s20, s[20:21]
	s_add_i32 s21, s29, s28
	s_bcnt1_i32_b64 s22, s[22:23]
	s_add_i32 s23, s31, s30
	s_bcnt1_i32_b64 s24, s[24:25]
	s_add_i32 s17, s17, s34
	s_add_i32 s54, s19, s18
	;; [unrolled: 1-line block ×5, first 2 shown]
	s_or_b64 s[50:51], vcc, s[50:51]
	v_mov_b32_e32 v2, s54
	v_mov_b32_e32 v3, s53
	;; [unrolled: 1-line block ×4, first 2 shown]
	s_andn2_b64 exec, exec, s[50:51]
	s_cbranch_execnz .LBB95_39
; %bb.40:                               ;   in Loop: Header=BB95_6 Depth=1
	s_or_b64 exec, exec, s[50:51]
.LBB95_41:                              ;   in Loop: Header=BB95_6 Depth=1
	s_or_b64 exec, exec, s[48:49]
	v_mov_b32_e32 v38, 0
	s_and_saveexec_b64 s[16:17], s[14:15]
	s_cbranch_execz .LBB95_43
; %bb.42:                               ;   in Loop: Header=BB95_6 Depth=1
	global_load_ushort v38, v[14:15], off
.LBB95_43:                              ;   in Loop: Header=BB95_6 Depth=1
	s_or_b64 exec, exec, s[16:17]
	s_mov_b64 s[16:17], 0
	s_mov_b64 s[76:77], 0
	s_and_saveexec_b64 s[20:21], s[14:15]
	s_cbranch_execz .LBB95_50
; %bb.44:                               ;   in Loop: Header=BB95_6 Depth=1
	s_and_b32 s11, s13, 0xfe
	s_mov_b64 s[22:23], 0
	v_mov_b32_e32 v10, v26
	v_mov_b32_e32 v39, v21
	s_branch .LBB95_46
.LBB95_45:                              ;   in Loop: Header=BB95_46 Depth=2
	s_or_b64 exec, exec, s[24:25]
	s_and_b64 s[18:19], exec, vcc
	s_waitcnt vmcnt(0)
	v_cmp_lt_i16_e32 vcc, -1, v38
	v_cndmask_b32_e32 v41, v29, v30, vcc
	v_xor_b32_sdwa v41, v41, v38 dst_sel:DWORD dst_unused:UNUSED_PAD src0_sel:DWORD src1_sel:WORD_0
	v_cmp_o_f16_e32 vcc, v38, v38
	v_cndmask_b32_e32 v38, v29, v41, vcc
	v_and_b32_e32 v41, v38, v34
	v_bfe_u32 v38, v38, s11, 2
	s_or_b64 s[22:23], s[18:19], s[22:23]
	v_cmp_eq_u32_e32 vcc, v41, v35
	v_cmp_eq_u32_e64 s[18:19], 0, v38
	s_and_b64 s[18:19], vcc, s[18:19]
	v_cndmask_b32_e64 v41, 0, 1, s[18:19]
	v_cmp_ne_u32_e64 s[18:19], 0, v41
	s_bcnt1_i32_b64 s18, s[18:19]
	v_add_u32_e32 v2, s18, v2
	v_cmp_eq_u32_e64 s[18:19], 1, v38
	s_and_b64 s[18:19], vcc, s[18:19]
	v_cndmask_b32_e64 v41, 0, 1, s[18:19]
	v_cmp_ne_u32_e64 s[18:19], 0, v41
	s_bcnt1_i32_b64 s18, s[18:19]
	v_add_u32_e32 v3, s18, v3
	;; [unrolled: 6-line block ×3, first 2 shown]
	v_cmp_eq_u32_e64 s[18:19], 3, v38
	s_and_b64 s[18:19], vcc, s[18:19]
	v_cndmask_b32_e64 v38, 0, 1, s[18:19]
	v_cmp_ne_u32_e32 vcc, 0, v38
	s_bcnt1_i32_b64 s18, vcc
	v_add_u32_e32 v5, s18, v5
	v_add_u32_e32 v10, s6, v10
	v_mov_b32_e32 v38, v40
	s_andn2_b64 exec, exec, s[22:23]
	s_cbranch_execz .LBB95_49
.LBB95_46:                              ;   Parent Loop BB95_6 Depth=1
                                        ; =>  This Inner Loop Header: Depth=2
	v_add_u32_e32 v39, s72, v39
	v_cmp_gt_u32_e64 s[18:19], s60, v39
	v_cmp_le_u32_e32 vcc, s60, v39
	v_mov_b32_e32 v40, 0
	s_and_saveexec_b64 s[24:25], s[18:19]
	s_cbranch_execz .LBB95_45
; %bb.47:                               ;   in Loop: Header=BB95_46 Depth=2
	v_lshlrev_b64 v[40:41], 1, v[10:11]
	v_mov_b32_e32 v42, s7
	v_add_co_u32_e64 v40, s[18:19], s33, v40
	v_addc_co_u32_e64 v41, s[18:19], v42, v41, s[18:19]
	global_load_ushort v40, v[40:41], off
	s_branch .LBB95_45
.LBB95_48:                              ;   in Loop: Header=BB95_6 Depth=1
	s_mov_b64 s[76:77], 0
                                        ; implicit-def: $vgpr5
	s_cbranch_execnz .LBB95_51
	s_branch .LBB95_60
.LBB95_49:                              ;   in Loop: Header=BB95_6 Depth=1
	s_or_b64 exec, exec, s[22:23]
	s_mov_b64 s[76:77], exec
.LBB95_50:                              ;   in Loop: Header=BB95_6 Depth=1
	s_or_b64 exec, exec, s[20:21]
	s_and_b64 vcc, exec, s[16:17]
	s_cbranch_vccz .LBB95_60
.LBB95_51:                              ;   in Loop: Header=BB95_6 Depth=1
	v_readlane_b32 s11, v54, 43
	s_mul_hi_u32 s11, s10, s11
	s_mul_i32 s11, s11, s73
	s_sub_i32 s11, s10, s11
	s_sub_i32 s16, s11, s73
	s_cmp_ge_u32 s11, s73
	s_cselect_b32 s11, s16, s11
	s_sub_i32 s16, s11, s73
	s_cmp_ge_u32 s11, s73
	s_cselect_b32 s11, s16, s11
	s_sub_i32 s11, s10, s11
	v_cmp_gt_u32_e32 vcc, s11, v16
	s_mov_b32 s63, 0
	s_waitcnt vmcnt(0)
	v_mov_b32_e32 v2, 0
	v_mov_b32_e32 v3, 0
	;; [unrolled: 1-line block ×4, first 2 shown]
	s_and_saveexec_b64 s[78:79], vcc
	s_cbranch_execz .LBB95_55
; %bb.52:                               ;   in Loop: Header=BB95_6 Depth=1
	s_and_b32 s62, s13, 0xfe
	s_mov_b64 s[16:17], 0
	v_mov_b32_e32 v10, v27
	s_mov_b32 s68, 0
	s_mov_b32 s69, 0
	;; [unrolled: 1-line block ×3, first 2 shown]
	v_mov_b32_e32 v38, v16
.LBB95_53:                              ;   Parent Loop BB95_6 Depth=1
                                        ; =>  This Inner Loop Header: Depth=2
	ds_read_b64 v[2:3], v10
	v_add_u32_e32 v38, s73, v38
	v_cmp_le_u32_e32 vcc, s11, v38
	v_add_u32_e32 v10, s4, v10
	s_waitcnt lgkmcnt(0)
	v_cmp_lt_i16_e64 s[18:19], -1, v2
	v_cndmask_b32_e64 v4, v29, v30, s[18:19]
	v_cmp_gt_i16_sdwa s[18:19], v2, v31 src0_sel:WORD_1 src1_sel:DWORD
	v_cndmask_b32_e64 v5, v29, v30, s[18:19]
	v_cmp_lt_i16_e64 s[18:19], -1, v3
	v_cndmask_b32_e64 v39, v29, v30, s[18:19]
	v_cmp_gt_i16_sdwa s[18:19], v3, v31 src0_sel:WORD_1 src1_sel:DWORD
	v_cndmask_b32_e64 v40, v29, v30, s[18:19]
	v_xor_b32_sdwa v39, v39, v3 dst_sel:DWORD dst_unused:UNUSED_PAD src0_sel:DWORD src1_sel:WORD_0
	v_cmp_o_f16_e64 s[20:21], v3, v3
	v_xor_b32_sdwa v40, v40, v3 dst_sel:DWORD dst_unused:UNUSED_PAD src0_sel:DWORD src1_sel:WORD_1
	v_cmp_o_f16_sdwa s[22:23], v3, v3 src0_sel:WORD_1 src1_sel:WORD_1
	v_xor_b32_sdwa v3, v4, v2 dst_sel:DWORD dst_unused:UNUSED_PAD src0_sel:DWORD src1_sel:WORD_0
	v_cmp_o_f16_e64 s[24:25], v2, v2
	v_xor_b32_sdwa v5, v5, v2 dst_sel:DWORD dst_unused:UNUSED_PAD src0_sel:DWORD src1_sel:WORD_1
	v_cmp_o_f16_sdwa s[18:19], v2, v2 src0_sel:WORD_1 src1_sel:WORD_1
	v_cndmask_b32_e64 v2, v29, v3, s[24:25]
	v_cndmask_b32_e64 v3, v29, v5, s[18:19]
	;; [unrolled: 1-line block ×3, first 2 shown]
	v_and_b32_e32 v39, v2, v34
	v_bfe_u32 v2, v2, s62, 2
	v_cndmask_b32_e64 v5, v29, v40, s[22:23]
	v_and_b32_e32 v40, v3, v34
	v_bfe_u32 v3, v3, s62, 2
	v_cmp_eq_u32_e64 s[18:19], v39, v35
	v_cmp_eq_u32_e64 s[26:27], 0, v2
	v_and_b32_e32 v41, v4, v34
	v_bfe_u32 v4, v4, s62, 2
	v_cmp_eq_u32_e64 s[20:21], v40, v35
	v_cmp_eq_u32_e64 s[28:29], 0, v3
	s_and_b64 s[26:27], s[18:19], s[26:27]
	v_and_b32_e32 v42, v5, v34
	v_bfe_u32 v5, v5, s62, 2
	v_cmp_eq_u32_e64 s[22:23], v41, v35
	v_cmp_eq_u32_e64 s[30:31], 0, v4
	;; [unrolled: 1-line block ×5, first 2 shown]
	v_cndmask_b32_e64 v2, 0, 1, s[26:27]
	s_and_b64 s[26:27], s[20:21], s[28:29]
	v_cmp_eq_u32_e64 s[24:25], v42, v35
	v_cmp_eq_u32_e64 s[34:35], 0, v5
	;; [unrolled: 1-line block ×5, first 2 shown]
	v_cndmask_b32_e64 v3, 0, 1, s[26:27]
	s_and_b64 s[26:27], s[22:23], s[30:31]
	v_cmp_eq_u32_e64 s[40:41], 1, v4
	v_cmp_eq_u32_e64 s[48:49], 2, v4
	;; [unrolled: 1-line block ×3, first 2 shown]
	v_cndmask_b32_e64 v4, 0, 1, s[26:27]
	s_and_b64 s[26:27], s[24:25], s[34:35]
	v_cmp_eq_u32_e64 s[42:43], 1, v5
	v_cmp_eq_u32_e64 s[50:51], 2, v5
	;; [unrolled: 1-line block ×3, first 2 shown]
	v_cndmask_b32_e64 v5, 0, 1, s[26:27]
	s_and_b64 s[26:27], s[18:19], s[36:37]
	v_cndmask_b32_e64 v39, 0, 1, s[26:27]
	s_and_b64 s[26:27], s[20:21], s[38:39]
	;; [unrolled: 2-line block ×5, first 2 shown]
	s_and_b64 s[18:19], s[18:19], s[52:53]
	v_cndmask_b32_e64 v43, 0, 1, s[26:27]
	s_and_b64 s[26:27], s[20:21], s[46:47]
	v_cndmask_b32_e64 v47, 0, 1, s[18:19]
	;; [unrolled: 2-line block ×7, first 2 shown]
	v_cndmask_b32_e64 v50, 0, 1, s[18:19]
	v_cmp_ne_u32_e64 s[18:19], 0, v2
	v_cmp_ne_u32_e64 s[20:21], 0, v3
	;; [unrolled: 1-line block ×11, first 2 shown]
	s_bcnt1_i32_b64 s18, s[18:19]
	s_bcnt1_i32_b64 s19, s[20:21]
	s_bcnt1_i32_b64 s20, s[22:23]
	s_bcnt1_i32_b64 s21, s[24:25]
	s_bcnt1_i32_b64 s22, s[26:27]
	s_bcnt1_i32_b64 s24, s[30:31]
	s_bcnt1_i32_b64 s26, s[36:37]
	s_bcnt1_i32_b64 s30, s[44:45]
	v_cmp_ne_u32_e64 s[34:35], 0, v42
	v_cmp_ne_u32_e64 s[40:41], 0, v45
	;; [unrolled: 1-line block ×3, first 2 shown]
	s_bcnt1_i32_b64 s23, s[28:29]
	s_bcnt1_i32_b64 s27, s[38:39]
	;; [unrolled: 1-line block ×3, first 2 shown]
	s_add_i32 s18, s70, s18
	s_add_i32 s22, s69, s22
	;; [unrolled: 1-line block ×4, first 2 shown]
	v_cmp_ne_u32_e64 s[42:43], 0, v46
	v_cmp_ne_u32_e64 s[50:51], 0, v50
	s_bcnt1_i32_b64 s25, s[34:35]
	s_bcnt1_i32_b64 s28, s[40:41]
	;; [unrolled: 1-line block ×3, first 2 shown]
	s_add_i32 s18, s18, s19
	s_add_i32 s19, s22, s23
	;; [unrolled: 1-line block ×4, first 2 shown]
	s_bcnt1_i32_b64 s29, s[42:43]
	s_bcnt1_i32_b64 s35, s[50:51]
	s_add_i32 s18, s18, s20
	s_add_i32 s19, s19, s24
	;; [unrolled: 1-line block ×8, first 2 shown]
	s_or_b64 s[16:17], vcc, s[16:17]
	v_mov_b32_e32 v2, s70
	v_mov_b32_e32 v3, s69
	v_mov_b32_e32 v4, s68
	v_mov_b32_e32 v5, s63
	s_andn2_b64 exec, exec, s[16:17]
	s_cbranch_execnz .LBB95_53
; %bb.54:                               ;   in Loop: Header=BB95_6 Depth=1
	s_or_b64 exec, exec, s[16:17]
.LBB95_55:                              ;   in Loop: Header=BB95_6 Depth=1
	s_or_b64 exec, exec, s[78:79]
	v_add_u32_e32 v10, s11, v0
	v_cmp_gt_u32_e32 vcc, s10, v10
	s_and_saveexec_b64 s[16:17], vcc
	s_cbranch_execz .LBB95_59
; %bb.56:                               ;   in Loop: Header=BB95_6 Depth=1
	s_and_b32 s11, s13, 0xfe
	v_lshlrev_b32_e32 v38, 1, v10
	s_mov_b64 s[28:29], 0
.LBB95_57:                              ;   Parent Loop BB95_6 Depth=1
                                        ; =>  This Inner Loop Header: Depth=2
	ds_read_u16 v39, v38
	v_add_u32_e32 v10, s72, v10
	v_cmp_le_u32_e32 vcc, s10, v10
	v_add_u32_e32 v38, s5, v38
	s_waitcnt lgkmcnt(0)
	v_cmp_lt_i16_e64 s[18:19], -1, v39
	v_cndmask_b32_e64 v40, v29, v30, s[18:19]
	v_xor_b32_sdwa v40, v40, v39 dst_sel:DWORD dst_unused:UNUSED_PAD src0_sel:DWORD src1_sel:WORD_0
	v_cmp_o_f16_e64 s[18:19], v39, v39
	v_cndmask_b32_e64 v39, v29, v40, s[18:19]
	v_and_b32_e32 v40, v39, v34
	v_bfe_u32 v39, v39, s11, 2
	v_cmp_eq_u32_e64 s[18:19], v40, v35
	v_cmp_eq_u32_e64 s[20:21], 0, v39
	;; [unrolled: 1-line block ×3, first 2 shown]
	s_and_b64 s[20:21], s[18:19], s[20:21]
	v_cmp_eq_u32_e64 s[24:25], 2, v39
	v_cmp_eq_u32_e64 s[26:27], 3, v39
	v_cndmask_b32_e64 v39, 0, 1, s[20:21]
	s_and_b64 s[20:21], s[18:19], s[22:23]
	v_cndmask_b32_e64 v40, 0, 1, s[20:21]
	s_and_b64 s[20:21], s[18:19], s[24:25]
	s_and_b64 s[18:19], s[18:19], s[26:27]
	v_cndmask_b32_e64 v41, 0, 1, s[20:21]
	v_cndmask_b32_e64 v42, 0, 1, s[18:19]
	v_cmp_ne_u32_e64 s[18:19], 0, v39
	v_cmp_ne_u32_e64 s[20:21], 0, v40
	;; [unrolled: 1-line block ×4, first 2 shown]
	s_bcnt1_i32_b64 s18, s[18:19]
	s_bcnt1_i32_b64 s19, s[20:21]
	;; [unrolled: 1-line block ×4, first 2 shown]
	v_add_u32_e32 v2, s18, v2
	v_add_u32_e32 v3, s19, v3
	;; [unrolled: 1-line block ×3, first 2 shown]
	s_or_b64 s[28:29], vcc, s[28:29]
	v_add_u32_e32 v5, s21, v5
	s_andn2_b64 exec, exec, s[28:29]
	s_cbranch_execnz .LBB95_57
; %bb.58:                               ;   in Loop: Header=BB95_6 Depth=1
	s_or_b64 exec, exec, s[28:29]
	s_or_b64 s[76:77], s[76:77], exec
.LBB95_59:                              ;   in Loop: Header=BB95_6 Depth=1
	s_or_b64 exec, exec, s[16:17]
.LBB95_60:                              ;   in Loop: Header=BB95_6 Depth=1
	s_and_saveexec_b64 s[16:17], s[76:77]
	s_or_b64 exec, exec, s[16:17]
	s_lshl_b32 s10, s9, 6
	s_and_saveexec_b64 s[16:17], s[0:1]
	s_cbranch_execz .LBB95_62
; %bb.61:                               ;   in Loop: Header=BB95_6 Depth=1
	v_or_b32_e32 v10, s10, v18
	v_lshlrev_b32_e32 v10, 2, v10
	s_waitcnt vmcnt(0)
	ds_write_b128 v10, v[2:5] offset:3072
.LBB95_62:                              ;   in Loop: Header=BB95_6 Depth=1
	s_or_b64 exec, exec, s[16:17]
	s_waitcnt lgkmcnt(0)
	s_barrier
	s_mov_b64 s[16:17], exec
	v_readlane_b32 s18, v54, 16
	v_readlane_b32 s19, v54, 17
	s_and_b64 s[18:19], s[16:17], s[18:19]
	s_mov_b64 exec, s[18:19]
	s_cbranch_execz .LBB95_76
; %bb.63:                               ;   in Loop: Header=BB95_6 Depth=1
	v_readlane_b32 s18, v54, 20
	v_readlane_b32 s19, v54, 21
	v_add_u32_e32 v4, s10, v1
	s_andn2_b64 vcc, exec, s[18:19]
	s_waitcnt vmcnt(0)
	v_mov_b32_e32 v2, 0
	s_cbranch_vccnz .LBB95_75
; %bb.64:                               ;   in Loop: Header=BB95_6 Depth=1
	v_readlane_b32 s18, v54, 25
	v_readlane_b32 s19, v54, 26
	s_mov_b32 s11, 0
	s_and_b64 vcc, exec, s[18:19]
	v_mov_b32_e32 v2, 0
	s_cbranch_vccz .LBB95_68
; %bb.65:                               ;   in Loop: Header=BB95_6 Depth=1
	v_readlane_b32 s20, v54, 33
	v_readlane_b32 s18, v54, 10
	;; [unrolled: 1-line block ×3, first 2 shown]
	v_lshl_add_u32 v5, v4, 2, v32
	v_readlane_b32 s19, v54, 11
	s_andn2_b64 vcc, exec, s[20:21]
	s_cbranch_vccnz .LBB95_69
; %bb.66:                               ;   in Loop: Header=BB95_6 Depth=1
	v_writelane_b32 v54, s18, 10
	v_writelane_b32 v54, s19, 11
	s_mov_b32 s19, 1
	s_mov_b32 s18, 0
	v_mov_b32_e32 v2, 0
	v_readlane_b32 s11, v54, 35
	v_mov_b32_e32 v3, 0
.LBB95_67:                              ;   Parent Loop BB95_6 Depth=1
                                        ; =>  This Inner Loop Header: Depth=2
	v_lshl_add_u32 v10, s18, 4, v5
	v_lshl_add_u32 v52, s19, 4, v5
	ds_read2_b32 v[38:39], v10 offset1:8
	ds_read2_b32 v[40:41], v52 offset1:8
	ds_read2_b32 v[42:43], v10 offset0:16 offset1:24
	ds_read2_b32 v[44:45], v52 offset0:16 offset1:24
	;; [unrolled: 1-line block ×6, first 2 shown]
	s_waitcnt lgkmcnt(7)
	v_add3_u32 v2, v38, v2, v39
	s_waitcnt lgkmcnt(6)
	v_add3_u32 v3, v40, v3, v41
	s_waitcnt lgkmcnt(4)
	v_add3_u32 v3, v44, v3, v45
	v_add3_u32 v2, v42, v2, v43
	s_add_i32 s19, s19, 16
	s_add_i32 s18, s18, 16
	s_add_i32 s11, s11, -8
	s_waitcnt lgkmcnt(3)
	v_add3_u32 v2, v46, v2, v47
	s_waitcnt lgkmcnt(2)
	v_add3_u32 v3, v48, v3, v49
	s_cmp_lg_u32 s11, 0
	s_waitcnt lgkmcnt(0)
	v_add3_u32 v3, v52, v3, v53
	v_add3_u32 v2, v50, v2, v51
	s_cbranch_scc1 .LBB95_67
	s_branch .LBB95_70
.LBB95_68:                              ;   in Loop: Header=BB95_6 Depth=1
	s_cbranch_execnz .LBB95_73
	s_branch .LBB95_75
.LBB95_69:                              ;   in Loop: Header=BB95_6 Depth=1
	s_mov_b32 s20, s18
	s_mov_b32 s19, s18
	v_writelane_b32 v54, s20, 10
	v_pk_mov_b32 v[2:3], s[18:19], s[18:19] op_sel:[0,1]
	s_mov_b32 s19, 1
	v_writelane_b32 v54, s21, 11
.LBB95_70:                              ;   in Loop: Header=BB95_6 Depth=1
	v_readlane_b32 s20, v54, 37
	v_readlane_b32 s21, v54, 38
	s_andn2_b64 vcc, exec, s[20:21]
	v_readlane_b32 s11, v54, 36
	s_cbranch_vccnz .LBB95_72
.LBB95_71:                              ;   Parent Loop BB95_6 Depth=1
                                        ; =>  This Inner Loop Header: Depth=2
	v_lshl_add_u32 v10, s18, 4, v5
	v_lshl_add_u32 v38, s19, 4, v5
	ds_read_b32 v38, v38
	ds_read_b32 v10, v10
	s_add_i32 s19, s19, 2
	s_add_i32 s18, s18, 2
	s_add_i32 s11, s11, -1
	s_cmp_lg_u32 s11, 0
	s_waitcnt lgkmcnt(1)
	v_add_u32_e32 v3, v38, v3
	s_waitcnt lgkmcnt(0)
	v_add_u32_e32 v2, v10, v2
	s_cbranch_scc1 .LBB95_71
.LBB95_72:                              ;   in Loop: Header=BB95_6 Depth=1
	v_readlane_b32 s18, v54, 41
	v_add_u32_e32 v2, v2, v3
	v_readlane_b32 s11, v54, 40
	v_readlane_b32 s19, v54, 42
	s_and_b64 vcc, exec, s[18:19]
	s_cbranch_vccz .LBB95_75
.LBB95_73:                              ;   in Loop: Header=BB95_6 Depth=1
	s_lshl_b32 s18, s9, 8
	s_lshl_b32 s19, s11, 4
	s_add_i32 s18, s18, s19
	v_add_u32_e32 v3, s18, v28
	v_readlane_b32 s18, v54, 39
	s_sub_i32 s11, s18, s11
.LBB95_74:                              ;   Parent Loop BB95_6 Depth=1
                                        ; =>  This Inner Loop Header: Depth=2
	ds_read_b32 v5, v3
	s_add_i32 s11, s11, -1
	v_add_u32_e32 v3, 16, v3
	s_cmp_eq_u32 s11, 0
	s_waitcnt lgkmcnt(0)
	v_add_u32_e32 v2, v5, v2
	s_cbranch_scc0 .LBB95_74
.LBB95_75:                              ;   in Loop: Header=BB95_6 Depth=1
	v_lshlrev_b32_e32 v3, 2, v4
	ds_write_b32 v3, v2 offset:3072
.LBB95_76:                              ;   in Loop: Header=BB95_6 Depth=1
	s_or_b64 exec, exec, s[16:17]
	s_lshl_b32 s10, s10, 2
	s_waitcnt vmcnt(0)
	v_mov_b32_e32 v2, s10
	s_waitcnt lgkmcnt(0)
	s_barrier
	ds_read_b128 v[2:5], v2 offset:3072
	s_and_b32 s62, s13, 0xfe
	v_readlane_b32 s16, v54, 14
	s_lshl_b32 s68, 3, s62
	v_readlane_b32 s17, v54, 15
	s_waitcnt lgkmcnt(0)
	v_readfirstlane_b32 s69, v2
	v_readfirstlane_b32 s11, v3
	;; [unrolled: 1-line block ×4, first 2 shown]
	s_not_b32 s10, s68
	s_andn2_b64 vcc, exec, s[16:17]
	v_cmp_eq_u32_e64 s[18:19], 1, v37
	s_cbranch_vccnz .LBB95_89
; %bb.77:                               ;   in Loop: Header=BB95_6 Depth=1
	s_cmp_eq_u32 s69, 1
	s_cselect_b64 s[16:17], -1, 0
	s_and_b64 s[36:37], s[16:17], s[18:19]
	s_mov_b64 s[38:39], -1
	v_mov_b32_e32 v2, v35
	v_mov_b32_e32 v3, v34
	;; [unrolled: 1-line block ×3, first 2 shown]
                                        ; implicit-def: $sgpr22_sgpr23
                                        ; implicit-def: $sgpr28_sgpr29
                                        ; implicit-def: $sgpr26_sgpr27
	s_and_saveexec_b64 s[16:17], s[36:37]
	s_cbranch_execz .LBB95_105
; %bb.78:                               ;   in Loop: Header=BB95_6 Depth=1
	ds_read_b32 v2, v11 offset:4096
	s_waitcnt lgkmcnt(0)
	s_barrier
	v_readfirstlane_b32 s28, v2
	s_mov_b64 s[20:21], exec
	v_readlane_b32 s22, v54, 31
	v_readlane_b32 s23, v54, 32
	s_and_b64 s[22:23], s[20:21], s[22:23]
	s_mov_b64 exec, s[22:23]
	s_cbranch_execz .LBB95_80
; %bb.79:                               ;   in Loop: Header=BB95_6 Depth=1
	ds_write_b16 v20, v11
.LBB95_80:                              ;   in Loop: Header=BB95_6 Depth=1
	s_or_b64 exec, exec, s[20:21]
	v_and_b32_e32 v2, s10, v35
	v_or_b32_e32 v3, s68, v34
	s_cmp_eq_u32 s28, 0
	s_waitcnt lgkmcnt(0)
	s_barrier
	s_cbranch_scc1 .LBB95_91
; %bb.81:                               ;   in Loop: Header=BB95_6 Depth=1
	v_readlane_b32 s20, v54, 22
	s_add_i32 s20, s28, s20
	v_readlane_b32 s21, v54, 46
	s_mul_hi_u32 s21, s20, s21
	s_mul_i32 s21, s21, s72
	s_sub_i32 s21, s20, s21
	s_sub_i32 s22, s21, s72
	s_cmp_ge_u32 s21, s72
	s_cselect_b32 s21, s22, s21
	s_sub_i32 s22, s21, s72
	s_cmp_ge_u32 s21, s72
	s_cselect_b32 s21, s22, s21
	s_sub_i32 s29, s20, s21
	v_cmp_gt_u32_e32 vcc, s29, v0
	s_mov_b64 s[20:21], 0
                                        ; implicit-def: $vgpr4
	s_and_saveexec_b64 s[22:23], vcc
	s_cbranch_execz .LBB95_93
; %bb.82:                               ;   in Loop: Header=BB95_6 Depth=1
	s_mov_b64 s[24:25], 0
	v_mov_b32_e32 v4, v19
	v_mov_b32_e32 v5, v0
                                        ; implicit-def: $sgpr26_sgpr27
	s_branch .LBB95_84
.LBB95_83:                              ;   in Loop: Header=BB95_84 Depth=2
	s_or_b64 exec, exec, s[20:21]
	s_waitcnt lgkmcnt(0)
	s_barrier
	ds_read_b32 v10, v11 offset:3072
	v_add_u32_e32 v5, s72, v5
	v_cmp_le_u32_e64 s[20:21], s29, v5
	v_add_u32_e32 v4, s5, v4
	s_waitcnt lgkmcnt(0)
	v_cmp_neq_f16_e32 vcc, 0, v10
	s_or_b64 s[20:21], s[20:21], vcc
	s_and_b64 s[20:21], exec, s[20:21]
	s_or_b64 s[24:25], s[20:21], s[24:25]
	s_andn2_b64 s[20:21], s[26:27], exec
	s_and_b64 s[26:27], vcc, exec
	s_or_b64 s[26:27], s[20:21], s[26:27]
	s_barrier
	s_andn2_b64 exec, exec, s[24:25]
	s_cbranch_execz .LBB95_92
.LBB95_84:                              ;   Parent Loop BB95_6 Depth=1
                                        ; =>  This Inner Loop Header: Depth=2
	v_cmp_gt_u32_e32 vcc, s28, v5
	v_mov_b32_e32 v10, 0
	s_and_saveexec_b64 s[20:21], vcc
	s_cbranch_execz .LBB95_86
; %bb.85:                               ;   in Loop: Header=BB95_84 Depth=2
	ds_read_u16 v10, v4
.LBB95_86:                              ;   in Loop: Header=BB95_84 Depth=2
	s_or_b64 exec, exec, s[20:21]
	s_and_saveexec_b64 s[20:21], vcc
	s_cbranch_execz .LBB95_83
; %bb.87:                               ;   in Loop: Header=BB95_84 Depth=2
	s_waitcnt lgkmcnt(0)
	v_cmp_lt_i16_e32 vcc, -1, v10
	v_cndmask_b32_e32 v38, v29, v30, vcc
	v_xor_b32_sdwa v38, v38, v10 dst_sel:DWORD dst_unused:UNUSED_PAD src0_sel:DWORD src1_sel:WORD_0
	v_cmp_o_f16_e32 vcc, v10, v10
	v_cndmask_b32_e32 v38, v29, v38, vcc
	v_and_b32_e32 v38, v38, v3
	v_cmp_eq_u32_e32 vcc, v38, v2
	s_and_b64 exec, exec, vcc
	s_cbranch_execz .LBB95_83
; %bb.88:                               ;   in Loop: Header=BB95_84 Depth=2
	v_perm_b32 v10, v10, s12, v33
	ds_write_b32 v11, v10 offset:3072
	s_branch .LBB95_83
.LBB95_89:                              ;   in Loop: Header=BB95_6 Depth=1
	s_mov_b64 s[24:25], 0
	s_mov_b64 s[20:21], 0
                                        ; implicit-def: $sgpr26_sgpr27
                                        ; implicit-def: $sgpr28_sgpr29
                                        ; implicit-def: $sgpr22_sgpr23
                                        ; implicit-def: $vgpr10
                                        ; implicit-def: $vgpr5
                                        ; implicit-def: $vgpr2
                                        ; implicit-def: $vgpr3
                                        ; implicit-def: $vgpr4
	s_cbranch_execnz .LBB95_241
.LBB95_90:                              ;   in Loop: Header=BB95_6 Depth=1
	s_mov_b64 s[30:31], s[22:23]
	s_mov_b64 s[34:35], s[22:23]
	s_and_saveexec_b64 s[16:17], s[24:25]
	s_cbranch_execnz .LBB95_403
	s_branch .LBB95_404
.LBB95_91:                              ;   in Loop: Header=BB95_6 Depth=1
	s_mov_b64 s[22:23], -1
	s_mov_b64 s[20:21], 0
                                        ; implicit-def: $sgpr26_sgpr27
                                        ; implicit-def: $vgpr4
	s_mov_b64 s[28:29], s[22:23]
	s_cbranch_execnz .LBB95_94
	s_branch .LBB95_104
.LBB95_92:                              ;   in Loop: Header=BB95_6 Depth=1
	s_or_b64 exec, exec, s[24:25]
	v_lshrrev_b32_e32 v4, 16, v10
	s_and_b64 s[20:21], s[26:27], exec
.LBB95_93:                              ;   in Loop: Header=BB95_6 Depth=1
	s_or_b64 exec, exec, s[22:23]
	s_mov_b64 s[26:27], -1
	s_mov_b64 s[22:23], 0
	s_mov_b64 s[28:29], s[22:23]
	s_branch .LBB95_104
.LBB95_94:                              ;   in Loop: Header=BB95_6 Depth=1
	s_mov_b64 s[20:21], 0
                                        ; implicit-def: $vgpr4
	s_mov_b64 s[22:23], exec
	v_readlane_b32 s24, v54, 47
	v_readlane_b32 s25, v54, 48
	s_and_b64 s[24:25], s[22:23], s[24:25]
	s_mov_b64 exec, s[24:25]
	s_cbranch_execz .LBB95_103
; %bb.95:                               ;   in Loop: Header=BB95_6 Depth=1
	s_mov_b64 s[24:25], 0
	v_mov_b32_e32 v10, v12
	v_mov_b32_e32 v4, v0
                                        ; implicit-def: $sgpr26_sgpr27
	s_branch .LBB95_97
.LBB95_96:                              ;   in Loop: Header=BB95_97 Depth=2
	s_or_b64 exec, exec, s[20:21]
	s_waitcnt lgkmcnt(0)
	s_barrier
	s_waitcnt vmcnt(0)
	ds_read_b32 v5, v11 offset:3072
	v_add_u32_e32 v4, s72, v4
	v_cmp_le_u32_e64 s[20:21], s74, v4
	v_add_u32_e32 v10, s6, v10
	s_waitcnt lgkmcnt(0)
	v_cmp_neq_f16_e32 vcc, 0, v5
	s_or_b64 s[20:21], s[20:21], vcc
	s_and_b64 s[20:21], exec, s[20:21]
	s_or_b64 s[24:25], s[20:21], s[24:25]
	s_andn2_b64 s[20:21], s[26:27], exec
	s_and_b64 s[26:27], vcc, exec
	s_or_b64 s[26:27], s[20:21], s[26:27]
	s_barrier
	s_andn2_b64 exec, exec, s[24:25]
	s_cbranch_execz .LBB95_102
.LBB95_97:                              ;   Parent Loop BB95_6 Depth=1
                                        ; =>  This Inner Loop Header: Depth=2
	v_cmp_gt_u32_e32 vcc, s60, v4
	v_mov_b32_e32 v5, 0
	s_and_saveexec_b64 s[28:29], vcc
	s_cbranch_execz .LBB95_99
; %bb.98:                               ;   in Loop: Header=BB95_97 Depth=2
	v_lshlrev_b64 v[38:39], 1, v[10:11]
	v_mov_b32_e32 v5, s7
	v_add_co_u32_e64 v38, s[20:21], s33, v38
	v_addc_co_u32_e64 v39, s[20:21], v5, v39, s[20:21]
	global_load_ushort v5, v[38:39], off
.LBB95_99:                              ;   in Loop: Header=BB95_97 Depth=2
	s_or_b64 exec, exec, s[28:29]
	s_and_saveexec_b64 s[20:21], vcc
	s_cbranch_execz .LBB95_96
; %bb.100:                              ;   in Loop: Header=BB95_97 Depth=2
	s_waitcnt vmcnt(0)
	v_cmp_lt_i16_e32 vcc, -1, v5
	v_cndmask_b32_e32 v38, v29, v30, vcc
	v_xor_b32_sdwa v38, v38, v5 dst_sel:DWORD dst_unused:UNUSED_PAD src0_sel:DWORD src1_sel:WORD_0
	v_cmp_o_f16_e32 vcc, v5, v5
	v_cndmask_b32_e32 v38, v29, v38, vcc
	v_and_b32_e32 v38, v38, v3
	v_cmp_eq_u32_e32 vcc, v38, v2
	s_and_b64 exec, exec, vcc
	s_cbranch_execz .LBB95_96
; %bb.101:                              ;   in Loop: Header=BB95_97 Depth=2
	v_perm_b32 v5, v5, s12, v33
	ds_write_b32 v11, v5 offset:3072
	s_branch .LBB95_96
.LBB95_102:                             ;   in Loop: Header=BB95_6 Depth=1
	s_or_b64 exec, exec, s[24:25]
	v_lshrrev_b32_e32 v4, 16, v5
	s_and_b64 s[20:21], s[26:27], exec
.LBB95_103:                             ;   in Loop: Header=BB95_6 Depth=1
	s_or_b64 exec, exec, s[22:23]
	s_mov_b64 s[28:29], -1
	s_mov_b64 s[22:23], 0
	s_mov_b64 s[26:27], 0
.LBB95_104:                             ;   in Loop: Header=BB95_6 Depth=1
	s_orn2_b64 s[38:39], s[20:21], exec
.LBB95_105:                             ;   in Loop: Header=BB95_6 Depth=1
	s_or_b64 exec, exec, s[16:17]
	s_mov_b64 s[30:31], 0
	s_mov_b64 s[24:25], 0
	;; [unrolled: 1-line block ×3, first 2 shown]
                                        ; implicit-def: $vgpr10
                                        ; implicit-def: $vgpr5
	s_and_saveexec_b64 s[34:35], s[38:39]
	s_cbranch_execz .LBB95_240
; %bb.106:                              ;   in Loop: Header=BB95_6 Depth=1
	s_xor_b64 s[24:25], s[36:37], -1
	v_mov_b32_e32 v5, 1
	v_mov_b32_e32 v10, 1
	s_and_saveexec_b64 s[16:17], s[24:25]
	s_cbranch_execz .LBB95_116
; %bb.107:                              ;   in Loop: Header=BB95_6 Depth=1
	v_cmp_ge_u32_e32 vcc, s69, v37
                                        ; implicit-def: $sgpr36
                                        ; implicit-def: $sgpr20_sgpr21
	s_and_saveexec_b64 s[24:25], vcc
	s_xor_b64 s[24:25], exec, s[24:25]
	s_cbranch_execz .LBB95_113
; %bb.108:                              ;   in Loop: Header=BB95_6 Depth=1
	ds_read_b32 v5, v11 offset:4096
	s_waitcnt lgkmcnt(0)
	v_cmp_ne_u32_e32 vcc, 0, v5
	s_cbranch_vccnz .LBB95_112
; %bb.109:                              ;   in Loop: Header=BB95_6 Depth=1
	s_mov_b64 s[20:21], exec
	v_readlane_b32 s36, v54, 5
	v_readlane_b32 s37, v54, 6
	s_and_b64 s[36:37], s[20:21], s[36:37]
	s_mov_b64 exec, s[36:37]
	s_cbranch_execz .LBB95_111
; %bb.110:                              ;   in Loop: Header=BB95_6 Depth=1
	v_mov_b32_e32 v5, s69
	ds_write_b32 v11, v5 offset:4100
.LBB95_111:                             ;   in Loop: Header=BB95_6 Depth=1
	s_or_b64 exec, exec, s[20:21]
	s_waitcnt lgkmcnt(0)
	s_barrier
.LBB95_112:                             ;   in Loop: Header=BB95_6 Depth=1
	v_and_b32_e32 v2, s10, v2
	v_or_b32_e32 v3, s68, v3
	s_mov_b64 s[20:21], 0
	s_mov_b32 s36, 8
.LBB95_113:                             ;   in Loop: Header=BB95_6 Depth=1
	s_or_saveexec_b64 s[24:25], s[24:25]
	v_mov_b32_e32 v10, s36
	v_mov_b32_e32 v5, v37
	s_xor_b64 exec, exec, s[24:25]
; %bb.114:                              ;   in Loop: Header=BB95_6 Depth=1
	v_subrev_u32_e32 v5, s69, v37
	v_mov_b32_e32 v10, 0
	s_or_b64 s[20:21], s[20:21], exec
; %bb.115:                              ;   in Loop: Header=BB95_6 Depth=1
	s_or_b64 exec, exec, s[24:25]
	s_and_b64 s[20:21], s[20:21], exec
.LBB95_116:                             ;   in Loop: Header=BB95_6 Depth=1
	s_or_b64 exec, exec, s[16:17]
	s_mov_b64 s[38:39], -1
                                        ; implicit-def: $sgpr16_sgpr17
                                        ; implicit-def: $sgpr36_sgpr37
                                        ; implicit-def: $sgpr42_sgpr43
	s_and_saveexec_b64 s[24:25], s[20:21]
	s_xor_b64 s[24:25], exec, s[24:25]
	s_cbranch_execz .LBB95_237
; %bb.117:                              ;   in Loop: Header=BB95_6 Depth=1
	s_cmp_eq_u32 s11, 1
	s_cselect_b64 s[16:17], -1, 0
	v_cmp_eq_u32_e32 vcc, 1, v5
	s_and_b64 s[44:45], s[16:17], vcc
	s_mov_b64 s[46:47], -1
                                        ; implicit-def: $sgpr36_sgpr37
                                        ; implicit-def: $sgpr40_sgpr41
                                        ; implicit-def: $sgpr38_sgpr39
	s_and_saveexec_b64 s[16:17], s[44:45]
	s_cbranch_execz .LBB95_143
; %bb.118:                              ;   in Loop: Header=BB95_6 Depth=1
	ds_read_b32 v4, v11 offset:4096
	s_waitcnt lgkmcnt(0)
	s_barrier
	v_readfirstlane_b32 s42, v4
	s_mov_b64 s[20:21], exec
	v_readlane_b32 s36, v54, 31
	v_readlane_b32 s37, v54, 32
	s_and_b64 s[36:37], s[20:21], s[36:37]
	s_mov_b64 exec, s[36:37]
	s_cbranch_execz .LBB95_120
; %bb.119:                              ;   in Loop: Header=BB95_6 Depth=1
	ds_write_b16 v20, v11
.LBB95_120:                             ;   in Loop: Header=BB95_6 Depth=1
	s_or_b64 exec, exec, s[20:21]
	v_and_b32_e32 v2, s10, v2
	v_lshl_or_b32 v2, 1, s62, v2
	v_or_b32_e32 v3, s68, v3
	s_cmp_eq_u32 s42, 0
	s_waitcnt lgkmcnt(0)
	s_barrier
	s_cbranch_scc1 .LBB95_129
; %bb.121:                              ;   in Loop: Header=BB95_6 Depth=1
	v_readlane_b32 s20, v54, 22
	s_add_i32 s20, s42, s20
	v_readlane_b32 s21, v54, 46
	s_mul_hi_u32 s21, s20, s21
	s_mul_i32 s21, s21, s72
	s_sub_i32 s21, s20, s21
	s_sub_i32 s36, s21, s72
	s_cmp_ge_u32 s21, s72
	s_cselect_b32 s21, s36, s21
	s_sub_i32 s36, s21, s72
	s_cmp_ge_u32 s21, s72
	s_cselect_b32 s21, s36, s21
	s_sub_i32 s43, s20, s21
	v_cmp_gt_u32_e32 vcc, s43, v0
	s_mov_b64 s[20:21], 0
                                        ; implicit-def: $vgpr4
	s_and_saveexec_b64 s[36:37], vcc
	s_cbranch_execz .LBB95_131
; %bb.122:                              ;   in Loop: Header=BB95_6 Depth=1
	s_mov_b64 s[38:39], 0
	v_mov_b32_e32 v4, v19
	v_mov_b32_e32 v10, v0
                                        ; implicit-def: $sgpr40_sgpr41
	s_branch .LBB95_124
.LBB95_123:                             ;   in Loop: Header=BB95_124 Depth=2
	s_or_b64 exec, exec, s[20:21]
	s_waitcnt lgkmcnt(0)
	s_barrier
	ds_read_b32 v38, v11 offset:3072
	v_add_u32_e32 v10, s72, v10
	v_cmp_le_u32_e64 s[20:21], s43, v10
	v_add_u32_e32 v4, s5, v4
	s_waitcnt lgkmcnt(0)
	v_cmp_neq_f16_e32 vcc, 0, v38
	s_or_b64 s[20:21], s[20:21], vcc
	s_and_b64 s[20:21], exec, s[20:21]
	s_or_b64 s[38:39], s[20:21], s[38:39]
	s_andn2_b64 s[20:21], s[40:41], exec
	s_and_b64 s[40:41], vcc, exec
	s_or_b64 s[40:41], s[20:21], s[40:41]
	s_barrier
	s_andn2_b64 exec, exec, s[38:39]
	s_cbranch_execz .LBB95_130
.LBB95_124:                             ;   Parent Loop BB95_6 Depth=1
                                        ; =>  This Inner Loop Header: Depth=2
	v_cmp_gt_u32_e32 vcc, s42, v10
	v_mov_b32_e32 v38, 0
	s_and_saveexec_b64 s[20:21], vcc
	s_cbranch_execz .LBB95_126
; %bb.125:                              ;   in Loop: Header=BB95_124 Depth=2
	ds_read_u16 v38, v4
.LBB95_126:                             ;   in Loop: Header=BB95_124 Depth=2
	s_or_b64 exec, exec, s[20:21]
	s_and_saveexec_b64 s[20:21], vcc
	s_cbranch_execz .LBB95_123
; %bb.127:                              ;   in Loop: Header=BB95_124 Depth=2
	s_waitcnt lgkmcnt(0)
	v_cmp_lt_i16_e32 vcc, -1, v38
	v_cndmask_b32_e32 v39, v29, v30, vcc
	v_xor_b32_sdwa v39, v39, v38 dst_sel:DWORD dst_unused:UNUSED_PAD src0_sel:DWORD src1_sel:WORD_0
	v_cmp_o_f16_e32 vcc, v38, v38
	v_cndmask_b32_e32 v39, v29, v39, vcc
	v_and_b32_e32 v39, v39, v3
	v_cmp_eq_u32_e32 vcc, v39, v2
	s_and_b64 exec, exec, vcc
	s_cbranch_execz .LBB95_123
; %bb.128:                              ;   in Loop: Header=BB95_124 Depth=2
	v_perm_b32 v38, v38, s12, v33
	ds_write_b32 v11, v38 offset:3072
	s_branch .LBB95_123
.LBB95_129:                             ;   in Loop: Header=BB95_6 Depth=1
	s_mov_b64 s[36:37], -1
	s_mov_b64 s[20:21], 0
                                        ; implicit-def: $sgpr38_sgpr39
                                        ; implicit-def: $vgpr4
	s_mov_b64 s[40:41], s[36:37]
	s_cbranch_execnz .LBB95_132
	s_branch .LBB95_142
.LBB95_130:                             ;   in Loop: Header=BB95_6 Depth=1
	s_or_b64 exec, exec, s[38:39]
	v_lshrrev_b32_e32 v4, 16, v38
	s_and_b64 s[20:21], s[40:41], exec
.LBB95_131:                             ;   in Loop: Header=BB95_6 Depth=1
	s_or_b64 exec, exec, s[36:37]
	s_mov_b64 s[38:39], -1
	s_mov_b64 s[36:37], 0
	s_mov_b64 s[40:41], s[36:37]
	s_branch .LBB95_142
.LBB95_132:                             ;   in Loop: Header=BB95_6 Depth=1
	s_mov_b64 s[20:21], 0
                                        ; implicit-def: $vgpr4
	s_mov_b64 s[36:37], exec
	v_readlane_b32 s38, v54, 47
	v_readlane_b32 s39, v54, 48
	s_and_b64 s[38:39], s[36:37], s[38:39]
	s_mov_b64 exec, s[38:39]
	s_cbranch_execz .LBB95_141
; %bb.133:                              ;   in Loop: Header=BB95_6 Depth=1
	s_mov_b64 s[38:39], 0
	v_mov_b32_e32 v10, v12
	v_mov_b32_e32 v4, v0
                                        ; implicit-def: $sgpr40_sgpr41
	s_branch .LBB95_135
.LBB95_134:                             ;   in Loop: Header=BB95_135 Depth=2
	s_or_b64 exec, exec, s[20:21]
	s_waitcnt lgkmcnt(0)
	s_barrier
	s_waitcnt vmcnt(0)
	ds_read_b32 v38, v11 offset:3072
	v_add_u32_e32 v4, s72, v4
	v_cmp_le_u32_e64 s[20:21], s74, v4
	v_add_u32_e32 v10, s6, v10
	s_waitcnt lgkmcnt(0)
	v_cmp_neq_f16_e32 vcc, 0, v38
	s_or_b64 s[20:21], s[20:21], vcc
	s_and_b64 s[20:21], exec, s[20:21]
	s_or_b64 s[38:39], s[20:21], s[38:39]
	s_andn2_b64 s[20:21], s[40:41], exec
	s_and_b64 s[40:41], vcc, exec
	s_or_b64 s[40:41], s[20:21], s[40:41]
	s_barrier
	s_andn2_b64 exec, exec, s[38:39]
	s_cbranch_execz .LBB95_140
.LBB95_135:                             ;   Parent Loop BB95_6 Depth=1
                                        ; =>  This Inner Loop Header: Depth=2
	v_cmp_gt_u32_e32 vcc, s60, v4
	v_mov_b32_e32 v38, 0
	s_and_saveexec_b64 s[42:43], vcc
	s_cbranch_execz .LBB95_137
; %bb.136:                              ;   in Loop: Header=BB95_135 Depth=2
	v_lshlrev_b64 v[38:39], 1, v[10:11]
	v_mov_b32_e32 v40, s7
	v_add_co_u32_e64 v38, s[20:21], s33, v38
	v_addc_co_u32_e64 v39, s[20:21], v40, v39, s[20:21]
	global_load_ushort v38, v[38:39], off
.LBB95_137:                             ;   in Loop: Header=BB95_135 Depth=2
	s_or_b64 exec, exec, s[42:43]
	s_and_saveexec_b64 s[20:21], vcc
	s_cbranch_execz .LBB95_134
; %bb.138:                              ;   in Loop: Header=BB95_135 Depth=2
	s_waitcnt vmcnt(0)
	v_cmp_lt_i16_e32 vcc, -1, v38
	v_cndmask_b32_e32 v39, v29, v30, vcc
	v_xor_b32_sdwa v39, v39, v38 dst_sel:DWORD dst_unused:UNUSED_PAD src0_sel:DWORD src1_sel:WORD_0
	v_cmp_o_f16_e32 vcc, v38, v38
	v_cndmask_b32_e32 v39, v29, v39, vcc
	v_and_b32_e32 v39, v39, v3
	v_cmp_eq_u32_e32 vcc, v39, v2
	s_and_b64 exec, exec, vcc
	s_cbranch_execz .LBB95_134
; %bb.139:                              ;   in Loop: Header=BB95_135 Depth=2
	v_perm_b32 v38, v38, s12, v33
	ds_write_b32 v11, v38 offset:3072
	s_branch .LBB95_134
.LBB95_140:                             ;   in Loop: Header=BB95_6 Depth=1
	s_or_b64 exec, exec, s[38:39]
	v_lshrrev_b32_e32 v4, 16, v38
	s_and_b64 s[20:21], s[40:41], exec
.LBB95_141:                             ;   in Loop: Header=BB95_6 Depth=1
	s_or_b64 exec, exec, s[36:37]
	s_mov_b64 s[40:41], -1
	s_mov_b64 s[36:37], 0
	s_mov_b64 s[38:39], 0
.LBB95_142:                             ;   in Loop: Header=BB95_6 Depth=1
	s_orn2_b64 s[46:47], s[20:21], exec
.LBB95_143:                             ;   in Loop: Header=BB95_6 Depth=1
	s_or_b64 exec, exec, s[16:17]
	s_mov_b64 s[20:21], 0
                                        ; implicit-def: $vgpr10
	s_and_saveexec_b64 s[42:43], s[46:47]
	s_cbranch_execz .LBB95_236
; %bb.144:                              ;   in Loop: Header=BB95_6 Depth=1
	s_xor_b64 s[20:21], s[44:45], -1
	s_mov_b64 s[48:49], 0
	v_mov_b32_e32 v38, 1
	v_mov_b32_e32 v10, 1
	s_and_saveexec_b64 s[16:17], s[20:21]
	s_cbranch_execz .LBB95_154
; %bb.145:                              ;   in Loop: Header=BB95_6 Depth=1
	v_cmp_ge_u32_e32 vcc, s11, v5
                                        ; implicit-def: $sgpr46
                                        ; implicit-def: $sgpr20_sgpr21
	s_and_saveexec_b64 s[44:45], vcc
	s_xor_b64 s[44:45], exec, s[44:45]
	s_cbranch_execz .LBB95_151
; %bb.146:                              ;   in Loop: Header=BB95_6 Depth=1
	ds_read_b32 v10, v11 offset:4096
	s_waitcnt lgkmcnt(0)
	v_cmp_ne_u32_e32 vcc, 0, v10
	s_cbranch_vccnz .LBB95_150
; %bb.147:                              ;   in Loop: Header=BB95_6 Depth=1
	s_mov_b64 s[20:21], exec
	v_readlane_b32 s46, v54, 5
	v_readlane_b32 s47, v54, 6
	s_and_b64 s[46:47], s[20:21], s[46:47]
	s_mov_b64 exec, s[46:47]
	s_cbranch_execz .LBB95_149
; %bb.148:                              ;   in Loop: Header=BB95_6 Depth=1
	v_mov_b32_e32 v10, s11
	ds_write_b32 v11, v10 offset:4100
.LBB95_149:                             ;   in Loop: Header=BB95_6 Depth=1
	s_or_b64 exec, exec, s[20:21]
	s_waitcnt lgkmcnt(0)
	s_barrier
.LBB95_150:                             ;   in Loop: Header=BB95_6 Depth=1
	v_and_b32_e32 v2, s10, v2
	v_lshl_or_b32 v2, 1, s62, v2
	v_or_b32_e32 v3, s68, v3
	s_mov_b64 s[20:21], 0
	s_mov_b32 s46, 8
.LBB95_151:                             ;   in Loop: Header=BB95_6 Depth=1
	s_or_saveexec_b64 s[44:45], s[44:45]
	v_mov_b32_e32 v10, s46
	s_xor_b64 exec, exec, s[44:45]
; %bb.152:                              ;   in Loop: Header=BB95_6 Depth=1
	v_subrev_u32_e32 v5, s11, v5
	v_mov_b32_e32 v10, 0
	s_or_b64 s[20:21], s[20:21], exec
; %bb.153:                              ;   in Loop: Header=BB95_6 Depth=1
	s_or_b64 exec, exec, s[44:45]
	s_and_b64 s[48:49], s[20:21], exec
	v_mov_b32_e32 v38, v5
.LBB95_154:                             ;   in Loop: Header=BB95_6 Depth=1
	s_or_b64 exec, exec, s[16:17]
	s_mov_b64 s[16:17], -1
                                        ; implicit-def: $sgpr20_sgpr21
                                        ; implicit-def: $sgpr46_sgpr47
                                        ; implicit-def: $sgpr52_sgpr53
	s_and_saveexec_b64 s[44:45], s[48:49]
	s_cbranch_execz .LBB95_235
; %bb.155:                              ;   in Loop: Header=BB95_6 Depth=1
	s_cmp_eq_u32 s63, 1
	s_cselect_b64 s[16:17], -1, 0
	v_cmp_eq_u32_e32 vcc, 1, v38
	s_and_b64 s[54:55], s[16:17], vcc
	s_mov_b64 s[20:21], -1
                                        ; implicit-def: $sgpr46_sgpr47
                                        ; implicit-def: $sgpr50_sgpr51
                                        ; implicit-def: $sgpr48_sgpr49
	s_and_saveexec_b64 s[16:17], s[54:55]
	s_cbranch_execz .LBB95_181
; %bb.156:                              ;   in Loop: Header=BB95_6 Depth=1
	ds_read_b32 v4, v11 offset:4096
	s_waitcnt lgkmcnt(0)
	s_barrier
	v_readfirstlane_b32 s52, v4
	s_mov_b64 s[20:21], exec
	v_readlane_b32 s46, v54, 31
	v_readlane_b32 s47, v54, 32
	s_and_b64 s[46:47], s[20:21], s[46:47]
	s_mov_b64 exec, s[46:47]
	s_cbranch_execz .LBB95_158
; %bb.157:                              ;   in Loop: Header=BB95_6 Depth=1
	ds_write_b16 v20, v11
.LBB95_158:                             ;   in Loop: Header=BB95_6 Depth=1
	s_or_b64 exec, exec, s[20:21]
	v_and_b32_e32 v2, s10, v2
	v_lshl_or_b32 v2, 2, s62, v2
	v_or_b32_e32 v3, s68, v3
	s_cmp_eq_u32 s52, 0
	s_waitcnt lgkmcnt(0)
	s_barrier
	s_cbranch_scc1 .LBB95_167
; %bb.159:                              ;   in Loop: Header=BB95_6 Depth=1
	v_readlane_b32 s20, v54, 22
	s_add_i32 s20, s52, s20
	v_readlane_b32 s21, v54, 46
	s_mul_hi_u32 s21, s20, s21
	s_mul_i32 s21, s21, s72
	s_sub_i32 s21, s20, s21
	s_sub_i32 s46, s21, s72
	s_cmp_ge_u32 s21, s72
	s_cselect_b32 s21, s46, s21
	s_sub_i32 s46, s21, s72
	s_cmp_ge_u32 s21, s72
	s_cselect_b32 s21, s46, s21
	s_sub_i32 s53, s20, s21
	v_cmp_gt_u32_e32 vcc, s53, v0
	s_mov_b64 s[20:21], 0
                                        ; implicit-def: $vgpr4
	s_and_saveexec_b64 s[46:47], vcc
	s_cbranch_execz .LBB95_169
; %bb.160:                              ;   in Loop: Header=BB95_6 Depth=1
	s_mov_b64 s[48:49], 0
	v_mov_b32_e32 v4, v19
	v_mov_b32_e32 v5, v0
                                        ; implicit-def: $sgpr50_sgpr51
	s_branch .LBB95_162
.LBB95_161:                             ;   in Loop: Header=BB95_162 Depth=2
	s_or_b64 exec, exec, s[20:21]
	s_waitcnt lgkmcnt(0)
	s_barrier
	ds_read_b32 v10, v11 offset:3072
	v_add_u32_e32 v5, s72, v5
	v_cmp_le_u32_e64 s[20:21], s53, v5
	v_add_u32_e32 v4, s5, v4
	s_waitcnt lgkmcnt(0)
	v_cmp_neq_f16_e32 vcc, 0, v10
	s_or_b64 s[20:21], s[20:21], vcc
	s_and_b64 s[20:21], exec, s[20:21]
	s_or_b64 s[48:49], s[20:21], s[48:49]
	s_andn2_b64 s[20:21], s[50:51], exec
	s_and_b64 s[50:51], vcc, exec
	s_or_b64 s[50:51], s[20:21], s[50:51]
	s_barrier
	s_andn2_b64 exec, exec, s[48:49]
	s_cbranch_execz .LBB95_168
.LBB95_162:                             ;   Parent Loop BB95_6 Depth=1
                                        ; =>  This Inner Loop Header: Depth=2
	v_cmp_gt_u32_e32 vcc, s52, v5
	v_mov_b32_e32 v10, 0
	s_and_saveexec_b64 s[20:21], vcc
	s_cbranch_execz .LBB95_164
; %bb.163:                              ;   in Loop: Header=BB95_162 Depth=2
	ds_read_u16 v10, v4
.LBB95_164:                             ;   in Loop: Header=BB95_162 Depth=2
	s_or_b64 exec, exec, s[20:21]
	s_and_saveexec_b64 s[20:21], vcc
	s_cbranch_execz .LBB95_161
; %bb.165:                              ;   in Loop: Header=BB95_162 Depth=2
	s_waitcnt lgkmcnt(0)
	v_cmp_lt_i16_e32 vcc, -1, v10
	v_cndmask_b32_e32 v39, v29, v30, vcc
	v_xor_b32_sdwa v39, v39, v10 dst_sel:DWORD dst_unused:UNUSED_PAD src0_sel:DWORD src1_sel:WORD_0
	v_cmp_o_f16_e32 vcc, v10, v10
	v_cndmask_b32_e32 v39, v29, v39, vcc
	v_and_b32_e32 v39, v39, v3
	v_cmp_eq_u32_e32 vcc, v39, v2
	s_and_b64 exec, exec, vcc
	s_cbranch_execz .LBB95_161
; %bb.166:                              ;   in Loop: Header=BB95_162 Depth=2
	v_perm_b32 v10, v10, s12, v33
	ds_write_b32 v11, v10 offset:3072
	s_branch .LBB95_161
.LBB95_167:                             ;   in Loop: Header=BB95_6 Depth=1
	s_mov_b64 s[46:47], -1
	s_mov_b64 s[20:21], 0
                                        ; implicit-def: $sgpr48_sgpr49
                                        ; implicit-def: $vgpr4
	s_mov_b64 s[50:51], s[46:47]
	s_cbranch_execnz .LBB95_170
	s_branch .LBB95_180
.LBB95_168:                             ;   in Loop: Header=BB95_6 Depth=1
	s_or_b64 exec, exec, s[48:49]
	v_lshrrev_b32_e32 v4, 16, v10
	s_and_b64 s[20:21], s[50:51], exec
.LBB95_169:                             ;   in Loop: Header=BB95_6 Depth=1
	s_or_b64 exec, exec, s[46:47]
	s_mov_b64 s[48:49], -1
	s_mov_b64 s[46:47], 0
	s_mov_b64 s[50:51], s[46:47]
	s_branch .LBB95_180
.LBB95_170:                             ;   in Loop: Header=BB95_6 Depth=1
	s_mov_b64 s[20:21], 0
                                        ; implicit-def: $vgpr4
	s_mov_b64 s[46:47], exec
	v_readlane_b32 s48, v54, 47
	v_readlane_b32 s49, v54, 48
	s_and_b64 s[48:49], s[46:47], s[48:49]
	s_mov_b64 exec, s[48:49]
	s_cbranch_execz .LBB95_179
; %bb.171:                              ;   in Loop: Header=BB95_6 Depth=1
	s_mov_b64 s[48:49], 0
	v_mov_b32_e32 v10, v12
	v_mov_b32_e32 v4, v0
                                        ; implicit-def: $sgpr50_sgpr51
	s_branch .LBB95_173
.LBB95_172:                             ;   in Loop: Header=BB95_173 Depth=2
	s_or_b64 exec, exec, s[20:21]
	s_waitcnt lgkmcnt(0)
	s_barrier
	s_waitcnt vmcnt(0)
	ds_read_b32 v5, v11 offset:3072
	v_add_u32_e32 v4, s72, v4
	v_cmp_le_u32_e64 s[20:21], s74, v4
	v_add_u32_e32 v10, s6, v10
	s_waitcnt lgkmcnt(0)
	v_cmp_neq_f16_e32 vcc, 0, v5
	s_or_b64 s[20:21], s[20:21], vcc
	s_and_b64 s[20:21], exec, s[20:21]
	s_or_b64 s[48:49], s[20:21], s[48:49]
	s_andn2_b64 s[20:21], s[50:51], exec
	s_and_b64 s[50:51], vcc, exec
	s_or_b64 s[50:51], s[20:21], s[50:51]
	s_barrier
	s_andn2_b64 exec, exec, s[48:49]
	s_cbranch_execz .LBB95_178
.LBB95_173:                             ;   Parent Loop BB95_6 Depth=1
                                        ; =>  This Inner Loop Header: Depth=2
	v_cmp_gt_u32_e32 vcc, s60, v4
	v_mov_b32_e32 v5, 0
	s_and_saveexec_b64 s[52:53], vcc
	s_cbranch_execz .LBB95_175
; %bb.174:                              ;   in Loop: Header=BB95_173 Depth=2
	v_lshlrev_b64 v[40:41], 1, v[10:11]
	v_mov_b32_e32 v5, s7
	v_add_co_u32_e64 v40, s[20:21], s33, v40
	v_addc_co_u32_e64 v41, s[20:21], v5, v41, s[20:21]
	global_load_ushort v5, v[40:41], off
.LBB95_175:                             ;   in Loop: Header=BB95_173 Depth=2
	s_or_b64 exec, exec, s[52:53]
	s_and_saveexec_b64 s[20:21], vcc
	s_cbranch_execz .LBB95_172
; %bb.176:                              ;   in Loop: Header=BB95_173 Depth=2
	s_waitcnt vmcnt(0)
	v_cmp_lt_i16_e32 vcc, -1, v5
	v_cndmask_b32_e32 v39, v29, v30, vcc
	v_xor_b32_sdwa v39, v39, v5 dst_sel:DWORD dst_unused:UNUSED_PAD src0_sel:DWORD src1_sel:WORD_0
	v_cmp_o_f16_e32 vcc, v5, v5
	v_cndmask_b32_e32 v39, v29, v39, vcc
	v_and_b32_e32 v39, v39, v3
	v_cmp_eq_u32_e32 vcc, v39, v2
	s_and_b64 exec, exec, vcc
	s_cbranch_execz .LBB95_172
; %bb.177:                              ;   in Loop: Header=BB95_173 Depth=2
	v_perm_b32 v5, v5, s12, v33
	ds_write_b32 v11, v5 offset:3072
	s_branch .LBB95_172
.LBB95_178:                             ;   in Loop: Header=BB95_6 Depth=1
	s_or_b64 exec, exec, s[48:49]
	v_lshrrev_b32_e32 v4, 16, v5
	s_and_b64 s[20:21], s[50:51], exec
.LBB95_179:                             ;   in Loop: Header=BB95_6 Depth=1
	s_or_b64 exec, exec, s[46:47]
	s_mov_b64 s[50:51], -1
	s_mov_b64 s[46:47], 0
	s_mov_b64 s[48:49], 0
.LBB95_180:                             ;   in Loop: Header=BB95_6 Depth=1
	s_orn2_b64 s[20:21], s[20:21], exec
.LBB95_181:                             ;   in Loop: Header=BB95_6 Depth=1
	s_or_b64 exec, exec, s[16:17]
	s_mov_b64 s[16:17], 0
                                        ; implicit-def: $vgpr10
	s_and_saveexec_b64 s[52:53], s[20:21]
	s_cbranch_execz .LBB95_234
; %bb.182:                              ;   in Loop: Header=BB95_6 Depth=1
	s_xor_b64 s[20:21], s[54:55], -1
	s_mov_b64 s[56:57], 0
	v_mov_b32_e32 v5, 1
	v_mov_b32_e32 v10, 1
	s_and_saveexec_b64 s[16:17], s[20:21]
	s_cbranch_execz .LBB95_192
; %bb.183:                              ;   in Loop: Header=BB95_6 Depth=1
	v_cmp_ge_u32_e32 vcc, s63, v38
                                        ; implicit-def: $sgpr56
                                        ; implicit-def: $sgpr20_sgpr21
	s_and_saveexec_b64 s[54:55], vcc
	s_xor_b64 s[54:55], exec, s[54:55]
	s_cbranch_execz .LBB95_189
; %bb.184:                              ;   in Loop: Header=BB95_6 Depth=1
	ds_read_b32 v5, v11 offset:4096
	s_waitcnt lgkmcnt(0)
	v_cmp_ne_u32_e32 vcc, 0, v5
	s_cbranch_vccnz .LBB95_188
; %bb.185:                              ;   in Loop: Header=BB95_6 Depth=1
	s_mov_b64 s[20:21], exec
	v_readlane_b32 s56, v54, 5
	v_readlane_b32 s57, v54, 6
	s_and_b64 s[56:57], s[20:21], s[56:57]
	s_mov_b64 exec, s[56:57]
	s_cbranch_execz .LBB95_187
; %bb.186:                              ;   in Loop: Header=BB95_6 Depth=1
	v_mov_b32_e32 v5, s63
	ds_write_b32 v11, v5 offset:4100
.LBB95_187:                             ;   in Loop: Header=BB95_6 Depth=1
	s_or_b64 exec, exec, s[20:21]
	s_waitcnt lgkmcnt(0)
	s_barrier
.LBB95_188:                             ;   in Loop: Header=BB95_6 Depth=1
	v_and_b32_e32 v2, s10, v2
	v_lshl_or_b32 v2, 2, s62, v2
	v_or_b32_e32 v3, s68, v3
	s_mov_b64 s[20:21], 0
	s_mov_b32 s56, 8
.LBB95_189:                             ;   in Loop: Header=BB95_6 Depth=1
	s_or_saveexec_b64 s[54:55], s[54:55]
	v_mov_b32_e32 v10, s56
	s_xor_b64 exec, exec, s[54:55]
; %bb.190:                              ;   in Loop: Header=BB95_6 Depth=1
	v_subrev_u32_e32 v38, s63, v38
	v_mov_b32_e32 v10, 0
	s_or_b64 s[20:21], s[20:21], exec
; %bb.191:                              ;   in Loop: Header=BB95_6 Depth=1
	s_or_b64 exec, exec, s[54:55]
	s_and_b64 s[56:57], s[20:21], exec
	v_mov_b32_e32 v5, v38
.LBB95_192:                             ;   in Loop: Header=BB95_6 Depth=1
	s_or_b64 exec, exec, s[16:17]
	s_mov_b64 s[16:17], -1
                                        ; implicit-def: $sgpr20_sgpr21
                                        ; implicit-def: $sgpr76_sgpr77
                                        ; implicit-def: $sgpr58_sgpr59
	s_and_saveexec_b64 s[54:55], s[56:57]
	s_cbranch_execz .LBB95_233
; %bb.193:                              ;   in Loop: Header=BB95_6 Depth=1
	s_cmp_eq_u32 s70, 1
	s_cselect_b64 s[16:17], -1, 0
	v_cmp_eq_u32_e32 vcc, 1, v5
	s_mov_b64 s[78:79], -1
	s_and_b64 s[56:57], s[16:17], vcc
                                        ; implicit-def: $sgpr20_sgpr21
                                        ; implicit-def: $sgpr76_sgpr77
                                        ; implicit-def: $sgpr58_sgpr59
	s_mov_b64 s[16:17], exec
	v_writelane_b32 v54, s56, 49
	v_writelane_b32 v54, s57, 50
	s_and_b64 s[56:57], s[16:17], s[56:57]
	s_mov_b64 exec, s[56:57]
	s_cbranch_execz .LBB95_220
; %bb.194:                              ;   in Loop: Header=BB95_6 Depth=1
	ds_read_b32 v4, v11 offset:4096
	s_waitcnt lgkmcnt(0)
	s_barrier
	v_readfirstlane_b32 s71, v4
	s_mov_b64 s[20:21], exec
	v_readlane_b32 s56, v54, 31
	v_readlane_b32 s57, v54, 32
	s_and_b64 s[56:57], s[20:21], s[56:57]
	s_mov_b64 exec, s[56:57]
	s_cbranch_execz .LBB95_196
; %bb.195:                              ;   in Loop: Header=BB95_6 Depth=1
	ds_write_b16 v20, v11
.LBB95_196:                             ;   in Loop: Header=BB95_6 Depth=1
	s_or_b64 exec, exec, s[20:21]
	v_or_b32_e32 v2, s68, v2
	v_or_b32_e32 v3, s68, v3
	s_cmp_eq_u32 s71, 0
	s_waitcnt lgkmcnt(0)
	s_barrier
	s_cbranch_scc1 .LBB95_205
; %bb.197:                              ;   in Loop: Header=BB95_6 Depth=1
	v_readlane_b32 s20, v54, 22
	s_add_i32 s20, s71, s20
	v_readlane_b32 s21, v54, 46
	s_mul_hi_u32 s21, s20, s21
	s_mul_i32 s21, s21, s72
	s_sub_i32 s21, s20, s21
	s_sub_i32 s56, s21, s72
	s_cmp_ge_u32 s21, s72
	s_cselect_b32 s21, s56, s21
	s_sub_i32 s56, s21, s72
	s_cmp_ge_u32 s21, s72
	s_cselect_b32 s21, s56, s21
	s_sub_i32 s56, s20, s21
	s_mov_b64 s[78:79], 0
	v_cmp_gt_u32_e32 vcc, s56, v0
                                        ; implicit-def: $vgpr4
	s_mov_b64 s[20:21], exec
	v_writelane_b32 v54, s20, 51
	v_writelane_b32 v54, s21, 52
	s_and_b64 s[20:21], s[20:21], vcc
	s_mov_b64 exec, s[20:21]
	s_cbranch_execz .LBB95_207
; %bb.198:                              ;   in Loop: Header=BB95_6 Depth=1
	s_mov_b64 s[76:77], 0
	v_mov_b32_e32 v4, v19
	v_mov_b32_e32 v10, v0
                                        ; implicit-def: $sgpr78_sgpr79
	s_branch .LBB95_200
.LBB95_199:                             ;   in Loop: Header=BB95_200 Depth=2
	s_or_b64 exec, exec, s[20:21]
	s_waitcnt lgkmcnt(0)
	s_barrier
	ds_read_b32 v38, v11 offset:3072
	v_add_u32_e32 v10, s72, v10
	v_cmp_le_u32_e64 s[20:21], s56, v10
	v_add_u32_e32 v4, s5, v4
	s_waitcnt lgkmcnt(0)
	v_cmp_neq_f16_e32 vcc, 0, v38
	s_or_b64 s[20:21], s[20:21], vcc
	s_and_b64 s[20:21], exec, s[20:21]
	s_or_b64 s[76:77], s[20:21], s[76:77]
	s_andn2_b64 s[20:21], s[78:79], exec
	s_and_b64 s[58:59], vcc, exec
	s_or_b64 s[78:79], s[20:21], s[58:59]
	s_barrier
	s_andn2_b64 exec, exec, s[76:77]
	s_cbranch_execz .LBB95_206
.LBB95_200:                             ;   Parent Loop BB95_6 Depth=1
                                        ; =>  This Inner Loop Header: Depth=2
	v_cmp_gt_u32_e32 vcc, s71, v10
	v_mov_b32_e32 v38, 0
	s_and_saveexec_b64 s[20:21], vcc
	s_cbranch_execz .LBB95_202
; %bb.201:                              ;   in Loop: Header=BB95_200 Depth=2
	ds_read_u16 v38, v4
.LBB95_202:                             ;   in Loop: Header=BB95_200 Depth=2
	s_or_b64 exec, exec, s[20:21]
	s_and_saveexec_b64 s[20:21], vcc
	s_cbranch_execz .LBB95_199
; %bb.203:                              ;   in Loop: Header=BB95_200 Depth=2
	s_waitcnt lgkmcnt(0)
	v_cmp_lt_i16_e32 vcc, -1, v38
	v_cndmask_b32_e32 v39, v29, v30, vcc
	v_xor_b32_sdwa v39, v39, v38 dst_sel:DWORD dst_unused:UNUSED_PAD src0_sel:DWORD src1_sel:WORD_0
	v_cmp_o_f16_e32 vcc, v38, v38
	v_cndmask_b32_e32 v39, v29, v39, vcc
	v_and_b32_e32 v39, v39, v3
	v_cmp_eq_u32_e32 vcc, v39, v2
	s_and_b64 exec, exec, vcc
	s_cbranch_execz .LBB95_199
; %bb.204:                              ;   in Loop: Header=BB95_200 Depth=2
	v_perm_b32 v38, v38, s12, v33
	ds_write_b32 v11, v38 offset:3072
	s_branch .LBB95_199
.LBB95_205:                             ;   in Loop: Header=BB95_6 Depth=1
	s_mov_b64 s[20:21], -1
	s_mov_b64 s[78:79], 0
                                        ; implicit-def: $sgpr58_sgpr59
                                        ; implicit-def: $vgpr4
	s_branch .LBB95_208
.LBB95_206:                             ;   in Loop: Header=BB95_6 Depth=1
	s_or_b64 exec, exec, s[76:77]
	v_lshrrev_b32_e32 v4, 16, v38
	s_and_b64 s[78:79], s[78:79], exec
.LBB95_207:                             ;   in Loop: Header=BB95_6 Depth=1
	v_readlane_b32 s20, v54, 51
	v_readlane_b32 s21, v54, 52
	s_or_b64 exec, exec, s[20:21]
	s_mov_b64 s[58:59], -1
	s_mov_b64 s[20:21], 0
.LBB95_208:                             ;   in Loop: Header=BB95_6 Depth=1
	s_and_b64 vcc, exec, s[20:21]
	s_mov_b64 s[76:77], s[20:21]
	s_cbranch_vccz .LBB95_219
; %bb.209:                              ;   in Loop: Header=BB95_6 Depth=1
	s_mov_b64 s[78:79], 0
                                        ; implicit-def: $vgpr4
	s_mov_b64 s[56:57], exec
	v_readlane_b32 s20, v54, 47
	v_readlane_b32 s21, v54, 48
	v_writelane_b32 v54, s56, 53
	s_and_b64 s[20:21], s[56:57], s[20:21]
	v_writelane_b32 v54, s57, 54
	s_mov_b64 exec, s[20:21]
	s_cbranch_execz .LBB95_218
; %bb.210:                              ;   in Loop: Header=BB95_6 Depth=1
	s_mov_b64 s[76:77], 0
	v_mov_b32_e32 v10, v12
	v_mov_b32_e32 v4, v0
                                        ; implicit-def: $sgpr78_sgpr79
	s_branch .LBB95_212
.LBB95_211:                             ;   in Loop: Header=BB95_212 Depth=2
	s_or_b64 exec, exec, s[20:21]
	s_waitcnt lgkmcnt(0)
	s_barrier
	s_waitcnt vmcnt(0)
	ds_read_b32 v38, v11 offset:3072
	v_add_u32_e32 v4, s72, v4
	v_cmp_le_u32_e64 s[20:21], s74, v4
	v_add_u32_e32 v10, s6, v10
	s_waitcnt lgkmcnt(0)
	v_cmp_neq_f16_e32 vcc, 0, v38
	s_or_b64 s[20:21], s[20:21], vcc
	s_and_b64 s[20:21], exec, s[20:21]
	s_or_b64 s[76:77], s[20:21], s[76:77]
	s_andn2_b64 s[20:21], s[78:79], exec
	s_and_b64 s[56:57], vcc, exec
	s_or_b64 s[78:79], s[20:21], s[56:57]
	s_barrier
	s_andn2_b64 exec, exec, s[76:77]
	s_cbranch_execz .LBB95_217
.LBB95_212:                             ;   Parent Loop BB95_6 Depth=1
                                        ; =>  This Inner Loop Header: Depth=2
	v_cmp_gt_u32_e32 vcc, s60, v4
	v_mov_b32_e32 v38, 0
	s_and_saveexec_b64 s[58:59], vcc
	s_cbranch_execz .LBB95_214
; %bb.213:                              ;   in Loop: Header=BB95_212 Depth=2
	v_lshlrev_b64 v[38:39], 1, v[10:11]
	v_mov_b32_e32 v40, s7
	v_add_co_u32_e64 v38, s[20:21], s33, v38
	v_addc_co_u32_e64 v39, s[20:21], v40, v39, s[20:21]
	global_load_ushort v38, v[38:39], off
.LBB95_214:                             ;   in Loop: Header=BB95_212 Depth=2
	s_or_b64 exec, exec, s[58:59]
	s_and_saveexec_b64 s[20:21], vcc
	s_cbranch_execz .LBB95_211
; %bb.215:                              ;   in Loop: Header=BB95_212 Depth=2
	s_waitcnt vmcnt(0)
	v_cmp_lt_i16_e32 vcc, -1, v38
	v_cndmask_b32_e32 v39, v29, v30, vcc
	v_xor_b32_sdwa v39, v39, v38 dst_sel:DWORD dst_unused:UNUSED_PAD src0_sel:DWORD src1_sel:WORD_0
	v_cmp_o_f16_e32 vcc, v38, v38
	v_cndmask_b32_e32 v39, v29, v39, vcc
	v_and_b32_e32 v39, v39, v3
	v_cmp_eq_u32_e32 vcc, v39, v2
	s_and_b64 exec, exec, vcc
	s_cbranch_execz .LBB95_211
; %bb.216:                              ;   in Loop: Header=BB95_212 Depth=2
	v_perm_b32 v38, v38, s12, v33
	ds_write_b32 v11, v38 offset:3072
	s_branch .LBB95_211
.LBB95_217:                             ;   in Loop: Header=BB95_6 Depth=1
	s_or_b64 exec, exec, s[76:77]
	v_lshrrev_b32_e32 v4, 16, v38
	s_and_b64 s[78:79], s[78:79], exec
.LBB95_218:                             ;   in Loop: Header=BB95_6 Depth=1
	v_readlane_b32 s20, v54, 53
	v_readlane_b32 s21, v54, 54
	s_or_b64 exec, exec, s[20:21]
	s_mov_b64 s[76:77], -1
	s_mov_b64 s[20:21], 0
	s_mov_b64 s[58:59], 0
.LBB95_219:                             ;   in Loop: Header=BB95_6 Depth=1
	s_orn2_b64 s[78:79], s[78:79], exec
.LBB95_220:                             ;   in Loop: Header=BB95_6 Depth=1
	s_or_b64 exec, exec, s[16:17]
	s_mov_b64 vcc, 0
                                        ; implicit-def: $vgpr10
                                        ; implicit-def: $vgpr38
	s_and_saveexec_b64 s[16:17], s[78:79]
	s_cbranch_execz .LBB95_232
; %bb.221:                              ;   in Loop: Header=BB95_6 Depth=1
	v_readlane_b32 s56, v54, 49
	v_readlane_b32 s57, v54, 50
	s_xor_b64 s[78:79], s[56:57], -1
	v_mov_b32_e32 v10, 1
	v_mov_b32_e32 v38, 1
	s_and_saveexec_b64 s[56:57], s[78:79]
	s_cbranch_execz .LBB95_231
; %bb.222:                              ;   in Loop: Header=BB95_6 Depth=1
	v_cmp_ge_u32_e32 vcc, s70, v5
                                        ; implicit-def: $sgpr71
	s_and_saveexec_b64 s[78:79], vcc
	s_xor_b64 s[78:79], exec, s[78:79]
	s_cbranch_execz .LBB95_228
; %bb.223:                              ;   in Loop: Header=BB95_6 Depth=1
	ds_read_b32 v10, v11 offset:4096
	s_waitcnt lgkmcnt(0)
	v_cmp_ne_u32_e32 vcc, 0, v10
	s_cbranch_vccnz .LBB95_227
; %bb.224:                              ;   in Loop: Header=BB95_6 Depth=1
	v_writelane_b32 v54, s78, 55
	v_writelane_b32 v54, s79, 56
	s_mov_b64 s[78:79], exec
	v_writelane_b32 v54, s78, 57
	v_writelane_b32 v54, s79, 58
	v_readlane_b32 vcc_lo, v54, 5
	v_readlane_b32 s78, v54, 57
	v_readlane_b32 vcc_hi, v54, 6
	v_readlane_b32 s79, v54, 58
	s_and_b64 vcc, s[78:79], vcc
	s_mov_b64 exec, vcc
	s_cbranch_execz .LBB95_226
; %bb.225:                              ;   in Loop: Header=BB95_6 Depth=1
	v_mov_b32_e32 v10, s70
	ds_write_b32 v11, v10 offset:4100
.LBB95_226:                             ;   in Loop: Header=BB95_6 Depth=1
	v_readlane_b32 vcc_lo, v54, 57
	v_readlane_b32 vcc_hi, v54, 58
	s_or_b64 exec, exec, vcc
	v_readlane_b32 s78, v54, 55
	v_readlane_b32 s79, v54, 56
	s_waitcnt lgkmcnt(0)
	s_barrier
.LBB95_227:                             ;   in Loop: Header=BB95_6 Depth=1
	v_or_b32_e32 v2, s68, v2
	v_or_b32_e32 v3, s68, v3
	s_mov_b32 s71, 8
.LBB95_228:                             ;   in Loop: Header=BB95_6 Depth=1
	s_or_saveexec_b64 s[78:79], s[78:79]
	v_mov_b32_e32 v10, s71
	s_xor_b64 exec, exec, s[78:79]
; %bb.229:                              ;   in Loop: Header=BB95_6 Depth=1
	v_subrev_u32_e32 v5, s70, v5
	v_mov_b32_e32 v10, 8
; %bb.230:                              ;   in Loop: Header=BB95_6 Depth=1
	s_or_b64 exec, exec, s[78:79]
	v_mov_b32_e32 v38, v5
.LBB95_231:                             ;   in Loop: Header=BB95_6 Depth=1
	s_or_b64 exec, exec, s[56:57]
	s_mov_b64 vcc, exec
.LBB95_232:                             ;   in Loop: Header=BB95_6 Depth=1
	s_or_b64 exec, exec, s[16:17]
	s_orn2_b64 s[16:17], vcc, exec
	v_mov_b32_e32 v5, v38
.LBB95_233:                             ;   in Loop: Header=BB95_6 Depth=1
	s_or_b64 exec, exec, s[54:55]
	s_andn2_b64 s[46:47], s[46:47], exec
	s_and_b64 s[20:21], s[20:21], exec
	s_or_b64 s[46:47], s[46:47], s[20:21]
	s_andn2_b64 s[20:21], s[50:51], exec
	s_and_b64 s[50:51], s[76:77], exec
	s_or_b64 s[50:51], s[20:21], s[50:51]
	;; [unrolled: 3-line block ×3, first 2 shown]
	s_and_b64 s[16:17], s[16:17], exec
	v_mov_b32_e32 v38, v5
.LBB95_234:                             ;   in Loop: Header=BB95_6 Depth=1
	s_or_b64 exec, exec, s[52:53]
	s_and_b64 s[52:53], s[46:47], exec
	s_and_b64 s[46:47], s[50:51], exec
	;; [unrolled: 1-line block ×3, first 2 shown]
	s_orn2_b64 s[16:17], s[16:17], exec
.LBB95_235:                             ;   in Loop: Header=BB95_6 Depth=1
	s_or_b64 exec, exec, s[44:45]
	s_andn2_b64 s[36:37], s[36:37], exec
	s_and_b64 s[44:45], s[52:53], exec
	s_or_b64 s[36:37], s[36:37], s[44:45]
	s_andn2_b64 s[40:41], s[40:41], exec
	s_and_b64 s[44:45], s[46:47], exec
	s_andn2_b64 s[38:39], s[38:39], exec
	s_and_b64 s[20:21], s[20:21], exec
	s_or_b64 s[40:41], s[40:41], s[44:45]
	s_or_b64 s[38:39], s[38:39], s[20:21]
	s_and_b64 s[20:21], s[16:17], exec
	v_mov_b32_e32 v5, v38
.LBB95_236:                             ;   in Loop: Header=BB95_6 Depth=1
	s_or_b64 exec, exec, s[42:43]
	s_and_b64 s[42:43], s[36:37], exec
	s_and_b64 s[36:37], s[40:41], exec
	;; [unrolled: 1-line block ×3, first 2 shown]
	s_orn2_b64 s[38:39], s[20:21], exec
.LBB95_237:                             ;   in Loop: Header=BB95_6 Depth=1
	s_or_b64 exec, exec, s[24:25]
	s_mov_b64 s[24:25], 0
	s_mov_b64 s[20:21], 0
	s_and_saveexec_b64 s[40:41], s[38:39]
	s_xor_b64 s[38:39], exec, s[40:41]
; %bb.238:                              ;   in Loop: Header=BB95_6 Depth=1
	v_cmp_eq_u32_e32 vcc, 8, v10
	v_cmp_ne_u32_e64 s[20:21], 8, v10
	s_andn2_b64 s[42:43], s[42:43], exec
	s_andn2_b64 s[36:37], s[36:37], exec
	;; [unrolled: 1-line block ×3, first 2 shown]
	s_and_b64 s[20:21], s[20:21], exec
	s_and_b64 s[24:25], vcc, exec
; %bb.239:                              ;   in Loop: Header=BB95_6 Depth=1
	s_or_b64 exec, exec, s[38:39]
	s_andn2_b64 s[22:23], s[22:23], exec
	s_and_b64 s[38:39], s[42:43], exec
	s_andn2_b64 s[28:29], s[28:29], exec
	s_and_b64 s[36:37], s[36:37], exec
	;; [unrolled: 2-line block ×3, first 2 shown]
	s_or_b64 s[22:23], s[22:23], s[38:39]
	s_or_b64 s[28:29], s[28:29], s[36:37]
	;; [unrolled: 1-line block ×3, first 2 shown]
	s_and_b64 s[20:21], s[20:21], exec
	s_and_b64 s[24:25], s[24:25], exec
.LBB95_240:                             ;   in Loop: Header=BB95_6 Depth=1
	s_or_b64 exec, exec, s[34:35]
	s_and_b64 vcc, exec, s[30:31]
	s_cbranch_vccz .LBB95_90
.LBB95_241:                             ;   in Loop: Header=BB95_6 Depth=1
	s_cmp_eq_u32 s70, 1
	s_cselect_b64 s[16:17], -1, 0
	s_and_b64 s[28:29], s[16:17], s[18:19]
	s_mov_b64 s[18:19], -1
                                        ; implicit-def: $sgpr30_sgpr31
                                        ; implicit-def: $sgpr34_sgpr35
                                        ; implicit-def: $sgpr22_sgpr23
	s_and_saveexec_b64 s[16:17], s[28:29]
	s_cbranch_execz .LBB95_267
; %bb.242:                              ;   in Loop: Header=BB95_6 Depth=1
	ds_read_b32 v2, v11 offset:4096
	s_waitcnt lgkmcnt(0)
	s_barrier
	v_readfirstlane_b32 s34, v2
	s_mov_b64 s[18:19], exec
	v_readlane_b32 s22, v54, 31
	v_readlane_b32 s23, v54, 32
	s_and_b64 s[22:23], s[18:19], s[22:23]
	s_mov_b64 exec, s[22:23]
	s_cbranch_execz .LBB95_244
; %bb.243:                              ;   in Loop: Header=BB95_6 Depth=1
	ds_write_b16 v20, v11
.LBB95_244:                             ;   in Loop: Header=BB95_6 Depth=1
	s_or_b64 exec, exec, s[18:19]
	v_or_b32_e32 v35, s68, v35
	v_or_b32_e32 v34, s68, v34
	s_cmp_eq_u32 s34, 0
	s_waitcnt lgkmcnt(0)
	s_barrier
	s_cbranch_scc1 .LBB95_253
; %bb.245:                              ;   in Loop: Header=BB95_6 Depth=1
	v_readlane_b32 s18, v54, 22
	s_add_i32 s18, s34, s18
	v_readlane_b32 s19, v54, 46
	s_mul_hi_u32 s19, s18, s19
	s_mul_i32 s19, s19, s72
	s_sub_i32 s19, s18, s19
	s_sub_i32 s22, s19, s72
	s_cmp_ge_u32 s19, s72
	s_cselect_b32 s19, s22, s19
	s_sub_i32 s22, s19, s72
	s_cmp_ge_u32 s19, s72
	s_cselect_b32 s19, s22, s19
	s_sub_i32 s35, s18, s19
	v_cmp_gt_u32_e32 vcc, s35, v0
	s_mov_b64 s[18:19], 0
                                        ; implicit-def: $vgpr36
	s_and_saveexec_b64 s[22:23], vcc
	s_cbranch_execz .LBB95_255
; %bb.246:                              ;   in Loop: Header=BB95_6 Depth=1
	s_mov_b64 s[26:27], 0
	v_mov_b32_e32 v2, v19
	v_mov_b32_e32 v3, v0
                                        ; implicit-def: $sgpr30_sgpr31
	s_branch .LBB95_248
.LBB95_247:                             ;   in Loop: Header=BB95_248 Depth=2
	s_or_b64 exec, exec, s[18:19]
	s_waitcnt lgkmcnt(0)
	s_barrier
	ds_read_b32 v4, v11 offset:3072
	v_add_u32_e32 v3, s72, v3
	v_cmp_le_u32_e64 s[18:19], s35, v3
	v_add_u32_e32 v2, s5, v2
	s_waitcnt lgkmcnt(0)
	v_cmp_neq_f16_e32 vcc, 0, v4
	s_or_b64 s[18:19], s[18:19], vcc
	s_and_b64 s[18:19], exec, s[18:19]
	s_or_b64 s[26:27], s[18:19], s[26:27]
	s_andn2_b64 s[18:19], s[30:31], exec
	s_and_b64 s[30:31], vcc, exec
	s_or_b64 s[30:31], s[18:19], s[30:31]
	s_barrier
	s_andn2_b64 exec, exec, s[26:27]
	s_cbranch_execz .LBB95_254
.LBB95_248:                             ;   Parent Loop BB95_6 Depth=1
                                        ; =>  This Inner Loop Header: Depth=2
	v_cmp_gt_u32_e32 vcc, s34, v3
	v_mov_b32_e32 v4, 0
	s_and_saveexec_b64 s[18:19], vcc
	s_cbranch_execz .LBB95_250
; %bb.249:                              ;   in Loop: Header=BB95_248 Depth=2
	ds_read_u16 v4, v2
.LBB95_250:                             ;   in Loop: Header=BB95_248 Depth=2
	s_or_b64 exec, exec, s[18:19]
	s_and_saveexec_b64 s[18:19], vcc
	s_cbranch_execz .LBB95_247
; %bb.251:                              ;   in Loop: Header=BB95_248 Depth=2
	s_waitcnt lgkmcnt(0)
	v_cmp_lt_i16_e32 vcc, -1, v4
	v_cndmask_b32_e32 v5, v29, v30, vcc
	v_xor_b32_sdwa v5, v5, v4 dst_sel:DWORD dst_unused:UNUSED_PAD src0_sel:DWORD src1_sel:WORD_0
	v_cmp_o_f16_e32 vcc, v4, v4
	v_cndmask_b32_e32 v5, v29, v5, vcc
	v_and_b32_e32 v5, v5, v34
	v_cmp_eq_u32_e32 vcc, v5, v35
	s_and_b64 exec, exec, vcc
	s_cbranch_execz .LBB95_247
; %bb.252:                              ;   in Loop: Header=BB95_248 Depth=2
	v_perm_b32 v4, v4, s12, v33
	ds_write_b32 v11, v4 offset:3072
	s_branch .LBB95_247
.LBB95_253:                             ;   in Loop: Header=BB95_6 Depth=1
	s_mov_b64 s[30:31], -1
	s_mov_b64 s[18:19], 0
                                        ; implicit-def: $sgpr34_sgpr35
                                        ; implicit-def: $vgpr36
	s_mov_b64 s[22:23], s[30:31]
	s_cbranch_execnz .LBB95_256
	s_branch .LBB95_266
.LBB95_254:                             ;   in Loop: Header=BB95_6 Depth=1
	s_or_b64 exec, exec, s[26:27]
	v_lshrrev_b32_e32 v36, 16, v4
	s_and_b64 s[18:19], s[30:31], exec
.LBB95_255:                             ;   in Loop: Header=BB95_6 Depth=1
	s_or_b64 exec, exec, s[22:23]
	s_mov_b64 s[30:31], 0
	s_mov_b64 s[34:35], -1
	s_mov_b64 s[22:23], s[30:31]
	s_branch .LBB95_266
.LBB95_256:                             ;   in Loop: Header=BB95_6 Depth=1
	s_mov_b64 s[18:19], 0
                                        ; implicit-def: $vgpr36
	s_mov_b64 s[22:23], exec
	v_readlane_b32 s26, v54, 47
	v_readlane_b32 s27, v54, 48
	s_and_b64 s[26:27], s[22:23], s[26:27]
	s_mov_b64 exec, s[26:27]
	s_cbranch_execz .LBB95_265
; %bb.257:                              ;   in Loop: Header=BB95_6 Depth=1
	s_mov_b64 s[26:27], 0
	v_mov_b32_e32 v10, v12
	v_mov_b32_e32 v2, v0
                                        ; implicit-def: $sgpr30_sgpr31
	s_branch .LBB95_259
.LBB95_258:                             ;   in Loop: Header=BB95_259 Depth=2
	s_or_b64 exec, exec, s[18:19]
	s_waitcnt lgkmcnt(0)
	s_barrier
	s_waitcnt vmcnt(0)
	ds_read_b32 v3, v11 offset:3072
	v_add_u32_e32 v2, s72, v2
	v_cmp_le_u32_e64 s[18:19], s74, v2
	v_add_u32_e32 v10, s6, v10
	s_waitcnt lgkmcnt(0)
	v_cmp_neq_f16_e32 vcc, 0, v3
	s_or_b64 s[18:19], s[18:19], vcc
	s_and_b64 s[18:19], exec, s[18:19]
	s_or_b64 s[26:27], s[18:19], s[26:27]
	s_andn2_b64 s[18:19], s[30:31], exec
	s_and_b64 s[30:31], vcc, exec
	s_or_b64 s[30:31], s[18:19], s[30:31]
	s_barrier
	s_andn2_b64 exec, exec, s[26:27]
	s_cbranch_execz .LBB95_264
.LBB95_259:                             ;   Parent Loop BB95_6 Depth=1
                                        ; =>  This Inner Loop Header: Depth=2
	v_cmp_gt_u32_e32 vcc, s60, v2
	v_mov_b32_e32 v3, 0
	s_and_saveexec_b64 s[34:35], vcc
	s_cbranch_execz .LBB95_261
; %bb.260:                              ;   in Loop: Header=BB95_259 Depth=2
	v_lshlrev_b64 v[4:5], 1, v[10:11]
	v_mov_b32_e32 v3, s7
	v_add_co_u32_e64 v4, s[18:19], s33, v4
	v_addc_co_u32_e64 v5, s[18:19], v3, v5, s[18:19]
	global_load_ushort v3, v[4:5], off
.LBB95_261:                             ;   in Loop: Header=BB95_259 Depth=2
	s_or_b64 exec, exec, s[34:35]
	s_and_saveexec_b64 s[18:19], vcc
	s_cbranch_execz .LBB95_258
; %bb.262:                              ;   in Loop: Header=BB95_259 Depth=2
	s_waitcnt vmcnt(0)
	v_cmp_lt_i16_e32 vcc, -1, v3
	v_cndmask_b32_e32 v4, v29, v30, vcc
	v_xor_b32_sdwa v4, v4, v3 dst_sel:DWORD dst_unused:UNUSED_PAD src0_sel:DWORD src1_sel:WORD_0
	v_cmp_o_f16_e32 vcc, v3, v3
	v_cndmask_b32_e32 v4, v29, v4, vcc
	v_and_b32_e32 v4, v4, v34
	v_cmp_eq_u32_e32 vcc, v4, v35
	s_and_b64 exec, exec, vcc
	s_cbranch_execz .LBB95_258
; %bb.263:                              ;   in Loop: Header=BB95_259 Depth=2
	v_perm_b32 v3, v3, s12, v33
	ds_write_b32 v11, v3 offset:3072
	s_branch .LBB95_258
.LBB95_264:                             ;   in Loop: Header=BB95_6 Depth=1
	s_or_b64 exec, exec, s[26:27]
	v_lshrrev_b32_e32 v36, 16, v3
	s_and_b64 s[18:19], s[30:31], exec
.LBB95_265:                             ;   in Loop: Header=BB95_6 Depth=1
	s_or_b64 exec, exec, s[22:23]
	s_mov_b64 s[34:35], 0
	s_mov_b64 s[30:31], -1
	s_mov_b64 s[22:23], 0
.LBB95_266:                             ;   in Loop: Header=BB95_6 Depth=1
	s_orn2_b64 s[18:19], s[18:19], exec
.LBB95_267:                             ;   in Loop: Header=BB95_6 Depth=1
	s_or_b64 exec, exec, s[16:17]
                                        ; implicit-def: $vgpr10
                                        ; implicit-def: $vgpr5
                                        ; implicit-def: $vgpr2
                                        ; implicit-def: $vgpr3
                                        ; implicit-def: $vgpr4
	s_and_saveexec_b64 s[26:27], s[18:19]
	s_cbranch_execz .LBB95_402
; %bb.268:                              ;   in Loop: Header=BB95_6 Depth=1
	s_xor_b64 s[28:29], s[28:29], -1
	s_mov_b64 s[18:19], 0
	v_mov_b32_e32 v5, 1
	v_mov_b32_e32 v10, 1
	s_and_saveexec_b64 s[16:17], s[28:29]
	s_cbranch_execz .LBB95_278
; %bb.269:                              ;   in Loop: Header=BB95_6 Depth=1
	v_cmp_ge_u32_e32 vcc, s70, v37
                                        ; implicit-def: $sgpr36
                                        ; implicit-def: $sgpr18_sgpr19
	s_and_saveexec_b64 s[28:29], vcc
	s_xor_b64 s[28:29], exec, s[28:29]
	s_cbranch_execz .LBB95_275
; %bb.270:                              ;   in Loop: Header=BB95_6 Depth=1
	ds_read_b32 v2, v11 offset:4096
	s_waitcnt lgkmcnt(0)
	v_cmp_ne_u32_e32 vcc, 0, v2
	s_cbranch_vccnz .LBB95_274
; %bb.271:                              ;   in Loop: Header=BB95_6 Depth=1
	s_mov_b64 s[18:19], exec
	v_readlane_b32 s36, v54, 5
	v_readlane_b32 s37, v54, 6
	s_and_b64 s[36:37], s[18:19], s[36:37]
	s_mov_b64 exec, s[36:37]
	s_cbranch_execz .LBB95_273
; %bb.272:                              ;   in Loop: Header=BB95_6 Depth=1
	v_mov_b32_e32 v2, s70
	ds_write_b32 v11, v2 offset:4100
.LBB95_273:                             ;   in Loop: Header=BB95_6 Depth=1
	s_or_b64 exec, exec, s[18:19]
	s_waitcnt lgkmcnt(0)
	s_barrier
.LBB95_274:                             ;   in Loop: Header=BB95_6 Depth=1
	v_or_b32_e32 v35, s68, v35
	v_or_b32_e32 v34, s68, v34
	s_mov_b64 s[18:19], 0
	s_mov_b32 s36, 5
.LBB95_275:                             ;   in Loop: Header=BB95_6 Depth=1
	s_or_saveexec_b64 s[28:29], s[28:29]
	v_mov_b32_e32 v10, s36
	s_xor_b64 exec, exec, s[28:29]
; %bb.276:                              ;   in Loop: Header=BB95_6 Depth=1
	v_subrev_u32_e32 v37, s70, v37
	v_mov_b32_e32 v10, 0
	s_or_b64 s[18:19], s[18:19], exec
; %bb.277:                              ;   in Loop: Header=BB95_6 Depth=1
	s_or_b64 exec, exec, s[28:29]
	s_and_b64 s[18:19], s[18:19], exec
	v_mov_b32_e32 v5, v37
.LBB95_278:                             ;   in Loop: Header=BB95_6 Depth=1
	s_or_b64 exec, exec, s[16:17]
	s_mov_b64 s[38:39], -1
                                        ; implicit-def: $sgpr16_sgpr17
                                        ; implicit-def: $sgpr36_sgpr37
                                        ; implicit-def: $sgpr42_sgpr43
	s_and_saveexec_b64 s[28:29], s[18:19]
	s_xor_b64 s[28:29], exec, s[28:29]
	s_cbranch_execz .LBB95_399
; %bb.279:                              ;   in Loop: Header=BB95_6 Depth=1
	s_cmp_eq_u32 s63, 1
	s_cselect_b64 s[16:17], -1, 0
	v_cmp_eq_u32_e32 vcc, 1, v5
	s_and_b64 s[44:45], s[16:17], vcc
	s_mov_b64 s[46:47], -1
                                        ; implicit-def: $sgpr36_sgpr37
                                        ; implicit-def: $sgpr38_sgpr39
                                        ; implicit-def: $sgpr40_sgpr41
	s_and_saveexec_b64 s[16:17], s[44:45]
	s_cbranch_execz .LBB95_305
; %bb.280:                              ;   in Loop: Header=BB95_6 Depth=1
	ds_read_b32 v2, v11 offset:4096
	s_waitcnt lgkmcnt(0)
	s_barrier
	v_readfirstlane_b32 s42, v2
	s_mov_b64 s[18:19], exec
	v_readlane_b32 s36, v54, 31
	v_readlane_b32 s37, v54, 32
	s_and_b64 s[36:37], s[18:19], s[36:37]
	s_mov_b64 exec, s[36:37]
	s_cbranch_execz .LBB95_282
; %bb.281:                              ;   in Loop: Header=BB95_6 Depth=1
	ds_write_b16 v20, v11
.LBB95_282:                             ;   in Loop: Header=BB95_6 Depth=1
	s_or_b64 exec, exec, s[18:19]
	v_and_b32_e32 v2, s10, v35
	v_lshl_or_b32 v35, 2, s62, v2
	v_or_b32_e32 v34, s68, v34
	s_cmp_eq_u32 s42, 0
	s_waitcnt lgkmcnt(0)
	s_barrier
	s_cbranch_scc1 .LBB95_291
; %bb.283:                              ;   in Loop: Header=BB95_6 Depth=1
	v_readlane_b32 s18, v54, 22
	s_add_i32 s18, s42, s18
	v_readlane_b32 s19, v54, 46
	s_mul_hi_u32 s19, s18, s19
	s_mul_i32 s19, s19, s72
	s_sub_i32 s19, s18, s19
	s_sub_i32 s36, s19, s72
	s_cmp_ge_u32 s19, s72
	s_cselect_b32 s19, s36, s19
	s_sub_i32 s36, s19, s72
	s_cmp_ge_u32 s19, s72
	s_cselect_b32 s19, s36, s19
	s_sub_i32 s43, s18, s19
	v_cmp_gt_u32_e32 vcc, s43, v0
	s_mov_b64 s[18:19], 0
                                        ; implicit-def: $vgpr36
	s_and_saveexec_b64 s[36:37], vcc
	s_cbranch_execz .LBB95_293
; %bb.284:                              ;   in Loop: Header=BB95_6 Depth=1
	s_mov_b64 s[38:39], 0
	v_mov_b32_e32 v2, v19
	v_mov_b32_e32 v3, v0
                                        ; implicit-def: $sgpr40_sgpr41
	s_branch .LBB95_286
.LBB95_285:                             ;   in Loop: Header=BB95_286 Depth=2
	s_or_b64 exec, exec, s[18:19]
	s_waitcnt lgkmcnt(0)
	s_barrier
	ds_read_b32 v4, v11 offset:3072
	v_add_u32_e32 v3, s72, v3
	v_cmp_le_u32_e64 s[18:19], s43, v3
	v_add_u32_e32 v2, s5, v2
	s_waitcnt lgkmcnt(0)
	v_cmp_neq_f16_e32 vcc, 0, v4
	s_or_b64 s[18:19], s[18:19], vcc
	s_and_b64 s[18:19], exec, s[18:19]
	s_or_b64 s[38:39], s[18:19], s[38:39]
	s_andn2_b64 s[18:19], s[40:41], exec
	s_and_b64 s[40:41], vcc, exec
	s_or_b64 s[40:41], s[18:19], s[40:41]
	s_barrier
	s_andn2_b64 exec, exec, s[38:39]
	s_cbranch_execz .LBB95_292
.LBB95_286:                             ;   Parent Loop BB95_6 Depth=1
                                        ; =>  This Inner Loop Header: Depth=2
	v_cmp_gt_u32_e32 vcc, s42, v3
	v_mov_b32_e32 v4, 0
	s_and_saveexec_b64 s[18:19], vcc
	s_cbranch_execz .LBB95_288
; %bb.287:                              ;   in Loop: Header=BB95_286 Depth=2
	ds_read_u16 v4, v2
.LBB95_288:                             ;   in Loop: Header=BB95_286 Depth=2
	s_or_b64 exec, exec, s[18:19]
	s_and_saveexec_b64 s[18:19], vcc
	s_cbranch_execz .LBB95_285
; %bb.289:                              ;   in Loop: Header=BB95_286 Depth=2
	s_waitcnt lgkmcnt(0)
	v_cmp_lt_i16_e32 vcc, -1, v4
	v_cndmask_b32_e32 v10, v29, v30, vcc
	v_xor_b32_sdwa v10, v10, v4 dst_sel:DWORD dst_unused:UNUSED_PAD src0_sel:DWORD src1_sel:WORD_0
	v_cmp_o_f16_e32 vcc, v4, v4
	v_cndmask_b32_e32 v10, v29, v10, vcc
	v_and_b32_e32 v10, v10, v34
	v_cmp_eq_u32_e32 vcc, v10, v35
	s_and_b64 exec, exec, vcc
	s_cbranch_execz .LBB95_285
; %bb.290:                              ;   in Loop: Header=BB95_286 Depth=2
	v_perm_b32 v4, v4, s12, v33
	ds_write_b32 v11, v4 offset:3072
	s_branch .LBB95_285
.LBB95_291:                             ;   in Loop: Header=BB95_6 Depth=1
	s_mov_b64 s[36:37], -1
	s_mov_b64 s[18:19], 0
                                        ; implicit-def: $sgpr38_sgpr39
                                        ; implicit-def: $vgpr36
	s_mov_b64 s[40:41], s[36:37]
	s_cbranch_execnz .LBB95_294
	s_branch .LBB95_304
.LBB95_292:                             ;   in Loop: Header=BB95_6 Depth=1
	s_or_b64 exec, exec, s[38:39]
	v_lshrrev_b32_e32 v36, 16, v4
	s_and_b64 s[18:19], s[40:41], exec
.LBB95_293:                             ;   in Loop: Header=BB95_6 Depth=1
	s_or_b64 exec, exec, s[36:37]
	s_mov_b64 s[36:37], 0
	s_mov_b64 s[38:39], -1
	s_mov_b64 s[40:41], s[36:37]
	s_branch .LBB95_304
.LBB95_294:                             ;   in Loop: Header=BB95_6 Depth=1
	s_mov_b64 s[18:19], 0
                                        ; implicit-def: $vgpr36
	s_mov_b64 s[36:37], exec
	v_readlane_b32 s38, v54, 47
	v_readlane_b32 s39, v54, 48
	s_and_b64 s[38:39], s[36:37], s[38:39]
	s_mov_b64 exec, s[38:39]
	s_cbranch_execz .LBB95_303
; %bb.295:                              ;   in Loop: Header=BB95_6 Depth=1
	s_mov_b64 s[38:39], 0
	v_mov_b32_e32 v10, v12
	v_mov_b32_e32 v2, v0
                                        ; implicit-def: $sgpr40_sgpr41
	s_branch .LBB95_297
.LBB95_296:                             ;   in Loop: Header=BB95_297 Depth=2
	s_or_b64 exec, exec, s[18:19]
	s_waitcnt lgkmcnt(0)
	s_barrier
	s_waitcnt vmcnt(0)
	ds_read_b32 v3, v11 offset:3072
	v_add_u32_e32 v2, s72, v2
	v_cmp_le_u32_e64 s[18:19], s74, v2
	v_add_u32_e32 v10, s6, v10
	s_waitcnt lgkmcnt(0)
	v_cmp_neq_f16_e32 vcc, 0, v3
	s_or_b64 s[18:19], s[18:19], vcc
	s_and_b64 s[18:19], exec, s[18:19]
	s_or_b64 s[38:39], s[18:19], s[38:39]
	s_andn2_b64 s[18:19], s[40:41], exec
	s_and_b64 s[40:41], vcc, exec
	s_or_b64 s[40:41], s[18:19], s[40:41]
	s_barrier
	s_andn2_b64 exec, exec, s[38:39]
	s_cbranch_execz .LBB95_302
.LBB95_297:                             ;   Parent Loop BB95_6 Depth=1
                                        ; =>  This Inner Loop Header: Depth=2
	v_cmp_gt_u32_e32 vcc, s60, v2
	v_mov_b32_e32 v3, 0
	s_and_saveexec_b64 s[42:43], vcc
	s_cbranch_execz .LBB95_299
; %bb.298:                              ;   in Loop: Header=BB95_297 Depth=2
	v_lshlrev_b64 v[36:37], 1, v[10:11]
	v_mov_b32_e32 v3, s7
	v_add_co_u32_e64 v36, s[18:19], s33, v36
	v_addc_co_u32_e64 v37, s[18:19], v3, v37, s[18:19]
	global_load_ushort v3, v[36:37], off
.LBB95_299:                             ;   in Loop: Header=BB95_297 Depth=2
	s_or_b64 exec, exec, s[42:43]
	s_and_saveexec_b64 s[18:19], vcc
	s_cbranch_execz .LBB95_296
; %bb.300:                              ;   in Loop: Header=BB95_297 Depth=2
	s_waitcnt vmcnt(0)
	v_cmp_lt_i16_e32 vcc, -1, v3
	v_cndmask_b32_e32 v4, v29, v30, vcc
	v_xor_b32_sdwa v4, v4, v3 dst_sel:DWORD dst_unused:UNUSED_PAD src0_sel:DWORD src1_sel:WORD_0
	v_cmp_o_f16_e32 vcc, v3, v3
	v_cndmask_b32_e32 v4, v29, v4, vcc
	v_and_b32_e32 v4, v4, v34
	v_cmp_eq_u32_e32 vcc, v4, v35
	s_and_b64 exec, exec, vcc
	s_cbranch_execz .LBB95_296
; %bb.301:                              ;   in Loop: Header=BB95_297 Depth=2
	v_perm_b32 v3, v3, s12, v33
	ds_write_b32 v11, v3 offset:3072
	s_branch .LBB95_296
.LBB95_302:                             ;   in Loop: Header=BB95_6 Depth=1
	s_or_b64 exec, exec, s[38:39]
	v_lshrrev_b32_e32 v36, 16, v3
	s_and_b64 s[18:19], s[40:41], exec
.LBB95_303:                             ;   in Loop: Header=BB95_6 Depth=1
	s_or_b64 exec, exec, s[36:37]
	s_mov_b64 s[38:39], 0
	s_mov_b64 s[36:37], -1
	s_mov_b64 s[40:41], 0
.LBB95_304:                             ;   in Loop: Header=BB95_6 Depth=1
	s_orn2_b64 s[46:47], s[18:19], exec
.LBB95_305:                             ;   in Loop: Header=BB95_6 Depth=1
	s_or_b64 exec, exec, s[16:17]
	s_mov_b64 s[18:19], 0
                                        ; implicit-def: $vgpr10
	s_and_saveexec_b64 s[42:43], s[46:47]
	s_cbranch_execz .LBB95_398
; %bb.306:                              ;   in Loop: Header=BB95_6 Depth=1
	s_xor_b64 s[18:19], s[44:45], -1
	s_mov_b64 s[48:49], 0
	v_mov_b32_e32 v2, 1
	v_mov_b32_e32 v10, 1
	s_and_saveexec_b64 s[16:17], s[18:19]
	s_cbranch_execz .LBB95_316
; %bb.307:                              ;   in Loop: Header=BB95_6 Depth=1
	v_cmp_ge_u32_e32 vcc, s63, v5
                                        ; implicit-def: $sgpr46
                                        ; implicit-def: $sgpr18_sgpr19
	s_and_saveexec_b64 s[44:45], vcc
	s_xor_b64 s[44:45], exec, s[44:45]
	s_cbranch_execz .LBB95_313
; %bb.308:                              ;   in Loop: Header=BB95_6 Depth=1
	ds_read_b32 v2, v11 offset:4096
	s_waitcnt lgkmcnt(0)
	v_cmp_ne_u32_e32 vcc, 0, v2
	s_cbranch_vccnz .LBB95_312
; %bb.309:                              ;   in Loop: Header=BB95_6 Depth=1
	s_mov_b64 s[18:19], exec
	v_readlane_b32 s46, v54, 5
	v_readlane_b32 s47, v54, 6
	s_and_b64 s[46:47], s[18:19], s[46:47]
	s_mov_b64 exec, s[46:47]
	s_cbranch_execz .LBB95_311
; %bb.310:                              ;   in Loop: Header=BB95_6 Depth=1
	v_mov_b32_e32 v2, s63
	ds_write_b32 v11, v2 offset:4100
.LBB95_311:                             ;   in Loop: Header=BB95_6 Depth=1
	s_or_b64 exec, exec, s[18:19]
	s_waitcnt lgkmcnt(0)
	s_barrier
.LBB95_312:                             ;   in Loop: Header=BB95_6 Depth=1
	v_and_b32_e32 v2, s10, v35
	v_lshl_or_b32 v35, 2, s62, v2
	v_or_b32_e32 v34, s68, v34
	s_mov_b64 s[18:19], 0
	s_mov_b32 s46, 5
.LBB95_313:                             ;   in Loop: Header=BB95_6 Depth=1
	s_or_saveexec_b64 s[44:45], s[44:45]
	v_mov_b32_e32 v10, s46
	s_xor_b64 exec, exec, s[44:45]
; %bb.314:                              ;   in Loop: Header=BB95_6 Depth=1
	v_subrev_u32_e32 v5, s63, v5
	v_mov_b32_e32 v10, 0
	s_or_b64 s[18:19], s[18:19], exec
; %bb.315:                              ;   in Loop: Header=BB95_6 Depth=1
	s_or_b64 exec, exec, s[44:45]
	s_and_b64 s[48:49], s[18:19], exec
	v_mov_b32_e32 v2, v5
.LBB95_316:                             ;   in Loop: Header=BB95_6 Depth=1
	s_or_b64 exec, exec, s[16:17]
	s_mov_b64 s[16:17], -1
                                        ; implicit-def: $sgpr18_sgpr19
                                        ; implicit-def: $sgpr46_sgpr47
                                        ; implicit-def: $sgpr52_sgpr53
	s_and_saveexec_b64 s[44:45], s[48:49]
	s_cbranch_execz .LBB95_397
; %bb.317:                              ;   in Loop: Header=BB95_6 Depth=1
	s_cmp_eq_u32 s11, 1
	s_cselect_b64 s[16:17], -1, 0
	v_cmp_eq_u32_e32 vcc, 1, v2
	s_and_b64 s[54:55], s[16:17], vcc
	s_mov_b64 s[18:19], -1
                                        ; implicit-def: $sgpr46_sgpr47
                                        ; implicit-def: $sgpr48_sgpr49
                                        ; implicit-def: $sgpr50_sgpr51
	s_and_saveexec_b64 s[16:17], s[54:55]
	s_cbranch_execz .LBB95_343
; %bb.318:                              ;   in Loop: Header=BB95_6 Depth=1
	ds_read_b32 v3, v11 offset:4096
	s_waitcnt lgkmcnt(0)
	s_barrier
	v_readfirstlane_b32 s52, v3
	s_mov_b64 s[18:19], exec
	v_readlane_b32 s46, v54, 31
	v_readlane_b32 s47, v54, 32
	s_and_b64 s[46:47], s[18:19], s[46:47]
	s_mov_b64 exec, s[46:47]
	s_cbranch_execz .LBB95_320
; %bb.319:                              ;   in Loop: Header=BB95_6 Depth=1
	ds_write_b16 v20, v11
.LBB95_320:                             ;   in Loop: Header=BB95_6 Depth=1
	s_or_b64 exec, exec, s[18:19]
	v_and_b32_e32 v3, s10, v35
	v_lshl_or_b32 v35, 1, s62, v3
	v_or_b32_e32 v34, s68, v34
	s_cmp_eq_u32 s52, 0
	s_waitcnt lgkmcnt(0)
	s_barrier
	s_cbranch_scc1 .LBB95_329
; %bb.321:                              ;   in Loop: Header=BB95_6 Depth=1
	v_readlane_b32 s18, v54, 22
	s_add_i32 s18, s52, s18
	v_readlane_b32 s19, v54, 46
	s_mul_hi_u32 s19, s18, s19
	s_mul_i32 s19, s19, s72
	s_sub_i32 s19, s18, s19
	s_sub_i32 s46, s19, s72
	s_cmp_ge_u32 s19, s72
	s_cselect_b32 s19, s46, s19
	s_sub_i32 s46, s19, s72
	s_cmp_ge_u32 s19, s72
	s_cselect_b32 s19, s46, s19
	s_sub_i32 s53, s18, s19
	v_cmp_gt_u32_e32 vcc, s53, v0
	s_mov_b64 s[18:19], 0
                                        ; implicit-def: $vgpr36
	s_and_saveexec_b64 s[46:47], vcc
	s_cbranch_execz .LBB95_331
; %bb.322:                              ;   in Loop: Header=BB95_6 Depth=1
	s_mov_b64 s[48:49], 0
	v_mov_b32_e32 v3, v19
	v_mov_b32_e32 v4, v0
                                        ; implicit-def: $sgpr50_sgpr51
	s_branch .LBB95_324
.LBB95_323:                             ;   in Loop: Header=BB95_324 Depth=2
	s_or_b64 exec, exec, s[18:19]
	s_waitcnt lgkmcnt(0)
	s_barrier
	ds_read_b32 v5, v11 offset:3072
	v_add_u32_e32 v4, s72, v4
	v_cmp_le_u32_e64 s[18:19], s53, v4
	v_add_u32_e32 v3, s5, v3
	s_waitcnt lgkmcnt(0)
	v_cmp_neq_f16_e32 vcc, 0, v5
	s_or_b64 s[18:19], s[18:19], vcc
	s_and_b64 s[18:19], exec, s[18:19]
	s_or_b64 s[48:49], s[18:19], s[48:49]
	s_andn2_b64 s[18:19], s[50:51], exec
	s_and_b64 s[50:51], vcc, exec
	s_or_b64 s[50:51], s[18:19], s[50:51]
	s_barrier
	s_andn2_b64 exec, exec, s[48:49]
	s_cbranch_execz .LBB95_330
.LBB95_324:                             ;   Parent Loop BB95_6 Depth=1
                                        ; =>  This Inner Loop Header: Depth=2
	v_cmp_gt_u32_e32 vcc, s52, v4
	v_mov_b32_e32 v5, 0
	s_and_saveexec_b64 s[18:19], vcc
	s_cbranch_execz .LBB95_326
; %bb.325:                              ;   in Loop: Header=BB95_324 Depth=2
	ds_read_u16 v5, v3
.LBB95_326:                             ;   in Loop: Header=BB95_324 Depth=2
	s_or_b64 exec, exec, s[18:19]
	s_and_saveexec_b64 s[18:19], vcc
	s_cbranch_execz .LBB95_323
; %bb.327:                              ;   in Loop: Header=BB95_324 Depth=2
	s_waitcnt lgkmcnt(0)
	v_cmp_lt_i16_e32 vcc, -1, v5
	v_cndmask_b32_e32 v10, v29, v30, vcc
	v_xor_b32_sdwa v10, v10, v5 dst_sel:DWORD dst_unused:UNUSED_PAD src0_sel:DWORD src1_sel:WORD_0
	v_cmp_o_f16_e32 vcc, v5, v5
	v_cndmask_b32_e32 v10, v29, v10, vcc
	v_and_b32_e32 v10, v10, v34
	v_cmp_eq_u32_e32 vcc, v10, v35
	s_and_b64 exec, exec, vcc
	s_cbranch_execz .LBB95_323
; %bb.328:                              ;   in Loop: Header=BB95_324 Depth=2
	v_perm_b32 v5, v5, s12, v33
	ds_write_b32 v11, v5 offset:3072
	s_branch .LBB95_323
.LBB95_329:                             ;   in Loop: Header=BB95_6 Depth=1
	s_mov_b64 s[46:47], -1
	s_mov_b64 s[18:19], 0
                                        ; implicit-def: $sgpr48_sgpr49
                                        ; implicit-def: $vgpr36
	s_mov_b64 s[50:51], s[46:47]
	s_cbranch_execnz .LBB95_332
	s_branch .LBB95_342
.LBB95_330:                             ;   in Loop: Header=BB95_6 Depth=1
	s_or_b64 exec, exec, s[48:49]
	v_lshrrev_b32_e32 v36, 16, v5
	s_and_b64 s[18:19], s[50:51], exec
.LBB95_331:                             ;   in Loop: Header=BB95_6 Depth=1
	s_or_b64 exec, exec, s[46:47]
	s_mov_b64 s[46:47], 0
	s_mov_b64 s[48:49], -1
	s_mov_b64 s[50:51], s[46:47]
	s_branch .LBB95_342
.LBB95_332:                             ;   in Loop: Header=BB95_6 Depth=1
	s_mov_b64 s[18:19], 0
                                        ; implicit-def: $vgpr36
	s_mov_b64 s[46:47], exec
	v_readlane_b32 s48, v54, 47
	v_readlane_b32 s49, v54, 48
	s_and_b64 s[48:49], s[46:47], s[48:49]
	s_mov_b64 exec, s[48:49]
	s_cbranch_execz .LBB95_341
; %bb.333:                              ;   in Loop: Header=BB95_6 Depth=1
	s_mov_b64 s[48:49], 0
	v_mov_b32_e32 v10, v12
	v_mov_b32_e32 v3, v0
                                        ; implicit-def: $sgpr50_sgpr51
	s_branch .LBB95_335
.LBB95_334:                             ;   in Loop: Header=BB95_335 Depth=2
	s_or_b64 exec, exec, s[18:19]
	s_waitcnt lgkmcnt(0)
	s_barrier
	s_waitcnt vmcnt(0)
	ds_read_b32 v4, v11 offset:3072
	v_add_u32_e32 v3, s72, v3
	v_cmp_le_u32_e64 s[18:19], s74, v3
	v_add_u32_e32 v10, s6, v10
	s_waitcnt lgkmcnt(0)
	v_cmp_neq_f16_e32 vcc, 0, v4
	s_or_b64 s[18:19], s[18:19], vcc
	s_and_b64 s[18:19], exec, s[18:19]
	s_or_b64 s[48:49], s[18:19], s[48:49]
	s_andn2_b64 s[18:19], s[50:51], exec
	s_and_b64 s[50:51], vcc, exec
	s_or_b64 s[50:51], s[18:19], s[50:51]
	s_barrier
	s_andn2_b64 exec, exec, s[48:49]
	s_cbranch_execz .LBB95_340
.LBB95_335:                             ;   Parent Loop BB95_6 Depth=1
                                        ; =>  This Inner Loop Header: Depth=2
	v_cmp_gt_u32_e32 vcc, s60, v3
	v_mov_b32_e32 v4, 0
	s_and_saveexec_b64 s[52:53], vcc
	s_cbranch_execz .LBB95_337
; %bb.336:                              ;   in Loop: Header=BB95_335 Depth=2
	v_lshlrev_b64 v[4:5], 1, v[10:11]
	v_mov_b32_e32 v36, s7
	v_add_co_u32_e64 v4, s[18:19], s33, v4
	v_addc_co_u32_e64 v5, s[18:19], v36, v5, s[18:19]
	global_load_ushort v4, v[4:5], off
.LBB95_337:                             ;   in Loop: Header=BB95_335 Depth=2
	s_or_b64 exec, exec, s[52:53]
	s_and_saveexec_b64 s[18:19], vcc
	s_cbranch_execz .LBB95_334
; %bb.338:                              ;   in Loop: Header=BB95_335 Depth=2
	s_waitcnt vmcnt(0)
	v_cmp_lt_i16_e32 vcc, -1, v4
	v_cndmask_b32_e32 v5, v29, v30, vcc
	v_xor_b32_sdwa v5, v5, v4 dst_sel:DWORD dst_unused:UNUSED_PAD src0_sel:DWORD src1_sel:WORD_0
	v_cmp_o_f16_e32 vcc, v4, v4
	v_cndmask_b32_e32 v5, v29, v5, vcc
	v_and_b32_e32 v5, v5, v34
	v_cmp_eq_u32_e32 vcc, v5, v35
	s_and_b64 exec, exec, vcc
	s_cbranch_execz .LBB95_334
; %bb.339:                              ;   in Loop: Header=BB95_335 Depth=2
	v_perm_b32 v4, v4, s12, v33
	ds_write_b32 v11, v4 offset:3072
	s_branch .LBB95_334
.LBB95_340:                             ;   in Loop: Header=BB95_6 Depth=1
	s_or_b64 exec, exec, s[48:49]
	v_lshrrev_b32_e32 v36, 16, v4
	s_and_b64 s[18:19], s[50:51], exec
.LBB95_341:                             ;   in Loop: Header=BB95_6 Depth=1
	s_or_b64 exec, exec, s[46:47]
	s_mov_b64 s[48:49], 0
	s_mov_b64 s[46:47], -1
	s_mov_b64 s[50:51], 0
.LBB95_342:                             ;   in Loop: Header=BB95_6 Depth=1
	s_orn2_b64 s[18:19], s[18:19], exec
.LBB95_343:                             ;   in Loop: Header=BB95_6 Depth=1
	s_or_b64 exec, exec, s[16:17]
	s_mov_b64 s[16:17], 0
                                        ; implicit-def: $vgpr10
	s_and_saveexec_b64 s[52:53], s[18:19]
	s_cbranch_execz .LBB95_396
; %bb.344:                              ;   in Loop: Header=BB95_6 Depth=1
	s_xor_b64 s[18:19], s[54:55], -1
	s_mov_b64 s[56:57], 0
	v_mov_b32_e32 v3, 1
	v_mov_b32_e32 v10, 1
	s_and_saveexec_b64 s[16:17], s[18:19]
	s_cbranch_execz .LBB95_354
; %bb.345:                              ;   in Loop: Header=BB95_6 Depth=1
	v_cmp_ge_u32_e32 vcc, s11, v2
                                        ; implicit-def: $sgpr56
                                        ; implicit-def: $sgpr18_sgpr19
	s_and_saveexec_b64 s[54:55], vcc
	s_xor_b64 s[54:55], exec, s[54:55]
	s_cbranch_execz .LBB95_351
; %bb.346:                              ;   in Loop: Header=BB95_6 Depth=1
	ds_read_b32 v3, v11 offset:4096
	s_waitcnt lgkmcnt(0)
	v_cmp_ne_u32_e32 vcc, 0, v3
	s_cbranch_vccnz .LBB95_350
; %bb.347:                              ;   in Loop: Header=BB95_6 Depth=1
	s_mov_b64 s[18:19], exec
	v_readlane_b32 s56, v54, 5
	v_readlane_b32 s57, v54, 6
	s_and_b64 s[56:57], s[18:19], s[56:57]
	s_mov_b64 exec, s[56:57]
	s_cbranch_execz .LBB95_349
; %bb.348:                              ;   in Loop: Header=BB95_6 Depth=1
	v_mov_b32_e32 v3, s11
	ds_write_b32 v11, v3 offset:4100
.LBB95_349:                             ;   in Loop: Header=BB95_6 Depth=1
	s_or_b64 exec, exec, s[18:19]
	s_waitcnt lgkmcnt(0)
	s_barrier
.LBB95_350:                             ;   in Loop: Header=BB95_6 Depth=1
	v_and_b32_e32 v3, s10, v35
	v_lshl_or_b32 v35, 1, s62, v3
	v_or_b32_e32 v34, s68, v34
	s_mov_b64 s[18:19], 0
	s_mov_b32 s56, 5
.LBB95_351:                             ;   in Loop: Header=BB95_6 Depth=1
	s_or_saveexec_b64 s[54:55], s[54:55]
	v_mov_b32_e32 v10, s56
	s_xor_b64 exec, exec, s[54:55]
; %bb.352:                              ;   in Loop: Header=BB95_6 Depth=1
	v_subrev_u32_e32 v2, s11, v2
	v_mov_b32_e32 v10, 0
	s_or_b64 s[18:19], s[18:19], exec
; %bb.353:                              ;   in Loop: Header=BB95_6 Depth=1
	s_or_b64 exec, exec, s[54:55]
	s_and_b64 s[56:57], s[18:19], exec
	v_mov_b32_e32 v3, v2
.LBB95_354:                             ;   in Loop: Header=BB95_6 Depth=1
	s_or_b64 exec, exec, s[16:17]
	s_mov_b64 s[16:17], -1
                                        ; implicit-def: $sgpr18_sgpr19
                                        ; implicit-def: $sgpr58_sgpr59
                                        ; implicit-def: $sgpr76_sgpr77
	s_and_saveexec_b64 s[54:55], s[56:57]
	s_cbranch_execz .LBB95_395
; %bb.355:                              ;   in Loop: Header=BB95_6 Depth=1
	s_cmp_eq_u32 s69, 1
	s_cselect_b64 s[16:17], -1, 0
	v_cmp_eq_u32_e32 vcc, 1, v3
	s_and_b64 s[56:57], s[16:17], vcc
	s_mov_b64 s[78:79], -1
                                        ; implicit-def: $sgpr18_sgpr19
                                        ; implicit-def: $sgpr58_sgpr59
                                        ; implicit-def: $sgpr76_sgpr77
	s_and_saveexec_b64 s[16:17], s[56:57]
	s_cbranch_execz .LBB95_382
; %bb.356:                              ;   in Loop: Header=BB95_6 Depth=1
	ds_read_b32 v2, v11 offset:4096
	s_waitcnt lgkmcnt(0)
	s_barrier
	v_readfirstlane_b32 s11, v2
	s_mov_b64 s[18:19], exec
	v_readlane_b32 s58, v54, 31
	v_readlane_b32 s59, v54, 32
	s_and_b64 s[58:59], s[18:19], s[58:59]
	s_mov_b64 exec, s[58:59]
	s_cbranch_execz .LBB95_358
; %bb.357:                              ;   in Loop: Header=BB95_6 Depth=1
	ds_write_b16 v20, v11
.LBB95_358:                             ;   in Loop: Header=BB95_6 Depth=1
	s_or_b64 exec, exec, s[18:19]
	v_and_b32_e32 v35, s10, v35
	v_or_b32_e32 v34, s68, v34
	s_cmp_eq_u32 s11, 0
	s_waitcnt lgkmcnt(0)
	s_barrier
	s_cbranch_scc1 .LBB95_367
; %bb.359:                              ;   in Loop: Header=BB95_6 Depth=1
	v_readlane_b32 s18, v54, 22
	s_add_i32 s18, s11, s18
	v_readlane_b32 s19, v54, 46
	s_mul_hi_u32 s19, s18, s19
	s_mul_i32 s19, s19, s72
	s_sub_i32 s19, s18, s19
	s_sub_i32 s58, s19, s72
	s_cmp_ge_u32 s19, s72
	s_cselect_b32 s19, s58, s19
	s_sub_i32 s58, s19, s72
	s_cmp_ge_u32 s19, s72
	s_cselect_b32 s19, s58, s19
	s_sub_i32 s62, s18, s19
	v_cmp_gt_u32_e32 vcc, s62, v0
	s_mov_b64 s[78:79], 0
                                        ; implicit-def: $vgpr36
	s_and_saveexec_b64 s[58:59], vcc
	s_cbranch_execz .LBB95_369
; %bb.360:                              ;   in Loop: Header=BB95_6 Depth=1
	s_mov_b64 s[76:77], 0
	v_mov_b32_e32 v2, v19
	v_mov_b32_e32 v4, v0
                                        ; implicit-def: $sgpr78_sgpr79
	s_branch .LBB95_362
.LBB95_361:                             ;   in Loop: Header=BB95_362 Depth=2
	s_or_b64 exec, exec, s[18:19]
	s_waitcnt lgkmcnt(0)
	s_barrier
	ds_read_b32 v5, v11 offset:3072
	v_add_u32_e32 v4, s72, v4
	v_cmp_le_u32_e64 s[18:19], s62, v4
	v_add_u32_e32 v2, s5, v2
	s_waitcnt lgkmcnt(0)
	v_cmp_neq_f16_e32 vcc, 0, v5
	s_or_b64 s[18:19], s[18:19], vcc
	s_and_b64 s[18:19], exec, s[18:19]
	s_or_b64 s[76:77], s[18:19], s[76:77]
	s_andn2_b64 s[18:19], s[78:79], exec
	s_and_b64 s[70:71], vcc, exec
	s_or_b64 s[78:79], s[18:19], s[70:71]
	s_barrier
	s_andn2_b64 exec, exec, s[76:77]
	s_cbranch_execz .LBB95_368
.LBB95_362:                             ;   Parent Loop BB95_6 Depth=1
                                        ; =>  This Inner Loop Header: Depth=2
	v_cmp_gt_u32_e32 vcc, s11, v4
	v_mov_b32_e32 v5, 0
	s_and_saveexec_b64 s[18:19], vcc
	s_cbranch_execz .LBB95_364
; %bb.363:                              ;   in Loop: Header=BB95_362 Depth=2
	ds_read_u16 v5, v2
.LBB95_364:                             ;   in Loop: Header=BB95_362 Depth=2
	s_or_b64 exec, exec, s[18:19]
	s_and_saveexec_b64 s[18:19], vcc
	s_cbranch_execz .LBB95_361
; %bb.365:                              ;   in Loop: Header=BB95_362 Depth=2
	s_waitcnt lgkmcnt(0)
	v_cmp_lt_i16_e32 vcc, -1, v5
	v_cndmask_b32_e32 v10, v29, v30, vcc
	v_xor_b32_sdwa v10, v10, v5 dst_sel:DWORD dst_unused:UNUSED_PAD src0_sel:DWORD src1_sel:WORD_0
	v_cmp_o_f16_e32 vcc, v5, v5
	v_cndmask_b32_e32 v10, v29, v10, vcc
	v_and_b32_e32 v10, v10, v34
	v_cmp_eq_u32_e32 vcc, v10, v35
	s_and_b64 exec, exec, vcc
	s_cbranch_execz .LBB95_361
; %bb.366:                              ;   in Loop: Header=BB95_362 Depth=2
	v_perm_b32 v5, v5, s12, v33
	ds_write_b32 v11, v5 offset:3072
	s_branch .LBB95_361
.LBB95_367:                             ;   in Loop: Header=BB95_6 Depth=1
	s_mov_b64 s[18:19], -1
	s_mov_b64 s[78:79], 0
                                        ; implicit-def: $sgpr58_sgpr59
                                        ; implicit-def: $vgpr36
	s_branch .LBB95_370
.LBB95_368:                             ;   in Loop: Header=BB95_6 Depth=1
	s_or_b64 exec, exec, s[76:77]
	v_lshrrev_b32_e32 v36, 16, v5
	s_and_b64 s[78:79], s[78:79], exec
.LBB95_369:                             ;   in Loop: Header=BB95_6 Depth=1
	s_or_b64 exec, exec, s[58:59]
	s_mov_b64 s[18:19], 0
	s_mov_b64 s[58:59], -1
.LBB95_370:                             ;   in Loop: Header=BB95_6 Depth=1
	s_and_b64 vcc, exec, s[18:19]
	s_mov_b64 s[76:77], s[18:19]
	s_cbranch_vccz .LBB95_381
; %bb.371:                              ;   in Loop: Header=BB95_6 Depth=1
	s_mov_b64 s[78:79], 0
                                        ; implicit-def: $vgpr36
	s_mov_b64 s[62:63], exec
	v_readlane_b32 s18, v54, 47
	v_readlane_b32 s19, v54, 48
	s_and_b64 s[18:19], s[62:63], s[18:19]
	s_mov_b64 exec, s[18:19]
	s_cbranch_execz .LBB95_380
; %bb.372:                              ;   in Loop: Header=BB95_6 Depth=1
	s_mov_b64 s[76:77], 0
	v_mov_b32_e32 v10, v12
	v_mov_b32_e32 v2, v0
                                        ; implicit-def: $sgpr78_sgpr79
	s_branch .LBB95_374
.LBB95_373:                             ;   in Loop: Header=BB95_374 Depth=2
	s_or_b64 exec, exec, s[18:19]
	s_waitcnt lgkmcnt(0)
	s_barrier
	s_waitcnt vmcnt(0)
	ds_read_b32 v4, v11 offset:3072
	v_add_u32_e32 v2, s72, v2
	v_cmp_le_u32_e64 s[18:19], s74, v2
	v_add_u32_e32 v10, s6, v10
	s_waitcnt lgkmcnt(0)
	v_cmp_neq_f16_e32 vcc, 0, v4
	s_or_b64 s[18:19], s[18:19], vcc
	s_and_b64 s[18:19], exec, s[18:19]
	s_or_b64 s[76:77], s[18:19], s[76:77]
	s_andn2_b64 s[18:19], s[78:79], exec
	s_and_b64 s[58:59], vcc, exec
	s_or_b64 s[78:79], s[18:19], s[58:59]
	s_barrier
	s_andn2_b64 exec, exec, s[76:77]
	s_cbranch_execz .LBB95_379
.LBB95_374:                             ;   Parent Loop BB95_6 Depth=1
                                        ; =>  This Inner Loop Header: Depth=2
	v_cmp_gt_u32_e32 vcc, s60, v2
	v_mov_b32_e32 v4, 0
	s_and_saveexec_b64 s[58:59], vcc
	s_cbranch_execz .LBB95_376
; %bb.375:                              ;   in Loop: Header=BB95_374 Depth=2
	v_lshlrev_b64 v[4:5], 1, v[10:11]
	v_mov_b32_e32 v36, s7
	v_add_co_u32_e64 v4, s[18:19], s33, v4
	v_addc_co_u32_e64 v5, s[18:19], v36, v5, s[18:19]
	global_load_ushort v4, v[4:5], off
.LBB95_376:                             ;   in Loop: Header=BB95_374 Depth=2
	s_or_b64 exec, exec, s[58:59]
	s_and_saveexec_b64 s[18:19], vcc
	s_cbranch_execz .LBB95_373
; %bb.377:                              ;   in Loop: Header=BB95_374 Depth=2
	s_waitcnt vmcnt(0)
	v_cmp_lt_i16_e32 vcc, -1, v4
	v_cndmask_b32_e32 v5, v29, v30, vcc
	v_xor_b32_sdwa v5, v5, v4 dst_sel:DWORD dst_unused:UNUSED_PAD src0_sel:DWORD src1_sel:WORD_0
	v_cmp_o_f16_e32 vcc, v4, v4
	v_cndmask_b32_e32 v5, v29, v5, vcc
	v_and_b32_e32 v5, v5, v34
	v_cmp_eq_u32_e32 vcc, v5, v35
	s_and_b64 exec, exec, vcc
	s_cbranch_execz .LBB95_373
; %bb.378:                              ;   in Loop: Header=BB95_374 Depth=2
	v_perm_b32 v4, v4, s12, v33
	ds_write_b32 v11, v4 offset:3072
	s_branch .LBB95_373
.LBB95_379:                             ;   in Loop: Header=BB95_6 Depth=1
	s_or_b64 exec, exec, s[76:77]
	v_lshrrev_b32_e32 v36, 16, v4
	s_and_b64 s[78:79], s[78:79], exec
.LBB95_380:                             ;   in Loop: Header=BB95_6 Depth=1
	s_or_b64 exec, exec, s[62:63]
	s_mov_b64 s[58:59], 0
	s_mov_b64 s[18:19], -1
	s_mov_b64 s[76:77], 0
.LBB95_381:                             ;   in Loop: Header=BB95_6 Depth=1
	s_orn2_b64 s[78:79], s[78:79], exec
.LBB95_382:                             ;   in Loop: Header=BB95_6 Depth=1
	s_or_b64 exec, exec, s[16:17]
	s_mov_b64 vcc, 0
                                        ; implicit-def: $vgpr10
                                        ; implicit-def: $vgpr2
	s_and_saveexec_b64 s[16:17], s[78:79]
	s_cbranch_execz .LBB95_394
; %bb.383:                              ;   in Loop: Header=BB95_6 Depth=1
	s_xor_b64 s[62:63], s[56:57], -1
	v_mov_b32_e32 v10, 1
	v_mov_b32_e32 v2, 1
	s_and_saveexec_b64 s[56:57], s[62:63]
	s_cbranch_execz .LBB95_393
; %bb.384:                              ;   in Loop: Header=BB95_6 Depth=1
	v_cmp_ge_u32_e32 vcc, s69, v3
                                        ; implicit-def: $sgpr11
	s_and_saveexec_b64 s[62:63], vcc
	s_xor_b64 s[78:79], exec, s[62:63]
	s_cbranch_execz .LBB95_390
; %bb.385:                              ;   in Loop: Header=BB95_6 Depth=1
	ds_read_b32 v2, v11 offset:4096
	s_waitcnt lgkmcnt(0)
	v_cmp_ne_u32_e32 vcc, 0, v2
	s_cbranch_vccnz .LBB95_389
; %bb.386:                              ;   in Loop: Header=BB95_6 Depth=1
	s_mov_b64 vcc, exec
	v_readlane_b32 s62, v54, 5
	v_readlane_b32 s63, v54, 6
	s_and_b64 s[62:63], vcc, s[62:63]
	s_mov_b64 exec, s[62:63]
	s_cbranch_execz .LBB95_388
; %bb.387:                              ;   in Loop: Header=BB95_6 Depth=1
	v_mov_b32_e32 v2, s69
	ds_write_b32 v11, v2 offset:4100
.LBB95_388:                             ;   in Loop: Header=BB95_6 Depth=1
	s_or_b64 exec, exec, vcc
	s_waitcnt lgkmcnt(0)
	s_barrier
.LBB95_389:                             ;   in Loop: Header=BB95_6 Depth=1
	v_and_b32_e32 v35, s10, v35
	v_or_b32_e32 v34, s68, v34
	s_mov_b32 s11, 5
.LBB95_390:                             ;   in Loop: Header=BB95_6 Depth=1
	s_or_saveexec_b64 s[78:79], s[78:79]
	v_mov_b32_e32 v10, s11
	s_xor_b64 exec, exec, s[78:79]
; %bb.391:                              ;   in Loop: Header=BB95_6 Depth=1
	v_subrev_u32_e32 v3, s69, v3
	v_mov_b32_e32 v10, 5
; %bb.392:                              ;   in Loop: Header=BB95_6 Depth=1
	s_or_b64 exec, exec, s[78:79]
	v_mov_b32_e32 v2, v3
.LBB95_393:                             ;   in Loop: Header=BB95_6 Depth=1
	s_or_b64 exec, exec, s[56:57]
	s_mov_b64 vcc, exec
.LBB95_394:                             ;   in Loop: Header=BB95_6 Depth=1
	s_or_b64 exec, exec, s[16:17]
	s_orn2_b64 s[16:17], vcc, exec
	v_mov_b32_e32 v3, v2
.LBB95_395:                             ;   in Loop: Header=BB95_6 Depth=1
	s_or_b64 exec, exec, s[54:55]
	s_andn2_b64 s[10:11], s[46:47], exec
	s_and_b64 s[18:19], s[18:19], exec
	s_or_b64 s[46:47], s[10:11], s[18:19]
	s_andn2_b64 s[10:11], s[48:49], exec
	s_and_b64 s[18:19], s[58:59], exec
	s_or_b64 s[48:49], s[10:11], s[18:19]
	;; [unrolled: 3-line block ×3, first 2 shown]
	s_and_b64 s[16:17], s[16:17], exec
	v_mov_b32_e32 v2, v3
.LBB95_396:                             ;   in Loop: Header=BB95_6 Depth=1
	s_or_b64 exec, exec, s[52:53]
	s_and_b64 s[52:53], s[46:47], exec
	s_and_b64 s[46:47], s[48:49], exec
	;; [unrolled: 1-line block ×3, first 2 shown]
	s_orn2_b64 s[16:17], s[16:17], exec
.LBB95_397:                             ;   in Loop: Header=BB95_6 Depth=1
	s_or_b64 exec, exec, s[44:45]
	s_andn2_b64 s[10:11], s[36:37], exec
	s_and_b64 s[36:37], s[52:53], exec
	s_or_b64 s[36:37], s[10:11], s[36:37]
	s_andn2_b64 s[10:11], s[38:39], exec
	s_and_b64 s[38:39], s[46:47], exec
	s_or_b64 s[38:39], s[10:11], s[38:39]
	;; [unrolled: 3-line block ×3, first 2 shown]
	s_and_b64 s[18:19], s[16:17], exec
	v_mov_b32_e32 v5, v2
.LBB95_398:                             ;   in Loop: Header=BB95_6 Depth=1
	s_or_b64 exec, exec, s[42:43]
	s_and_b64 s[42:43], s[36:37], exec
	s_and_b64 s[36:37], s[38:39], exec
	;; [unrolled: 1-line block ×3, first 2 shown]
	s_orn2_b64 s[38:39], s[18:19], exec
.LBB95_399:                             ;   in Loop: Header=BB95_6 Depth=1
	s_or_b64 exec, exec, s[28:29]
	s_mov_b64 s[18:19], s[24:25]
	s_mov_b64 s[28:29], s[20:21]
	s_and_saveexec_b64 s[40:41], s[38:39]
; %bb.400:                              ;   in Loop: Header=BB95_6 Depth=1
	v_cmp_ne_u32_e64 s[18:19], 5, v10
	v_cmp_eq_u32_e32 vcc, 5, v10
	s_andn2_b64 s[10:11], s[20:21], exec
	s_and_b64 s[18:19], s[18:19], exec
	s_or_b64 s[28:29], s[10:11], s[18:19]
	s_andn2_b64 s[10:11], s[24:25], exec
	s_and_b64 s[18:19], vcc, exec
	s_andn2_b64 s[42:43], s[42:43], exec
	s_andn2_b64 s[36:37], s[36:37], exec
	;; [unrolled: 1-line block ×3, first 2 shown]
	s_or_b64 s[18:19], s[10:11], s[18:19]
; %bb.401:                              ;   in Loop: Header=BB95_6 Depth=1
	s_or_b64 exec, exec, s[40:41]
	s_andn2_b64 s[10:11], s[30:31], exec
	s_and_b64 s[30:31], s[42:43], exec
	s_or_b64 s[30:31], s[10:11], s[30:31]
	s_andn2_b64 s[10:11], s[34:35], exec
	s_and_b64 s[34:35], s[36:37], exec
	s_or_b64 s[34:35], s[10:11], s[34:35]
	;; [unrolled: 3-line block ×5, first 2 shown]
	v_mov_b32_e32 v2, v35
	v_mov_b32_e32 v3, v34
	;; [unrolled: 1-line block ×3, first 2 shown]
.LBB95_402:                             ;   in Loop: Header=BB95_6 Depth=1
	s_or_b64 exec, exec, s[26:27]
	s_mov_b64 s[28:29], s[22:23]
	s_mov_b64 s[26:27], s[22:23]
	s_and_saveexec_b64 s[16:17], s[24:25]
.LBB95_403:                             ;   in Loop: Header=BB95_6 Depth=1
	v_mov_b32_e32 v10, 0
	s_andn2_b64 s[22:23], s[22:23], exec
	s_andn2_b64 s[30:31], s[30:31], exec
	;; [unrolled: 1-line block ×5, first 2 shown]
	s_or_b64 s[20:21], s[20:21], exec
.LBB95_404:                             ;   in Loop: Header=BB95_6 Depth=1
	s_or_b64 exec, exec, s[16:17]
	s_andn2_b64 s[10:11], s[84:85], exec
	s_and_b64 s[16:17], s[22:23], exec
	s_or_b64 s[84:85], s[10:11], s[16:17]
	s_andn2_b64 s[10:11], s[82:83], exec
	s_and_b64 s[16:17], s[30:31], exec
	s_or_b64 s[82:83], s[10:11], s[16:17]
	;; [unrolled: 3-line block ×4, first 2 shown]
	s_andn2_b64 s[10:11], s[66:67], exec
	s_and_b64 s[16:17], s[26:27], exec
	s_mov_b64 s[18:19], -1
	s_or_b64 s[66:67], s[10:11], s[16:17]
                                        ; implicit-def: $vgpr34
                                        ; implicit-def: $vgpr35
                                        ; implicit-def: $vgpr37
                                        ; implicit-def: $vgpr36
	s_and_saveexec_b64 s[10:11], s[20:21]
	s_xor_b64 s[16:17], exec, s[10:11]
	s_cbranch_execz .LBB95_5
; %bb.405:                              ;   in Loop: Header=BB95_6 Depth=1
	v_cmp_eq_u32_e32 vcc, 0, v10
	s_mov_b64 s[20:21], -1
	s_and_saveexec_b64 s[22:23], vcc
	s_cbranch_execz .LBB95_4
; %bb.406:                              ;   in Loop: Header=BB95_6 Depth=1
	s_xor_b32 s9, s9, 1
	s_add_i32 s24, s13, -2
	s_cmp_eq_u32 s13, 0
	s_cselect_b64 s[10:11], -1, 0
	s_xor_b64 s[20:21], exec, -1
	s_orn2_b64 s[18:19], s[10:11], exec
	s_mov_b32 s13, s24
	s_branch .LBB95_4
.LBB95_407:
	s_or_b64 exec, exec, s[86:87]
	s_xor_b64 s[16:17], s[94:95], -1
	s_xor_b64 s[20:21], s[92:93], -1
	;; [unrolled: 1-line block ×5, first 2 shown]
	s_mov_b64 s[12:13], 0
	s_and_saveexec_b64 s[8:9], s[4:5]
	s_xor_b64 s[10:11], exec, s[8:9]
	s_cbranch_execnz .LBB95_412
; %bb.408:
	s_andn2_saveexec_b64 s[0:1], s[10:11]
	s_cbranch_execnz .LBB95_431
.LBB95_409:
	s_or_b64 exec, exec, s[0:1]
	s_and_saveexec_b64 s[0:1], s[12:13]
.LBB95_410:
	; divergent unreachable
.LBB95_411:
	s_endpgm
.LBB95_412:
	s_mov_b64 s[14:15], 0
	s_and_saveexec_b64 s[4:5], s[18:19]
	s_xor_b64 s[12:13], exec, s[4:5]
	s_cbranch_execz .LBB95_429
; %bb.413:
	s_mov_b64 s[18:19], 0
	s_and_saveexec_b64 s[4:5], s[20:21]
	s_xor_b64 s[14:15], exec, s[4:5]
	s_cbranch_execz .LBB95_427
; %bb.414:
	s_and_saveexec_b64 s[4:5], s[16:17]
	s_xor_b64 s[16:17], exec, s[4:5]
	s_cbranch_execz .LBB95_425
; %bb.415:
	s_and_saveexec_b64 s[4:5], s[2:3]
	s_xor_b64 s[2:3], exec, s[4:5]
; %bb.416:
	v_and_b32_e32 v1, 0x8000, v2
	v_mov_b32_e32 v3, 0x8000
	v_mov_b32_e32 v4, 0xffff
	v_cmp_eq_u32_e32 vcc, 0, v1
	v_cndmask_b32_e32 v1, v3, v4, vcc
	v_xor_b32_e32 v4, v1, v2
; %bb.417:
	s_or_b64 exec, exec, s[2:3]
	s_mov_b64 s[2:3], exec
	v_readlane_b32 s4, v54, 5
	v_readlane_b32 s5, v54, 6
	;; [unrolled: 1-line block ×3, first 2 shown]
	s_and_b64 s[4:5], s[2:3], s[4:5]
	v_readlane_b32 s43, v54, 13
	s_mov_b64 exec, s[4:5]
	s_cbranch_execz .LBB95_419
; %bb.418:
	v_mov_b32_e32 v1, 0
	ds_write_b32 v1, v1 offset:4108
.LBB95_419:
	s_or_b64 exec, exec, s[2:3]
	v_mov_b32_e32 v5, 0
	s_waitcnt lgkmcnt(0)
	s_barrier
	s_mov_b64 s[2:3], exec
	v_readlane_b32 s4, v54, 29
	v_readlane_b32 s5, v54, 30
	s_and_b64 s[4:5], s[2:3], s[4:5]
	s_mov_b64 exec, s[4:5]
	s_cbranch_execz .LBB95_421
; %bb.420:
	global_load_ushort v5, v[8:9], off
.LBB95_421:
	s_or_b64 exec, exec, s[2:3]
	v_readlane_b32 s3, v54, 9
	v_readlane_b32 s2, v54, 8
	v_readlane_b32 s4, v54, 7
	s_add_i32 s34, s60, 63
	s_mul_i32 s2, s2, s3
	s_mul_i32 s4, s4, s3
	s_mov_b32 s3, 0
	s_andn2_b32 s34, s34, 63
	s_lshl_b64 s[8:9], s[2:3], 1
	v_readlane_b32 s18, v54, 2
	v_readlane_b32 s19, v54, 3
	s_add_u32 s35, s18, s8
	s_mov_b32 s5, s3
	s_addc_u32 s36, s19, s9
	s_lshl_b64 s[2:3], s[4:5], 3
	v_readlane_b32 s4, v54, 0
	v_readlane_b32 s5, v54, 1
	s_add_u32 s37, s4, s2
	s_addc_u32 s38, s5, s3
	v_readlane_b32 s2, v54, 27
	v_readlane_b32 s3, v54, 28
	s_load_dword s39, s[2:3], 0x1c8
	s_load_dword s40, s[2:3], 0x2a8
	v_mov_b32_e32 v1, 0xffff
	v_mov_b32_e32 v11, 0x8000
	v_cmp_lt_i16_e32 vcc, -1, v4
	v_cndmask_b32_e32 v2, v1, v11, vcc
	v_xor_b32_sdwa v2, v2, v4 dst_sel:DWORD dst_unused:UNUSED_PAD src0_sel:DWORD src1_sel:WORD_0
	v_cmp_o_f16_e32 vcc, v4, v4
	v_cndmask_b32_e32 v10, v1, v2, vcc
	v_cmp_gt_u32_e32 vcc, s34, v0
	s_mov_b64 s[20:21], -1
	s_mov_b64 s[2:3], 0
	s_mov_b64 s[4:5], 0
	s_and_saveexec_b64 s[18:19], vcc
	s_cbranch_execnz .LBB95_432
; %bb.422:
	s_or_b64 exec, exec, s[18:19]
	s_and_saveexec_b64 s[8:9], s[20:21]
	s_cbranch_execnz .LBB95_449
.LBB95_423:
	s_or_b64 exec, exec, s[8:9]
	s_and_saveexec_b64 s[0:1], s[4:5]
	s_xor_b64 s[0:1], exec, s[0:1]
	s_cbranch_execnz .LBB95_472
.LBB95_424:
	s_or_b64 exec, exec, s[0:1]
	s_and_b64 s[18:19], s[2:3], exec
.LBB95_425:
	s_andn2_saveexec_b64 s[0:1], s[16:17]
	s_cbranch_execnz .LBB95_474
.LBB95_426:
	s_or_b64 exec, exec, s[0:1]
	s_and_b64 s[18:19], s[18:19], exec
.LBB95_427:
	s_andn2_saveexec_b64 s[0:1], s[14:15]
	s_cbranch_execnz .LBB95_473
.LBB95_428:
	s_or_b64 exec, exec, s[0:1]
	s_and_b64 s[14:15], s[18:19], exec
.LBB95_429:
	s_andn2_saveexec_b64 s[0:1], s[12:13]
	s_cbranch_execnz .LBB95_468
.LBB95_430:
	s_or_b64 exec, exec, s[0:1]
	s_and_b64 s[12:13], s[14:15], exec
	s_andn2_saveexec_b64 s[0:1], s[10:11]
	s_cbranch_execz .LBB95_409
.LBB95_431:
	s_or_b64 s[12:13], s[12:13], exec
	s_trap 2
	s_or_b64 exec, exec, s[0:1]
	s_and_saveexec_b64 s[0:1], s[12:13]
	s_cbranch_execnz .LBB95_410
	s_branch .LBB95_411
.LBB95_432:
	v_add_u32_e32 v2, s72, v0
	v_readlane_b32 s4, v54, 4
	v_mul_lo_u32 v2, s4, v2
	s_mov_b64 s[20:21], 0
	v_mov_b32_e32 v3, 0
	v_mov_b32_e32 v4, v0
                                        ; implicit-def: $sgpr22_sgpr23
                                        ; implicit-def: $vgpr14
	s_branch .LBB95_434
.LBB95_433:                             ;   in Loop: Header=BB95_434 Depth=1
	s_or_b64 exec, exec, s[24:25]
	s_xor_b64 s[4:5], s[28:29], -1
	s_and_b64 s[8:9], exec, s[8:9]
	s_or_b64 s[20:21], s[8:9], s[20:21]
	s_andn2_b64 s[8:9], s[22:23], exec
	s_and_b64 s[4:5], s[4:5], exec
	s_or_b64 s[22:23], s[8:9], s[4:5]
	v_mov_b32_e32 v4, v12
	s_waitcnt vmcnt(0)
	v_mov_b32_e32 v5, v15
	s_andn2_b64 exec, exec, s[20:21]
	s_cbranch_execz .LBB95_448
.LBB95_434:                             ; =>This Inner Loop Header: Depth=1
	v_add_u32_e32 v12, s72, v4
	v_cmp_gt_u32_e64 s[4:5], s60, v12
	v_mov_b32_e32 v15, 0
	s_and_saveexec_b64 s[8:9], s[4:5]
	s_cbranch_execz .LBB95_436
; %bb.435:                              ;   in Loop: Header=BB95_434 Depth=1
	v_lshlrev_b64 v[16:17], 1, v[2:3]
	v_mov_b32_e32 v15, s7
	v_add_co_u32_e64 v16, s[4:5], s33, v16
	v_addc_co_u32_e64 v17, s[4:5], v15, v17, s[4:5]
	global_load_ushort v15, v[16:17], off
.LBB95_436:                             ;   in Loop: Header=BB95_434 Depth=1
	s_or_b64 exec, exec, s[8:9]
	v_cmp_gt_u32_e64 s[4:5], s60, v4
	s_mov_b64 s[24:25], 0
	s_and_saveexec_b64 s[8:9], s[4:5]
	s_cbranch_execz .LBB95_438
; %bb.437:                              ;   in Loop: Header=BB95_434 Depth=1
	s_waitcnt vmcnt(0)
	v_cmp_lt_i16_e64 s[4:5], -1, v5
	v_cndmask_b32_e64 v16, v1, v11, s[4:5]
	v_xor_b32_sdwa v16, v16, v5 dst_sel:DWORD dst_unused:UNUSED_PAD src0_sel:DWORD src1_sel:WORD_0
	v_cmp_o_f16_e64 s[4:5], v5, v5
	v_cndmask_b32_e64 v16, v1, v16, s[4:5]
	v_cmp_gt_u32_e64 s[4:5], v16, v10
	v_cndmask_b32_e64 v17, 0, 1, s[4:5]
	v_cmp_lt_u32_e64 s[4:5], v16, v10
	v_cndmask_b32_e64 v16, 0, 1, s[4:5]
	v_cndmask_b32_e64 v16, v16, v17, s[42:43]
	v_and_b32_e32 v16, 1, v16
	v_cmp_eq_u32_e64 s[4:5], 1, v16
	s_and_b64 s[24:25], s[4:5], exec
.LBB95_438:                             ;   in Loop: Header=BB95_434 Depth=1
	s_or_b64 exec, exec, s[8:9]
	v_cndmask_b32_e64 v16, 0, 1, s[24:25]
	v_cmp_ne_u32_e64 s[4:5], 0, v16
	s_cmp_lg_u64 s[4:5], 0
	s_cselect_b64 s[8:9], -1, 0
	s_and_b64 s[8:9], s[0:1], s[8:9]
	s_and_saveexec_b64 s[26:27], s[8:9]
	s_cbranch_execz .LBB95_442
; %bb.439:                              ;   in Loop: Header=BB95_434 Depth=1
	s_mov_b64 s[30:31], exec
	s_waitcnt lgkmcnt(0)
	v_mbcnt_lo_u32_b32 v14, s30, 0
	v_mbcnt_hi_u32_b32 v14, s31, v14
	s_bcnt1_i32_b64 s41, s[4:5]
	v_cmp_eq_u32_e64 s[8:9], 0, v14
                                        ; implicit-def: $vgpr16
	s_and_saveexec_b64 s[28:29], s[8:9]
	s_cbranch_execz .LBB95_441
; %bb.440:                              ;   in Loop: Header=BB95_434 Depth=1
	s_bcnt1_i32_b64 s8, s[30:31]
	s_mul_i32 s8, s41, s8
	v_mov_b32_e32 v16, s8
	ds_add_rtn_u32 v16, v3, v16 offset:4108
.LBB95_441:                             ;   in Loop: Header=BB95_434 Depth=1
	s_or_b64 exec, exec, s[28:29]
	s_waitcnt lgkmcnt(0)
	v_readfirstlane_b32 s8, v16
	v_mov_b32_e32 v16, s8
	v_mad_u32_u24 v14, s41, v14, v16
.LBB95_442:                             ;   in Loop: Header=BB95_434 Depth=1
	s_or_b64 exec, exec, s[26:27]
	s_waitcnt lgkmcnt(0)
	ds_bpermute_b32 v14, v13, v14
	s_mov_b64 s[8:9], -1
	s_mov_b64 s[30:31], -1
                                        ; implicit-def: $sgpr28_sgpr29
	s_and_saveexec_b64 s[26:27], s[24:25]
	s_cbranch_execz .LBB95_446
; %bb.443:                              ;   in Loop: Header=BB95_434 Depth=1
	v_and_b32_e32 v17, s4, v6
	v_and_b32_e32 v16, s5, v7
	v_bcnt_u32_b32 v17, v17, 0
	v_bcnt_u32_b32 v16, v16, v17
	s_waitcnt lgkmcnt(0)
	v_add_u32_e32 v16, v14, v16
	v_cmp_gt_u32_e64 s[4:5], s61, v16
	s_mov_b64 s[24:25], 0
	s_and_saveexec_b64 s[28:29], s[4:5]
	s_cbranch_execz .LBB95_445
; %bb.444:                              ;   in Loop: Header=BB95_434 Depth=1
	v_mul_lo_u32 v18, v16, s39
	v_mov_b32_e32 v19, v3
	v_lshlrev_b64 v[18:19], 1, v[18:19]
	v_mov_b32_e32 v17, s36
	v_add_co_u32_e64 v18, s[4:5], s35, v18
	v_mul_lo_u32 v16, v16, s40
	v_addc_co_u32_e64 v19, s[4:5], v17, v19, s[4:5]
	v_mov_b32_e32 v17, v3
	v_lshlrev_b64 v[16:17], 3, v[16:17]
	s_waitcnt vmcnt(0)
	global_store_short v[18:19], v5, off
	v_mov_b32_e32 v18, s38
	v_add_co_u32_e64 v16, s[4:5], s37, v16
	s_mov_b64 s[24:25], exec
	v_mov_b32_e32 v5, v3
	v_addc_co_u32_e64 v17, s[4:5], v18, v17, s[4:5]
	global_store_dwordx2 v[16:17], v[4:5], off
.LBB95_445:                             ;   in Loop: Header=BB95_434 Depth=1
	s_or_b64 exec, exec, s[28:29]
	s_mov_b64 s[28:29], -1
	s_orn2_b64 s[30:31], s[24:25], exec
.LBB95_446:                             ;   in Loop: Header=BB95_434 Depth=1
	s_or_b64 exec, exec, s[26:27]
	s_and_saveexec_b64 s[24:25], s[30:31]
	s_cbranch_execz .LBB95_433
; %bb.447:                              ;   in Loop: Header=BB95_434 Depth=1
	v_cmp_le_u32_e64 s[4:5], s34, v12
	v_add_u32_e32 v2, s6, v2
	s_andn2_b64 s[28:29], s[28:29], exec
	s_orn2_b64 s[8:9], s[4:5], exec
	s_branch .LBB95_433
.LBB95_448:
	s_or_b64 exec, exec, s[20:21]
	s_mov_b64 s[4:5], exec
	s_orn2_b64 s[20:21], s[22:23], exec
	s_or_b64 exec, exec, s[18:19]
	s_and_saveexec_b64 s[8:9], s[20:21]
	s_cbranch_execz .LBB95_423
.LBB95_449:
	v_mov_b32_e32 v1, 0
	s_waitcnt lgkmcnt(0)
	s_barrier
	s_mov_b64 s[2:3], exec
	v_readlane_b32 s18, v54, 29
	v_readlane_b32 s19, v54, 30
	s_and_b64 s[18:19], s[2:3], s[18:19]
	s_mov_b64 exec, s[18:19]
	s_cbranch_execz .LBB95_451
; %bb.450:
	global_load_ushort v1, v[8:9], off
.LBB95_451:
	s_or_b64 exec, exec, s[2:3]
	s_mov_b64 s[2:3], 0
	s_and_saveexec_b64 s[30:31], vcc
	s_cbranch_execz .LBB95_471
; %bb.452:
	v_add_u32_e32 v2, s72, v0
	v_readlane_b32 s2, v54, 4
	v_mul_lo_u32 v2, s2, v2
	s_mov_b64 s[18:19], 0
	v_mov_b32_e32 v3, 0
	v_mov_b32_e32 v4, 0xffff
	s_waitcnt vmcnt(0)
	v_mov_b32_e32 v5, 0x8000
                                        ; implicit-def: $sgpr20_sgpr21
                                        ; implicit-def: $vgpr8
	s_branch .LBB95_455
.LBB95_453:                             ;   in Loop: Header=BB95_455 Depth=1
	s_or_b64 exec, exec, s[24:25]
	s_orn2_b64 s[26:27], s[26:27], exec
	s_orn2_b64 s[24:25], s[22:23], exec
	s_waitcnt vmcnt(0)
	v_mov_b32_e32 v1, v11
	v_mov_b32_e32 v0, v9
.LBB95_454:                             ;   in Loop: Header=BB95_455 Depth=1
	s_or_b64 exec, exec, s[2:3]
	s_xor_b64 s[2:3], s[26:27], -1
	s_and_b64 s[22:23], exec, s[24:25]
	s_or_b64 s[18:19], s[22:23], s[18:19]
	s_andn2_b64 s[20:21], s[20:21], exec
	s_and_b64 s[2:3], s[2:3], exec
	s_or_b64 s[20:21], s[20:21], s[2:3]
	s_andn2_b64 exec, exec, s[18:19]
	s_cbranch_execz .LBB95_469
.LBB95_455:                             ; =>This Inner Loop Header: Depth=1
	v_add_u32_e32 v9, s72, v0
	v_cmp_gt_u32_e32 vcc, s60, v9
	s_waitcnt vmcnt(0)
	v_mov_b32_e32 v11, 0
	s_and_saveexec_b64 s[2:3], vcc
	s_cbranch_execz .LBB95_457
; %bb.456:                              ;   in Loop: Header=BB95_455 Depth=1
	v_lshlrev_b64 v[14:15], 1, v[2:3]
	v_mov_b32_e32 v11, s7
	v_add_co_u32_e32 v14, vcc, s33, v14
	v_addc_co_u32_e32 v15, vcc, v11, v15, vcc
	global_load_ushort v11, v[14:15], off
.LBB95_457:                             ;   in Loop: Header=BB95_455 Depth=1
	s_or_b64 exec, exec, s[2:3]
	v_cmp_lt_i16_e64 s[2:3], -1, v1
	v_cndmask_b32_e64 v12, v4, v5, s[2:3]
	v_xor_b32_sdwa v12, v12, v1 dst_sel:DWORD dst_unused:UNUSED_PAD src0_sel:DWORD src1_sel:WORD_0
	v_cmp_o_f16_e64 s[2:3], v1, v1
	v_cndmask_b32_e64 v12, v4, v12, s[2:3]
	v_cmp_gt_u32_e32 vcc, s60, v0
	v_cmp_eq_u32_e64 s[2:3], v12, v10
	s_and_b64 s[22:23], vcc, s[2:3]
	v_cndmask_b32_e64 v12, 0, 1, s[22:23]
	v_cmp_ne_u32_e32 vcc, 0, v12
	s_cmp_lg_u64 vcc, 0
	s_cselect_b64 s[2:3], -1, 0
	s_and_b64 s[2:3], s[0:1], s[2:3]
	s_and_saveexec_b64 s[24:25], s[2:3]
	s_cbranch_execz .LBB95_461
; %bb.458:                              ;   in Loop: Header=BB95_455 Depth=1
	s_mov_b64 s[28:29], exec
	v_mbcnt_lo_u32_b32 v8, s28, 0
	v_mbcnt_hi_u32_b32 v8, s29, v8
	s_bcnt1_i32_b64 s41, vcc
	v_cmp_eq_u32_e64 s[2:3], 0, v8
                                        ; implicit-def: $vgpr12
	s_and_saveexec_b64 s[26:27], s[2:3]
	s_cbranch_execz .LBB95_460
; %bb.459:                              ;   in Loop: Header=BB95_455 Depth=1
	s_bcnt1_i32_b64 s2, s[28:29]
	s_mul_i32 s2, s41, s2
	v_mov_b32_e32 v12, s2
	ds_add_rtn_u32 v12, v3, v12 offset:4108
.LBB95_460:                             ;   in Loop: Header=BB95_455 Depth=1
	s_or_b64 exec, exec, s[26:27]
	s_waitcnt lgkmcnt(0)
	v_readfirstlane_b32 s2, v12
	v_mov_b32_e32 v12, s2
	v_mad_u32_u24 v8, s41, v8, v12
.LBB95_461:                             ;   in Loop: Header=BB95_455 Depth=1
	s_or_b64 exec, exec, s[24:25]
	ds_bpermute_b32 v8, v13, v8
	s_cmp_eq_u64 vcc, 0
	s_cselect_b64 s[26:27], -1, 0
	s_mov_b64 s[24:25], -1
	s_waitcnt lgkmcnt(0)
	v_cmp_gt_u32_e64 s[2:3], s61, v8
	s_or_b64 s[28:29], s[26:27], s[2:3]
	s_mov_b64 s[26:27], -1
	s_and_saveexec_b64 s[2:3], s[28:29]
	s_cbranch_execz .LBB95_454
; %bb.462:                              ;   in Loop: Header=BB95_455 Depth=1
	v_and_b32_e32 v14, vcc_lo, v6
	v_and_b32_e32 v12, vcc_hi, v7
	v_bcnt_u32_b32 v14, v14, 0
	v_bcnt_u32_b32 v12, v12, v14
	v_sub_u32_e32 v14, s61, v8
	v_cmp_gt_u32_e32 vcc, v14, v12
	s_and_b64 s[42:43], s[22:23], vcc
	s_mov_b64 s[22:23], -1
	s_mov_b64 s[28:29], -1
	s_and_saveexec_b64 s[24:25], s[42:43]
	s_cbranch_execz .LBB95_466
; %bb.463:                              ;   in Loop: Header=BB95_455 Depth=1
	v_add_u32_e32 v12, v8, v12
	v_cmp_gt_u32_e32 vcc, s61, v12
	s_mov_b64 s[28:29], 0
	s_and_saveexec_b64 s[26:27], vcc
	s_cbranch_execz .LBB95_465
; %bb.464:                              ;   in Loop: Header=BB95_455 Depth=1
	v_mul_lo_u32 v14, v12, s39
	v_mov_b32_e32 v15, v3
	v_lshlrev_b64 v[14:15], 1, v[14:15]
	v_mul_lo_u32 v16, v12, s40
	v_mov_b32_e32 v12, s36
	v_add_co_u32_e32 v14, vcc, s35, v14
	v_addc_co_u32_e32 v15, vcc, v12, v15, vcc
	v_mov_b32_e32 v17, v3
	global_store_short v[14:15], v1, off
	v_lshlrev_b64 v[14:15], 3, v[16:17]
	v_mov_b32_e32 v12, s38
	v_add_co_u32_e32 v14, vcc, s37, v14
	s_mov_b64 s[28:29], exec
	v_mov_b32_e32 v1, v3
	v_addc_co_u32_e32 v15, vcc, v12, v15, vcc
	global_store_dwordx2 v[14:15], v[0:1], off
.LBB95_465:                             ;   in Loop: Header=BB95_455 Depth=1
	s_or_b64 exec, exec, s[26:27]
	s_xor_b64 s[26:27], exec, -1
	s_orn2_b64 s[28:29], s[28:29], exec
.LBB95_466:                             ;   in Loop: Header=BB95_455 Depth=1
	s_or_b64 exec, exec, s[24:25]
	s_and_saveexec_b64 s[24:25], s[28:29]
	s_cbranch_execz .LBB95_453
; %bb.467:                              ;   in Loop: Header=BB95_455 Depth=1
	v_cmp_le_u32_e32 vcc, s34, v9
	v_add_u32_e32 v2, s6, v2
	s_or_b64 s[26:27], s[26:27], exec
	s_orn2_b64 s[22:23], vcc, exec
	s_branch .LBB95_453
.LBB95_468:
	s_or_b64 s[14:15], s[14:15], exec
	s_trap 2
	s_branch .LBB95_430
.LBB95_469:
	s_or_b64 exec, exec, s[18:19]
	s_mov_b64 s[0:1], 0
	s_and_saveexec_b64 s[2:3], s[20:21]
	s_xor_b64 s[2:3], exec, s[2:3]
	s_cbranch_execnz .LBB95_475
.LBB95_470:
	s_or_b64 exec, exec, s[2:3]
	s_and_b64 s[2:3], s[0:1], exec
.LBB95_471:
	s_or_b64 exec, exec, s[30:31]
	s_and_b64 s[2:3], s[2:3], exec
	s_andn2_b64 s[4:5], s[4:5], exec
	s_or_b64 exec, exec, s[8:9]
	s_and_saveexec_b64 s[0:1], s[4:5]
	s_xor_b64 s[0:1], exec, s[0:1]
	s_cbranch_execz .LBB95_424
.LBB95_472:
	s_trap 2
	s_or_b64 s[2:3], s[2:3], exec
	s_branch .LBB95_424
.LBB95_473:
	s_or_b64 s[18:19], s[18:19], exec
	s_trap 2
	s_branch .LBB95_428
.LBB95_474:
	s_trap 2
	s_or_b64 s[18:19], s[18:19], exec
	s_branch .LBB95_426
.LBB95_475:
	s_mov_b64 s[0:1], exec
	s_trap 2
	s_branch .LBB95_470
	.section	.rodata,"a",@progbits
	.p2align	6, 0x0
	.amdhsa_kernel _ZN2at6native6sbtopk10gatherTopKIN3c104HalfEjLi1ELb0EEEvNS_4cuda6detail10TensorInfoIKT_T0_EESA_SA_bSA_SA_NS7_IS8_SA_EESA_NS7_IlSA_EESA_PS8_
		.amdhsa_group_segment_fixed_size 4112
		.amdhsa_private_segment_fixed_size 0
		.amdhsa_kernarg_size 952
		.amdhsa_user_sgpr_count 6
		.amdhsa_user_sgpr_private_segment_buffer 1
		.amdhsa_user_sgpr_dispatch_ptr 0
		.amdhsa_user_sgpr_queue_ptr 0
		.amdhsa_user_sgpr_kernarg_segment_ptr 1
		.amdhsa_user_sgpr_dispatch_id 0
		.amdhsa_user_sgpr_flat_scratch_init 0
		.amdhsa_user_sgpr_kernarg_preload_length 0
		.amdhsa_user_sgpr_kernarg_preload_offset 0
		.amdhsa_user_sgpr_private_segment_size 0
		.amdhsa_uses_dynamic_stack 0
		.amdhsa_system_sgpr_private_segment_wavefront_offset 0
		.amdhsa_system_sgpr_workgroup_id_x 1
		.amdhsa_system_sgpr_workgroup_id_y 1
		.amdhsa_system_sgpr_workgroup_id_z 1
		.amdhsa_system_sgpr_workgroup_info 0
		.amdhsa_system_vgpr_workitem_id 0
		.amdhsa_next_free_vgpr 55
		.amdhsa_next_free_sgpr 96
		.amdhsa_accum_offset 56
		.amdhsa_reserve_vcc 1
		.amdhsa_reserve_flat_scratch 0
		.amdhsa_float_round_mode_32 0
		.amdhsa_float_round_mode_16_64 0
		.amdhsa_float_denorm_mode_32 3
		.amdhsa_float_denorm_mode_16_64 3
		.amdhsa_dx10_clamp 1
		.amdhsa_ieee_mode 1
		.amdhsa_fp16_overflow 0
		.amdhsa_tg_split 0
		.amdhsa_exception_fp_ieee_invalid_op 0
		.amdhsa_exception_fp_denorm_src 0
		.amdhsa_exception_fp_ieee_div_zero 0
		.amdhsa_exception_fp_ieee_overflow 0
		.amdhsa_exception_fp_ieee_underflow 0
		.amdhsa_exception_fp_ieee_inexact 0
		.amdhsa_exception_int_div_zero 0
	.end_amdhsa_kernel
	.section	.text._ZN2at6native6sbtopk10gatherTopKIN3c104HalfEjLi1ELb0EEEvNS_4cuda6detail10TensorInfoIKT_T0_EESA_SA_bSA_SA_NS7_IS8_SA_EESA_NS7_IlSA_EESA_PS8_,"axG",@progbits,_ZN2at6native6sbtopk10gatherTopKIN3c104HalfEjLi1ELb0EEEvNS_4cuda6detail10TensorInfoIKT_T0_EESA_SA_bSA_SA_NS7_IS8_SA_EESA_NS7_IlSA_EESA_PS8_,comdat
.Lfunc_end95:
	.size	_ZN2at6native6sbtopk10gatherTopKIN3c104HalfEjLi1ELb0EEEvNS_4cuda6detail10TensorInfoIKT_T0_EESA_SA_bSA_SA_NS7_IS8_SA_EESA_NS7_IlSA_EESA_PS8_, .Lfunc_end95-_ZN2at6native6sbtopk10gatherTopKIN3c104HalfEjLi1ELb0EEEvNS_4cuda6detail10TensorInfoIKT_T0_EESA_SA_bSA_SA_NS7_IS8_SA_EESA_NS7_IlSA_EESA_PS8_
                                        ; -- End function
	.section	.AMDGPU.csdata,"",@progbits
; Kernel info:
; codeLenInByte = 16468
; NumSgprs: 100
; NumVgprs: 55
; NumAgprs: 0
; TotalNumVgprs: 55
; ScratchSize: 0
; MemoryBound: 0
; FloatMode: 240
; IeeeMode: 1
; LDSByteSize: 4112 bytes/workgroup (compile time only)
; SGPRBlocks: 12
; VGPRBlocks: 6
; NumSGPRsForWavesPerEU: 100
; NumVGPRsForWavesPerEU: 55
; AccumOffset: 56
; Occupancy: 8
; WaveLimiterHint : 1
; COMPUTE_PGM_RSRC2:SCRATCH_EN: 0
; COMPUTE_PGM_RSRC2:USER_SGPR: 6
; COMPUTE_PGM_RSRC2:TRAP_HANDLER: 0
; COMPUTE_PGM_RSRC2:TGID_X_EN: 1
; COMPUTE_PGM_RSRC2:TGID_Y_EN: 1
; COMPUTE_PGM_RSRC2:TGID_Z_EN: 1
; COMPUTE_PGM_RSRC2:TIDIG_COMP_CNT: 0
; COMPUTE_PGM_RSRC3_GFX90A:ACCUM_OFFSET: 13
; COMPUTE_PGM_RSRC3_GFX90A:TG_SPLIT: 0
	.section	.text._ZN2at6native6mbtopk23computeBlockDigitCountsIN3c104HalfEjjLi2EEEvNS_4cuda6detail10TensorInfoIKT_T0_EEjPjjSA_iijT1_PSD_Ps,"axG",@progbits,_ZN2at6native6mbtopk23computeBlockDigitCountsIN3c104HalfEjjLi2EEEvNS_4cuda6detail10TensorInfoIKT_T0_EEjPjjSA_iijT1_PSD_Ps,comdat
	.protected	_ZN2at6native6mbtopk23computeBlockDigitCountsIN3c104HalfEjjLi2EEEvNS_4cuda6detail10TensorInfoIKT_T0_EEjPjjSA_iijT1_PSD_Ps ; -- Begin function _ZN2at6native6mbtopk23computeBlockDigitCountsIN3c104HalfEjjLi2EEEvNS_4cuda6detail10TensorInfoIKT_T0_EEjPjjSA_iijT1_PSD_Ps
	.globl	_ZN2at6native6mbtopk23computeBlockDigitCountsIN3c104HalfEjjLi2EEEvNS_4cuda6detail10TensorInfoIKT_T0_EEjPjjSA_iijT1_PSD_Ps
	.p2align	8
	.type	_ZN2at6native6mbtopk23computeBlockDigitCountsIN3c104HalfEjjLi2EEEvNS_4cuda6detail10TensorInfoIKT_T0_EEjPjjSA_iijT1_PSD_Ps,@function
_ZN2at6native6mbtopk23computeBlockDigitCountsIN3c104HalfEjjLi2EEEvNS_4cuda6detail10TensorInfoIKT_T0_EEjPjjSA_iijT1_PSD_Ps: ; @_ZN2at6native6mbtopk23computeBlockDigitCountsIN3c104HalfEjjLi2EEEvNS_4cuda6detail10TensorInfoIKT_T0_EEjPjjSA_iijT1_PSD_Ps
; %bb.0:
	s_load_dwordx2 s[10:11], s[4:5], 0xf8
	s_load_dwordx4 s[12:15], s[4:5], 0xe8
	s_load_dwordx2 s[0:1], s[4:5], 0x110
	s_waitcnt lgkmcnt(0)
	v_cvt_f32_u32_e32 v1, s10
	s_sub_i32 s2, 0, s10
	s_mul_i32 s1, s1, s8
	s_add_i32 s1, s1, s7
	v_rcp_iflag_f32_e32 v1, v1
	s_mul_i32 s16, s1, s0
	s_add_i32 s16, s16, s6
	s_mov_b32 s7, 0
	v_mul_f32_e32 v1, 0x4f7ffffe, v1
	v_cvt_u32_f32_e32 v1, v1
	v_readfirstlane_b32 s0, v1
	s_mul_i32 s2, s2, s0
	s_mul_hi_u32 s1, s0, s2
	s_add_i32 s0, s0, s1
	s_mul_hi_u32 s0, s16, s0
	s_mul_i32 s1, s0, s10
	s_sub_i32 s1, s16, s1
	s_add_i32 s2, s0, 1
	s_sub_i32 s3, s1, s10
	s_cmp_ge_u32 s1, s10
	s_cselect_b32 s0, s2, s0
	s_cselect_b32 s1, s3, s1
	s_add_i32 s2, s0, 1
	s_cmp_ge_u32 s1, s10
	s_cselect_b32 s6, s2, s0
	s_cmp_ge_u32 s6, s12
	s_cbranch_scc1 .LBB96_29
; %bb.1:
	s_load_dword s12, s[4:5], 0xc
	s_load_dwordx4 s[0:3], s[4:5], 0x100
	s_lshl_b64 s[8:9], s[6:7], 2
	s_movk_i32 s7, 0x100
	v_cmp_gt_u32_e32 vcc, s7, v0
	s_waitcnt lgkmcnt(0)
	v_cvt_f32_u32_e32 v1, s12
	s_add_u32 s0, s0, s8
	s_addc_u32 s1, s1, s9
	v_rcp_iflag_f32_e32 v1, v1
	v_mul_f32_e32 v1, 0x4f7ffffe, v1
	v_cvt_u32_f32_e32 v1, v1
	v_readfirstlane_b32 s18, v1
	v_lshlrev_b32_e32 v1, 2, v0
	s_and_saveexec_b64 s[8:9], vcc
	s_cbranch_execz .LBB96_3
; %bb.2:
	v_mov_b32_e32 v2, 0
	ds_write_b32 v1, v2
.LBB96_3:
	s_or_b64 exec, exec, s[8:9]
	s_load_dword s8, s[4:5], 0xd8
	s_mul_i32 s7, s6, s10
	s_sub_i32 s7, s16, s7
	s_add_i32 s9, s7, 1
	s_mul_i32 s7, s15, s7
	s_lshl_b32 s17, s7, 8
	s_waitcnt lgkmcnt(0)
	s_sub_i32 s7, s8, s17
	s_add_u32 s7, s7, 0xff
	s_addc_u32 s19, 0, 0
	v_mov_b32_e32 v2, s7
	v_alignbit_b32 v2, s19, v2, 8
	s_cmp_lt_u32 s9, s10
	v_readfirstlane_b32 s7, v2
	s_cselect_b32 s15, s15, s7
	s_cmp_lt_i32 s15, 1
	s_mov_b32 s7, 0
	s_barrier
	s_cbranch_scc1 .LBB96_25
; %bb.4:
	s_sub_i32 s9, 0, s12
	s_mul_i32 s9, s9, s18
	s_mul_hi_u32 s9, s18, s9
	s_add_i32 s9, s18, s9
	s_load_dwordx2 s[18:19], s[4:5], 0x6c
	s_load_dwordx2 s[20:21], s[4:5], 0x0
	s_mul_hi_u32 s4, s6, s9
	s_load_dword s9, s[0:1], 0x0
	s_mul_i32 s0, s4, s12
	s_sub_i32 s0, s6, s0
	s_add_i32 s1, s4, 1
	s_sub_i32 s5, s0, s12
	s_cmp_ge_u32 s0, s12
	s_cselect_b32 s1, s1, s4
	s_cselect_b32 s0, s5, s0
	s_add_i32 s4, s1, 1
	s_cmp_ge_u32 s0, s12
	s_cselect_b32 s0, s4, s1
	s_mul_i32 s1, s0, s12
	s_sub_i32 s1, s6, s1
	s_waitcnt lgkmcnt(0)
	s_mul_i32 s1, s1, s19
	s_mul_i32 s0, s0, s18
	s_add_i32 s6, s0, s1
	s_lshl_b64 s[0:1], s[6:7], 1
	s_add_u32 s6, s20, s0
	s_addc_u32 s10, s21, s1
	s_and_b32 s12, s14, 0xff
	s_cmp_lt_u32 s15, 4
	s_cbranch_scc1 .LBB96_19
; %bb.5:
	v_add_u32_e32 v2, s17, v0
	v_add_u32_e32 v3, 0x200, v2
	;; [unrolled: 1-line block ×3, first 2 shown]
	v_mul_lo_u32 v6, s13, v3
	v_add_u32_e32 v3, 0x100, v2
	s_and_b32 s7, s15, 0x7ffffffc
	v_mul_lo_u32 v5, s13, v4
	s_lshl_b32 s14, s13, 10
	v_mul_lo_u32 v7, s13, v3
	v_mul_lo_u32 v8, s13, v2
	s_mov_b32 s18, 0
	v_mov_b32_e32 v3, 0
	v_mov_b32_e32 v9, 1
	;; [unrolled: 1-line block ×4, first 2 shown]
	s_mov_b32 s19, 0
	s_branch .LBB96_7
.LBB96_6:                               ;   in Loop: Header=BB96_7 Depth=1
	s_or_b64 exec, exec, s[4:5]
	s_add_i32 s19, s19, 4
	s_add_i32 s18, s18, s14
	s_cmp_eq_u32 s7, s19
	v_add_u32_e32 v4, 0x400, v4
	s_cbranch_scc1 .LBB96_19
.LBB96_7:                               ; =>This Inner Loop Header: Depth=1
	v_add_u32_e32 v2, 0xfffffd00, v4
	v_cmp_gt_u32_e64 s[0:1], s8, v2
	s_and_saveexec_b64 s[4:5], s[0:1]
	s_cbranch_execz .LBB96_10
; %bb.8:                                ;   in Loop: Header=BB96_7 Depth=1
	v_add_u32_e32 v2, s18, v8
	v_lshlrev_b64 v[12:13], 1, v[2:3]
	v_mov_b32_e32 v2, s10
	v_add_co_u32_e64 v12, s[0:1], s6, v12
	v_addc_co_u32_e64 v13, s[0:1], v2, v13, s[0:1]
	global_load_ushort v2, v[12:13], off
	s_waitcnt vmcnt(0)
	v_cmp_lt_i16_e64 s[0:1], -1, v2
	v_cndmask_b32_e64 v12, v10, v11, s[0:1]
	v_xor_b32_sdwa v12, v12, v2 dst_sel:DWORD dst_unused:UNUSED_PAD src0_sel:DWORD src1_sel:WORD_0
	v_cmp_o_f16_e64 s[0:1], v2, v2
	v_cndmask_b32_e64 v2, v10, v12, s[0:1]
	v_xor_b32_e32 v12, s9, v2
	v_and_b32_e32 v12, s11, v12
	v_cmp_eq_u32_e64 s[0:1], 0, v12
	s_and_b64 exec, exec, s[0:1]
	s_cbranch_execz .LBB96_10
; %bb.9:                                ;   in Loop: Header=BB96_7 Depth=1
	v_bfe_u32 v2, v2, s12, 8
	v_lshlrev_b32_e32 v2, 2, v2
	ds_add_u32 v2, v9
.LBB96_10:                              ;   in Loop: Header=BB96_7 Depth=1
	s_or_b64 exec, exec, s[4:5]
	v_add_u32_e32 v2, 0xfffffe00, v4
	v_cmp_gt_u32_e64 s[0:1], s8, v2
	s_and_saveexec_b64 s[4:5], s[0:1]
	s_cbranch_execz .LBB96_13
; %bb.11:                               ;   in Loop: Header=BB96_7 Depth=1
	v_add_u32_e32 v2, s18, v7
	v_lshlrev_b64 v[12:13], 1, v[2:3]
	v_mov_b32_e32 v2, s10
	v_add_co_u32_e64 v12, s[0:1], s6, v12
	v_addc_co_u32_e64 v13, s[0:1], v2, v13, s[0:1]
	global_load_ushort v2, v[12:13], off
	s_waitcnt vmcnt(0)
	v_cmp_lt_i16_e64 s[0:1], -1, v2
	v_cndmask_b32_e64 v12, v10, v11, s[0:1]
	v_xor_b32_sdwa v12, v12, v2 dst_sel:DWORD dst_unused:UNUSED_PAD src0_sel:DWORD src1_sel:WORD_0
	v_cmp_o_f16_e64 s[0:1], v2, v2
	v_cndmask_b32_e64 v2, v10, v12, s[0:1]
	v_xor_b32_e32 v12, s9, v2
	v_and_b32_e32 v12, s11, v12
	v_cmp_eq_u32_e64 s[0:1], 0, v12
	s_and_b64 exec, exec, s[0:1]
	s_cbranch_execz .LBB96_13
; %bb.12:                               ;   in Loop: Header=BB96_7 Depth=1
	v_bfe_u32 v2, v2, s12, 8
	v_lshlrev_b32_e32 v2, 2, v2
	ds_add_u32 v2, v9
.LBB96_13:                              ;   in Loop: Header=BB96_7 Depth=1
	s_or_b64 exec, exec, s[4:5]
	v_add_u32_e32 v2, 0xffffff00, v4
	v_cmp_gt_u32_e64 s[0:1], s8, v2
	s_and_saveexec_b64 s[4:5], s[0:1]
	s_cbranch_execz .LBB96_16
; %bb.14:                               ;   in Loop: Header=BB96_7 Depth=1
	v_add_u32_e32 v2, s18, v6
	v_lshlrev_b64 v[12:13], 1, v[2:3]
	v_mov_b32_e32 v2, s10
	v_add_co_u32_e64 v12, s[0:1], s6, v12
	v_addc_co_u32_e64 v13, s[0:1], v2, v13, s[0:1]
	global_load_ushort v2, v[12:13], off
	s_waitcnt vmcnt(0)
	v_cmp_lt_i16_e64 s[0:1], -1, v2
	v_cndmask_b32_e64 v12, v10, v11, s[0:1]
	v_xor_b32_sdwa v12, v12, v2 dst_sel:DWORD dst_unused:UNUSED_PAD src0_sel:DWORD src1_sel:WORD_0
	v_cmp_o_f16_e64 s[0:1], v2, v2
	v_cndmask_b32_e64 v2, v10, v12, s[0:1]
	v_xor_b32_e32 v12, s9, v2
	v_and_b32_e32 v12, s11, v12
	v_cmp_eq_u32_e64 s[0:1], 0, v12
	s_and_b64 exec, exec, s[0:1]
	s_cbranch_execz .LBB96_16
; %bb.15:                               ;   in Loop: Header=BB96_7 Depth=1
	v_bfe_u32 v2, v2, s12, 8
	v_lshlrev_b32_e32 v2, 2, v2
	ds_add_u32 v2, v9
.LBB96_16:                              ;   in Loop: Header=BB96_7 Depth=1
	s_or_b64 exec, exec, s[4:5]
	v_cmp_gt_u32_e64 s[0:1], s8, v4
	s_and_saveexec_b64 s[4:5], s[0:1]
	s_cbranch_execz .LBB96_6
; %bb.17:                               ;   in Loop: Header=BB96_7 Depth=1
	v_add_u32_e32 v2, s18, v5
	v_lshlrev_b64 v[12:13], 1, v[2:3]
	v_mov_b32_e32 v2, s10
	v_add_co_u32_e64 v12, s[0:1], s6, v12
	v_addc_co_u32_e64 v13, s[0:1], v2, v13, s[0:1]
	global_load_ushort v2, v[12:13], off
	s_waitcnt vmcnt(0)
	v_cmp_lt_i16_e64 s[0:1], -1, v2
	v_cndmask_b32_e64 v12, v10, v11, s[0:1]
	v_xor_b32_sdwa v12, v12, v2 dst_sel:DWORD dst_unused:UNUSED_PAD src0_sel:DWORD src1_sel:WORD_0
	v_cmp_o_f16_e64 s[0:1], v2, v2
	v_cndmask_b32_e64 v2, v10, v12, s[0:1]
	v_xor_b32_e32 v12, s9, v2
	v_and_b32_e32 v12, s11, v12
	v_cmp_eq_u32_e64 s[0:1], 0, v12
	s_and_b64 exec, exec, s[0:1]
	s_cbranch_execz .LBB96_6
; %bb.18:                               ;   in Loop: Header=BB96_7 Depth=1
	v_bfe_u32 v2, v2, s12, 8
	v_lshlrev_b32_e32 v2, 2, v2
	ds_add_u32 v2, v9
	s_branch .LBB96_6
.LBB96_19:
	s_and_b32 s14, s15, 3
	s_cmp_eq_u32 s14, 0
	s_cbranch_scc1 .LBB96_25
; %bb.20:
	s_lshl_b32 s0, s7, 8
	s_add_i32 s0, s0, s17
	v_add_u32_e32 v4, s0, v0
	v_mul_lo_u32 v2, s13, v4
	s_lshl_b32 s7, s13, 8
	v_mov_b32_e32 v3, 0
	v_mov_b32_e32 v5, 1
	;; [unrolled: 1-line block ×4, first 2 shown]
	s_branch .LBB96_22
.LBB96_21:                              ;   in Loop: Header=BB96_22 Depth=1
	s_or_b64 exec, exec, s[4:5]
	s_add_i32 s14, s14, -1
	v_add_u32_e32 v2, s7, v2
	s_cmp_lg_u32 s14, 0
	v_add_u32_e32 v4, 0x100, v4
	s_cbranch_scc0 .LBB96_25
.LBB96_22:                              ; =>This Inner Loop Header: Depth=1
	v_cmp_gt_u32_e64 s[0:1], s8, v4
	s_and_saveexec_b64 s[4:5], s[0:1]
	s_cbranch_execz .LBB96_21
; %bb.23:                               ;   in Loop: Header=BB96_22 Depth=1
	v_lshlrev_b64 v[8:9], 1, v[2:3]
	v_mov_b32_e32 v10, s10
	v_add_co_u32_e64 v8, s[0:1], s6, v8
	v_addc_co_u32_e64 v9, s[0:1], v10, v9, s[0:1]
	global_load_ushort v8, v[8:9], off
	s_waitcnt vmcnt(0)
	v_cmp_lt_i16_e64 s[0:1], -1, v8
	v_cndmask_b32_e64 v9, v6, v7, s[0:1]
	v_xor_b32_sdwa v9, v9, v8 dst_sel:DWORD dst_unused:UNUSED_PAD src0_sel:DWORD src1_sel:WORD_0
	v_cmp_o_f16_e64 s[0:1], v8, v8
	v_cndmask_b32_e64 v8, v6, v9, s[0:1]
	v_xor_b32_e32 v9, s9, v8
	v_and_b32_e32 v9, s11, v9
	v_cmp_eq_u32_e64 s[0:1], 0, v9
	s_and_b64 exec, exec, s[0:1]
	s_cbranch_execz .LBB96_21
; %bb.24:                               ;   in Loop: Header=BB96_22 Depth=1
	v_bfe_u32 v8, v8, s12, 8
	v_lshlrev_b32_e32 v8, 2, v8
	ds_add_u32 v8, v5
	s_branch .LBB96_21
.LBB96_25:
	v_mov_b32_e32 v2, 0
	s_waitcnt lgkmcnt(0)
	s_barrier
	s_and_saveexec_b64 s[0:1], vcc
	s_cbranch_execz .LBB96_27
; %bb.26:
	ds_read_b32 v2, v1
.LBB96_27:
	s_or_b64 exec, exec, s[0:1]
	s_and_saveexec_b64 s[0:1], vcc
	s_cbranch_execz .LBB96_29
; %bb.28:
	v_lshl_or_b32 v0, s16, 8, v0
	v_mov_b32_e32 v1, 0
	v_lshlrev_b64 v[0:1], 1, v[0:1]
	v_mov_b32_e32 v3, s3
	v_add_co_u32_e32 v0, vcc, s2, v0
	v_addc_co_u32_e32 v1, vcc, v3, v1, vcc
	s_waitcnt lgkmcnt(0)
	global_store_short v[0:1], v2, off
.LBB96_29:
	s_endpgm
	.section	.rodata,"a",@progbits
	.p2align	6, 0x0
	.amdhsa_kernel _ZN2at6native6mbtopk23computeBlockDigitCountsIN3c104HalfEjjLi2EEEvNS_4cuda6detail10TensorInfoIKT_T0_EEjPjjSA_iijT1_PSD_Ps
		.amdhsa_group_segment_fixed_size 1024
		.amdhsa_private_segment_fixed_size 0
		.amdhsa_kernarg_size 528
		.amdhsa_user_sgpr_count 6
		.amdhsa_user_sgpr_private_segment_buffer 1
		.amdhsa_user_sgpr_dispatch_ptr 0
		.amdhsa_user_sgpr_queue_ptr 0
		.amdhsa_user_sgpr_kernarg_segment_ptr 1
		.amdhsa_user_sgpr_dispatch_id 0
		.amdhsa_user_sgpr_flat_scratch_init 0
		.amdhsa_user_sgpr_kernarg_preload_length 0
		.amdhsa_user_sgpr_kernarg_preload_offset 0
		.amdhsa_user_sgpr_private_segment_size 0
		.amdhsa_uses_dynamic_stack 0
		.amdhsa_system_sgpr_private_segment_wavefront_offset 0
		.amdhsa_system_sgpr_workgroup_id_x 1
		.amdhsa_system_sgpr_workgroup_id_y 1
		.amdhsa_system_sgpr_workgroup_id_z 1
		.amdhsa_system_sgpr_workgroup_info 0
		.amdhsa_system_vgpr_workitem_id 0
		.amdhsa_next_free_vgpr 14
		.amdhsa_next_free_sgpr 22
		.amdhsa_accum_offset 16
		.amdhsa_reserve_vcc 1
		.amdhsa_reserve_flat_scratch 0
		.amdhsa_float_round_mode_32 0
		.amdhsa_float_round_mode_16_64 0
		.amdhsa_float_denorm_mode_32 3
		.amdhsa_float_denorm_mode_16_64 3
		.amdhsa_dx10_clamp 1
		.amdhsa_ieee_mode 1
		.amdhsa_fp16_overflow 0
		.amdhsa_tg_split 0
		.amdhsa_exception_fp_ieee_invalid_op 0
		.amdhsa_exception_fp_denorm_src 0
		.amdhsa_exception_fp_ieee_div_zero 0
		.amdhsa_exception_fp_ieee_overflow 0
		.amdhsa_exception_fp_ieee_underflow 0
		.amdhsa_exception_fp_ieee_inexact 0
		.amdhsa_exception_int_div_zero 0
	.end_amdhsa_kernel
	.section	.text._ZN2at6native6mbtopk23computeBlockDigitCountsIN3c104HalfEjjLi2EEEvNS_4cuda6detail10TensorInfoIKT_T0_EEjPjjSA_iijT1_PSD_Ps,"axG",@progbits,_ZN2at6native6mbtopk23computeBlockDigitCountsIN3c104HalfEjjLi2EEEvNS_4cuda6detail10TensorInfoIKT_T0_EEjPjjSA_iijT1_PSD_Ps,comdat
.Lfunc_end96:
	.size	_ZN2at6native6mbtopk23computeBlockDigitCountsIN3c104HalfEjjLi2EEEvNS_4cuda6detail10TensorInfoIKT_T0_EEjPjjSA_iijT1_PSD_Ps, .Lfunc_end96-_ZN2at6native6mbtopk23computeBlockDigitCountsIN3c104HalfEjjLi2EEEvNS_4cuda6detail10TensorInfoIKT_T0_EEjPjjSA_iijT1_PSD_Ps
                                        ; -- End function
	.section	.AMDGPU.csdata,"",@progbits
; Kernel info:
; codeLenInByte = 1532
; NumSgprs: 26
; NumVgprs: 14
; NumAgprs: 0
; TotalNumVgprs: 14
; ScratchSize: 0
; MemoryBound: 0
; FloatMode: 240
; IeeeMode: 1
; LDSByteSize: 1024 bytes/workgroup (compile time only)
; SGPRBlocks: 3
; VGPRBlocks: 1
; NumSGPRsForWavesPerEU: 26
; NumVGPRsForWavesPerEU: 14
; AccumOffset: 16
; Occupancy: 8
; WaveLimiterHint : 1
; COMPUTE_PGM_RSRC2:SCRATCH_EN: 0
; COMPUTE_PGM_RSRC2:USER_SGPR: 6
; COMPUTE_PGM_RSRC2:TRAP_HANDLER: 0
; COMPUTE_PGM_RSRC2:TGID_X_EN: 1
; COMPUTE_PGM_RSRC2:TGID_Y_EN: 1
; COMPUTE_PGM_RSRC2:TGID_Z_EN: 1
; COMPUTE_PGM_RSRC2:TIDIG_COMP_CNT: 0
; COMPUTE_PGM_RSRC3_GFX90A:ACCUM_OFFSET: 3
; COMPUTE_PGM_RSRC3_GFX90A:TG_SPLIT: 0
	.section	.text._ZN2at6native6mbtopk10gatherTopKIN3c104HalfEjLi2EEEvNS_4cuda6detail10TensorInfoIKT_T0_EESA_SA_bjSA_NS7_IS8_SA_EESA_NS7_IlSA_EESA_jjPS8_PjSF_j,"axG",@progbits,_ZN2at6native6mbtopk10gatherTopKIN3c104HalfEjLi2EEEvNS_4cuda6detail10TensorInfoIKT_T0_EESA_SA_bjSA_NS7_IS8_SA_EESA_NS7_IlSA_EESA_jjPS8_PjSF_j,comdat
	.protected	_ZN2at6native6mbtopk10gatherTopKIN3c104HalfEjLi2EEEvNS_4cuda6detail10TensorInfoIKT_T0_EESA_SA_bjSA_NS7_IS8_SA_EESA_NS7_IlSA_EESA_jjPS8_PjSF_j ; -- Begin function _ZN2at6native6mbtopk10gatherTopKIN3c104HalfEjLi2EEEvNS_4cuda6detail10TensorInfoIKT_T0_EESA_SA_bjSA_NS7_IS8_SA_EESA_NS7_IlSA_EESA_jjPS8_PjSF_j
	.globl	_ZN2at6native6mbtopk10gatherTopKIN3c104HalfEjLi2EEEvNS_4cuda6detail10TensorInfoIKT_T0_EESA_SA_bjSA_NS7_IS8_SA_EESA_NS7_IlSA_EESA_jjPS8_PjSF_j
	.p2align	8
	.type	_ZN2at6native6mbtopk10gatherTopKIN3c104HalfEjLi2EEEvNS_4cuda6detail10TensorInfoIKT_T0_EESA_SA_bjSA_NS7_IS8_SA_EESA_NS7_IlSA_EESA_jjPS8_PjSF_j,@function
_ZN2at6native6mbtopk10gatherTopKIN3c104HalfEjLi2EEEvNS_4cuda6detail10TensorInfoIKT_T0_EESA_SA_bjSA_NS7_IS8_SA_EESA_NS7_IlSA_EESA_jjPS8_PjSF_j: ; @_ZN2at6native6mbtopk10gatherTopKIN3c104HalfEjLi2EEEvNS_4cuda6detail10TensorInfoIKT_T0_EESA_SA_bjSA_NS7_IS8_SA_EESA_NS7_IlSA_EESA_jjPS8_PjSF_j
; %bb.0:
	s_load_dwordx2 s[0:1], s[4:5], 0x2d8
	s_load_dword s2, s[4:5], 0x2d0
	s_waitcnt lgkmcnt(0)
	s_mul_i32 s1, s1, s8
	s_add_i32 s1, s1, s7
	s_mul_i32 s0, s1, s0
	s_add_i32 s0, s0, s6
	s_cmp_ge_u32 s0, s2
	s_cbranch_scc1 .LBB97_40
; %bb.1:
	s_load_dwordx8 s[8:15], s[4:5], 0x2a8
	s_load_dword s33, s[4:5], 0xc
	s_load_dword s40, s[4:5], 0xfc
	s_load_dwordx2 s[20:21], s[4:5], 0x1d0
	s_load_dword s41, s[4:5], 0x1dc
	s_waitcnt lgkmcnt(0)
	v_cvt_f32_u32_e32 v1, s10
	v_cvt_f32_u32_e32 v2, s33
	s_sub_i32 s1, 0, s10
	v_cvt_f32_u32_e32 v3, s40
	v_rcp_iflag_f32_e32 v1, v1
	v_rcp_iflag_f32_e32 v2, v2
	s_mov_b32 s7, 0
	v_mul_f32_e32 v1, 0x4f7ffffe, v1
	v_cvt_u32_f32_e32 v1, v1
	v_mul_f32_e32 v2, 0x4f7ffffe, v2
	v_cvt_u32_f32_e32 v2, v2
	v_readfirstlane_b32 s2, v1
	s_mul_i32 s1, s1, s2
	s_mul_hi_u32 s1, s2, s1
	s_add_i32 s2, s2, s1
	s_mul_hi_u32 s1, s0, s2
	s_mul_i32 s2, s1, s10
	v_rcp_iflag_f32_e32 v1, v3
	v_readfirstlane_b32 s3, v2
	s_sub_i32 s2, s0, s2
	v_cvt_f32_u32_e32 v2, s41
	s_add_i32 s6, s1, 1
	s_sub_i32 s11, s2, s10
	s_cmp_ge_u32 s2, s10
	s_cselect_b32 s1, s6, s1
	v_mul_f32_e32 v1, 0x4f7ffffe, v1
	s_cselect_b32 s2, s11, s2
	s_add_i32 s6, s1, 1
	v_cvt_u32_f32_e32 v1, v1
	v_rcp_iflag_f32_e32 v2, v2
	s_cmp_ge_u32 s2, s10
	s_cselect_b32 s6, s6, s1
	s_sub_i32 s1, 0, s33
	s_mul_i32 s16, s6, s10
	s_mul_i32 s1, s1, s3
	s_sub_i32 s11, s0, s16
	s_mul_hi_u32 s0, s3, s1
	v_readfirstlane_b32 s1, v1
	v_mul_f32_e32 v1, 0x4f7ffffe, v2
	v_cvt_u32_f32_e32 v1, v1
	s_add_i32 s3, s3, s0
	s_sub_i32 s0, 0, s40
	s_mul_i32 s0, s0, s1
	s_mul_hi_u32 s0, s1, s0
	s_add_i32 s2, s1, s0
	s_sub_i32 s0, 0, s41
	v_readfirstlane_b32 s1, v1
	s_mul_i32 s0, s0, s1
	s_mul_hi_u32 s0, s1, s0
	s_add_i32 s17, s1, s0
	s_lshl_b64 s[0:1], s[6:7], 1
	s_add_u32 s0, s12, s0
	s_addc_u32 s1, s13, s1
	v_mov_b32_e32 v1, 0
	global_load_ushort v1, v1, s[0:1]
	s_load_dwordx2 s[28:29], s[4:5], 0x15c
	s_load_dwordx2 s[22:23], s[4:5], 0xf0
	s_load_dwordx2 s[30:31], s[4:5], 0x6c
	s_load_dwordx2 s[24:25], s[4:5], 0x0
	s_load_dwordx2 s[26:27], s[4:5], 0x23c
	v_cmp_ne_u32_e64 s[0:1], 0, v0
	s_mul_hi_u32 s45, s6, s3
	s_mul_hi_u32 s44, s6, s2
	;; [unrolled: 1-line block ×3, first 2 shown]
	v_cmp_eq_u32_e64 s[2:3], 0, v0
	s_waitcnt vmcnt(0)
	v_readfirstlane_b32 s42, v1
	s_and_saveexec_b64 s[12:13], s[2:3]
	s_cbranch_execz .LBB97_17
; %bb.2:
	s_load_dwordx2 s[34:35], s[4:5], 0x2c8
	s_mov_b32 s17, s7
	s_lshl_b64 s[36:37], s[16:17], 2
	s_add_u32 s16, s14, s36
	s_addc_u32 s17, s15, s37
	s_waitcnt lgkmcnt(0)
	s_add_u32 s18, s34, s36
	s_addc_u32 s19, s35, s37
	s_cmp_lt_u32 s10, 4
	s_cbranch_scc1 .LBB97_14
; %bb.3:
	s_mov_b32 s46, s7
	s_mov_b32 s47, s7
	;; [unrolled: 1-line block ×3, first 2 shown]
.LBB97_4:                               ; =>This Inner Loop Header: Depth=1
	s_add_u32 s16, s14, s36
	s_addc_u32 s17, s15, s37
	s_load_dwordx4 s[16:19], s[16:17], 0x0
	s_add_u32 s38, s34, s36
	s_addc_u32 s39, s35, s37
	s_cmp_ge_u32 s48, s11
	s_cbranch_scc0 .LBB97_11
; %bb.5:                                ;   in Loop: Header=BB97_4 Depth=1
	s_add_i32 s49, s48, 1
	s_cmp_ge_u32 s49, s11
	s_cbranch_scc0 .LBB97_12
.LBB97_6:                               ;   in Loop: Header=BB97_4 Depth=1
	s_add_i32 s49, s49, 1
	s_cmp_ge_u32 s49, s11
	s_cbranch_scc0 .LBB97_13
.LBB97_7:                               ;   in Loop: Header=BB97_4 Depth=1
	s_add_i32 s49, s49, 1
	s_cmp_ge_u32 s49, s11
	s_cbranch_scc1 .LBB97_9
.LBB97_8:                               ;   in Loop: Header=BB97_4 Depth=1
	s_load_dword s38, s[38:39], 0xc
	s_waitcnt lgkmcnt(0)
	s_add_i32 s7, s7, s19
	s_add_i32 s46, s38, s46
.LBB97_9:                               ;   in Loop: Header=BB97_4 Depth=1
	s_waitcnt lgkmcnt(0)
	s_add_i32 s16, s16, s47
	s_add_i32 s16, s16, s17
	;; [unrolled: 1-line block ×4, first 2 shown]
	s_add_u32 s14, s14, 16
	s_addc_u32 s15, s15, 0
	s_add_u32 s34, s34, 16
	s_addc_u32 s35, s35, 0
	s_add_i32 s39, s49, 4
	s_add_u32 s18, s34, s36
	s_addc_u32 s19, s35, s37
	s_add_u32 s16, s14, s36
	s_addc_u32 s17, s15, s37
	s_add_i32 s38, s49, 1
	s_cmp_ge_u32 s39, s10
	s_cbranch_scc1 .LBB97_15
; %bb.10:                               ;   in Loop: Header=BB97_4 Depth=1
	s_mov_b32 s48, s38
	s_branch .LBB97_4
.LBB97_11:                              ;   in Loop: Header=BB97_4 Depth=1
	s_load_dword s49, s[38:39], 0x0
	s_waitcnt lgkmcnt(0)
	s_add_i32 s7, s16, s7
	s_add_i32 s46, s49, s46
	;; [unrolled: 1-line block ×3, first 2 shown]
	s_cmp_ge_u32 s49, s11
	s_cbranch_scc1 .LBB97_6
.LBB97_12:                              ;   in Loop: Header=BB97_4 Depth=1
	s_load_dword s50, s[38:39], 0x4
	s_waitcnt lgkmcnt(0)
	s_add_i32 s7, s7, s17
	s_add_i32 s46, s50, s46
	;; [unrolled: 1-line block ×3, first 2 shown]
	s_cmp_ge_u32 s49, s11
	s_cbranch_scc1 .LBB97_7
.LBB97_13:                              ;   in Loop: Header=BB97_4 Depth=1
	s_load_dword s50, s[38:39], 0x8
	s_waitcnt lgkmcnt(0)
	s_add_i32 s7, s7, s18
	s_add_i32 s46, s50, s46
	;; [unrolled: 1-line block ×3, first 2 shown]
	s_cmp_ge_u32 s49, s11
	s_cbranch_scc0 .LBB97_8
	s_branch .LBB97_9
.LBB97_14:
	s_mov_b32 s46, 0
	s_mov_b32 s47, 0
	;; [unrolled: 1-line block ×3, first 2 shown]
	s_cmp_ge_u32 s14, s10
	s_cbranch_scc0 .LBB97_38
	s_branch .LBB97_16
.LBB97_15:
	s_add_i32 s14, s48, 4
	s_cmp_ge_u32 s14, s10
	s_cbranch_scc0 .LBB97_38
.LBB97_16:
	v_mov_b32_e32 v2, s46
	v_mov_b32_e32 v3, s47
	;; [unrolled: 1-line block ×4, first 2 shown]
	ds_write_b96 v1, v[2:4] offset:1056
.LBB97_17:
	s_or_b64 exec, exec, s[12:13]
	s_load_dwordx4 s[12:15], s[4:5], 0xd8
	s_waitcnt lgkmcnt(0)
	s_mul_i32 s15, s9, s11
	s_lshl_b32 s34, s15, 8
	s_add_i32 s7, s11, 1
	s_mov_b32 s11, 0
	s_sub_i32 s15, s12, s34
	s_add_u32 s15, s15, 0xff
	s_addc_u32 s16, 0, 0
	v_mov_b32_e32 v1, s15
	v_alignbit_b32 v1, s16, v1, 8
	s_cmp_lt_u32 s7, s10
	v_readfirstlane_b32 s7, v1
	s_cselect_b32 s9, s9, s7
	s_cmp_eq_u32 s9, 0
	s_barrier
	s_cbranch_scc1 .LBB97_40
; %bb.18:
	s_mul_i32 s7, s45, s33
	s_sub_i32 s7, s6, s7
	s_add_i32 s10, s45, 1
	s_sub_i32 s15, s7, s33
	s_cmp_ge_u32 s7, s33
	s_cselect_b32 s10, s10, s45
	s_cselect_b32 s7, s15, s7
	s_add_i32 s15, s10, 1
	s_cmp_ge_u32 s7, s33
	s_cselect_b32 s7, s15, s10
	s_mul_i32 s10, s7, s33
	s_sub_i32 s10, s6, s10
	s_mul_i32 s10, s10, s31
	s_mul_i32 s7, s7, s30
	s_add_i32 s10, s7, s10
	s_mul_i32 s7, s44, s40
	s_sub_i32 s7, s6, s7
	s_add_i32 s15, s44, 1
	s_sub_i32 s16, s7, s40
	s_cmp_ge_u32 s7, s40
	s_cselect_b32 s15, s15, s44
	s_cselect_b32 s7, s16, s7
	s_add_i32 s16, s15, 1
	s_cmp_ge_u32 s7, s40
	s_cselect_b32 s7, s16, s15
	s_mul_i32 s15, s7, s40
	s_sub_i32 s15, s6, s15
	s_mul_i32 s15, s15, s29
	s_mul_i32 s7, s7, s28
	s_add_i32 s18, s7, s15
	s_mul_i32 s7, s43, s41
	s_sub_i32 s7, s6, s7
	s_add_i32 s15, s43, 1
	s_sub_i32 s16, s7, s41
	s_cmp_ge_u32 s7, s41
	s_cselect_b32 s15, s15, s43
	s_cselect_b32 s7, s16, s7
	s_add_i32 s16, s15, 1
	s_cmp_ge_u32 s7, s41
	s_cselect_b32 s7, s16, s15
	s_mul_i32 s15, s7, s41
	s_sub_i32 s6, s6, s15
	s_mul_i32 s6, s6, s27
	s_mul_i32 s7, s7, s26
	s_add_i32 s6, s7, s6
	s_lshl_b64 s[16:17], s[10:11], 1
	s_add_u32 s15, s24, s16
	s_mov_b32 s19, s11
	s_addc_u32 s16, s25, s17
	s_lshl_b64 s[18:19], s[18:19], 1
	s_add_u32 s17, s22, s18
	s_mov_b32 s7, s11
	v_mov_b32_e32 v1, 0
	s_addc_u32 s18, s23, s19
	s_lshl_b64 s[6:7], s[6:7], 3
	ds_read_b96 v[2:4], v1 offset:1056
	s_add_u32 s19, s20, s6
	s_addc_u32 s20, s21, s7
	s_and_b32 s10, 0xffff, s42
	s_sext_i32_i16 s6, s42
	s_cmp_gt_i32 s6, -1
	s_mov_b32 s6, 0x8000
	s_cselect_b32 s11, s6, 0xffff
	v_cmp_o_f16_e64 s[6:7], s42, s42
	s_xor_b32 s10, s11, s10
	s_waitcnt lgkmcnt(0)
	v_add_u32_e32 v5, v2, v3
	v_lshrrev_b32_e32 v2, 5, v0
	s_and_b64 s[6:7], s[6:7], exec
	v_add_lshl_u32 v6, v2, v0, 2
	v_lshlrev_b32_e32 v2, 2, v0
	v_lshrrev_b32_e32 v3, 3, v0
	s_cselect_b32 s21, s10, 0xffff
	s_bitcmp1_b32 s14, 0
	s_load_dword s10, s[4:5], 0xe8
	s_load_dword s14, s[4:5], 0x1c8
	v_add_lshl_u32 v7, v3, v2, 2
	v_add_u32_e32 v2, -1, v0
	v_lshrrev_b32_e32 v3, 5, v2
	v_add_lshl_u32 v8, v3, v2, 2
	v_mbcnt_lo_u32_b32 v3, -1, 0
	v_add_u32_e32 v2, s34, v0
	v_mbcnt_hi_u32_b32 v11, -1, v3
	s_cselect_b64 s[6:7], -1, 0
	v_cmp_gt_u32_e64 s[4:5], 64, v0
	s_waitcnt lgkmcnt(0)
	v_mul_lo_u32 v0, s10, v2
	s_lshl_b32 s22, s10, 8
	v_mov_b32_e32 v9, 0xffff
	v_mov_b32_e32 v10, 0x8000
	v_and_b32_e32 v12, 15, v11
	v_bfe_i32 v13, v11, 4, 1
	v_add_u32_e32 v14, -1, v11
	v_and_b32_e32 v15, 64, v11
                                        ; implicit-def: $vgpr16
	s_branch .LBB97_21
.LBB97_19:                              ;   in Loop: Header=BB97_21 Depth=1
	s_or_b64 exec, exec, s[10:11]
	v_add_u32_e32 v5, v19, v5
.LBB97_20:                              ;   in Loop: Header=BB97_21 Depth=1
	s_add_i32 s9, s9, -1
	v_add_u32_e32 v4, v18, v4
	v_add_u32_e32 v0, s22, v0
	s_cmp_lg_u32 s9, 0
	v_add_u32_e32 v2, 0x100, v2
	s_cbranch_scc0 .LBB97_40
.LBB97_21:                              ; =>This Inner Loop Header: Depth=1
	v_cmp_gt_u32_e32 vcc, s12, v2
	v_mov_b32_e32 v3, 0
	v_mov_b32_e32 v17, 0
	s_and_saveexec_b64 s[10:11], vcc
	s_cbranch_execz .LBB97_23
; %bb.22:                               ;   in Loop: Header=BB97_21 Depth=1
	v_lshlrev_b64 v[16:17], 1, v[0:1]
	v_mov_b32_e32 v3, s16
	v_add_co_u32_e32 v16, vcc, s15, v16
	v_addc_co_u32_e32 v17, vcc, v3, v17, vcc
	global_load_ushort v16, v[16:17], off
	s_waitcnt vmcnt(0)
	v_cmp_lt_i16_e32 vcc, -1, v16
	v_cndmask_b32_e32 v3, v9, v10, vcc
	v_xor_b32_sdwa v3, v3, v16 dst_sel:DWORD dst_unused:UNUSED_PAD src0_sel:DWORD src1_sel:WORD_0
	v_cmp_o_f16_e32 vcc, v16, v16
	v_cndmask_b32_e32 v17, v9, v3, vcc
	v_cmp_lt_u32_e32 vcc, s21, v17
	v_cndmask_b32_e64 v3, 0, 1, vcc
	v_cmp_gt_u32_e32 vcc, s21, v17
	v_cndmask_b32_e64 v18, 0, 1, vcc
	v_cndmask_b32_e64 v3, v18, v3, s[6:7]
	v_cmp_eq_u32_e32 vcc, s21, v17
	v_and_b32_e32 v3, 1, v3
	v_cndmask_b32_e64 v17, 0, 1, vcc
.LBB97_23:                              ;   in Loop: Header=BB97_21 Depth=1
	s_or_b64 exec, exec, s[10:11]
	ds_write_b32 v6, v3
	s_waitcnt lgkmcnt(0)
	s_barrier
	s_and_saveexec_b64 s[10:11], s[4:5]
	s_cbranch_execz .LBB97_25
; %bb.24:                               ;   in Loop: Header=BB97_21 Depth=1
	ds_read2_b32 v[18:19], v7 offset1:1
	ds_read2_b32 v[20:21], v7 offset0:2 offset1:3
	v_cmp_ne_u32_e32 vcc, 0, v12
	; wave barrier
	s_waitcnt lgkmcnt(1)
	v_add_u32_e32 v19, v19, v18
	s_waitcnt lgkmcnt(0)
	v_add3_u32 v19, v19, v20, v21
	s_nop 1
	v_mov_b32_dpp v20, v19 row_shr:1 row_mask:0xf bank_mask:0xf
	v_cndmask_b32_e32 v20, 0, v20, vcc
	v_add_u32_e32 v19, v20, v19
	v_cmp_lt_u32_e32 vcc, 1, v12
	s_nop 0
	v_mov_b32_dpp v20, v19 row_shr:2 row_mask:0xf bank_mask:0xf
	v_cndmask_b32_e32 v20, 0, v20, vcc
	v_add_u32_e32 v19, v19, v20
	v_cmp_lt_u32_e32 vcc, 3, v12
	;; [unrolled: 5-line block ×4, first 2 shown]
	s_nop 0
	v_mov_b32_dpp v20, v19 row_bcast:15 row_mask:0xf bank_mask:0xf
	v_and_b32_e32 v20, v13, v20
	v_add_u32_e32 v19, v19, v20
	s_nop 1
	v_mov_b32_dpp v20, v19 row_bcast:31 row_mask:0xf bank_mask:0xf
	v_cndmask_b32_e32 v20, 0, v20, vcc
	v_cmp_lt_i32_e32 vcc, v14, v15
	v_add_u32_e32 v19, v19, v20
	v_cndmask_b32_e32 v20, v14, v11, vcc
	v_lshlrev_b32_e32 v20, 2, v20
	ds_bpermute_b32 v19, v20, v19
	s_waitcnt lgkmcnt(0)
	v_add_u32_e32 v18, v19, v18
	v_cndmask_b32_e64 v20, v18, v3, s[2:3]
	ds_write_b32 v7, v20
	; wave barrier
	ds_read2_b32 v[18:19], v7 offset0:1 offset1:2
	ds_read_b32 v21, v7 offset:12
	s_waitcnt lgkmcnt(1)
	v_add_u32_e32 v18, v18, v20
	v_add_u32_e32 v19, v19, v18
	ds_write2_b32 v7, v18, v19 offset0:1 offset1:2
	s_waitcnt lgkmcnt(1)
	v_add_u32_e32 v18, v21, v19
	ds_write_b32 v7, v18 offset:12
.LBB97_25:                              ;   in Loop: Header=BB97_21 Depth=1
	s_or_b64 exec, exec, s[10:11]
	v_mov_b32_e32 v19, 0
	s_waitcnt lgkmcnt(0)
	s_barrier
	s_and_saveexec_b64 s[10:11], s[0:1]
	s_cbranch_execz .LBB97_27
; %bb.26:                               ;   in Loop: Header=BB97_21 Depth=1
	ds_read_b32 v19, v8
.LBB97_27:                              ;   in Loop: Header=BB97_21 Depth=1
	s_or_b64 exec, exec, s[10:11]
	ds_read_b32 v18, v1 offset:1048
	v_cmp_ne_u32_e32 vcc, 0, v3
	s_waitcnt lgkmcnt(0)
	s_barrier
	s_and_saveexec_b64 s[10:11], vcc
	s_cbranch_execz .LBB97_29
; %bb.28:                               ;   in Loop: Header=BB97_21 Depth=1
	v_add_u32_e32 v19, v19, v4
	v_mul_lo_u32 v20, v19, s14
	v_mov_b32_e32 v21, v1
	v_lshlrev_b64 v[20:21], 1, v[20:21]
	v_mov_b32_e32 v3, s18
	v_add_co_u32_e32 v20, vcc, s17, v20
	v_addc_co_u32_e32 v21, vcc, v3, v21, vcc
	global_store_short v[20:21], v16, off
	v_mul_lo_u32 v20, v19, s8
	v_mov_b32_e32 v21, v1
	v_lshlrev_b64 v[20:21], 3, v[20:21]
	v_mov_b32_e32 v19, s20
	v_add_co_u32_e32 v20, vcc, s19, v20
	v_mov_b32_e32 v3, v1
	v_addc_co_u32_e32 v21, vcc, v19, v21, vcc
	global_store_dwordx2 v[20:21], v[2:3], off
.LBB97_29:                              ;   in Loop: Header=BB97_21 Depth=1
	s_or_b64 exec, exec, s[10:11]
	v_cmp_le_u32_e32 vcc, s13, v5
	s_cbranch_vccnz .LBB97_20
; %bb.30:                               ;   in Loop: Header=BB97_21 Depth=1
	ds_write_b32 v6, v17
	s_waitcnt lgkmcnt(0)
	s_barrier
	s_and_saveexec_b64 s[10:11], s[4:5]
	s_cbranch_execz .LBB97_32
; %bb.31:                               ;   in Loop: Header=BB97_21 Depth=1
	ds_read2_b32 v[20:21], v7 offset1:1
	ds_read2_b32 v[22:23], v7 offset0:2 offset1:3
	v_cmp_ne_u32_e32 vcc, 0, v12
	; wave barrier
	s_waitcnt lgkmcnt(1)
	v_add_u32_e32 v3, v21, v20
	s_waitcnt lgkmcnt(0)
	v_add3_u32 v3, v3, v22, v23
	s_nop 1
	v_mov_b32_dpp v19, v3 row_shr:1 row_mask:0xf bank_mask:0xf
	v_cndmask_b32_e32 v19, 0, v19, vcc
	v_add_u32_e32 v3, v19, v3
	v_cmp_lt_u32_e32 vcc, 1, v12
	s_nop 0
	v_mov_b32_dpp v19, v3 row_shr:2 row_mask:0xf bank_mask:0xf
	v_cndmask_b32_e32 v19, 0, v19, vcc
	v_add_u32_e32 v3, v3, v19
	v_cmp_lt_u32_e32 vcc, 3, v12
	;; [unrolled: 5-line block ×4, first 2 shown]
	s_nop 0
	v_mov_b32_dpp v19, v3 row_bcast:15 row_mask:0xf bank_mask:0xf
	v_and_b32_e32 v19, v13, v19
	v_add_u32_e32 v3, v3, v19
	s_nop 1
	v_mov_b32_dpp v19, v3 row_bcast:31 row_mask:0xf bank_mask:0xf
	v_cndmask_b32_e32 v19, 0, v19, vcc
	v_cmp_lt_i32_e32 vcc, v14, v15
	v_add_u32_e32 v3, v3, v19
	v_cndmask_b32_e32 v19, v14, v11, vcc
	v_lshlrev_b32_e32 v19, 2, v19
	ds_bpermute_b32 v3, v19, v3
	s_waitcnt lgkmcnt(0)
	v_add_u32_e32 v3, v3, v20
	v_cndmask_b32_e64 v3, v3, v17, s[2:3]
	ds_write_b32 v7, v3
	; wave barrier
	ds_read2_b32 v[20:21], v7 offset0:1 offset1:2
	ds_read_b32 v19, v7 offset:12
	s_waitcnt lgkmcnt(1)
	v_add_u32_e32 v3, v20, v3
	v_add_u32_e32 v20, v21, v3
	ds_write2_b32 v7, v3, v20 offset0:1 offset1:2
	s_waitcnt lgkmcnt(1)
	v_add_u32_e32 v3, v19, v20
	ds_write_b32 v7, v3 offset:12
.LBB97_32:                              ;   in Loop: Header=BB97_21 Depth=1
	s_or_b64 exec, exec, s[10:11]
	v_mov_b32_e32 v3, 0
	s_waitcnt lgkmcnt(0)
	s_barrier
	s_and_saveexec_b64 s[10:11], s[0:1]
	s_cbranch_execz .LBB97_34
; %bb.33:                               ;   in Loop: Header=BB97_21 Depth=1
	ds_read_b32 v3, v8
.LBB97_34:                              ;   in Loop: Header=BB97_21 Depth=1
	s_or_b64 exec, exec, s[10:11]
	ds_read_b32 v19, v1 offset:1048
	v_cmp_ne_u32_e32 vcc, 0, v17
	s_waitcnt lgkmcnt(0)
	s_barrier
	s_and_saveexec_b64 s[10:11], vcc
	s_cbranch_execz .LBB97_19
; %bb.35:                               ;   in Loop: Header=BB97_21 Depth=1
	v_add_u32_e32 v17, v3, v5
	v_cmp_gt_u32_e32 vcc, s13, v17
	s_and_b64 exec, exec, vcc
	s_cbranch_execz .LBB97_19
; %bb.36:                               ;   in Loop: Header=BB97_21 Depth=1
	v_mul_lo_u32 v20, v17, s14
	v_mov_b32_e32 v21, v1
	v_lshlrev_b64 v[20:21], 1, v[20:21]
	v_mov_b32_e32 v3, s18
	v_add_co_u32_e32 v20, vcc, s17, v20
	v_addc_co_u32_e32 v21, vcc, v3, v21, vcc
	global_store_short v[20:21], v16, off
	v_mul_lo_u32 v20, v17, s8
	v_mov_b32_e32 v21, v1
	v_lshlrev_b64 v[20:21], 3, v[20:21]
	v_mov_b32_e32 v17, s20
	v_add_co_u32_e32 v20, vcc, s19, v20
	v_mov_b32_e32 v3, v1
	v_addc_co_u32_e32 v21, vcc, v17, v21, vcc
	global_store_dwordx2 v[20:21], v[2:3], off
	s_branch .LBB97_19
.LBB97_37:                              ;   in Loop: Header=BB97_38 Depth=1
	s_add_u32 s16, s16, 4
	s_addc_u32 s17, s17, 0
	s_waitcnt lgkmcnt(0)
	s_add_i32 s47, s15, s47
	s_add_u32 s18, s18, 4
	s_addc_u32 s19, s19, 0
	s_add_i32 s14, s14, 1
	s_cmp_lt_u32 s14, s10
	s_cbranch_scc0 .LBB97_16
.LBB97_38:                              ; =>This Inner Loop Header: Depth=1
	s_load_dword s15, s[16:17], 0x0
	s_cmp_ge_u32 s14, s11
	s_cbranch_scc1 .LBB97_37
; %bb.39:                               ;   in Loop: Header=BB97_38 Depth=1
	s_load_dword s34, s[18:19], 0x0
	s_waitcnt lgkmcnt(0)
	s_add_i32 s7, s15, s7
	s_add_i32 s46, s34, s46
	s_branch .LBB97_37
.LBB97_40:
	s_endpgm
	.section	.rodata,"a",@progbits
	.p2align	6, 0x0
	.amdhsa_kernel _ZN2at6native6mbtopk10gatherTopKIN3c104HalfEjLi2EEEvNS_4cuda6detail10TensorInfoIKT_T0_EESA_SA_bjSA_NS7_IS8_SA_EESA_NS7_IlSA_EESA_jjPS8_PjSF_j
		.amdhsa_group_segment_fixed_size 1068
		.amdhsa_private_segment_fixed_size 0
		.amdhsa_kernarg_size 984
		.amdhsa_user_sgpr_count 6
		.amdhsa_user_sgpr_private_segment_buffer 1
		.amdhsa_user_sgpr_dispatch_ptr 0
		.amdhsa_user_sgpr_queue_ptr 0
		.amdhsa_user_sgpr_kernarg_segment_ptr 1
		.amdhsa_user_sgpr_dispatch_id 0
		.amdhsa_user_sgpr_flat_scratch_init 0
		.amdhsa_user_sgpr_kernarg_preload_length 0
		.amdhsa_user_sgpr_kernarg_preload_offset 0
		.amdhsa_user_sgpr_private_segment_size 0
		.amdhsa_uses_dynamic_stack 0
		.amdhsa_system_sgpr_private_segment_wavefront_offset 0
		.amdhsa_system_sgpr_workgroup_id_x 1
		.amdhsa_system_sgpr_workgroup_id_y 1
		.amdhsa_system_sgpr_workgroup_id_z 1
		.amdhsa_system_sgpr_workgroup_info 0
		.amdhsa_system_vgpr_workitem_id 0
		.amdhsa_next_free_vgpr 24
		.amdhsa_next_free_sgpr 51
		.amdhsa_accum_offset 24
		.amdhsa_reserve_vcc 1
		.amdhsa_reserve_flat_scratch 0
		.amdhsa_float_round_mode_32 0
		.amdhsa_float_round_mode_16_64 0
		.amdhsa_float_denorm_mode_32 3
		.amdhsa_float_denorm_mode_16_64 3
		.amdhsa_dx10_clamp 1
		.amdhsa_ieee_mode 1
		.amdhsa_fp16_overflow 0
		.amdhsa_tg_split 0
		.amdhsa_exception_fp_ieee_invalid_op 0
		.amdhsa_exception_fp_denorm_src 0
		.amdhsa_exception_fp_ieee_div_zero 0
		.amdhsa_exception_fp_ieee_overflow 0
		.amdhsa_exception_fp_ieee_underflow 0
		.amdhsa_exception_fp_ieee_inexact 0
		.amdhsa_exception_int_div_zero 0
	.end_amdhsa_kernel
	.section	.text._ZN2at6native6mbtopk10gatherTopKIN3c104HalfEjLi2EEEvNS_4cuda6detail10TensorInfoIKT_T0_EESA_SA_bjSA_NS7_IS8_SA_EESA_NS7_IlSA_EESA_jjPS8_PjSF_j,"axG",@progbits,_ZN2at6native6mbtopk10gatherTopKIN3c104HalfEjLi2EEEvNS_4cuda6detail10TensorInfoIKT_T0_EESA_SA_bjSA_NS7_IS8_SA_EESA_NS7_IlSA_EESA_jjPS8_PjSF_j,comdat
.Lfunc_end97:
	.size	_ZN2at6native6mbtopk10gatherTopKIN3c104HalfEjLi2EEEvNS_4cuda6detail10TensorInfoIKT_T0_EESA_SA_bjSA_NS7_IS8_SA_EESA_NS7_IlSA_EESA_jjPS8_PjSF_j, .Lfunc_end97-_ZN2at6native6mbtopk10gatherTopKIN3c104HalfEjLi2EEEvNS_4cuda6detail10TensorInfoIKT_T0_EESA_SA_bjSA_NS7_IS8_SA_EESA_NS7_IlSA_EESA_jjPS8_PjSF_j
                                        ; -- End function
	.section	.AMDGPU.csdata,"",@progbits
; Kernel info:
; codeLenInByte = 2496
; NumSgprs: 55
; NumVgprs: 24
; NumAgprs: 0
; TotalNumVgprs: 24
; ScratchSize: 0
; MemoryBound: 0
; FloatMode: 240
; IeeeMode: 1
; LDSByteSize: 1068 bytes/workgroup (compile time only)
; SGPRBlocks: 6
; VGPRBlocks: 2
; NumSGPRsForWavesPerEU: 55
; NumVGPRsForWavesPerEU: 24
; AccumOffset: 24
; Occupancy: 8
; WaveLimiterHint : 1
; COMPUTE_PGM_RSRC2:SCRATCH_EN: 0
; COMPUTE_PGM_RSRC2:USER_SGPR: 6
; COMPUTE_PGM_RSRC2:TRAP_HANDLER: 0
; COMPUTE_PGM_RSRC2:TGID_X_EN: 1
; COMPUTE_PGM_RSRC2:TGID_Y_EN: 1
; COMPUTE_PGM_RSRC2:TGID_Z_EN: 1
; COMPUTE_PGM_RSRC2:TIDIG_COMP_CNT: 0
; COMPUTE_PGM_RSRC3_GFX90A:ACCUM_OFFSET: 5
; COMPUTE_PGM_RSRC3_GFX90A:TG_SPLIT: 0
	.section	.text._ZN2at6native6sbtopk10gatherTopKIN3c104HalfEjLi2ELb0EEEvNS_4cuda6detail10TensorInfoIKT_T0_EESA_SA_bSA_SA_NS7_IS8_SA_EESA_NS7_IlSA_EESA_PS8_,"axG",@progbits,_ZN2at6native6sbtopk10gatherTopKIN3c104HalfEjLi2ELb0EEEvNS_4cuda6detail10TensorInfoIKT_T0_EESA_SA_bSA_SA_NS7_IS8_SA_EESA_NS7_IlSA_EESA_PS8_,comdat
	.protected	_ZN2at6native6sbtopk10gatherTopKIN3c104HalfEjLi2ELb0EEEvNS_4cuda6detail10TensorInfoIKT_T0_EESA_SA_bSA_SA_NS7_IS8_SA_EESA_NS7_IlSA_EESA_PS8_ ; -- Begin function _ZN2at6native6sbtopk10gatherTopKIN3c104HalfEjLi2ELb0EEEvNS_4cuda6detail10TensorInfoIKT_T0_EESA_SA_bSA_SA_NS7_IS8_SA_EESA_NS7_IlSA_EESA_PS8_
	.globl	_ZN2at6native6sbtopk10gatherTopKIN3c104HalfEjLi2ELb0EEEvNS_4cuda6detail10TensorInfoIKT_T0_EESA_SA_bSA_SA_NS7_IS8_SA_EESA_NS7_IlSA_EESA_PS8_
	.p2align	8
	.type	_ZN2at6native6sbtopk10gatherTopKIN3c104HalfEjLi2ELb0EEEvNS_4cuda6detail10TensorInfoIKT_T0_EESA_SA_bSA_SA_NS7_IS8_SA_EESA_NS7_IlSA_EESA_PS8_,@function
_ZN2at6native6sbtopk10gatherTopKIN3c104HalfEjLi2ELb0EEEvNS_4cuda6detail10TensorInfoIKT_T0_EESA_SA_bSA_SA_NS7_IS8_SA_EESA_NS7_IlSA_EESA_PS8_: ; @_ZN2at6native6sbtopk10gatherTopKIN3c104HalfEjLi2ELb0EEEvNS_4cuda6detail10TensorInfoIKT_T0_EESA_SA_bSA_SA_NS7_IS8_SA_EESA_NS7_IlSA_EESA_PS8_
; %bb.0:
	s_load_dwordx2 s[10:11], s[4:5], 0x2b8
	s_load_dwordx4 s[60:63], s[4:5], 0xd8
	s_mov_b64 s[16:17], s[4:5]
	s_add_u32 s2, s16, 0x2b8
	s_addc_u32 s3, s17, 0
	s_waitcnt lgkmcnt(0)
	s_mul_i32 s0, s11, s8
	s_add_i32 s0, s0, s7
	s_mul_i32 s0, s0, s10
	s_add_i32 s11, s0, s6
	s_cmp_ge_u32 s11, s63
	s_cbranch_scc1 .LBB98_411
; %bb.1:
	s_load_dword s4, s[16:17], 0xc
	s_load_dword s0, s[16:17], 0xe8
	s_load_dwordx2 s[8:9], s[16:17], 0x1d0
                                        ; implicit-def: $vgpr55 : SGPR spill to VGPR lane
	s_mov_b32 s18, 0
	s_load_dword s15, s[16:17], 0xfc
	s_waitcnt lgkmcnt(0)
	v_cvt_f32_u32_e32 v1, s4
	v_writelane_b32 v55, s0, 0
	v_writelane_b32 v55, s8, 1
	;; [unrolled: 1-line block ×3, first 2 shown]
	s_load_dwordx2 s[8:9], s[16:17], 0x15c
	v_rcp_iflag_f32_e32 v1, v1
	s_load_dwordx2 s[12:13], s[16:17], 0x6c
	s_load_dwordx2 s[0:1], s[16:17], 0x0
	s_sub_i32 s5, 0, s4
	v_cvt_f32_u32_e32 v2, s15
	s_waitcnt lgkmcnt(0)
	v_writelane_b32 v55, s8, 3
	v_writelane_b32 v55, s9, 4
	s_load_dwordx2 s[8:9], s[16:17], 0x23c
	v_mul_f32_e32 v1, 0x4f7ffffe, v1
	v_cvt_u32_f32_e32 v1, v1
	v_rcp_iflag_f32_e32 v2, v2
	s_waitcnt lgkmcnt(0)
	v_writelane_b32 v55, s8, 5
	v_writelane_b32 v55, s9, 6
	s_load_dword s14, s[16:17], 0x1dc
	s_load_dwordx2 s[8:9], s[16:17], 0xf0
	v_readfirstlane_b32 s7, v1
	v_mul_f32_e32 v1, 0x4f7ffffe, v2
	v_cvt_u32_f32_e32 v1, v1
	s_waitcnt lgkmcnt(0)
	v_cvt_f32_u32_e32 v2, s14
	s_mul_i32 s5, s5, s7
	s_mul_hi_u32 s5, s7, s5
	v_writelane_b32 v55, s8, 7
	v_rcp_iflag_f32_e32 v2, v2
	s_add_i32 s7, s7, s5
	v_writelane_b32 v55, s9, 8
	s_mul_hi_u32 s5, s11, s7
	s_sub_i32 s7, 0, s15
	v_readfirstlane_b32 s8, v1
	v_mul_f32_e32 v1, 0x4f7ffffe, v2
	s_mul_i32 s7, s7, s8
	v_cvt_u32_f32_e32 v1, v1
	s_mul_hi_u32 s7, s8, s7
	s_add_i32 s8, s8, s7
	v_writelane_b32 v55, s15, 9
	s_mul_hi_u32 s7, s11, s8
	v_writelane_b32 v55, s7, 10
	s_sub_i32 s7, 0, s14
	v_readfirstlane_b32 s8, v1
	s_mul_i32 s7, s7, s8
	s_mul_hi_u32 s7, s8, s7
	s_add_i32 s8, s8, s7
	v_writelane_b32 v55, s14, 11
	s_mul_hi_u32 s7, s11, s8
	v_writelane_b32 v55, s7, 12
	v_cmp_eq_u32_e64 s[8:9], 0, v0
	s_mov_b64 s[14:15], exec
	v_writelane_b32 v55, s8, 13
	v_writelane_b32 v55, s9, 14
	s_and_b64 s[8:9], s[14:15], s[8:9]
	s_mov_b64 exec, s[8:9]
	s_cbranch_execz .LBB98_3
; %bb.2:
	v_mov_b32_e32 v2, 0
	v_mov_b32_e32 v3, s60
	v_mov_b32_e32 v4, v2
	ds_write_b96 v2, v[2:4] offset:4096
.LBB98_3:
	s_or_b64 exec, exec, s[14:15]
	s_mul_i32 s7, s5, s4
	s_sub_i32 s7, s11, s7
	s_add_i32 s8, s5, 1
	s_sub_i32 s9, s7, s4
	s_cmp_ge_u32 s7, s4
	s_cselect_b32 s5, s8, s5
	s_cselect_b32 s7, s9, s7
	s_add_i32 s8, s5, 1
	s_cmp_ge_u32 s7, s4
	s_cselect_b32 s5, s8, s5
	s_mul_i32 s4, s5, s4
	s_sub_i32 s4, s11, s4
	s_mul_i32 s4, s4, s13
	s_mul_i32 s5, s5, s12
	s_add_i32 s4, s5, s4
	s_mov_b32 s5, s18
	s_lshl_b64 s[4:5], s[4:5], 1
	s_add_u32 s33, s0, s4
	v_writelane_b32 v55, s11, 15
	s_mov_b32 s8, 0
	s_waitcnt lgkmcnt(0)
	s_barrier
	s_load_dword s0, s[2:3], 0xc
	s_addc_u32 s7, s1, s5
	v_writelane_b32 v55, s8, 16
	s_bitcmp1_b32 s62, 0
	v_writelane_b32 v55, s9, 17
	s_cselect_b64 s[4:5], -1, 0
	v_writelane_b32 v55, s4, 18
	v_mbcnt_lo_u32_b32 v1, -1, 0
	v_writelane_b32 v55, s5, 19
	s_xor_b64 s[4:5], s[4:5], -1
	v_mbcnt_hi_u32_b32 v1, -1, v1
	v_writelane_b32 v55, s4, 20
	s_waitcnt lgkmcnt(0)
	s_and_b32 s76, s0, 0xffff
	s_bfe_u32 s8, s0, 0xa0006
	v_cmp_gt_u32_e32 vcc, 64, v0
	v_cmp_gt_i32_e64 s[0:1], 4, v1
	v_writelane_b32 v55, s5, 21
	s_lshl_b32 s77, s76, 2
	s_and_b64 s[0:1], vcc, s[0:1]
	v_writelane_b32 v55, s0, 22
	s_cmpk_gt_u32 s60, 0x600
	v_writelane_b32 v55, s1, 23
	s_cselect_b64 s[0:1], -1, 0
	v_writelane_b32 v55, s0, 24
	s_cmp_gt_u32 s76, 63
	v_writelane_b32 v55, s1, 25
	s_cselect_b64 s[0:1], -1, 0
	v_writelane_b32 v55, s0, 26
	v_writelane_b32 v55, s1, 27
	s_add_i32 s0, s76, -1
	s_add_i32 s4, s0, s60
	s_cmp_lt_u32 s6, s10
	v_writelane_b32 v55, s0, 28
	s_cselect_b32 s0, 12, 18
	s_add_u32 s0, s2, s0
	s_addc_u32 s1, s3, 0
	v_writelane_b32 v55, s0, 29
	s_add_i32 s2, s8, -2
	v_writelane_b32 v55, s1, 30
	s_lshr_b32 s0, s2, 1
	s_add_i32 s3, s0, 1
	s_cmpk_gt_u32 s76, 0x7f
	s_cselect_b64 s[0:1], -1, 0
	v_writelane_b32 v55, s0, 31
	v_writelane_b32 v55, s1, 32
	;; [unrolled: 1-line block ×3, first 2 shown]
	s_load_dword s9, s[16:17], 0xe8
	v_mov_b32_e32 v11, 0
	v_mov_b32_e32 v13, v11
	;; [unrolled: 1-line block ×3, first 2 shown]
	v_writelane_b32 v55, s17, 34
	s_waitcnt lgkmcnt(0)
	v_mul_lo_u32 v12, v0, s9
	v_lshlrev_b64 v[2:3], 1, v[12:13]
	v_add_co_u32_e32 v8, vcc, s33, v2
	v_lshrrev_b32_e32 v2, 4, v0
	v_addc_co_u32_e32 v9, vcc, v17, v3, vcc
	v_cmp_gt_u32_e64 s[10:11], s60, v0
	v_and_b32_e32 v18, 60, v2
	v_lshlrev_b64 v[2:3], v1, -1
	v_writelane_b32 v55, s10, 35
	v_not_b32_e32 v6, v2
	v_cvt_f32_u32_e32 v2, s77
	v_writelane_b32 v55, s11, 36
	v_cmp_gt_u32_e64 s[10:11], 2, v0
	s_and_b32 s5, s8, 0x3fe
	s_and_b32 s6, s3, 7
	v_writelane_b32 v55, s10, 37
	s_cmp_gt_u32 s2, 13
	v_writelane_b32 v55, s11, 38
	s_cselect_b64 s[10:11], -1, 0
	v_writelane_b32 v55, s10, 39
	v_rcp_iflag_f32_e32 v2, v2
	v_writelane_b32 v55, s11, 40
	s_and_b32 s2, s3, -8
	v_writelane_b32 v55, s2, 41
	s_cmp_lg_u32 s6, 0
	v_writelane_b32 v55, s6, 42
	s_cselect_b64 s[2:3], -1, 0
	v_writelane_b32 v55, s2, 43
	v_mul_f32_e32 v2, 0x4f7ffffe, v2
	v_writelane_b32 v55, s3, 44
	v_cvt_u32_f32_e32 v2, v2
	v_writelane_b32 v55, s8, 45
	s_cmp_lg_u32 s5, s8
	v_writelane_b32 v55, s5, 46
	s_cselect_b64 s[2:3], -1, 0
	v_writelane_b32 v55, s2, 47
	v_writelane_b32 v55, s3, 48
	s_sub_i32 s2, 0, s77
	v_readfirstlane_b32 s3, v2
	v_cvt_f32_u32_e32 v2, s76
	s_mul_i32 s2, s2, s3
	s_mul_hi_u32 s2, s3, s2
	s_add_i32 s2, s3, s2
	v_writelane_b32 v55, s2, 49
	s_mul_hi_u32 s2, s60, s2
	v_rcp_iflag_f32_e32 v5, v2
	s_mul_i32 s2, s2, s77
	s_sub_i32 s2, s60, s2
	s_sub_i32 s3, s2, s77
	s_cmp_ge_u32 s2, s77
	v_mul_f32_e32 v5, 0x4f7ffffe, v5
	s_cselect_b32 s2, s3, s2
	v_cvt_u32_f32_e32 v5, v5
	s_sub_i32 s3, s2, s77
	s_cmp_ge_u32 s2, s77
	s_cselect_b32 s2, s3, s2
	v_lshlrev_b32_e32 v16, 2, v0
	s_sub_i32 s8, s60, s2
	s_sub_i32 s3, 0, s76
	v_readfirstlane_b32 s5, v5
	v_cmp_gt_u32_e64 s[10:11], s8, v16
	s_mul_i32 s3, s3, s5
	v_writelane_b32 v55, s10, 50
	s_mul_hi_u32 s3, s5, s3
	v_writelane_b32 v55, s11, 51
	s_add_i32 s3, s5, s3
	v_writelane_b32 v55, s3, 52
	s_mul_hi_u32 s3, s4, s3
	s_mul_i32 s3, s3, s76
	s_sub_i32 s3, s4, s3
	s_sub_i32 s5, s3, s76
	v_add_u32_e32 v21, s8, v0
	s_cmp_ge_u32 s3, s76
	v_mul_lo_u32 v10, v21, s9
	s_cselect_b32 s3, s5, s3
	v_not_b32_e32 v7, v3
	v_lshlrev_b64 v[2:3], 1, v[10:11]
	s_sub_i32 s5, s3, s76
	v_add_co_u32_e32 v14, vcc, s33, v2
	s_cmp_ge_u32 s3, s76
	v_mul_lo_u32 v2, s9, v16
	s_cselect_b32 s3, s5, s3
	v_add_u32_e32 v22, s9, v2
	v_or_b32_e32 v2, 2, v16
	s_sub_i32 s78, s4, s3
	v_mul_lo_u32 v23, s9, v2
	v_or_b32_e32 v2, 3, v16
	s_add_i32 s3, s76, s60
	v_mul_lo_u32 v24, s9, v2
	v_add_u32_e32 v2, s3, v0
	v_lshlrev_b32_e32 v19, 1, v0
	v_lshlrev_b32_e32 v4, 2, v1
	v_mov_b32_e32 v10, s7
	v_cmp_gt_u32_e64 s[4:5], s78, v0
	s_mul_i32 s6, s9, s76
	v_subrev_u32_e32 v2, s2, v2
	v_cmp_eq_u32_e64 s[0:1], 0, v1
	v_add_u32_e32 v20, 0xc00, v19
	v_and_b32_e32 v13, 0x100, v4
	v_cmp_gt_u32_e64 s[14:15], s60, v21
	v_addc_co_u32_e32 v15, vcc, v10, v3, vcc
	v_writelane_b32 v55, s4, 53
	s_lshl_b32 s79, s6, 2
	v_lshlrev_b32_e32 v25, 2, v12
	v_mul_lo_u32 v26, s9, v2
	v_lshlrev_b32_e32 v27, 3, v0
	s_lshl_b32 s12, s76, 3
	s_lshl_b32 s13, s76, 1
	v_or_b32_e32 v28, 0xc00, v4
	s_mov_b32 s72, 14
	s_mov_b64 s[90:91], 0
	v_mov_b32_e32 v37, s61
	s_movk_i32 s9, 0x3c00
	v_mov_b32_e32 v29, 0xffff
	v_mov_b32_e32 v30, 0x8000
	v_mov_b32_e32 v31, -1
	v_mov_b32_e32 v32, 0xc00
	v_mov_b32_e32 v33, 0x5040100
	;; [unrolled: 1-line block ×3, first 2 shown]
	s_mov_b32 s73, 0
	v_mov_b32_e32 v35, 0
	v_mov_b32_e32 v34, 0
	v_writelane_b32 v55, s5, 54
                                        ; implicit-def: $sgpr92_sgpr93
                                        ; implicit-def: $sgpr94_sgpr95
                                        ; implicit-def: $sgpr66_sgpr67
                                        ; implicit-def: $sgpr68_sgpr69
                                        ; implicit-def: $sgpr64_sgpr65
                                        ; implicit-def: $sgpr70_sgpr71
                                        ; implicit-def: $sgpr2_sgpr3
                                        ; implicit-def: $sgpr84_sgpr85
                                        ; implicit-def: $sgpr86_sgpr87
                                        ; implicit-def: $sgpr88_sgpr89
	s_branch .LBB98_6
.LBB98_4:                               ;   in Loop: Header=BB98_6 Depth=1
	s_or_b64 exec, exec, s[22:23]
	s_andn2_b64 s[4:5], s[88:89], exec
	s_and_b64 s[10:11], s[20:21], exec
	s_or_b64 s[88:89], s[4:5], s[10:11]
	s_andn2_b64 s[86:87], s[86:87], exec
	s_andn2_b64 s[84:85], s[84:85], exec
	;; [unrolled: 1-line block ×4, first 2 shown]
	s_orn2_b64 s[18:19], s[18:19], exec
	v_mov_b32_e32 v34, v3
	v_mov_b32_e32 v35, v2
	;; [unrolled: 1-line block ×4, first 2 shown]
.LBB98_5:                               ;   in Loop: Header=BB98_6 Depth=1
	s_or_b64 exec, exec, s[16:17]
	s_and_b64 s[4:5], exec, s[18:19]
	s_or_b64 s[90:91], s[4:5], s[90:91]
	s_andn2_b64 s[4:5], s[64:65], exec
	s_and_b64 s[10:11], s[88:89], exec
	s_or_b64 s[64:65], s[4:5], s[10:11]
	s_andn2_b64 s[4:5], s[68:69], exec
	s_and_b64 s[10:11], s[86:87], exec
	;; [unrolled: 3-line block ×5, first 2 shown]
	s_or_b64 s[92:93], s[4:5], s[10:11]
	s_andn2_b64 exec, exec, s[90:91]
	s_cbranch_execz .LBB98_407
.LBB98_6:                               ; =>This Loop Header: Depth=1
                                        ;     Child Loop BB98_11 Depth 2
                                        ;     Child Loop BB98_29 Depth 2
	;; [unrolled: 1-line block ×25, first 2 shown]
	ds_read_b64 v[2:3], v11 offset:4096
	s_waitcnt lgkmcnt(0)
	v_readfirstlane_b32 s4, v2
	s_cmp_lg_u32 s4, 0
	s_cbranch_scc1 .LBB98_36
; %bb.7:                                ;   in Loop: Header=BB98_6 Depth=1
	v_readlane_b32 s4, v55, 24
	v_readlane_b32 s5, v55, 25
	s_and_b64 vcc, exec, s[4:5]
	s_cbranch_vccz .LBB98_19
; %bb.8:                                ;   in Loop: Header=BB98_6 Depth=1
	s_movk_i32 s4, 0x601
	v_cmp_gt_u32_e32 vcc, s4, v3
	s_mov_b64 s[16:17], 0
	s_mov_b64 s[18:19], 0
	s_cbranch_vccz .LBB98_20
; %bb.9:                                ;   in Loop: Header=BB98_6 Depth=1
	v_readlane_b32 s4, v55, 29
	v_readlane_b32 s5, v55, 30
	s_nop 4
	global_load_ushort v2, v11, s[4:5]
	global_load_ushort v3, v[8:9], off
	v_readlane_b32 s4, v55, 33
	v_readlane_b32 s5, v55, 34
	s_load_dword s4, s[4:5], 0xe8
	s_mov_b64 s[22:23], 0
	s_waitcnt vmcnt(1)
	v_add_u32_e32 v5, v0, v2
	s_waitcnt lgkmcnt(0)
	v_mul_lo_u32 v4, s4, v2
	v_mul_lo_u32 v10, s4, v5
	v_mov_b32_e32 v5, v0
	s_branch .LBB98_11
.LBB98_10:                              ;   in Loop: Header=BB98_11 Depth=2
	s_or_b64 exec, exec, s[20:21]
	v_add_u32_e32 v10, v10, v4
	v_mov_b32_e32 v3, v38
	s_andn2_b64 exec, exec, s[22:23]
	s_cbranch_execz .LBB98_21
.LBB98_11:                              ;   Parent Loop BB98_6 Depth=1
                                        ; =>  This Inner Loop Header: Depth=2
	v_add_u32_e32 v5, v5, v2
	v_cmp_gt_u32_e64 s[18:19], s60, v5
	v_cmp_le_u32_e32 vcc, s60, v5
	s_waitcnt lgkmcnt(0)
	v_mov_b32_e32 v39, 0
	v_mov_b32_e32 v38, 0
	s_and_saveexec_b64 s[20:21], s[18:19]
	s_cbranch_execz .LBB98_13
; %bb.12:                               ;   in Loop: Header=BB98_11 Depth=2
	v_lshlrev_b64 v[40:41], 1, v[10:11]
	v_add_co_u32_e64 v40, s[18:19], s33, v40
	v_addc_co_u32_e64 v41, s[18:19], v17, v41, s[18:19]
	global_load_ushort v38, v[40:41], off
.LBB98_13:                              ;   in Loop: Header=BB98_11 Depth=2
	s_or_b64 exec, exec, s[20:21]
	s_waitcnt vmcnt(0)
	v_cmp_lt_i16_e64 s[18:19], -1, v3
	v_cndmask_b32_e64 v40, v29, v30, s[18:19]
	v_xor_b32_sdwa v40, v40, v3 dst_sel:DWORD dst_unused:UNUSED_PAD src0_sel:DWORD src1_sel:WORD_0
	v_cmp_o_f16_e64 s[18:19], v3, v3
	v_cndmask_b32_e64 v40, v29, v40, s[18:19]
	v_and_b32_e32 v40, v40, v34
	v_cmp_eq_u32_e64 s[18:19], v40, v35
	s_cmp_lg_u64 s[18:19], 0
	s_cselect_b64 s[4:5], -1, 0
	s_and_b64 s[4:5], s[0:1], s[4:5]
	s_and_saveexec_b64 s[24:25], s[4:5]
	s_cbranch_execz .LBB98_17
; %bb.14:                               ;   in Loop: Header=BB98_11 Depth=2
	s_mov_b64 s[28:29], exec
	v_mbcnt_lo_u32_b32 v39, s28, 0
	v_mbcnt_hi_u32_b32 v39, s29, v39
	s_bcnt1_i32_b64 s4, s[18:19]
	v_cmp_eq_u32_e64 s[20:21], 0, v39
                                        ; implicit-def: $vgpr40
	s_and_saveexec_b64 s[26:27], s[20:21]
	s_cbranch_execz .LBB98_16
; %bb.15:                               ;   in Loop: Header=BB98_11 Depth=2
	s_bcnt1_i32_b64 s5, s[28:29]
	s_mul_i32 s5, s4, s5
	v_mov_b32_e32 v40, s5
	ds_add_rtn_u32 v40, v11, v40 offset:4104
.LBB98_16:                              ;   in Loop: Header=BB98_11 Depth=2
	s_or_b64 exec, exec, s[26:27]
	s_waitcnt lgkmcnt(0)
	v_readfirstlane_b32 s5, v40
	v_mov_b32_e32 v40, s5
	v_mad_u32_u24 v39, s4, v39, v40
.LBB98_17:                              ;   in Loop: Header=BB98_11 Depth=2
	s_or_b64 exec, exec, s[24:25]
	ds_bpermute_b32 v39, v13, v39
	s_and_b64 s[4:5], exec, vcc
	s_or_b64 s[22:23], s[4:5], s[22:23]
	s_and_saveexec_b64 s[20:21], s[18:19]
	s_cbranch_execz .LBB98_10
; %bb.18:                               ;   in Loop: Header=BB98_11 Depth=2
	v_and_b32_e32 v41, s18, v6
	v_and_b32_e32 v40, s19, v7
	v_bcnt_u32_b32 v41, v41, 0
	v_bcnt_u32_b32 v40, v40, v41
	v_lshlrev_b32_e32 v40, 1, v40
	s_waitcnt lgkmcnt(0)
	v_lshl_add_u32 v39, v39, 1, v40
	ds_write_b16 v39, v3
	s_branch .LBB98_10
.LBB98_19:                              ;   in Loop: Header=BB98_6 Depth=1
	s_mov_b64 s[18:19], 0
                                        ; implicit-def: $sgpr4
	s_cbranch_execnz .LBB98_24
	s_branch .LBB98_34
.LBB98_20:                              ;   in Loop: Header=BB98_6 Depth=1
	s_mov_b32 s4, 0
	s_and_b64 vcc, exec, s[16:17]
	s_cbranch_vccnz .LBB98_24
	s_branch .LBB98_34
.LBB98_21:                              ;   in Loop: Header=BB98_6 Depth=1
	s_or_b64 exec, exec, s[22:23]
	s_waitcnt lgkmcnt(0)
	s_barrier
	s_mov_b64 s[18:19], exec
	v_readlane_b32 s4, v55, 13
	v_readlane_b32 s5, v55, 14
	s_and_b64 s[4:5], s[18:19], s[4:5]
	s_mov_b64 exec, s[4:5]
	s_cbranch_execz .LBB98_23
; %bb.22:                               ;   in Loop: Header=BB98_6 Depth=1
	ds_read_b32 v2, v11 offset:4104
	s_waitcnt lgkmcnt(0)
	ds_write_b32 v11, v2 offset:4096
.LBB98_23:                              ;   in Loop: Header=BB98_6 Depth=1
	s_or_b64 exec, exec, s[18:19]
	s_waitcnt lgkmcnt(0)
	s_barrier
	s_mov_b64 s[18:19], -1
	s_mov_b32 s4, 0
	s_and_b64 vcc, exec, s[16:17]
	s_cbranch_vccz .LBB98_34
.LBB98_24:                              ;   in Loop: Header=BB98_6 Depth=1
	v_mov_b32_e32 v2, 0
	s_mov_b64 s[16:17], exec
	v_readlane_b32 s4, v55, 35
	v_readlane_b32 s5, v55, 36
	s_and_b64 s[4:5], s[16:17], s[4:5]
	s_mov_b64 exec, s[4:5]
	s_cbranch_execz .LBB98_26
; %bb.25:                               ;   in Loop: Header=BB98_6 Depth=1
	global_load_ushort v2, v[8:9], off
.LBB98_26:                              ;   in Loop: Header=BB98_6 Depth=1
	s_or_b64 exec, exec, s[16:17]
	s_mov_b64 s[16:17], exec
	v_readlane_b32 s4, v55, 35
	v_readlane_b32 s5, v55, 36
	s_and_b64 s[4:5], s[16:17], s[4:5]
	s_mov_b64 exec, s[4:5]
	s_cbranch_execz .LBB98_31
; %bb.27:                               ;   in Loop: Header=BB98_6 Depth=1
	v_readlane_b32 s4, v55, 29
	v_readlane_b32 s5, v55, 30
	s_mov_b64 s[20:21], 0
	v_mov_b32_e32 v4, v19
	v_mov_b32_e32 v39, v0
	s_nop 1
	global_load_ushort v3, v11, s[4:5]
	v_readlane_b32 s4, v55, 33
	v_readlane_b32 s5, v55, 34
	s_load_dword s4, s[4:5], 0xe8
	s_waitcnt vmcnt(0)
	v_add_u32_e32 v10, v0, v3
	v_lshlrev_b32_e32 v5, 1, v3
	s_waitcnt lgkmcnt(0)
	v_mul_lo_u32 v38, s4, v3
	v_mul_lo_u32 v10, s4, v10
	s_branch .LBB98_29
.LBB98_28:                              ;   in Loop: Header=BB98_29 Depth=2
	s_or_b64 exec, exec, s[22:23]
	s_and_b64 s[4:5], exec, vcc
	s_or_b64 s[20:21], s[4:5], s[20:21]
	ds_write_b16 v4, v2
	v_add_u32_e32 v4, v4, v5
	v_add_u32_e32 v10, v10, v38
	s_waitcnt vmcnt(0)
	v_mov_b32_e32 v2, v40
	s_andn2_b64 exec, exec, s[20:21]
	s_cbranch_execz .LBB98_31
.LBB98_29:                              ;   Parent Loop BB98_6 Depth=1
                                        ; =>  This Inner Loop Header: Depth=2
	v_add_u32_e32 v39, v39, v3
	v_cmp_gt_u32_e64 s[18:19], s60, v39
	v_cmp_le_u32_e32 vcc, s60, v39
	v_mov_b32_e32 v40, 0
	s_and_saveexec_b64 s[22:23], s[18:19]
	s_cbranch_execz .LBB98_28
; %bb.30:                               ;   in Loop: Header=BB98_29 Depth=2
	v_lshlrev_b64 v[40:41], 1, v[10:11]
	v_mov_b32_e32 v42, s7
	v_add_co_u32_e64 v40, s[18:19], s33, v40
	v_addc_co_u32_e64 v41, s[18:19], v42, v41, s[18:19]
	global_load_ushort v40, v[40:41], off
	s_branch .LBB98_28
.LBB98_31:                              ;   in Loop: Header=BB98_6 Depth=1
	s_or_b64 exec, exec, s[16:17]
	s_waitcnt lgkmcnt(0)
	s_barrier
	s_mov_b64 s[16:17], exec
	v_readlane_b32 s4, v55, 13
	v_readlane_b32 s5, v55, 14
	s_and_b64 s[4:5], s[16:17], s[4:5]
	s_mov_b64 exec, s[4:5]
	s_cbranch_execz .LBB98_33
; %bb.32:                               ;   in Loop: Header=BB98_6 Depth=1
	s_waitcnt vmcnt(0)
	v_mov_b32_e32 v2, s60
	ds_write_b32 v11, v2 offset:4096
.LBB98_33:                              ;   in Loop: Header=BB98_6 Depth=1
	s_or_b64 exec, exec, s[16:17]
	s_mov_b64 s[18:19], -1
	s_waitcnt lgkmcnt(0)
	s_barrier
                                        ; implicit-def: $sgpr4
.LBB98_34:                              ;   in Loop: Header=BB98_6 Depth=1
	s_and_b64 vcc, exec, s[18:19]
	s_cbranch_vccz .LBB98_36
; %bb.35:                               ;   in Loop: Header=BB98_6 Depth=1
	s_waitcnt vmcnt(0)
	ds_read_b32 v2, v11 offset:4096
	s_waitcnt lgkmcnt(0)
	v_readfirstlane_b32 s4, v2
.LBB98_36:                              ;   in Loop: Header=BB98_6 Depth=1
	s_cmp_lt_i32 s4, 1
	s_cbranch_scc0 .LBB98_48
; %bb.37:                               ;   in Loop: Header=BB98_6 Depth=1
	s_waitcnt vmcnt(0)
	v_mov_b32_e32 v2, 0
	s_mov_b32 s5, 0
	v_mov_b32_e32 v3, 0
	v_mov_b32_e32 v4, v2
	;; [unrolled: 1-line block ×3, first 2 shown]
	s_mov_b64 s[48:49], exec
	v_readlane_b32 s10, v55, 50
	v_readlane_b32 s11, v55, 51
	s_and_b64 s[10:11], s[48:49], s[10:11]
	s_mov_b64 exec, s[10:11]
	s_cbranch_execz .LBB98_41
; %bb.38:                               ;   in Loop: Header=BB98_6 Depth=1
	s_and_b32 s10, s72, 0xfe
	s_mov_b64 s[50:51], 0
	s_mov_b32 s11, 0
	s_mov_b32 s16, 0
	;; [unrolled: 1-line block ×4, first 2 shown]
	v_mov_b32_e32 v38, v16
.LBB98_39:                              ;   Parent Loop BB98_6 Depth=1
                                        ; =>  This Inner Loop Header: Depth=2
	v_add_u32_e32 v10, s5, v25
	v_lshlrev_b64 v[2:3], 1, v[10:11]
	v_mov_b32_e32 v39, s7
	v_add_u32_e32 v10, s5, v22
	v_add_co_u32_e64 v2, s[18:19], s33, v2
	v_lshlrev_b64 v[4:5], 1, v[10:11]
	v_addc_co_u32_e64 v3, s[18:19], v39, v3, s[18:19]
	v_add_u32_e32 v10, s5, v23
	global_load_ushort v42, v[2:3], off
	v_add_co_u32_e64 v2, s[18:19], s33, v4
	v_lshlrev_b64 v[40:41], 1, v[10:11]
	v_add_u32_e32 v10, s5, v24
	v_addc_co_u32_e64 v3, s[18:19], v39, v5, s[18:19]
	v_lshlrev_b64 v[4:5], 1, v[10:11]
	global_load_ushort v10, v[2:3], off
	v_add_co_u32_e64 v2, s[18:19], s33, v40
	v_addc_co_u32_e64 v3, s[18:19], v39, v41, s[18:19]
	global_load_ushort v40, v[2:3], off
	v_add_co_u32_e64 v2, s[18:19], s33, v4
	v_addc_co_u32_e64 v3, s[18:19], v39, v5, s[18:19]
	global_load_ushort v2, v[2:3], off
	v_add_u32_e32 v38, s77, v38
	v_cmp_le_u32_e32 vcc, s8, v38
	s_add_i32 s5, s5, s79
	s_waitcnt vmcnt(3)
	v_cmp_lt_i16_e64 s[18:19], -1, v42
	v_cndmask_b32_e64 v3, v29, v30, s[18:19]
	v_xor_b32_sdwa v3, v3, v42 dst_sel:DWORD dst_unused:UNUSED_PAD src0_sel:DWORD src1_sel:WORD_0
	s_waitcnt vmcnt(2)
	v_cmp_lt_i16_e64 s[18:19], -1, v10
	v_cndmask_b32_e64 v4, v29, v30, s[18:19]
	v_cmp_o_f16_e64 s[18:19], v42, v42
	v_cndmask_b32_e64 v3, v29, v3, s[18:19]
	v_xor_b32_sdwa v4, v4, v10 dst_sel:DWORD dst_unused:UNUSED_PAD src0_sel:DWORD src1_sel:WORD_0
	s_waitcnt vmcnt(1)
	v_cmp_lt_i16_e64 s[18:19], -1, v40
	v_cndmask_b32_e64 v5, v29, v30, s[18:19]
	v_cmp_o_f16_e64 s[18:19], v10, v10
	v_cndmask_b32_e64 v4, v29, v4, s[18:19]
	v_xor_b32_sdwa v5, v5, v40 dst_sel:DWORD dst_unused:UNUSED_PAD src0_sel:DWORD src1_sel:WORD_0
	s_waitcnt vmcnt(0)
	v_cmp_lt_i16_e64 s[18:19], -1, v2
	v_cndmask_b32_e64 v10, v29, v30, s[18:19]
	v_and_b32_e32 v39, v3, v34
	v_bfe_u32 v3, v3, s10, 2
	v_cmp_o_f16_e64 s[18:19], v40, v40
	v_cndmask_b32_e64 v5, v29, v5, s[18:19]
	v_cmp_eq_u32_e64 s[18:19], v39, v35
	v_cmp_eq_u32_e64 s[20:21], 0, v3
	v_and_b32_e32 v39, v4, v34
	v_bfe_u32 v4, v4, s10, 2
	v_cmp_eq_u32_e64 s[22:23], 1, v3
	s_and_b64 s[20:21], s[18:19], s[20:21]
	v_xor_b32_sdwa v10, v10, v2 dst_sel:DWORD dst_unused:UNUSED_PAD src0_sel:DWORD src1_sel:WORD_0
	v_cmp_eq_u32_e64 s[24:25], 2, v3
	v_cmp_eq_u32_e64 s[26:27], 3, v3
	v_cmp_o_f16_e64 s[28:29], v2, v2
	v_cmp_eq_u32_e64 s[30:31], 0, v4
	v_cmp_eq_u32_e64 s[34:35], 1, v4
	;; [unrolled: 1-line block ×4, first 2 shown]
	v_cndmask_b32_e64 v4, 0, 1, s[20:21]
	s_and_b64 s[20:21], s[18:19], s[22:23]
	v_cndmask_b32_e64 v2, v29, v10, s[28:29]
	v_cmp_eq_u32_e64 s[28:29], v39, v35
	v_and_b32_e32 v3, v5, v34
	v_bfe_u32 v5, v5, s10, 2
	v_cndmask_b32_e64 v10, 0, 1, s[20:21]
	s_and_b64 s[20:21], s[18:19], s[24:25]
	s_and_b64 s[18:19], s[18:19], s[26:27]
	v_cndmask_b32_e64 v39, 0, 1, s[20:21]
	v_cndmask_b32_e64 v40, 0, 1, s[18:19]
	v_cmp_eq_u32_e64 s[18:19], v3, v35
	v_and_b32_e32 v3, v2, v34
	v_bfe_u32 v2, v2, s10, 2
	v_cmp_eq_u32_e64 s[20:21], 0, v5
	s_and_b64 s[30:31], s[28:29], s[30:31]
	s_and_b64 s[34:35], s[28:29], s[34:35]
	;; [unrolled: 1-line block ×4, first 2 shown]
	v_cmp_eq_u32_e64 s[22:23], 1, v5
	v_cmp_eq_u32_e64 s[24:25], 2, v5
	;; [unrolled: 1-line block ×3, first 2 shown]
	v_cndmask_b32_e64 v5, 0, 1, s[34:35]
	v_cmp_ne_u32_e64 s[34:35], 0, v39
	v_cndmask_b32_e64 v39, 0, 1, s[28:29]
	v_cmp_eq_u32_e64 s[28:29], v3, v35
	v_cmp_eq_u32_e64 s[38:39], 0, v2
	s_and_b64 s[20:21], s[18:19], s[20:21]
	v_cmp_eq_u32_e64 s[42:43], 1, v2
	v_cmp_eq_u32_e64 s[44:45], 2, v2
	;; [unrolled: 1-line block ×3, first 2 shown]
	v_cndmask_b32_e64 v2, 0, 1, s[20:21]
	s_and_b64 s[22:23], s[18:19], s[22:23]
	s_and_b64 s[24:25], s[18:19], s[24:25]
	;; [unrolled: 1-line block ×4, first 2 shown]
	v_cmp_ne_u32_e64 s[40:41], 0, v4
	v_cndmask_b32_e64 v4, 0, 1, s[30:31]
	v_cmp_ne_u32_e64 s[30:31], 0, v10
	v_cndmask_b32_e64 v10, 0, 1, s[36:37]
	v_cmp_ne_u32_e64 s[36:37], 0, v40
	v_cmp_ne_u32_e64 s[20:21], 0, v5
	v_cndmask_b32_e64 v3, 0, 1, s[22:23]
	v_cndmask_b32_e64 v5, 0, 1, s[18:19]
	v_cmp_ne_u32_e64 s[18:19], 0, v2
	v_cndmask_b32_e64 v2, 0, 1, s[26:27]
	s_and_b64 s[26:27], s[28:29], s[42:43]
	s_bcnt1_i32_b64 s53, s[40:41]
	v_cmp_ne_u32_e64 s[40:41], 0, v4
	s_bcnt1_i32_b64 s30, s[30:31]
	s_bcnt1_i32_b64 s31, s[34:35]
	v_cmp_ne_u32_e64 s[22:23], 0, v10
	v_cndmask_b32_e64 v4, 0, 1, s[24:25]
	s_bcnt1_i32_b64 s34, s[36:37]
	s_bcnt1_i32_b64 s37, s[20:21]
	v_cmp_ne_u32_e64 s[20:21], 0, v3
	v_cndmask_b32_e64 v3, 0, 1, s[26:27]
	s_and_b64 s[26:27], s[28:29], s[44:45]
	v_cmp_ne_u32_e64 s[24:25], 0, v39
	s_add_i32 s30, s17, s30
	s_bcnt1_i32_b64 s38, s[22:23]
	v_cmp_ne_u32_e64 s[22:23], 0, v4
	v_cndmask_b32_e64 v4, 0, 1, s[26:27]
	s_add_i32 s26, s16, s31
	s_and_b64 s[16:17], s[28:29], s[46:47]
	s_bcnt1_i32_b64 s35, s[40:41]
	s_add_i32 s36, s52, s53
	s_bcnt1_i32_b64 s27, s[24:25]
	v_cmp_ne_u32_e64 s[24:25], 0, v5
	v_cndmask_b32_e64 v5, 0, 1, s[16:17]
	s_add_i32 s11, s11, s34
	s_bcnt1_i32_b64 s16, s[18:19]
	v_cmp_ne_u32_e64 s[18:19], 0, v2
	s_add_i32 s17, s36, s35
	s_bcnt1_i32_b64 s28, s[20:21]
	v_cmp_ne_u32_e64 s[20:21], 0, v3
	;; [unrolled: 3-line block ×4, first 2 shown]
	s_add_i32 s11, s11, s27
	s_bcnt1_i32_b64 s18, s[18:19]
	s_add_i32 s16, s17, s16
	s_bcnt1_i32_b64 s17, s[20:21]
	;; [unrolled: 2-line block ×4, first 2 shown]
	s_add_i32 s11, s11, s31
	s_add_i32 s52, s16, s18
	;; [unrolled: 1-line block ×5, first 2 shown]
	s_or_b64 s[50:51], vcc, s[50:51]
	v_mov_b32_e32 v2, s52
	v_mov_b32_e32 v3, s17
	;; [unrolled: 1-line block ×4, first 2 shown]
	s_andn2_b64 exec, exec, s[50:51]
	s_cbranch_execnz .LBB98_39
; %bb.40:                               ;   in Loop: Header=BB98_6 Depth=1
	s_or_b64 exec, exec, s[50:51]
.LBB98_41:                              ;   in Loop: Header=BB98_6 Depth=1
	s_or_b64 exec, exec, s[48:49]
	v_mov_b32_e32 v38, 0
	s_and_saveexec_b64 s[16:17], s[14:15]
	s_cbranch_execz .LBB98_43
; %bb.42:                               ;   in Loop: Header=BB98_6 Depth=1
	global_load_ushort v38, v[14:15], off
.LBB98_43:                              ;   in Loop: Header=BB98_6 Depth=1
	s_or_b64 exec, exec, s[16:17]
	s_mov_b64 s[16:17], 0
	s_mov_b64 s[80:81], 0
	s_and_saveexec_b64 s[20:21], s[14:15]
	s_cbranch_execz .LBB98_50
; %bb.44:                               ;   in Loop: Header=BB98_6 Depth=1
	s_and_b32 s5, s72, 0xfe
	s_mov_b64 s[22:23], 0
	v_mov_b32_e32 v10, v26
	v_mov_b32_e32 v39, v21
	s_branch .LBB98_46
.LBB98_45:                              ;   in Loop: Header=BB98_46 Depth=2
	s_or_b64 exec, exec, s[24:25]
	s_and_b64 s[10:11], exec, vcc
	s_waitcnt vmcnt(0)
	v_cmp_lt_i16_e32 vcc, -1, v38
	v_cndmask_b32_e32 v41, v29, v30, vcc
	v_xor_b32_sdwa v41, v41, v38 dst_sel:DWORD dst_unused:UNUSED_PAD src0_sel:DWORD src1_sel:WORD_0
	v_cmp_o_f16_e32 vcc, v38, v38
	v_cndmask_b32_e32 v38, v29, v41, vcc
	v_and_b32_e32 v41, v38, v34
	v_bfe_u32 v38, v38, s5, 2
	s_or_b64 s[22:23], s[10:11], s[22:23]
	v_cmp_eq_u32_e32 vcc, v41, v35
	v_cmp_eq_u32_e64 s[18:19], 0, v38
	s_and_b64 s[10:11], vcc, s[18:19]
	v_cndmask_b32_e64 v41, 0, 1, s[10:11]
	v_cmp_ne_u32_e64 s[18:19], 0, v41
	s_bcnt1_i32_b64 s10, s[18:19]
	v_cmp_eq_u32_e64 s[18:19], 1, v38
	v_add_u32_e32 v2, s10, v2
	s_and_b64 s[10:11], vcc, s[18:19]
	v_cndmask_b32_e64 v41, 0, 1, s[10:11]
	v_cmp_ne_u32_e64 s[18:19], 0, v41
	s_bcnt1_i32_b64 s10, s[18:19]
	v_cmp_eq_u32_e64 s[18:19], 2, v38
	v_add_u32_e32 v3, s10, v3
	;; [unrolled: 6-line block ×3, first 2 shown]
	s_and_b64 s[10:11], vcc, s[18:19]
	v_cndmask_b32_e64 v38, 0, 1, s[10:11]
	v_cmp_ne_u32_e32 vcc, 0, v38
	s_bcnt1_i32_b64 s10, vcc
	v_add_u32_e32 v5, s10, v5
	v_add_u32_e32 v10, s6, v10
	v_mov_b32_e32 v38, v40
	s_andn2_b64 exec, exec, s[22:23]
	s_cbranch_execz .LBB98_49
.LBB98_46:                              ;   Parent Loop BB98_6 Depth=1
                                        ; =>  This Inner Loop Header: Depth=2
	v_add_u32_e32 v39, s76, v39
	v_cmp_gt_u32_e64 s[18:19], s60, v39
	v_cmp_le_u32_e32 vcc, s60, v39
	v_mov_b32_e32 v40, 0
	s_and_saveexec_b64 s[24:25], s[18:19]
	s_cbranch_execz .LBB98_45
; %bb.47:                               ;   in Loop: Header=BB98_46 Depth=2
	v_lshlrev_b64 v[40:41], 1, v[10:11]
	v_mov_b32_e32 v42, s7
	v_add_co_u32_e64 v40, s[18:19], s33, v40
	v_addc_co_u32_e64 v41, s[18:19], v42, v41, s[18:19]
	global_load_ushort v40, v[40:41], off
	s_branch .LBB98_45
.LBB98_48:                              ;   in Loop: Header=BB98_6 Depth=1
	s_mov_b64 s[80:81], 0
                                        ; implicit-def: $vgpr5
	s_cbranch_execnz .LBB98_51
	s_branch .LBB98_60
.LBB98_49:                              ;   in Loop: Header=BB98_6 Depth=1
	s_or_b64 exec, exec, s[22:23]
	s_mov_b64 s[80:81], exec
.LBB98_50:                              ;   in Loop: Header=BB98_6 Depth=1
	s_or_b64 exec, exec, s[20:21]
	s_and_b64 vcc, exec, s[16:17]
	s_cbranch_vccz .LBB98_60
.LBB98_51:                              ;   in Loop: Header=BB98_6 Depth=1
	v_readlane_b32 s5, v55, 49
	s_mul_hi_u32 s5, s4, s5
	s_mul_i32 s5, s5, s77
	s_sub_i32 s5, s4, s5
	s_sub_i32 s10, s5, s77
	s_cmp_ge_u32 s5, s77
	s_cselect_b32 s5, s10, s5
	s_sub_i32 s10, s5, s77
	s_cmp_ge_u32 s5, s77
	s_cselect_b32 s5, s10, s5
	s_sub_i32 s5, s4, s5
	v_cmp_gt_u32_e32 vcc, s5, v16
	s_mov_b32 s11, 0
	s_waitcnt vmcnt(0)
	v_mov_b32_e32 v2, 0
	v_mov_b32_e32 v3, 0
	;; [unrolled: 1-line block ×4, first 2 shown]
	s_and_saveexec_b64 s[82:83], vcc
	s_cbranch_execz .LBB98_55
; %bb.52:                               ;   in Loop: Header=BB98_6 Depth=1
	s_and_b32 s10, s72, 0xfe
	s_mov_b64 s[16:17], 0
	v_mov_b32_e32 v10, v27
	s_mov_b32 s62, 0
	s_mov_b32 s63, 0
	;; [unrolled: 1-line block ×3, first 2 shown]
	v_mov_b32_e32 v38, v16
.LBB98_53:                              ;   Parent Loop BB98_6 Depth=1
                                        ; =>  This Inner Loop Header: Depth=2
	ds_read_b64 v[2:3], v10
	v_add_u32_e32 v38, s77, v38
	v_cmp_le_u32_e32 vcc, s5, v38
	v_add_u32_e32 v10, s12, v10
	s_waitcnt lgkmcnt(0)
	v_cmp_lt_i16_e64 s[18:19], -1, v2
	v_cndmask_b32_e64 v4, v29, v30, s[18:19]
	v_cmp_gt_i16_sdwa s[18:19], v2, v31 src0_sel:WORD_1 src1_sel:DWORD
	v_cndmask_b32_e64 v5, v29, v30, s[18:19]
	v_cmp_lt_i16_e64 s[18:19], -1, v3
	v_cndmask_b32_e64 v39, v29, v30, s[18:19]
	v_cmp_gt_i16_sdwa s[18:19], v3, v31 src0_sel:WORD_1 src1_sel:DWORD
	v_cndmask_b32_e64 v40, v29, v30, s[18:19]
	v_xor_b32_sdwa v39, v39, v3 dst_sel:DWORD dst_unused:UNUSED_PAD src0_sel:DWORD src1_sel:WORD_0
	v_cmp_o_f16_e64 s[20:21], v3, v3
	v_xor_b32_sdwa v40, v40, v3 dst_sel:DWORD dst_unused:UNUSED_PAD src0_sel:DWORD src1_sel:WORD_1
	v_cmp_o_f16_sdwa s[22:23], v3, v3 src0_sel:WORD_1 src1_sel:WORD_1
	v_xor_b32_sdwa v3, v4, v2 dst_sel:DWORD dst_unused:UNUSED_PAD src0_sel:DWORD src1_sel:WORD_0
	v_cmp_o_f16_e64 s[24:25], v2, v2
	v_xor_b32_sdwa v5, v5, v2 dst_sel:DWORD dst_unused:UNUSED_PAD src0_sel:DWORD src1_sel:WORD_1
	v_cmp_o_f16_sdwa s[18:19], v2, v2 src0_sel:WORD_1 src1_sel:WORD_1
	v_cndmask_b32_e64 v2, v29, v3, s[24:25]
	v_cndmask_b32_e64 v3, v29, v5, s[18:19]
	;; [unrolled: 1-line block ×3, first 2 shown]
	v_and_b32_e32 v39, v2, v34
	v_bfe_u32 v2, v2, s10, 2
	v_cndmask_b32_e64 v5, v29, v40, s[22:23]
	v_and_b32_e32 v40, v3, v34
	v_bfe_u32 v3, v3, s10, 2
	v_cmp_eq_u32_e64 s[18:19], v39, v35
	v_cmp_eq_u32_e64 s[26:27], 0, v2
	v_and_b32_e32 v41, v4, v34
	v_bfe_u32 v4, v4, s10, 2
	v_cmp_eq_u32_e64 s[20:21], v40, v35
	v_cmp_eq_u32_e64 s[28:29], 0, v3
	s_and_b64 s[26:27], s[18:19], s[26:27]
	v_and_b32_e32 v42, v5, v34
	v_bfe_u32 v5, v5, s10, 2
	v_cmp_eq_u32_e64 s[22:23], v41, v35
	v_cmp_eq_u32_e64 s[30:31], 0, v4
	v_cmp_eq_u32_e64 s[36:37], 1, v2
	v_cmp_eq_u32_e64 s[44:45], 2, v2
	v_cmp_eq_u32_e64 s[52:53], 3, v2
	v_cndmask_b32_e64 v2, 0, 1, s[26:27]
	s_and_b64 s[26:27], s[20:21], s[28:29]
	v_cmp_eq_u32_e64 s[24:25], v42, v35
	v_cmp_eq_u32_e64 s[34:35], 0, v5
	;; [unrolled: 1-line block ×5, first 2 shown]
	v_cndmask_b32_e64 v3, 0, 1, s[26:27]
	s_and_b64 s[26:27], s[22:23], s[30:31]
	v_cmp_eq_u32_e64 s[40:41], 1, v4
	v_cmp_eq_u32_e64 s[48:49], 2, v4
	;; [unrolled: 1-line block ×3, first 2 shown]
	v_cndmask_b32_e64 v4, 0, 1, s[26:27]
	s_and_b64 s[26:27], s[24:25], s[34:35]
	v_cmp_eq_u32_e64 s[42:43], 1, v5
	v_cmp_eq_u32_e64 s[50:51], 2, v5
	;; [unrolled: 1-line block ×3, first 2 shown]
	v_cndmask_b32_e64 v5, 0, 1, s[26:27]
	s_and_b64 s[26:27], s[18:19], s[36:37]
	v_cndmask_b32_e64 v39, 0, 1, s[26:27]
	s_and_b64 s[26:27], s[20:21], s[38:39]
	;; [unrolled: 2-line block ×5, first 2 shown]
	s_and_b64 s[18:19], s[18:19], s[52:53]
	v_cndmask_b32_e64 v43, 0, 1, s[26:27]
	s_and_b64 s[26:27], s[20:21], s[46:47]
	v_cndmask_b32_e64 v47, 0, 1, s[18:19]
	;; [unrolled: 2-line block ×7, first 2 shown]
	v_cndmask_b32_e64 v50, 0, 1, s[18:19]
	v_cmp_ne_u32_e64 s[18:19], 0, v2
	v_cmp_ne_u32_e64 s[20:21], 0, v3
	;; [unrolled: 1-line block ×11, first 2 shown]
	s_bcnt1_i32_b64 s18, s[18:19]
	s_bcnt1_i32_b64 s19, s[20:21]
	;; [unrolled: 1-line block ×8, first 2 shown]
	v_cmp_ne_u32_e64 s[34:35], 0, v42
	v_cmp_ne_u32_e64 s[40:41], 0, v45
	;; [unrolled: 1-line block ×3, first 2 shown]
	s_bcnt1_i32_b64 s23, s[28:29]
	s_bcnt1_i32_b64 s27, s[38:39]
	;; [unrolled: 1-line block ×3, first 2 shown]
	s_add_i32 s18, s74, s18
	s_add_i32 s22, s63, s22
	;; [unrolled: 1-line block ×4, first 2 shown]
	v_cmp_ne_u32_e64 s[42:43], 0, v46
	v_cmp_ne_u32_e64 s[50:51], 0, v50
	s_bcnt1_i32_b64 s25, s[34:35]
	s_bcnt1_i32_b64 s28, s[40:41]
	;; [unrolled: 1-line block ×3, first 2 shown]
	s_add_i32 s18, s18, s19
	s_add_i32 s19, s22, s23
	;; [unrolled: 1-line block ×4, first 2 shown]
	s_bcnt1_i32_b64 s29, s[42:43]
	s_bcnt1_i32_b64 s35, s[50:51]
	s_add_i32 s18, s18, s20
	s_add_i32 s19, s19, s24
	;; [unrolled: 1-line block ×8, first 2 shown]
	s_or_b64 s[16:17], vcc, s[16:17]
	v_mov_b32_e32 v2, s74
	v_mov_b32_e32 v3, s63
	;; [unrolled: 1-line block ×4, first 2 shown]
	s_andn2_b64 exec, exec, s[16:17]
	s_cbranch_execnz .LBB98_53
; %bb.54:                               ;   in Loop: Header=BB98_6 Depth=1
	s_or_b64 exec, exec, s[16:17]
.LBB98_55:                              ;   in Loop: Header=BB98_6 Depth=1
	s_or_b64 exec, exec, s[82:83]
	v_add_u32_e32 v10, s5, v0
	v_cmp_gt_u32_e32 vcc, s4, v10
	s_and_saveexec_b64 s[16:17], vcc
	s_cbranch_execz .LBB98_59
; %bb.56:                               ;   in Loop: Header=BB98_6 Depth=1
	s_and_b32 s5, s72, 0xfe
	v_lshlrev_b32_e32 v38, 1, v10
	s_mov_b64 s[28:29], 0
.LBB98_57:                              ;   Parent Loop BB98_6 Depth=1
                                        ; =>  This Inner Loop Header: Depth=2
	ds_read_u16 v39, v38
	v_add_u32_e32 v10, s76, v10
	v_cmp_le_u32_e32 vcc, s4, v10
	v_add_u32_e32 v38, s13, v38
	s_waitcnt lgkmcnt(0)
	v_cmp_lt_i16_e64 s[18:19], -1, v39
	v_cndmask_b32_e64 v40, v29, v30, s[18:19]
	v_xor_b32_sdwa v40, v40, v39 dst_sel:DWORD dst_unused:UNUSED_PAD src0_sel:DWORD src1_sel:WORD_0
	v_cmp_o_f16_e64 s[18:19], v39, v39
	v_cndmask_b32_e64 v39, v29, v40, s[18:19]
	v_and_b32_e32 v40, v39, v34
	v_bfe_u32 v39, v39, s5, 2
	v_cmp_eq_u32_e64 s[18:19], v40, v35
	v_cmp_eq_u32_e64 s[20:21], 0, v39
	;; [unrolled: 1-line block ×3, first 2 shown]
	s_and_b64 s[10:11], s[18:19], s[20:21]
	v_cmp_eq_u32_e64 s[24:25], 2, v39
	v_cmp_eq_u32_e64 s[26:27], 3, v39
	v_cndmask_b32_e64 v39, 0, 1, s[10:11]
	s_and_b64 s[10:11], s[18:19], s[22:23]
	v_cndmask_b32_e64 v40, 0, 1, s[10:11]
	s_and_b64 s[10:11], s[18:19], s[24:25]
	;; [unrolled: 2-line block ×3, first 2 shown]
	v_cndmask_b32_e64 v42, 0, 1, s[10:11]
	v_cmp_ne_u32_e64 s[18:19], 0, v39
	v_cmp_ne_u32_e64 s[20:21], 0, v40
	;; [unrolled: 1-line block ×4, first 2 shown]
	s_bcnt1_i32_b64 s10, s[18:19]
	s_bcnt1_i32_b64 s11, s[20:21]
	;; [unrolled: 1-line block ×4, first 2 shown]
	v_add_u32_e32 v2, s10, v2
	v_add_u32_e32 v3, s11, v3
	;; [unrolled: 1-line block ×3, first 2 shown]
	s_or_b64 s[28:29], vcc, s[28:29]
	v_add_u32_e32 v5, s19, v5
	s_andn2_b64 exec, exec, s[28:29]
	s_cbranch_execnz .LBB98_57
; %bb.58:                               ;   in Loop: Header=BB98_6 Depth=1
	s_or_b64 exec, exec, s[28:29]
	s_or_b64 s[80:81], s[80:81], exec
.LBB98_59:                              ;   in Loop: Header=BB98_6 Depth=1
	s_or_b64 exec, exec, s[16:17]
.LBB98_60:                              ;   in Loop: Header=BB98_6 Depth=1
	s_and_saveexec_b64 s[16:17], s[80:81]
	s_or_b64 exec, exec, s[16:17]
	s_lshl_b32 s4, s73, 6
	s_and_saveexec_b64 s[16:17], s[0:1]
	s_cbranch_execz .LBB98_62
; %bb.61:                               ;   in Loop: Header=BB98_6 Depth=1
	v_or_b32_e32 v10, s4, v18
	v_lshlrev_b32_e32 v10, 2, v10
	s_waitcnt vmcnt(0)
	ds_write_b128 v10, v[2:5] offset:3072
.LBB98_62:                              ;   in Loop: Header=BB98_6 Depth=1
	s_or_b64 exec, exec, s[16:17]
	s_waitcnt lgkmcnt(0)
	s_barrier
	s_mov_b64 s[16:17], exec
	v_readlane_b32 s10, v55, 22
	v_readlane_b32 s11, v55, 23
	s_and_b64 s[10:11], s[16:17], s[10:11]
	s_mov_b64 exec, s[10:11]
	s_cbranch_execz .LBB98_76
; %bb.63:                               ;   in Loop: Header=BB98_6 Depth=1
	v_readlane_b32 s10, v55, 26
	v_readlane_b32 s11, v55, 27
	v_add_u32_e32 v4, s4, v1
	s_andn2_b64 vcc, exec, s[10:11]
	s_waitcnt vmcnt(0)
	v_mov_b32_e32 v2, 0
	s_cbranch_vccnz .LBB98_75
; %bb.64:                               ;   in Loop: Header=BB98_6 Depth=1
	v_readlane_b32 s10, v55, 31
	v_readlane_b32 s11, v55, 32
	s_mov_b32 s5, 0
	s_and_b64 vcc, exec, s[10:11]
	v_mov_b32_e32 v2, 0
	s_cbranch_vccz .LBB98_68
; %bb.65:                               ;   in Loop: Header=BB98_6 Depth=1
	v_readlane_b32 s10, v55, 39
	v_readlane_b32 s18, v55, 16
	;; [unrolled: 1-line block ×3, first 2 shown]
	v_lshl_add_u32 v5, v4, 2, v32
	v_readlane_b32 s19, v55, 17
	s_andn2_b64 vcc, exec, s[10:11]
	s_cbranch_vccnz .LBB98_69
; %bb.66:                               ;   in Loop: Header=BB98_6 Depth=1
	v_writelane_b32 v55, s18, 16
	v_writelane_b32 v55, s19, 17
	s_mov_b32 s19, 1
	s_mov_b32 s18, 0
	v_mov_b32_e32 v2, 0
	v_readlane_b32 s5, v55, 41
	v_mov_b32_e32 v3, 0
.LBB98_67:                              ;   Parent Loop BB98_6 Depth=1
                                        ; =>  This Inner Loop Header: Depth=2
	v_lshl_add_u32 v10, s18, 4, v5
	v_lshl_add_u32 v52, s19, 4, v5
	ds_read2_b32 v[38:39], v10 offset1:8
	ds_read2_b32 v[40:41], v52 offset1:8
	ds_read2_b32 v[42:43], v10 offset0:16 offset1:24
	ds_read2_b32 v[44:45], v52 offset0:16 offset1:24
	;; [unrolled: 1-line block ×6, first 2 shown]
	s_waitcnt lgkmcnt(7)
	v_add3_u32 v2, v38, v2, v39
	s_waitcnt lgkmcnt(6)
	v_add3_u32 v3, v40, v3, v41
	;; [unrolled: 2-line block ×3, first 2 shown]
	v_add3_u32 v2, v42, v2, v43
	s_add_i32 s19, s19, 16
	s_add_i32 s18, s18, 16
	s_add_i32 s5, s5, -8
	s_waitcnt lgkmcnt(3)
	v_add3_u32 v2, v46, v2, v47
	s_waitcnt lgkmcnt(2)
	v_add3_u32 v3, v48, v3, v49
	s_cmp_lg_u32 s5, 0
	s_waitcnt lgkmcnt(0)
	v_add3_u32 v3, v52, v3, v53
	v_add3_u32 v2, v50, v2, v51
	s_cbranch_scc1 .LBB98_67
	s_branch .LBB98_70
.LBB98_68:                              ;   in Loop: Header=BB98_6 Depth=1
	s_cbranch_execnz .LBB98_73
	s_branch .LBB98_75
.LBB98_69:                              ;   in Loop: Header=BB98_6 Depth=1
	s_mov_b32 s10, s18
	s_mov_b32 s19, s18
	v_writelane_b32 v55, s10, 16
	v_pk_mov_b32 v[2:3], s[18:19], s[18:19] op_sel:[0,1]
	s_mov_b32 s19, 1
	v_writelane_b32 v55, s11, 17
.LBB98_70:                              ;   in Loop: Header=BB98_6 Depth=1
	v_readlane_b32 s10, v55, 43
	v_readlane_b32 s11, v55, 44
	s_andn2_b64 vcc, exec, s[10:11]
	v_readlane_b32 s5, v55, 42
	s_cbranch_vccnz .LBB98_72
.LBB98_71:                              ;   Parent Loop BB98_6 Depth=1
                                        ; =>  This Inner Loop Header: Depth=2
	v_lshl_add_u32 v10, s18, 4, v5
	v_lshl_add_u32 v38, s19, 4, v5
	ds_read_b32 v38, v38
	ds_read_b32 v10, v10
	s_add_i32 s19, s19, 2
	s_add_i32 s18, s18, 2
	s_add_i32 s5, s5, -1
	s_cmp_lg_u32 s5, 0
	s_waitcnt lgkmcnt(1)
	v_add_u32_e32 v3, v38, v3
	s_waitcnt lgkmcnt(0)
	v_add_u32_e32 v2, v10, v2
	s_cbranch_scc1 .LBB98_71
.LBB98_72:                              ;   in Loop: Header=BB98_6 Depth=1
	v_readlane_b32 s18, v55, 47
	v_add_u32_e32 v2, v2, v3
	v_readlane_b32 s5, v55, 46
	v_readlane_b32 s19, v55, 48
	s_and_b64 vcc, exec, s[18:19]
	s_cbranch_vccz .LBB98_75
.LBB98_73:                              ;   in Loop: Header=BB98_6 Depth=1
	s_lshl_b32 s10, s73, 8
	s_lshl_b32 s11, s5, 4
	s_add_i32 s10, s10, s11
	v_add_u32_e32 v3, s10, v28
	v_readlane_b32 s10, v55, 45
	s_sub_i32 s5, s10, s5
.LBB98_74:                              ;   Parent Loop BB98_6 Depth=1
                                        ; =>  This Inner Loop Header: Depth=2
	ds_read_b32 v5, v3
	s_add_i32 s5, s5, -1
	v_add_u32_e32 v3, 16, v3
	s_cmp_eq_u32 s5, 0
	s_waitcnt lgkmcnt(0)
	v_add_u32_e32 v2, v5, v2
	s_cbranch_scc0 .LBB98_74
.LBB98_75:                              ;   in Loop: Header=BB98_6 Depth=1
	v_lshlrev_b32_e32 v3, 2, v4
	ds_write_b32 v3, v2 offset:3072
.LBB98_76:                              ;   in Loop: Header=BB98_6 Depth=1
	s_or_b64 exec, exec, s[16:17]
	s_lshl_b32 s4, s4, 2
	s_waitcnt vmcnt(0)
	v_mov_b32_e32 v2, s4
	s_waitcnt lgkmcnt(0)
	s_barrier
	ds_read_b128 v[2:5], v2 offset:3072
	s_and_b32 s62, s72, 0xfe
	v_readlane_b32 s16, v55, 20
	s_lshl_b32 s4, 3, s62
	v_readlane_b32 s17, v55, 21
	s_waitcnt lgkmcnt(0)
	v_readfirstlane_b32 s5, v2
	v_readfirstlane_b32 s11, v3
	;; [unrolled: 1-line block ×4, first 2 shown]
	s_not_b32 s10, s4
	s_andn2_b64 vcc, exec, s[16:17]
	v_cmp_eq_u32_e64 s[18:19], 1, v37
	s_cbranch_vccnz .LBB98_89
; %bb.77:                               ;   in Loop: Header=BB98_6 Depth=1
	s_cmp_eq_u32 s5, 1
	s_cselect_b64 s[16:17], -1, 0
	s_and_b64 s[36:37], s[16:17], s[18:19]
	s_mov_b64 s[38:39], -1
	v_mov_b32_e32 v2, v35
	v_mov_b32_e32 v3, v34
	;; [unrolled: 1-line block ×3, first 2 shown]
                                        ; implicit-def: $sgpr22_sgpr23
                                        ; implicit-def: $sgpr28_sgpr29
                                        ; implicit-def: $sgpr26_sgpr27
	s_and_saveexec_b64 s[16:17], s[36:37]
	s_cbranch_execz .LBB98_105
; %bb.78:                               ;   in Loop: Header=BB98_6 Depth=1
	ds_read_b32 v2, v11 offset:4096
	s_waitcnt lgkmcnt(0)
	s_barrier
	v_readfirstlane_b32 s28, v2
	s_mov_b64 s[20:21], exec
	v_readlane_b32 s22, v55, 37
	v_readlane_b32 s23, v55, 38
	s_and_b64 s[22:23], s[20:21], s[22:23]
	s_mov_b64 exec, s[22:23]
	s_cbranch_execz .LBB98_80
; %bb.79:                               ;   in Loop: Header=BB98_6 Depth=1
	ds_write_b16 v20, v11
.LBB98_80:                              ;   in Loop: Header=BB98_6 Depth=1
	s_or_b64 exec, exec, s[20:21]
	v_and_b32_e32 v2, s10, v35
	v_or_b32_e32 v3, s4, v34
	s_cmp_eq_u32 s28, 0
	s_waitcnt lgkmcnt(0)
	s_barrier
	s_cbranch_scc1 .LBB98_91
; %bb.81:                               ;   in Loop: Header=BB98_6 Depth=1
	v_readlane_b32 s20, v55, 28
	s_add_i32 s20, s28, s20
	v_readlane_b32 s21, v55, 52
	s_mul_hi_u32 s21, s20, s21
	s_mul_i32 s21, s21, s76
	s_sub_i32 s21, s20, s21
	s_sub_i32 s22, s21, s76
	s_cmp_ge_u32 s21, s76
	s_cselect_b32 s21, s22, s21
	s_sub_i32 s22, s21, s76
	s_cmp_ge_u32 s21, s76
	s_cselect_b32 s21, s22, s21
	s_sub_i32 s29, s20, s21
	v_cmp_gt_u32_e32 vcc, s29, v0
	s_mov_b64 s[20:21], 0
                                        ; implicit-def: $vgpr4
	s_and_saveexec_b64 s[22:23], vcc
	s_cbranch_execz .LBB98_93
; %bb.82:                               ;   in Loop: Header=BB98_6 Depth=1
	s_mov_b64 s[24:25], 0
	v_mov_b32_e32 v4, v19
	v_mov_b32_e32 v5, v0
                                        ; implicit-def: $sgpr26_sgpr27
	s_branch .LBB98_84
.LBB98_83:                              ;   in Loop: Header=BB98_84 Depth=2
	s_or_b64 exec, exec, s[20:21]
	s_waitcnt lgkmcnt(0)
	s_barrier
	ds_read_b32 v10, v11 offset:3072
	v_add_u32_e32 v5, s76, v5
	v_cmp_le_u32_e64 s[20:21], s29, v5
	v_add_u32_e32 v4, s13, v4
	s_waitcnt lgkmcnt(0)
	v_cmp_neq_f16_e32 vcc, 0, v10
	s_or_b64 s[20:21], s[20:21], vcc
	s_and_b64 s[20:21], exec, s[20:21]
	s_or_b64 s[24:25], s[20:21], s[24:25]
	s_andn2_b64 s[20:21], s[26:27], exec
	s_and_b64 s[26:27], vcc, exec
	s_or_b64 s[26:27], s[20:21], s[26:27]
	s_barrier
	s_andn2_b64 exec, exec, s[24:25]
	s_cbranch_execz .LBB98_92
.LBB98_84:                              ;   Parent Loop BB98_6 Depth=1
                                        ; =>  This Inner Loop Header: Depth=2
	v_cmp_gt_u32_e32 vcc, s28, v5
	v_mov_b32_e32 v10, 0
	s_and_saveexec_b64 s[20:21], vcc
	s_cbranch_execz .LBB98_86
; %bb.85:                               ;   in Loop: Header=BB98_84 Depth=2
	ds_read_u16 v10, v4
.LBB98_86:                              ;   in Loop: Header=BB98_84 Depth=2
	s_or_b64 exec, exec, s[20:21]
	s_and_saveexec_b64 s[20:21], vcc
	s_cbranch_execz .LBB98_83
; %bb.87:                               ;   in Loop: Header=BB98_84 Depth=2
	s_waitcnt lgkmcnt(0)
	v_cmp_lt_i16_e32 vcc, -1, v10
	v_cndmask_b32_e32 v38, v29, v30, vcc
	v_xor_b32_sdwa v38, v38, v10 dst_sel:DWORD dst_unused:UNUSED_PAD src0_sel:DWORD src1_sel:WORD_0
	v_cmp_o_f16_e32 vcc, v10, v10
	v_cndmask_b32_e32 v38, v29, v38, vcc
	v_and_b32_e32 v38, v38, v3
	v_cmp_eq_u32_e32 vcc, v38, v2
	s_and_b64 exec, exec, vcc
	s_cbranch_execz .LBB98_83
; %bb.88:                               ;   in Loop: Header=BB98_84 Depth=2
	v_perm_b32 v10, v10, s9, v33
	ds_write_b32 v11, v10 offset:3072
	s_branch .LBB98_83
.LBB98_89:                              ;   in Loop: Header=BB98_6 Depth=1
	s_mov_b64 s[24:25], 0
	s_mov_b64 s[20:21], 0
                                        ; implicit-def: $sgpr26_sgpr27
                                        ; implicit-def: $sgpr28_sgpr29
                                        ; implicit-def: $sgpr22_sgpr23
                                        ; implicit-def: $vgpr10
                                        ; implicit-def: $vgpr5
                                        ; implicit-def: $vgpr2
                                        ; implicit-def: $vgpr3
                                        ; implicit-def: $vgpr4
	s_cbranch_execnz .LBB98_241
.LBB98_90:                              ;   in Loop: Header=BB98_6 Depth=1
	s_mov_b64 s[30:31], s[22:23]
	s_mov_b64 s[34:35], s[22:23]
	s_and_saveexec_b64 s[16:17], s[24:25]
	s_cbranch_execnz .LBB98_403
	s_branch .LBB98_404
.LBB98_91:                              ;   in Loop: Header=BB98_6 Depth=1
	s_mov_b64 s[22:23], -1
	s_mov_b64 s[20:21], 0
                                        ; implicit-def: $sgpr26_sgpr27
                                        ; implicit-def: $vgpr4
	s_mov_b64 s[28:29], s[22:23]
	s_cbranch_execnz .LBB98_94
	s_branch .LBB98_104
.LBB98_92:                              ;   in Loop: Header=BB98_6 Depth=1
	s_or_b64 exec, exec, s[24:25]
	v_lshrrev_b32_e32 v4, 16, v10
	s_and_b64 s[20:21], s[26:27], exec
.LBB98_93:                              ;   in Loop: Header=BB98_6 Depth=1
	s_or_b64 exec, exec, s[22:23]
	s_mov_b64 s[26:27], -1
	s_mov_b64 s[22:23], 0
	s_mov_b64 s[28:29], s[22:23]
	s_branch .LBB98_104
.LBB98_94:                              ;   in Loop: Header=BB98_6 Depth=1
	s_mov_b64 s[20:21], 0
                                        ; implicit-def: $vgpr4
	s_mov_b64 s[22:23], exec
	v_readlane_b32 s24, v55, 53
	v_readlane_b32 s25, v55, 54
	s_and_b64 s[24:25], s[22:23], s[24:25]
	s_mov_b64 exec, s[24:25]
	s_cbranch_execz .LBB98_103
; %bb.95:                               ;   in Loop: Header=BB98_6 Depth=1
	s_mov_b64 s[24:25], 0
	v_mov_b32_e32 v10, v12
	v_mov_b32_e32 v4, v0
                                        ; implicit-def: $sgpr26_sgpr27
	s_branch .LBB98_97
.LBB98_96:                              ;   in Loop: Header=BB98_97 Depth=2
	s_or_b64 exec, exec, s[20:21]
	s_waitcnt lgkmcnt(0)
	s_barrier
	s_waitcnt vmcnt(0)
	ds_read_b32 v5, v11 offset:3072
	v_add_u32_e32 v4, s76, v4
	v_cmp_le_u32_e64 s[20:21], s78, v4
	v_add_u32_e32 v10, s6, v10
	s_waitcnt lgkmcnt(0)
	v_cmp_neq_f16_e32 vcc, 0, v5
	s_or_b64 s[20:21], s[20:21], vcc
	s_and_b64 s[20:21], exec, s[20:21]
	s_or_b64 s[24:25], s[20:21], s[24:25]
	s_andn2_b64 s[20:21], s[26:27], exec
	s_and_b64 s[26:27], vcc, exec
	s_or_b64 s[26:27], s[20:21], s[26:27]
	s_barrier
	s_andn2_b64 exec, exec, s[24:25]
	s_cbranch_execz .LBB98_102
.LBB98_97:                              ;   Parent Loop BB98_6 Depth=1
                                        ; =>  This Inner Loop Header: Depth=2
	v_cmp_gt_u32_e32 vcc, s60, v4
	v_mov_b32_e32 v5, 0
	s_and_saveexec_b64 s[28:29], vcc
	s_cbranch_execz .LBB98_99
; %bb.98:                               ;   in Loop: Header=BB98_97 Depth=2
	v_lshlrev_b64 v[38:39], 1, v[10:11]
	v_mov_b32_e32 v5, s7
	v_add_co_u32_e64 v38, s[20:21], s33, v38
	v_addc_co_u32_e64 v39, s[20:21], v5, v39, s[20:21]
	global_load_ushort v5, v[38:39], off
.LBB98_99:                              ;   in Loop: Header=BB98_97 Depth=2
	s_or_b64 exec, exec, s[28:29]
	s_and_saveexec_b64 s[20:21], vcc
	s_cbranch_execz .LBB98_96
; %bb.100:                              ;   in Loop: Header=BB98_97 Depth=2
	s_waitcnt vmcnt(0)
	v_cmp_lt_i16_e32 vcc, -1, v5
	v_cndmask_b32_e32 v38, v29, v30, vcc
	v_xor_b32_sdwa v38, v38, v5 dst_sel:DWORD dst_unused:UNUSED_PAD src0_sel:DWORD src1_sel:WORD_0
	v_cmp_o_f16_e32 vcc, v5, v5
	v_cndmask_b32_e32 v38, v29, v38, vcc
	v_and_b32_e32 v38, v38, v3
	v_cmp_eq_u32_e32 vcc, v38, v2
	s_and_b64 exec, exec, vcc
	s_cbranch_execz .LBB98_96
; %bb.101:                              ;   in Loop: Header=BB98_97 Depth=2
	v_perm_b32 v5, v5, s9, v33
	ds_write_b32 v11, v5 offset:3072
	s_branch .LBB98_96
.LBB98_102:                             ;   in Loop: Header=BB98_6 Depth=1
	s_or_b64 exec, exec, s[24:25]
	v_lshrrev_b32_e32 v4, 16, v5
	s_and_b64 s[20:21], s[26:27], exec
.LBB98_103:                             ;   in Loop: Header=BB98_6 Depth=1
	s_or_b64 exec, exec, s[22:23]
	s_mov_b64 s[28:29], -1
	s_mov_b64 s[22:23], 0
	s_mov_b64 s[26:27], 0
.LBB98_104:                             ;   in Loop: Header=BB98_6 Depth=1
	s_orn2_b64 s[38:39], s[20:21], exec
.LBB98_105:                             ;   in Loop: Header=BB98_6 Depth=1
	s_or_b64 exec, exec, s[16:17]
	s_mov_b64 s[30:31], 0
	s_mov_b64 s[24:25], 0
	;; [unrolled: 1-line block ×3, first 2 shown]
                                        ; implicit-def: $vgpr10
                                        ; implicit-def: $vgpr5
	s_and_saveexec_b64 s[34:35], s[38:39]
	s_cbranch_execz .LBB98_240
; %bb.106:                              ;   in Loop: Header=BB98_6 Depth=1
	s_xor_b64 s[24:25], s[36:37], -1
	v_mov_b32_e32 v5, 1
	v_mov_b32_e32 v10, 1
	s_and_saveexec_b64 s[16:17], s[24:25]
	s_cbranch_execz .LBB98_116
; %bb.107:                              ;   in Loop: Header=BB98_6 Depth=1
	v_cmp_ge_u32_e32 vcc, s5, v37
                                        ; implicit-def: $sgpr36
                                        ; implicit-def: $sgpr20_sgpr21
	s_and_saveexec_b64 s[24:25], vcc
	s_xor_b64 s[24:25], exec, s[24:25]
	s_cbranch_execz .LBB98_113
; %bb.108:                              ;   in Loop: Header=BB98_6 Depth=1
	ds_read_b32 v5, v11 offset:4096
	s_waitcnt lgkmcnt(0)
	v_cmp_ne_u32_e32 vcc, 0, v5
	s_cbranch_vccnz .LBB98_112
; %bb.109:                              ;   in Loop: Header=BB98_6 Depth=1
	s_mov_b64 s[20:21], exec
	v_readlane_b32 s36, v55, 13
	v_readlane_b32 s37, v55, 14
	s_and_b64 s[36:37], s[20:21], s[36:37]
	s_mov_b64 exec, s[36:37]
	s_cbranch_execz .LBB98_111
; %bb.110:                              ;   in Loop: Header=BB98_6 Depth=1
	v_mov_b32_e32 v5, s5
	ds_write_b32 v11, v5 offset:4100
.LBB98_111:                             ;   in Loop: Header=BB98_6 Depth=1
	s_or_b64 exec, exec, s[20:21]
	s_waitcnt lgkmcnt(0)
	s_barrier
.LBB98_112:                             ;   in Loop: Header=BB98_6 Depth=1
	v_and_b32_e32 v2, s10, v2
	v_or_b32_e32 v3, s4, v3
	s_mov_b64 s[20:21], 0
	s_mov_b32 s36, 8
.LBB98_113:                             ;   in Loop: Header=BB98_6 Depth=1
	s_or_saveexec_b64 s[24:25], s[24:25]
	v_mov_b32_e32 v10, s36
	v_mov_b32_e32 v5, v37
	s_xor_b64 exec, exec, s[24:25]
; %bb.114:                              ;   in Loop: Header=BB98_6 Depth=1
	v_subrev_u32_e32 v5, s5, v37
	v_mov_b32_e32 v10, 0
	s_or_b64 s[20:21], s[20:21], exec
; %bb.115:                              ;   in Loop: Header=BB98_6 Depth=1
	s_or_b64 exec, exec, s[24:25]
	s_and_b64 s[20:21], s[20:21], exec
.LBB98_116:                             ;   in Loop: Header=BB98_6 Depth=1
	s_or_b64 exec, exec, s[16:17]
	s_mov_b64 s[38:39], -1
                                        ; implicit-def: $sgpr16_sgpr17
                                        ; implicit-def: $sgpr36_sgpr37
                                        ; implicit-def: $sgpr42_sgpr43
	s_and_saveexec_b64 s[24:25], s[20:21]
	s_xor_b64 s[24:25], exec, s[24:25]
	s_cbranch_execz .LBB98_237
; %bb.117:                              ;   in Loop: Header=BB98_6 Depth=1
	s_cmp_eq_u32 s11, 1
	s_cselect_b64 s[16:17], -1, 0
	v_cmp_eq_u32_e32 vcc, 1, v5
	s_and_b64 s[44:45], s[16:17], vcc
	s_mov_b64 s[46:47], -1
                                        ; implicit-def: $sgpr36_sgpr37
                                        ; implicit-def: $sgpr40_sgpr41
                                        ; implicit-def: $sgpr38_sgpr39
	s_and_saveexec_b64 s[16:17], s[44:45]
	s_cbranch_execz .LBB98_143
; %bb.118:                              ;   in Loop: Header=BB98_6 Depth=1
	ds_read_b32 v4, v11 offset:4096
	s_waitcnt lgkmcnt(0)
	s_barrier
	v_readfirstlane_b32 s42, v4
	s_mov_b64 s[20:21], exec
	v_readlane_b32 s36, v55, 37
	v_readlane_b32 s37, v55, 38
	s_and_b64 s[36:37], s[20:21], s[36:37]
	s_mov_b64 exec, s[36:37]
	s_cbranch_execz .LBB98_120
; %bb.119:                              ;   in Loop: Header=BB98_6 Depth=1
	ds_write_b16 v20, v11
.LBB98_120:                             ;   in Loop: Header=BB98_6 Depth=1
	s_or_b64 exec, exec, s[20:21]
	v_and_b32_e32 v2, s10, v2
	v_lshl_or_b32 v2, 1, s62, v2
	v_or_b32_e32 v3, s4, v3
	s_cmp_eq_u32 s42, 0
	s_waitcnt lgkmcnt(0)
	s_barrier
	s_cbranch_scc1 .LBB98_129
; %bb.121:                              ;   in Loop: Header=BB98_6 Depth=1
	v_readlane_b32 s20, v55, 28
	s_add_i32 s20, s42, s20
	v_readlane_b32 s21, v55, 52
	s_mul_hi_u32 s21, s20, s21
	s_mul_i32 s21, s21, s76
	s_sub_i32 s21, s20, s21
	s_sub_i32 s36, s21, s76
	s_cmp_ge_u32 s21, s76
	s_cselect_b32 s21, s36, s21
	s_sub_i32 s36, s21, s76
	s_cmp_ge_u32 s21, s76
	s_cselect_b32 s21, s36, s21
	s_sub_i32 s43, s20, s21
	v_cmp_gt_u32_e32 vcc, s43, v0
	s_mov_b64 s[20:21], 0
                                        ; implicit-def: $vgpr4
	s_and_saveexec_b64 s[36:37], vcc
	s_cbranch_execz .LBB98_131
; %bb.122:                              ;   in Loop: Header=BB98_6 Depth=1
	s_mov_b64 s[38:39], 0
	v_mov_b32_e32 v4, v19
	v_mov_b32_e32 v10, v0
                                        ; implicit-def: $sgpr40_sgpr41
	s_branch .LBB98_124
.LBB98_123:                             ;   in Loop: Header=BB98_124 Depth=2
	s_or_b64 exec, exec, s[20:21]
	s_waitcnt lgkmcnt(0)
	s_barrier
	ds_read_b32 v38, v11 offset:3072
	v_add_u32_e32 v10, s76, v10
	v_cmp_le_u32_e64 s[20:21], s43, v10
	v_add_u32_e32 v4, s13, v4
	s_waitcnt lgkmcnt(0)
	v_cmp_neq_f16_e32 vcc, 0, v38
	s_or_b64 s[20:21], s[20:21], vcc
	s_and_b64 s[20:21], exec, s[20:21]
	s_or_b64 s[38:39], s[20:21], s[38:39]
	s_andn2_b64 s[20:21], s[40:41], exec
	s_and_b64 s[40:41], vcc, exec
	s_or_b64 s[40:41], s[20:21], s[40:41]
	s_barrier
	s_andn2_b64 exec, exec, s[38:39]
	s_cbranch_execz .LBB98_130
.LBB98_124:                             ;   Parent Loop BB98_6 Depth=1
                                        ; =>  This Inner Loop Header: Depth=2
	v_cmp_gt_u32_e32 vcc, s42, v10
	v_mov_b32_e32 v38, 0
	s_and_saveexec_b64 s[20:21], vcc
	s_cbranch_execz .LBB98_126
; %bb.125:                              ;   in Loop: Header=BB98_124 Depth=2
	ds_read_u16 v38, v4
.LBB98_126:                             ;   in Loop: Header=BB98_124 Depth=2
	s_or_b64 exec, exec, s[20:21]
	s_and_saveexec_b64 s[20:21], vcc
	s_cbranch_execz .LBB98_123
; %bb.127:                              ;   in Loop: Header=BB98_124 Depth=2
	s_waitcnt lgkmcnt(0)
	v_cmp_lt_i16_e32 vcc, -1, v38
	v_cndmask_b32_e32 v39, v29, v30, vcc
	v_xor_b32_sdwa v39, v39, v38 dst_sel:DWORD dst_unused:UNUSED_PAD src0_sel:DWORD src1_sel:WORD_0
	v_cmp_o_f16_e32 vcc, v38, v38
	v_cndmask_b32_e32 v39, v29, v39, vcc
	v_and_b32_e32 v39, v39, v3
	v_cmp_eq_u32_e32 vcc, v39, v2
	s_and_b64 exec, exec, vcc
	s_cbranch_execz .LBB98_123
; %bb.128:                              ;   in Loop: Header=BB98_124 Depth=2
	v_perm_b32 v38, v38, s9, v33
	ds_write_b32 v11, v38 offset:3072
	s_branch .LBB98_123
.LBB98_129:                             ;   in Loop: Header=BB98_6 Depth=1
	s_mov_b64 s[36:37], -1
	s_mov_b64 s[20:21], 0
                                        ; implicit-def: $sgpr38_sgpr39
                                        ; implicit-def: $vgpr4
	s_mov_b64 s[40:41], s[36:37]
	s_cbranch_execnz .LBB98_132
	s_branch .LBB98_142
.LBB98_130:                             ;   in Loop: Header=BB98_6 Depth=1
	s_or_b64 exec, exec, s[38:39]
	v_lshrrev_b32_e32 v4, 16, v38
	s_and_b64 s[20:21], s[40:41], exec
.LBB98_131:                             ;   in Loop: Header=BB98_6 Depth=1
	s_or_b64 exec, exec, s[36:37]
	s_mov_b64 s[38:39], -1
	s_mov_b64 s[36:37], 0
	s_mov_b64 s[40:41], s[36:37]
	s_branch .LBB98_142
.LBB98_132:                             ;   in Loop: Header=BB98_6 Depth=1
	s_mov_b64 s[20:21], 0
                                        ; implicit-def: $vgpr4
	s_mov_b64 s[36:37], exec
	v_readlane_b32 s38, v55, 53
	v_readlane_b32 s39, v55, 54
	s_and_b64 s[38:39], s[36:37], s[38:39]
	s_mov_b64 exec, s[38:39]
	s_cbranch_execz .LBB98_141
; %bb.133:                              ;   in Loop: Header=BB98_6 Depth=1
	s_mov_b64 s[38:39], 0
	v_mov_b32_e32 v10, v12
	v_mov_b32_e32 v4, v0
                                        ; implicit-def: $sgpr40_sgpr41
	s_branch .LBB98_135
.LBB98_134:                             ;   in Loop: Header=BB98_135 Depth=2
	s_or_b64 exec, exec, s[20:21]
	s_waitcnt lgkmcnt(0)
	s_barrier
	s_waitcnt vmcnt(0)
	ds_read_b32 v38, v11 offset:3072
	v_add_u32_e32 v4, s76, v4
	v_cmp_le_u32_e64 s[20:21], s78, v4
	v_add_u32_e32 v10, s6, v10
	s_waitcnt lgkmcnt(0)
	v_cmp_neq_f16_e32 vcc, 0, v38
	s_or_b64 s[20:21], s[20:21], vcc
	s_and_b64 s[20:21], exec, s[20:21]
	s_or_b64 s[38:39], s[20:21], s[38:39]
	s_andn2_b64 s[20:21], s[40:41], exec
	s_and_b64 s[40:41], vcc, exec
	s_or_b64 s[40:41], s[20:21], s[40:41]
	s_barrier
	s_andn2_b64 exec, exec, s[38:39]
	s_cbranch_execz .LBB98_140
.LBB98_135:                             ;   Parent Loop BB98_6 Depth=1
                                        ; =>  This Inner Loop Header: Depth=2
	v_cmp_gt_u32_e32 vcc, s60, v4
	v_mov_b32_e32 v38, 0
	s_and_saveexec_b64 s[42:43], vcc
	s_cbranch_execz .LBB98_137
; %bb.136:                              ;   in Loop: Header=BB98_135 Depth=2
	v_lshlrev_b64 v[38:39], 1, v[10:11]
	v_mov_b32_e32 v40, s7
	v_add_co_u32_e64 v38, s[20:21], s33, v38
	v_addc_co_u32_e64 v39, s[20:21], v40, v39, s[20:21]
	global_load_ushort v38, v[38:39], off
.LBB98_137:                             ;   in Loop: Header=BB98_135 Depth=2
	s_or_b64 exec, exec, s[42:43]
	s_and_saveexec_b64 s[20:21], vcc
	s_cbranch_execz .LBB98_134
; %bb.138:                              ;   in Loop: Header=BB98_135 Depth=2
	s_waitcnt vmcnt(0)
	v_cmp_lt_i16_e32 vcc, -1, v38
	v_cndmask_b32_e32 v39, v29, v30, vcc
	v_xor_b32_sdwa v39, v39, v38 dst_sel:DWORD dst_unused:UNUSED_PAD src0_sel:DWORD src1_sel:WORD_0
	v_cmp_o_f16_e32 vcc, v38, v38
	v_cndmask_b32_e32 v39, v29, v39, vcc
	v_and_b32_e32 v39, v39, v3
	v_cmp_eq_u32_e32 vcc, v39, v2
	s_and_b64 exec, exec, vcc
	s_cbranch_execz .LBB98_134
; %bb.139:                              ;   in Loop: Header=BB98_135 Depth=2
	v_perm_b32 v38, v38, s9, v33
	ds_write_b32 v11, v38 offset:3072
	s_branch .LBB98_134
.LBB98_140:                             ;   in Loop: Header=BB98_6 Depth=1
	s_or_b64 exec, exec, s[38:39]
	v_lshrrev_b32_e32 v4, 16, v38
	s_and_b64 s[20:21], s[40:41], exec
.LBB98_141:                             ;   in Loop: Header=BB98_6 Depth=1
	s_or_b64 exec, exec, s[36:37]
	s_mov_b64 s[40:41], -1
	s_mov_b64 s[36:37], 0
	s_mov_b64 s[38:39], 0
.LBB98_142:                             ;   in Loop: Header=BB98_6 Depth=1
	s_orn2_b64 s[46:47], s[20:21], exec
.LBB98_143:                             ;   in Loop: Header=BB98_6 Depth=1
	s_or_b64 exec, exec, s[16:17]
	s_mov_b64 s[20:21], 0
                                        ; implicit-def: $vgpr10
	s_and_saveexec_b64 s[42:43], s[46:47]
	s_cbranch_execz .LBB98_236
; %bb.144:                              ;   in Loop: Header=BB98_6 Depth=1
	s_xor_b64 s[20:21], s[44:45], -1
	s_mov_b64 s[48:49], 0
	v_mov_b32_e32 v38, 1
	v_mov_b32_e32 v10, 1
	s_and_saveexec_b64 s[16:17], s[20:21]
	s_cbranch_execz .LBB98_154
; %bb.145:                              ;   in Loop: Header=BB98_6 Depth=1
	v_cmp_ge_u32_e32 vcc, s11, v5
                                        ; implicit-def: $sgpr46
                                        ; implicit-def: $sgpr20_sgpr21
	s_and_saveexec_b64 s[44:45], vcc
	s_xor_b64 s[44:45], exec, s[44:45]
	s_cbranch_execz .LBB98_151
; %bb.146:                              ;   in Loop: Header=BB98_6 Depth=1
	ds_read_b32 v10, v11 offset:4096
	s_waitcnt lgkmcnt(0)
	v_cmp_ne_u32_e32 vcc, 0, v10
	s_cbranch_vccnz .LBB98_150
; %bb.147:                              ;   in Loop: Header=BB98_6 Depth=1
	s_mov_b64 s[20:21], exec
	v_readlane_b32 s46, v55, 13
	v_readlane_b32 s47, v55, 14
	s_and_b64 s[46:47], s[20:21], s[46:47]
	s_mov_b64 exec, s[46:47]
	s_cbranch_execz .LBB98_149
; %bb.148:                              ;   in Loop: Header=BB98_6 Depth=1
	v_mov_b32_e32 v10, s11
	ds_write_b32 v11, v10 offset:4100
.LBB98_149:                             ;   in Loop: Header=BB98_6 Depth=1
	s_or_b64 exec, exec, s[20:21]
	s_waitcnt lgkmcnt(0)
	s_barrier
.LBB98_150:                             ;   in Loop: Header=BB98_6 Depth=1
	v_and_b32_e32 v2, s10, v2
	v_lshl_or_b32 v2, 1, s62, v2
	v_or_b32_e32 v3, s4, v3
	s_mov_b64 s[20:21], 0
	s_mov_b32 s46, 8
.LBB98_151:                             ;   in Loop: Header=BB98_6 Depth=1
	s_or_saveexec_b64 s[44:45], s[44:45]
	v_mov_b32_e32 v10, s46
	s_xor_b64 exec, exec, s[44:45]
; %bb.152:                              ;   in Loop: Header=BB98_6 Depth=1
	v_subrev_u32_e32 v5, s11, v5
	v_mov_b32_e32 v10, 0
	s_or_b64 s[20:21], s[20:21], exec
; %bb.153:                              ;   in Loop: Header=BB98_6 Depth=1
	s_or_b64 exec, exec, s[44:45]
	s_and_b64 s[48:49], s[20:21], exec
	v_mov_b32_e32 v38, v5
.LBB98_154:                             ;   in Loop: Header=BB98_6 Depth=1
	s_or_b64 exec, exec, s[16:17]
	s_mov_b64 s[16:17], -1
                                        ; implicit-def: $sgpr20_sgpr21
                                        ; implicit-def: $sgpr46_sgpr47
                                        ; implicit-def: $sgpr52_sgpr53
	s_and_saveexec_b64 s[44:45], s[48:49]
	s_cbranch_execz .LBB98_235
; %bb.155:                              ;   in Loop: Header=BB98_6 Depth=1
	s_cmp_eq_u32 s63, 1
	s_cselect_b64 s[16:17], -1, 0
	v_cmp_eq_u32_e32 vcc, 1, v38
	s_and_b64 s[54:55], s[16:17], vcc
	s_mov_b64 s[20:21], -1
                                        ; implicit-def: $sgpr46_sgpr47
                                        ; implicit-def: $sgpr50_sgpr51
                                        ; implicit-def: $sgpr48_sgpr49
	s_and_saveexec_b64 s[16:17], s[54:55]
	s_cbranch_execz .LBB98_181
; %bb.156:                              ;   in Loop: Header=BB98_6 Depth=1
	ds_read_b32 v4, v11 offset:4096
	s_waitcnt lgkmcnt(0)
	s_barrier
	v_readfirstlane_b32 s52, v4
	s_mov_b64 s[20:21], exec
	v_readlane_b32 s46, v55, 37
	v_readlane_b32 s47, v55, 38
	s_and_b64 s[46:47], s[20:21], s[46:47]
	s_mov_b64 exec, s[46:47]
	s_cbranch_execz .LBB98_158
; %bb.157:                              ;   in Loop: Header=BB98_6 Depth=1
	ds_write_b16 v20, v11
.LBB98_158:                             ;   in Loop: Header=BB98_6 Depth=1
	s_or_b64 exec, exec, s[20:21]
	v_and_b32_e32 v2, s10, v2
	v_lshl_or_b32 v2, 2, s62, v2
	v_or_b32_e32 v3, s4, v3
	s_cmp_eq_u32 s52, 0
	s_waitcnt lgkmcnt(0)
	s_barrier
	s_cbranch_scc1 .LBB98_167
; %bb.159:                              ;   in Loop: Header=BB98_6 Depth=1
	v_readlane_b32 s20, v55, 28
	s_add_i32 s20, s52, s20
	v_readlane_b32 s21, v55, 52
	s_mul_hi_u32 s21, s20, s21
	s_mul_i32 s21, s21, s76
	s_sub_i32 s21, s20, s21
	s_sub_i32 s46, s21, s76
	s_cmp_ge_u32 s21, s76
	s_cselect_b32 s21, s46, s21
	s_sub_i32 s46, s21, s76
	s_cmp_ge_u32 s21, s76
	s_cselect_b32 s21, s46, s21
	s_sub_i32 s53, s20, s21
	v_cmp_gt_u32_e32 vcc, s53, v0
	s_mov_b64 s[20:21], 0
                                        ; implicit-def: $vgpr4
	s_and_saveexec_b64 s[46:47], vcc
	s_cbranch_execz .LBB98_169
; %bb.160:                              ;   in Loop: Header=BB98_6 Depth=1
	s_mov_b64 s[48:49], 0
	v_mov_b32_e32 v4, v19
	v_mov_b32_e32 v5, v0
                                        ; implicit-def: $sgpr50_sgpr51
	s_branch .LBB98_162
.LBB98_161:                             ;   in Loop: Header=BB98_162 Depth=2
	s_or_b64 exec, exec, s[20:21]
	s_waitcnt lgkmcnt(0)
	s_barrier
	ds_read_b32 v10, v11 offset:3072
	v_add_u32_e32 v5, s76, v5
	v_cmp_le_u32_e64 s[20:21], s53, v5
	v_add_u32_e32 v4, s13, v4
	s_waitcnt lgkmcnt(0)
	v_cmp_neq_f16_e32 vcc, 0, v10
	s_or_b64 s[20:21], s[20:21], vcc
	s_and_b64 s[20:21], exec, s[20:21]
	s_or_b64 s[48:49], s[20:21], s[48:49]
	s_andn2_b64 s[20:21], s[50:51], exec
	s_and_b64 s[50:51], vcc, exec
	s_or_b64 s[50:51], s[20:21], s[50:51]
	s_barrier
	s_andn2_b64 exec, exec, s[48:49]
	s_cbranch_execz .LBB98_168
.LBB98_162:                             ;   Parent Loop BB98_6 Depth=1
                                        ; =>  This Inner Loop Header: Depth=2
	v_cmp_gt_u32_e32 vcc, s52, v5
	v_mov_b32_e32 v10, 0
	s_and_saveexec_b64 s[20:21], vcc
	s_cbranch_execz .LBB98_164
; %bb.163:                              ;   in Loop: Header=BB98_162 Depth=2
	ds_read_u16 v10, v4
.LBB98_164:                             ;   in Loop: Header=BB98_162 Depth=2
	s_or_b64 exec, exec, s[20:21]
	s_and_saveexec_b64 s[20:21], vcc
	s_cbranch_execz .LBB98_161
; %bb.165:                              ;   in Loop: Header=BB98_162 Depth=2
	s_waitcnt lgkmcnt(0)
	v_cmp_lt_i16_e32 vcc, -1, v10
	v_cndmask_b32_e32 v39, v29, v30, vcc
	v_xor_b32_sdwa v39, v39, v10 dst_sel:DWORD dst_unused:UNUSED_PAD src0_sel:DWORD src1_sel:WORD_0
	v_cmp_o_f16_e32 vcc, v10, v10
	v_cndmask_b32_e32 v39, v29, v39, vcc
	v_and_b32_e32 v39, v39, v3
	v_cmp_eq_u32_e32 vcc, v39, v2
	s_and_b64 exec, exec, vcc
	s_cbranch_execz .LBB98_161
; %bb.166:                              ;   in Loop: Header=BB98_162 Depth=2
	v_perm_b32 v10, v10, s9, v33
	ds_write_b32 v11, v10 offset:3072
	s_branch .LBB98_161
.LBB98_167:                             ;   in Loop: Header=BB98_6 Depth=1
	s_mov_b64 s[46:47], -1
	s_mov_b64 s[20:21], 0
                                        ; implicit-def: $sgpr48_sgpr49
                                        ; implicit-def: $vgpr4
	s_mov_b64 s[50:51], s[46:47]
	s_cbranch_execnz .LBB98_170
	s_branch .LBB98_180
.LBB98_168:                             ;   in Loop: Header=BB98_6 Depth=1
	s_or_b64 exec, exec, s[48:49]
	v_lshrrev_b32_e32 v4, 16, v10
	s_and_b64 s[20:21], s[50:51], exec
.LBB98_169:                             ;   in Loop: Header=BB98_6 Depth=1
	s_or_b64 exec, exec, s[46:47]
	s_mov_b64 s[48:49], -1
	s_mov_b64 s[46:47], 0
	s_mov_b64 s[50:51], s[46:47]
	s_branch .LBB98_180
.LBB98_170:                             ;   in Loop: Header=BB98_6 Depth=1
	s_mov_b64 s[20:21], 0
                                        ; implicit-def: $vgpr4
	s_mov_b64 s[46:47], exec
	v_readlane_b32 s48, v55, 53
	v_readlane_b32 s49, v55, 54
	s_and_b64 s[48:49], s[46:47], s[48:49]
	s_mov_b64 exec, s[48:49]
	s_cbranch_execz .LBB98_179
; %bb.171:                              ;   in Loop: Header=BB98_6 Depth=1
	s_mov_b64 s[48:49], 0
	v_mov_b32_e32 v10, v12
	v_mov_b32_e32 v4, v0
                                        ; implicit-def: $sgpr50_sgpr51
	s_branch .LBB98_173
.LBB98_172:                             ;   in Loop: Header=BB98_173 Depth=2
	s_or_b64 exec, exec, s[20:21]
	s_waitcnt lgkmcnt(0)
	s_barrier
	s_waitcnt vmcnt(0)
	ds_read_b32 v5, v11 offset:3072
	v_add_u32_e32 v4, s76, v4
	v_cmp_le_u32_e64 s[20:21], s78, v4
	v_add_u32_e32 v10, s6, v10
	s_waitcnt lgkmcnt(0)
	v_cmp_neq_f16_e32 vcc, 0, v5
	s_or_b64 s[20:21], s[20:21], vcc
	s_and_b64 s[20:21], exec, s[20:21]
	s_or_b64 s[48:49], s[20:21], s[48:49]
	s_andn2_b64 s[20:21], s[50:51], exec
	s_and_b64 s[50:51], vcc, exec
	s_or_b64 s[50:51], s[20:21], s[50:51]
	s_barrier
	s_andn2_b64 exec, exec, s[48:49]
	s_cbranch_execz .LBB98_178
.LBB98_173:                             ;   Parent Loop BB98_6 Depth=1
                                        ; =>  This Inner Loop Header: Depth=2
	v_cmp_gt_u32_e32 vcc, s60, v4
	v_mov_b32_e32 v5, 0
	s_and_saveexec_b64 s[52:53], vcc
	s_cbranch_execz .LBB98_175
; %bb.174:                              ;   in Loop: Header=BB98_173 Depth=2
	v_lshlrev_b64 v[40:41], 1, v[10:11]
	v_mov_b32_e32 v5, s7
	v_add_co_u32_e64 v40, s[20:21], s33, v40
	v_addc_co_u32_e64 v41, s[20:21], v5, v41, s[20:21]
	global_load_ushort v5, v[40:41], off
.LBB98_175:                             ;   in Loop: Header=BB98_173 Depth=2
	s_or_b64 exec, exec, s[52:53]
	s_and_saveexec_b64 s[20:21], vcc
	s_cbranch_execz .LBB98_172
; %bb.176:                              ;   in Loop: Header=BB98_173 Depth=2
	s_waitcnt vmcnt(0)
	v_cmp_lt_i16_e32 vcc, -1, v5
	v_cndmask_b32_e32 v39, v29, v30, vcc
	v_xor_b32_sdwa v39, v39, v5 dst_sel:DWORD dst_unused:UNUSED_PAD src0_sel:DWORD src1_sel:WORD_0
	v_cmp_o_f16_e32 vcc, v5, v5
	v_cndmask_b32_e32 v39, v29, v39, vcc
	v_and_b32_e32 v39, v39, v3
	v_cmp_eq_u32_e32 vcc, v39, v2
	s_and_b64 exec, exec, vcc
	s_cbranch_execz .LBB98_172
; %bb.177:                              ;   in Loop: Header=BB98_173 Depth=2
	v_perm_b32 v5, v5, s9, v33
	ds_write_b32 v11, v5 offset:3072
	s_branch .LBB98_172
.LBB98_178:                             ;   in Loop: Header=BB98_6 Depth=1
	s_or_b64 exec, exec, s[48:49]
	v_lshrrev_b32_e32 v4, 16, v5
	s_and_b64 s[20:21], s[50:51], exec
.LBB98_179:                             ;   in Loop: Header=BB98_6 Depth=1
	s_or_b64 exec, exec, s[46:47]
	s_mov_b64 s[50:51], -1
	s_mov_b64 s[46:47], 0
	s_mov_b64 s[48:49], 0
.LBB98_180:                             ;   in Loop: Header=BB98_6 Depth=1
	s_orn2_b64 s[20:21], s[20:21], exec
.LBB98_181:                             ;   in Loop: Header=BB98_6 Depth=1
	s_or_b64 exec, exec, s[16:17]
	s_mov_b64 s[16:17], 0
                                        ; implicit-def: $vgpr10
	s_and_saveexec_b64 s[52:53], s[20:21]
	s_cbranch_execz .LBB98_234
; %bb.182:                              ;   in Loop: Header=BB98_6 Depth=1
	s_xor_b64 s[20:21], s[54:55], -1
	s_mov_b64 s[56:57], 0
	v_mov_b32_e32 v5, 1
	v_mov_b32_e32 v10, 1
	s_and_saveexec_b64 s[16:17], s[20:21]
	s_cbranch_execz .LBB98_192
; %bb.183:                              ;   in Loop: Header=BB98_6 Depth=1
	v_cmp_ge_u32_e32 vcc, s63, v38
                                        ; implicit-def: $sgpr56
                                        ; implicit-def: $sgpr20_sgpr21
	s_and_saveexec_b64 s[54:55], vcc
	s_xor_b64 s[54:55], exec, s[54:55]
	s_cbranch_execz .LBB98_189
; %bb.184:                              ;   in Loop: Header=BB98_6 Depth=1
	ds_read_b32 v5, v11 offset:4096
	s_waitcnt lgkmcnt(0)
	v_cmp_ne_u32_e32 vcc, 0, v5
	s_cbranch_vccnz .LBB98_188
; %bb.185:                              ;   in Loop: Header=BB98_6 Depth=1
	s_mov_b64 s[20:21], exec
	v_readlane_b32 s56, v55, 13
	v_readlane_b32 s57, v55, 14
	s_and_b64 s[56:57], s[20:21], s[56:57]
	s_mov_b64 exec, s[56:57]
	s_cbranch_execz .LBB98_187
; %bb.186:                              ;   in Loop: Header=BB98_6 Depth=1
	v_mov_b32_e32 v5, s63
	ds_write_b32 v11, v5 offset:4100
.LBB98_187:                             ;   in Loop: Header=BB98_6 Depth=1
	s_or_b64 exec, exec, s[20:21]
	s_waitcnt lgkmcnt(0)
	s_barrier
.LBB98_188:                             ;   in Loop: Header=BB98_6 Depth=1
	v_and_b32_e32 v2, s10, v2
	v_lshl_or_b32 v2, 2, s62, v2
	v_or_b32_e32 v3, s4, v3
	s_mov_b64 s[20:21], 0
	s_mov_b32 s56, 8
.LBB98_189:                             ;   in Loop: Header=BB98_6 Depth=1
	s_or_saveexec_b64 s[54:55], s[54:55]
	v_mov_b32_e32 v10, s56
	s_xor_b64 exec, exec, s[54:55]
; %bb.190:                              ;   in Loop: Header=BB98_6 Depth=1
	v_subrev_u32_e32 v38, s63, v38
	v_mov_b32_e32 v10, 0
	s_or_b64 s[20:21], s[20:21], exec
; %bb.191:                              ;   in Loop: Header=BB98_6 Depth=1
	s_or_b64 exec, exec, s[54:55]
	s_and_b64 s[56:57], s[20:21], exec
	v_mov_b32_e32 v5, v38
.LBB98_192:                             ;   in Loop: Header=BB98_6 Depth=1
	s_or_b64 exec, exec, s[16:17]
	s_mov_b64 s[16:17], -1
                                        ; implicit-def: $sgpr20_sgpr21
                                        ; implicit-def: $sgpr80_sgpr81
                                        ; implicit-def: $sgpr58_sgpr59
	s_and_saveexec_b64 s[54:55], s[56:57]
	s_cbranch_execz .LBB98_233
; %bb.193:                              ;   in Loop: Header=BB98_6 Depth=1
	s_cmp_eq_u32 s74, 1
	s_cselect_b64 s[16:17], -1, 0
	v_cmp_eq_u32_e32 vcc, 1, v5
	s_mov_b64 s[82:83], -1
	s_and_b64 s[56:57], s[16:17], vcc
                                        ; implicit-def: $sgpr20_sgpr21
                                        ; implicit-def: $sgpr80_sgpr81
                                        ; implicit-def: $sgpr58_sgpr59
	s_mov_b64 s[16:17], exec
	v_writelane_b32 v55, s56, 55
	v_writelane_b32 v55, s57, 56
	s_and_b64 s[56:57], s[16:17], s[56:57]
	s_mov_b64 exec, s[56:57]
	s_cbranch_execz .LBB98_220
; %bb.194:                              ;   in Loop: Header=BB98_6 Depth=1
	ds_read_b32 v4, v11 offset:4096
	s_waitcnt lgkmcnt(0)
	s_barrier
	v_readfirstlane_b32 s75, v4
	s_mov_b64 s[20:21], exec
	v_readlane_b32 s56, v55, 37
	v_readlane_b32 s57, v55, 38
	s_and_b64 s[56:57], s[20:21], s[56:57]
	s_mov_b64 exec, s[56:57]
	s_cbranch_execz .LBB98_196
; %bb.195:                              ;   in Loop: Header=BB98_6 Depth=1
	ds_write_b16 v20, v11
.LBB98_196:                             ;   in Loop: Header=BB98_6 Depth=1
	s_or_b64 exec, exec, s[20:21]
	v_or_b32_e32 v2, s4, v2
	v_or_b32_e32 v3, s4, v3
	s_cmp_eq_u32 s75, 0
	s_waitcnt lgkmcnt(0)
	s_barrier
	s_cbranch_scc1 .LBB98_205
; %bb.197:                              ;   in Loop: Header=BB98_6 Depth=1
	v_readlane_b32 s20, v55, 28
	s_add_i32 s20, s75, s20
	v_readlane_b32 s21, v55, 52
	s_mul_hi_u32 s21, s20, s21
	s_mul_i32 s21, s21, s76
	s_sub_i32 s21, s20, s21
	s_sub_i32 s56, s21, s76
	s_cmp_ge_u32 s21, s76
	s_cselect_b32 s21, s56, s21
	s_sub_i32 s56, s21, s76
	s_cmp_ge_u32 s21, s76
	s_cselect_b32 s21, s56, s21
	s_sub_i32 s56, s20, s21
	s_mov_b64 s[82:83], 0
	v_cmp_gt_u32_e32 vcc, s56, v0
                                        ; implicit-def: $vgpr4
	s_mov_b64 s[20:21], exec
	v_writelane_b32 v55, s20, 57
	v_writelane_b32 v55, s21, 58
	s_and_b64 s[20:21], s[20:21], vcc
	s_mov_b64 exec, s[20:21]
	s_cbranch_execz .LBB98_207
; %bb.198:                              ;   in Loop: Header=BB98_6 Depth=1
	s_mov_b64 s[80:81], 0
	v_mov_b32_e32 v4, v19
	v_mov_b32_e32 v10, v0
                                        ; implicit-def: $sgpr82_sgpr83
	s_branch .LBB98_200
.LBB98_199:                             ;   in Loop: Header=BB98_200 Depth=2
	s_or_b64 exec, exec, s[20:21]
	s_waitcnt lgkmcnt(0)
	s_barrier
	ds_read_b32 v38, v11 offset:3072
	v_add_u32_e32 v10, s76, v10
	v_cmp_le_u32_e64 s[20:21], s56, v10
	v_add_u32_e32 v4, s13, v4
	s_waitcnt lgkmcnt(0)
	v_cmp_neq_f16_e32 vcc, 0, v38
	s_or_b64 s[20:21], s[20:21], vcc
	s_and_b64 s[20:21], exec, s[20:21]
	s_or_b64 s[80:81], s[20:21], s[80:81]
	s_andn2_b64 s[20:21], s[82:83], exec
	s_and_b64 s[58:59], vcc, exec
	s_or_b64 s[82:83], s[20:21], s[58:59]
	s_barrier
	s_andn2_b64 exec, exec, s[80:81]
	s_cbranch_execz .LBB98_206
.LBB98_200:                             ;   Parent Loop BB98_6 Depth=1
                                        ; =>  This Inner Loop Header: Depth=2
	v_cmp_gt_u32_e32 vcc, s75, v10
	v_mov_b32_e32 v38, 0
	s_and_saveexec_b64 s[20:21], vcc
	s_cbranch_execz .LBB98_202
; %bb.201:                              ;   in Loop: Header=BB98_200 Depth=2
	ds_read_u16 v38, v4
.LBB98_202:                             ;   in Loop: Header=BB98_200 Depth=2
	s_or_b64 exec, exec, s[20:21]
	s_and_saveexec_b64 s[20:21], vcc
	s_cbranch_execz .LBB98_199
; %bb.203:                              ;   in Loop: Header=BB98_200 Depth=2
	s_waitcnt lgkmcnt(0)
	v_cmp_lt_i16_e32 vcc, -1, v38
	v_cndmask_b32_e32 v39, v29, v30, vcc
	v_xor_b32_sdwa v39, v39, v38 dst_sel:DWORD dst_unused:UNUSED_PAD src0_sel:DWORD src1_sel:WORD_0
	v_cmp_o_f16_e32 vcc, v38, v38
	v_cndmask_b32_e32 v39, v29, v39, vcc
	v_and_b32_e32 v39, v39, v3
	v_cmp_eq_u32_e32 vcc, v39, v2
	s_and_b64 exec, exec, vcc
	s_cbranch_execz .LBB98_199
; %bb.204:                              ;   in Loop: Header=BB98_200 Depth=2
	v_perm_b32 v38, v38, s9, v33
	ds_write_b32 v11, v38 offset:3072
	s_branch .LBB98_199
.LBB98_205:                             ;   in Loop: Header=BB98_6 Depth=1
	s_mov_b64 s[20:21], -1
	s_mov_b64 s[82:83], 0
                                        ; implicit-def: $sgpr58_sgpr59
                                        ; implicit-def: $vgpr4
	s_branch .LBB98_208
.LBB98_206:                             ;   in Loop: Header=BB98_6 Depth=1
	s_or_b64 exec, exec, s[80:81]
	v_lshrrev_b32_e32 v4, 16, v38
	s_and_b64 s[82:83], s[82:83], exec
.LBB98_207:                             ;   in Loop: Header=BB98_6 Depth=1
	v_readlane_b32 s20, v55, 57
	v_readlane_b32 s21, v55, 58
	s_or_b64 exec, exec, s[20:21]
	s_mov_b64 s[58:59], -1
	s_mov_b64 s[20:21], 0
.LBB98_208:                             ;   in Loop: Header=BB98_6 Depth=1
	s_and_b64 vcc, exec, s[20:21]
	s_mov_b64 s[80:81], s[20:21]
	s_cbranch_vccz .LBB98_219
; %bb.209:                              ;   in Loop: Header=BB98_6 Depth=1
	s_mov_b64 s[82:83], 0
                                        ; implicit-def: $vgpr4
	s_mov_b64 s[56:57], exec
	v_readlane_b32 s20, v55, 53
	v_readlane_b32 s21, v55, 54
	v_writelane_b32 v55, s56, 59
	s_and_b64 s[20:21], s[56:57], s[20:21]
	v_writelane_b32 v55, s57, 60
	s_mov_b64 exec, s[20:21]
	s_cbranch_execz .LBB98_218
; %bb.210:                              ;   in Loop: Header=BB98_6 Depth=1
	s_mov_b64 s[80:81], 0
	v_mov_b32_e32 v10, v12
	v_mov_b32_e32 v4, v0
                                        ; implicit-def: $sgpr82_sgpr83
	s_branch .LBB98_212
.LBB98_211:                             ;   in Loop: Header=BB98_212 Depth=2
	s_or_b64 exec, exec, s[20:21]
	s_waitcnt lgkmcnt(0)
	s_barrier
	s_waitcnt vmcnt(0)
	ds_read_b32 v38, v11 offset:3072
	v_add_u32_e32 v4, s76, v4
	v_cmp_le_u32_e64 s[20:21], s78, v4
	v_add_u32_e32 v10, s6, v10
	s_waitcnt lgkmcnt(0)
	v_cmp_neq_f16_e32 vcc, 0, v38
	s_or_b64 s[20:21], s[20:21], vcc
	s_and_b64 s[20:21], exec, s[20:21]
	s_or_b64 s[80:81], s[20:21], s[80:81]
	s_andn2_b64 s[20:21], s[82:83], exec
	s_and_b64 s[56:57], vcc, exec
	s_or_b64 s[82:83], s[20:21], s[56:57]
	s_barrier
	s_andn2_b64 exec, exec, s[80:81]
	s_cbranch_execz .LBB98_217
.LBB98_212:                             ;   Parent Loop BB98_6 Depth=1
                                        ; =>  This Inner Loop Header: Depth=2
	v_cmp_gt_u32_e32 vcc, s60, v4
	v_mov_b32_e32 v38, 0
	s_and_saveexec_b64 s[58:59], vcc
	s_cbranch_execz .LBB98_214
; %bb.213:                              ;   in Loop: Header=BB98_212 Depth=2
	v_lshlrev_b64 v[38:39], 1, v[10:11]
	v_mov_b32_e32 v40, s7
	v_add_co_u32_e64 v38, s[20:21], s33, v38
	v_addc_co_u32_e64 v39, s[20:21], v40, v39, s[20:21]
	global_load_ushort v38, v[38:39], off
.LBB98_214:                             ;   in Loop: Header=BB98_212 Depth=2
	s_or_b64 exec, exec, s[58:59]
	s_and_saveexec_b64 s[20:21], vcc
	s_cbranch_execz .LBB98_211
; %bb.215:                              ;   in Loop: Header=BB98_212 Depth=2
	s_waitcnt vmcnt(0)
	v_cmp_lt_i16_e32 vcc, -1, v38
	v_cndmask_b32_e32 v39, v29, v30, vcc
	v_xor_b32_sdwa v39, v39, v38 dst_sel:DWORD dst_unused:UNUSED_PAD src0_sel:DWORD src1_sel:WORD_0
	v_cmp_o_f16_e32 vcc, v38, v38
	v_cndmask_b32_e32 v39, v29, v39, vcc
	v_and_b32_e32 v39, v39, v3
	v_cmp_eq_u32_e32 vcc, v39, v2
	s_and_b64 exec, exec, vcc
	s_cbranch_execz .LBB98_211
; %bb.216:                              ;   in Loop: Header=BB98_212 Depth=2
	v_perm_b32 v38, v38, s9, v33
	ds_write_b32 v11, v38 offset:3072
	s_branch .LBB98_211
.LBB98_217:                             ;   in Loop: Header=BB98_6 Depth=1
	s_or_b64 exec, exec, s[80:81]
	v_lshrrev_b32_e32 v4, 16, v38
	s_and_b64 s[82:83], s[82:83], exec
.LBB98_218:                             ;   in Loop: Header=BB98_6 Depth=1
	v_readlane_b32 s20, v55, 59
	v_readlane_b32 s21, v55, 60
	s_or_b64 exec, exec, s[20:21]
	s_mov_b64 s[80:81], -1
	s_mov_b64 s[20:21], 0
	s_mov_b64 s[58:59], 0
.LBB98_219:                             ;   in Loop: Header=BB98_6 Depth=1
	s_orn2_b64 s[82:83], s[82:83], exec
.LBB98_220:                             ;   in Loop: Header=BB98_6 Depth=1
	s_or_b64 exec, exec, s[16:17]
	s_mov_b64 vcc, 0
                                        ; implicit-def: $vgpr10
                                        ; implicit-def: $vgpr38
	s_and_saveexec_b64 s[16:17], s[82:83]
	s_cbranch_execz .LBB98_232
; %bb.221:                              ;   in Loop: Header=BB98_6 Depth=1
	v_readlane_b32 s56, v55, 55
	v_readlane_b32 s57, v55, 56
	s_xor_b64 s[82:83], s[56:57], -1
	v_mov_b32_e32 v10, 1
	v_mov_b32_e32 v38, 1
	s_and_saveexec_b64 s[56:57], s[82:83]
	s_cbranch_execz .LBB98_231
; %bb.222:                              ;   in Loop: Header=BB98_6 Depth=1
	v_cmp_ge_u32_e32 vcc, s74, v5
                                        ; implicit-def: $sgpr75
	s_and_saveexec_b64 s[82:83], vcc
	s_xor_b64 s[82:83], exec, s[82:83]
	s_cbranch_execz .LBB98_228
; %bb.223:                              ;   in Loop: Header=BB98_6 Depth=1
	ds_read_b32 v10, v11 offset:4096
	s_waitcnt lgkmcnt(0)
	v_cmp_ne_u32_e32 vcc, 0, v10
	s_cbranch_vccnz .LBB98_227
; %bb.224:                              ;   in Loop: Header=BB98_6 Depth=1
	v_writelane_b32 v55, s82, 61
	v_writelane_b32 v55, s83, 62
	s_mov_b64 s[82:83], exec
                                        ; implicit-def: $vgpr54 : SGPR spill to VGPR lane
	v_writelane_b32 v55, s82, 63
	v_writelane_b32 v54, s83, 0
	v_readlane_b32 vcc_lo, v55, 13
	v_readlane_b32 s82, v55, 63
	v_readlane_b32 vcc_hi, v55, 14
	v_readlane_b32 s83, v54, 0
	s_and_b64 vcc, s[82:83], vcc
	s_mov_b64 exec, vcc
	s_cbranch_execz .LBB98_226
; %bb.225:                              ;   in Loop: Header=BB98_6 Depth=1
	v_mov_b32_e32 v10, s74
	ds_write_b32 v11, v10 offset:4100
.LBB98_226:                             ;   in Loop: Header=BB98_6 Depth=1
	v_readlane_b32 vcc_lo, v55, 63
	v_readlane_b32 vcc_hi, v54, 0
	s_or_b64 exec, exec, vcc
	v_readlane_b32 s82, v55, 61
	v_readlane_b32 s83, v55, 62
	s_waitcnt lgkmcnt(0)
	s_barrier
.LBB98_227:                             ;   in Loop: Header=BB98_6 Depth=1
	v_or_b32_e32 v2, s4, v2
	v_or_b32_e32 v3, s4, v3
	s_mov_b32 s75, 8
.LBB98_228:                             ;   in Loop: Header=BB98_6 Depth=1
	s_or_saveexec_b64 s[82:83], s[82:83]
	v_mov_b32_e32 v10, s75
	s_xor_b64 exec, exec, s[82:83]
; %bb.229:                              ;   in Loop: Header=BB98_6 Depth=1
	v_subrev_u32_e32 v5, s74, v5
	v_mov_b32_e32 v10, 8
; %bb.230:                              ;   in Loop: Header=BB98_6 Depth=1
	s_or_b64 exec, exec, s[82:83]
	v_mov_b32_e32 v38, v5
.LBB98_231:                             ;   in Loop: Header=BB98_6 Depth=1
	s_or_b64 exec, exec, s[56:57]
	s_mov_b64 vcc, exec
.LBB98_232:                             ;   in Loop: Header=BB98_6 Depth=1
	s_or_b64 exec, exec, s[16:17]
	s_orn2_b64 s[16:17], vcc, exec
	v_mov_b32_e32 v5, v38
.LBB98_233:                             ;   in Loop: Header=BB98_6 Depth=1
	s_or_b64 exec, exec, s[54:55]
	s_andn2_b64 s[46:47], s[46:47], exec
	s_and_b64 s[20:21], s[20:21], exec
	s_or_b64 s[46:47], s[46:47], s[20:21]
	s_andn2_b64 s[20:21], s[50:51], exec
	s_and_b64 s[50:51], s[80:81], exec
	s_or_b64 s[50:51], s[20:21], s[50:51]
	;; [unrolled: 3-line block ×3, first 2 shown]
	s_and_b64 s[16:17], s[16:17], exec
	v_mov_b32_e32 v38, v5
.LBB98_234:                             ;   in Loop: Header=BB98_6 Depth=1
	s_or_b64 exec, exec, s[52:53]
	s_and_b64 s[52:53], s[46:47], exec
	s_and_b64 s[46:47], s[50:51], exec
	;; [unrolled: 1-line block ×3, first 2 shown]
	s_orn2_b64 s[16:17], s[16:17], exec
.LBB98_235:                             ;   in Loop: Header=BB98_6 Depth=1
	s_or_b64 exec, exec, s[44:45]
	s_andn2_b64 s[36:37], s[36:37], exec
	s_and_b64 s[44:45], s[52:53], exec
	s_or_b64 s[36:37], s[36:37], s[44:45]
	s_andn2_b64 s[40:41], s[40:41], exec
	s_and_b64 s[44:45], s[46:47], exec
	s_andn2_b64 s[38:39], s[38:39], exec
	s_and_b64 s[20:21], s[20:21], exec
	s_or_b64 s[40:41], s[40:41], s[44:45]
	s_or_b64 s[38:39], s[38:39], s[20:21]
	s_and_b64 s[20:21], s[16:17], exec
	v_mov_b32_e32 v5, v38
.LBB98_236:                             ;   in Loop: Header=BB98_6 Depth=1
	s_or_b64 exec, exec, s[42:43]
	s_and_b64 s[42:43], s[36:37], exec
	s_and_b64 s[36:37], s[40:41], exec
	;; [unrolled: 1-line block ×3, first 2 shown]
	s_orn2_b64 s[38:39], s[20:21], exec
.LBB98_237:                             ;   in Loop: Header=BB98_6 Depth=1
	s_or_b64 exec, exec, s[24:25]
	s_mov_b64 s[24:25], 0
	s_mov_b64 s[20:21], 0
	s_and_saveexec_b64 s[40:41], s[38:39]
	s_xor_b64 s[38:39], exec, s[40:41]
; %bb.238:                              ;   in Loop: Header=BB98_6 Depth=1
	v_cmp_eq_u32_e32 vcc, 8, v10
	v_cmp_ne_u32_e64 s[20:21], 8, v10
	s_andn2_b64 s[42:43], s[42:43], exec
	s_andn2_b64 s[36:37], s[36:37], exec
	;; [unrolled: 1-line block ×3, first 2 shown]
	s_and_b64 s[20:21], s[20:21], exec
	s_and_b64 s[24:25], vcc, exec
; %bb.239:                              ;   in Loop: Header=BB98_6 Depth=1
	s_or_b64 exec, exec, s[38:39]
	s_andn2_b64 s[22:23], s[22:23], exec
	s_and_b64 s[38:39], s[42:43], exec
	s_andn2_b64 s[28:29], s[28:29], exec
	s_and_b64 s[36:37], s[36:37], exec
	s_andn2_b64 s[26:27], s[26:27], exec
	s_and_b64 s[16:17], s[16:17], exec
	s_or_b64 s[22:23], s[22:23], s[38:39]
	s_or_b64 s[28:29], s[28:29], s[36:37]
	;; [unrolled: 1-line block ×3, first 2 shown]
	s_and_b64 s[20:21], s[20:21], exec
	s_and_b64 s[24:25], s[24:25], exec
.LBB98_240:                             ;   in Loop: Header=BB98_6 Depth=1
	s_or_b64 exec, exec, s[34:35]
	s_and_b64 vcc, exec, s[30:31]
	s_cbranch_vccz .LBB98_90
.LBB98_241:                             ;   in Loop: Header=BB98_6 Depth=1
	s_cmp_eq_u32 s74, 1
	s_cselect_b64 s[16:17], -1, 0
	s_and_b64 s[28:29], s[16:17], s[18:19]
	s_mov_b64 s[18:19], -1
                                        ; implicit-def: $sgpr30_sgpr31
                                        ; implicit-def: $sgpr34_sgpr35
                                        ; implicit-def: $sgpr22_sgpr23
	s_and_saveexec_b64 s[16:17], s[28:29]
	s_cbranch_execz .LBB98_267
; %bb.242:                              ;   in Loop: Header=BB98_6 Depth=1
	ds_read_b32 v2, v11 offset:4096
	s_waitcnt lgkmcnt(0)
	s_barrier
	v_readfirstlane_b32 s34, v2
	s_mov_b64 s[18:19], exec
	v_readlane_b32 s22, v55, 37
	v_readlane_b32 s23, v55, 38
	s_and_b64 s[22:23], s[18:19], s[22:23]
	s_mov_b64 exec, s[22:23]
	s_cbranch_execz .LBB98_244
; %bb.243:                              ;   in Loop: Header=BB98_6 Depth=1
	ds_write_b16 v20, v11
.LBB98_244:                             ;   in Loop: Header=BB98_6 Depth=1
	s_or_b64 exec, exec, s[18:19]
	v_or_b32_e32 v35, s4, v35
	v_or_b32_e32 v34, s4, v34
	s_cmp_eq_u32 s34, 0
	s_waitcnt lgkmcnt(0)
	s_barrier
	s_cbranch_scc1 .LBB98_253
; %bb.245:                              ;   in Loop: Header=BB98_6 Depth=1
	v_readlane_b32 s18, v55, 28
	s_add_i32 s18, s34, s18
	v_readlane_b32 s19, v55, 52
	s_mul_hi_u32 s19, s18, s19
	s_mul_i32 s19, s19, s76
	s_sub_i32 s19, s18, s19
	s_sub_i32 s22, s19, s76
	s_cmp_ge_u32 s19, s76
	s_cselect_b32 s19, s22, s19
	s_sub_i32 s22, s19, s76
	s_cmp_ge_u32 s19, s76
	s_cselect_b32 s19, s22, s19
	s_sub_i32 s35, s18, s19
	v_cmp_gt_u32_e32 vcc, s35, v0
	s_mov_b64 s[18:19], 0
                                        ; implicit-def: $vgpr36
	s_and_saveexec_b64 s[22:23], vcc
	s_cbranch_execz .LBB98_255
; %bb.246:                              ;   in Loop: Header=BB98_6 Depth=1
	s_mov_b64 s[26:27], 0
	v_mov_b32_e32 v2, v19
	v_mov_b32_e32 v3, v0
                                        ; implicit-def: $sgpr30_sgpr31
	s_branch .LBB98_248
.LBB98_247:                             ;   in Loop: Header=BB98_248 Depth=2
	s_or_b64 exec, exec, s[18:19]
	s_waitcnt lgkmcnt(0)
	s_barrier
	ds_read_b32 v4, v11 offset:3072
	v_add_u32_e32 v3, s76, v3
	v_cmp_le_u32_e64 s[18:19], s35, v3
	v_add_u32_e32 v2, s13, v2
	s_waitcnt lgkmcnt(0)
	v_cmp_neq_f16_e32 vcc, 0, v4
	s_or_b64 s[18:19], s[18:19], vcc
	s_and_b64 s[18:19], exec, s[18:19]
	s_or_b64 s[26:27], s[18:19], s[26:27]
	s_andn2_b64 s[18:19], s[30:31], exec
	s_and_b64 s[30:31], vcc, exec
	s_or_b64 s[30:31], s[18:19], s[30:31]
	s_barrier
	s_andn2_b64 exec, exec, s[26:27]
	s_cbranch_execz .LBB98_254
.LBB98_248:                             ;   Parent Loop BB98_6 Depth=1
                                        ; =>  This Inner Loop Header: Depth=2
	v_cmp_gt_u32_e32 vcc, s34, v3
	v_mov_b32_e32 v4, 0
	s_and_saveexec_b64 s[18:19], vcc
	s_cbranch_execz .LBB98_250
; %bb.249:                              ;   in Loop: Header=BB98_248 Depth=2
	ds_read_u16 v4, v2
.LBB98_250:                             ;   in Loop: Header=BB98_248 Depth=2
	s_or_b64 exec, exec, s[18:19]
	s_and_saveexec_b64 s[18:19], vcc
	s_cbranch_execz .LBB98_247
; %bb.251:                              ;   in Loop: Header=BB98_248 Depth=2
	s_waitcnt lgkmcnt(0)
	v_cmp_lt_i16_e32 vcc, -1, v4
	v_cndmask_b32_e32 v5, v29, v30, vcc
	v_xor_b32_sdwa v5, v5, v4 dst_sel:DWORD dst_unused:UNUSED_PAD src0_sel:DWORD src1_sel:WORD_0
	v_cmp_o_f16_e32 vcc, v4, v4
	v_cndmask_b32_e32 v5, v29, v5, vcc
	v_and_b32_e32 v5, v5, v34
	v_cmp_eq_u32_e32 vcc, v5, v35
	s_and_b64 exec, exec, vcc
	s_cbranch_execz .LBB98_247
; %bb.252:                              ;   in Loop: Header=BB98_248 Depth=2
	v_perm_b32 v4, v4, s9, v33
	ds_write_b32 v11, v4 offset:3072
	s_branch .LBB98_247
.LBB98_253:                             ;   in Loop: Header=BB98_6 Depth=1
	s_mov_b64 s[30:31], -1
	s_mov_b64 s[18:19], 0
                                        ; implicit-def: $sgpr34_sgpr35
                                        ; implicit-def: $vgpr36
	s_mov_b64 s[22:23], s[30:31]
	s_cbranch_execnz .LBB98_256
	s_branch .LBB98_266
.LBB98_254:                             ;   in Loop: Header=BB98_6 Depth=1
	s_or_b64 exec, exec, s[26:27]
	v_lshrrev_b32_e32 v36, 16, v4
	s_and_b64 s[18:19], s[30:31], exec
.LBB98_255:                             ;   in Loop: Header=BB98_6 Depth=1
	s_or_b64 exec, exec, s[22:23]
	s_mov_b64 s[30:31], 0
	s_mov_b64 s[34:35], -1
	s_mov_b64 s[22:23], s[30:31]
	s_branch .LBB98_266
.LBB98_256:                             ;   in Loop: Header=BB98_6 Depth=1
	s_mov_b64 s[18:19], 0
                                        ; implicit-def: $vgpr36
	s_mov_b64 s[22:23], exec
	v_readlane_b32 s26, v55, 53
	v_readlane_b32 s27, v55, 54
	s_and_b64 s[26:27], s[22:23], s[26:27]
	s_mov_b64 exec, s[26:27]
	s_cbranch_execz .LBB98_265
; %bb.257:                              ;   in Loop: Header=BB98_6 Depth=1
	s_mov_b64 s[26:27], 0
	v_mov_b32_e32 v10, v12
	v_mov_b32_e32 v2, v0
                                        ; implicit-def: $sgpr30_sgpr31
	s_branch .LBB98_259
.LBB98_258:                             ;   in Loop: Header=BB98_259 Depth=2
	s_or_b64 exec, exec, s[18:19]
	s_waitcnt lgkmcnt(0)
	s_barrier
	s_waitcnt vmcnt(0)
	ds_read_b32 v3, v11 offset:3072
	v_add_u32_e32 v2, s76, v2
	v_cmp_le_u32_e64 s[18:19], s78, v2
	v_add_u32_e32 v10, s6, v10
	s_waitcnt lgkmcnt(0)
	v_cmp_neq_f16_e32 vcc, 0, v3
	s_or_b64 s[18:19], s[18:19], vcc
	s_and_b64 s[18:19], exec, s[18:19]
	s_or_b64 s[26:27], s[18:19], s[26:27]
	s_andn2_b64 s[18:19], s[30:31], exec
	s_and_b64 s[30:31], vcc, exec
	s_or_b64 s[30:31], s[18:19], s[30:31]
	s_barrier
	s_andn2_b64 exec, exec, s[26:27]
	s_cbranch_execz .LBB98_264
.LBB98_259:                             ;   Parent Loop BB98_6 Depth=1
                                        ; =>  This Inner Loop Header: Depth=2
	v_cmp_gt_u32_e32 vcc, s60, v2
	v_mov_b32_e32 v3, 0
	s_and_saveexec_b64 s[34:35], vcc
	s_cbranch_execz .LBB98_261
; %bb.260:                              ;   in Loop: Header=BB98_259 Depth=2
	v_lshlrev_b64 v[4:5], 1, v[10:11]
	v_mov_b32_e32 v3, s7
	v_add_co_u32_e64 v4, s[18:19], s33, v4
	v_addc_co_u32_e64 v5, s[18:19], v3, v5, s[18:19]
	global_load_ushort v3, v[4:5], off
.LBB98_261:                             ;   in Loop: Header=BB98_259 Depth=2
	s_or_b64 exec, exec, s[34:35]
	s_and_saveexec_b64 s[18:19], vcc
	s_cbranch_execz .LBB98_258
; %bb.262:                              ;   in Loop: Header=BB98_259 Depth=2
	s_waitcnt vmcnt(0)
	v_cmp_lt_i16_e32 vcc, -1, v3
	v_cndmask_b32_e32 v4, v29, v30, vcc
	v_xor_b32_sdwa v4, v4, v3 dst_sel:DWORD dst_unused:UNUSED_PAD src0_sel:DWORD src1_sel:WORD_0
	v_cmp_o_f16_e32 vcc, v3, v3
	v_cndmask_b32_e32 v4, v29, v4, vcc
	v_and_b32_e32 v4, v4, v34
	v_cmp_eq_u32_e32 vcc, v4, v35
	s_and_b64 exec, exec, vcc
	s_cbranch_execz .LBB98_258
; %bb.263:                              ;   in Loop: Header=BB98_259 Depth=2
	v_perm_b32 v3, v3, s9, v33
	ds_write_b32 v11, v3 offset:3072
	s_branch .LBB98_258
.LBB98_264:                             ;   in Loop: Header=BB98_6 Depth=1
	s_or_b64 exec, exec, s[26:27]
	v_lshrrev_b32_e32 v36, 16, v3
	s_and_b64 s[18:19], s[30:31], exec
.LBB98_265:                             ;   in Loop: Header=BB98_6 Depth=1
	s_or_b64 exec, exec, s[22:23]
	s_mov_b64 s[34:35], 0
	s_mov_b64 s[30:31], -1
	s_mov_b64 s[22:23], 0
.LBB98_266:                             ;   in Loop: Header=BB98_6 Depth=1
	s_orn2_b64 s[18:19], s[18:19], exec
.LBB98_267:                             ;   in Loop: Header=BB98_6 Depth=1
	s_or_b64 exec, exec, s[16:17]
                                        ; implicit-def: $vgpr10
                                        ; implicit-def: $vgpr5
                                        ; implicit-def: $vgpr2
                                        ; implicit-def: $vgpr3
                                        ; implicit-def: $vgpr4
	s_and_saveexec_b64 s[26:27], s[18:19]
	s_cbranch_execz .LBB98_402
; %bb.268:                              ;   in Loop: Header=BB98_6 Depth=1
	s_xor_b64 s[28:29], s[28:29], -1
	s_mov_b64 s[18:19], 0
	v_mov_b32_e32 v5, 1
	v_mov_b32_e32 v10, 1
	s_and_saveexec_b64 s[16:17], s[28:29]
	s_cbranch_execz .LBB98_278
; %bb.269:                              ;   in Loop: Header=BB98_6 Depth=1
	v_cmp_ge_u32_e32 vcc, s74, v37
                                        ; implicit-def: $sgpr36
                                        ; implicit-def: $sgpr18_sgpr19
	s_and_saveexec_b64 s[28:29], vcc
	s_xor_b64 s[28:29], exec, s[28:29]
	s_cbranch_execz .LBB98_275
; %bb.270:                              ;   in Loop: Header=BB98_6 Depth=1
	ds_read_b32 v2, v11 offset:4096
	s_waitcnt lgkmcnt(0)
	v_cmp_ne_u32_e32 vcc, 0, v2
	s_cbranch_vccnz .LBB98_274
; %bb.271:                              ;   in Loop: Header=BB98_6 Depth=1
	s_mov_b64 s[18:19], exec
	v_readlane_b32 s36, v55, 13
	v_readlane_b32 s37, v55, 14
	s_and_b64 s[36:37], s[18:19], s[36:37]
	s_mov_b64 exec, s[36:37]
	s_cbranch_execz .LBB98_273
; %bb.272:                              ;   in Loop: Header=BB98_6 Depth=1
	v_mov_b32_e32 v2, s74
	ds_write_b32 v11, v2 offset:4100
.LBB98_273:                             ;   in Loop: Header=BB98_6 Depth=1
	s_or_b64 exec, exec, s[18:19]
	s_waitcnt lgkmcnt(0)
	s_barrier
.LBB98_274:                             ;   in Loop: Header=BB98_6 Depth=1
	v_or_b32_e32 v35, s4, v35
	v_or_b32_e32 v34, s4, v34
	s_mov_b64 s[18:19], 0
	s_mov_b32 s36, 5
.LBB98_275:                             ;   in Loop: Header=BB98_6 Depth=1
	s_or_saveexec_b64 s[28:29], s[28:29]
	v_mov_b32_e32 v10, s36
	s_xor_b64 exec, exec, s[28:29]
; %bb.276:                              ;   in Loop: Header=BB98_6 Depth=1
	v_subrev_u32_e32 v37, s74, v37
	v_mov_b32_e32 v10, 0
	s_or_b64 s[18:19], s[18:19], exec
; %bb.277:                              ;   in Loop: Header=BB98_6 Depth=1
	s_or_b64 exec, exec, s[28:29]
	s_and_b64 s[18:19], s[18:19], exec
	v_mov_b32_e32 v5, v37
.LBB98_278:                             ;   in Loop: Header=BB98_6 Depth=1
	s_or_b64 exec, exec, s[16:17]
	s_mov_b64 s[38:39], -1
                                        ; implicit-def: $sgpr16_sgpr17
                                        ; implicit-def: $sgpr36_sgpr37
                                        ; implicit-def: $sgpr42_sgpr43
	s_and_saveexec_b64 s[28:29], s[18:19]
	s_xor_b64 s[28:29], exec, s[28:29]
	s_cbranch_execz .LBB98_399
; %bb.279:                              ;   in Loop: Header=BB98_6 Depth=1
	s_cmp_eq_u32 s63, 1
	s_cselect_b64 s[16:17], -1, 0
	v_cmp_eq_u32_e32 vcc, 1, v5
	s_and_b64 s[44:45], s[16:17], vcc
	s_mov_b64 s[46:47], -1
                                        ; implicit-def: $sgpr36_sgpr37
                                        ; implicit-def: $sgpr38_sgpr39
                                        ; implicit-def: $sgpr40_sgpr41
	s_and_saveexec_b64 s[16:17], s[44:45]
	s_cbranch_execz .LBB98_305
; %bb.280:                              ;   in Loop: Header=BB98_6 Depth=1
	ds_read_b32 v2, v11 offset:4096
	s_waitcnt lgkmcnt(0)
	s_barrier
	v_readfirstlane_b32 s42, v2
	s_mov_b64 s[18:19], exec
	v_readlane_b32 s36, v55, 37
	v_readlane_b32 s37, v55, 38
	s_and_b64 s[36:37], s[18:19], s[36:37]
	s_mov_b64 exec, s[36:37]
	s_cbranch_execz .LBB98_282
; %bb.281:                              ;   in Loop: Header=BB98_6 Depth=1
	ds_write_b16 v20, v11
.LBB98_282:                             ;   in Loop: Header=BB98_6 Depth=1
	s_or_b64 exec, exec, s[18:19]
	v_and_b32_e32 v2, s10, v35
	v_lshl_or_b32 v35, 2, s62, v2
	v_or_b32_e32 v34, s4, v34
	s_cmp_eq_u32 s42, 0
	s_waitcnt lgkmcnt(0)
	s_barrier
	s_cbranch_scc1 .LBB98_291
; %bb.283:                              ;   in Loop: Header=BB98_6 Depth=1
	v_readlane_b32 s18, v55, 28
	s_add_i32 s18, s42, s18
	v_readlane_b32 s19, v55, 52
	s_mul_hi_u32 s19, s18, s19
	s_mul_i32 s19, s19, s76
	s_sub_i32 s19, s18, s19
	s_sub_i32 s36, s19, s76
	s_cmp_ge_u32 s19, s76
	s_cselect_b32 s19, s36, s19
	s_sub_i32 s36, s19, s76
	s_cmp_ge_u32 s19, s76
	s_cselect_b32 s19, s36, s19
	s_sub_i32 s43, s18, s19
	v_cmp_gt_u32_e32 vcc, s43, v0
	s_mov_b64 s[18:19], 0
                                        ; implicit-def: $vgpr36
	s_and_saveexec_b64 s[36:37], vcc
	s_cbranch_execz .LBB98_293
; %bb.284:                              ;   in Loop: Header=BB98_6 Depth=1
	s_mov_b64 s[38:39], 0
	v_mov_b32_e32 v2, v19
	v_mov_b32_e32 v3, v0
                                        ; implicit-def: $sgpr40_sgpr41
	s_branch .LBB98_286
.LBB98_285:                             ;   in Loop: Header=BB98_286 Depth=2
	s_or_b64 exec, exec, s[18:19]
	s_waitcnt lgkmcnt(0)
	s_barrier
	ds_read_b32 v4, v11 offset:3072
	v_add_u32_e32 v3, s76, v3
	v_cmp_le_u32_e64 s[18:19], s43, v3
	v_add_u32_e32 v2, s13, v2
	s_waitcnt lgkmcnt(0)
	v_cmp_neq_f16_e32 vcc, 0, v4
	s_or_b64 s[18:19], s[18:19], vcc
	s_and_b64 s[18:19], exec, s[18:19]
	s_or_b64 s[38:39], s[18:19], s[38:39]
	s_andn2_b64 s[18:19], s[40:41], exec
	s_and_b64 s[40:41], vcc, exec
	s_or_b64 s[40:41], s[18:19], s[40:41]
	s_barrier
	s_andn2_b64 exec, exec, s[38:39]
	s_cbranch_execz .LBB98_292
.LBB98_286:                             ;   Parent Loop BB98_6 Depth=1
                                        ; =>  This Inner Loop Header: Depth=2
	v_cmp_gt_u32_e32 vcc, s42, v3
	v_mov_b32_e32 v4, 0
	s_and_saveexec_b64 s[18:19], vcc
	s_cbranch_execz .LBB98_288
; %bb.287:                              ;   in Loop: Header=BB98_286 Depth=2
	ds_read_u16 v4, v2
.LBB98_288:                             ;   in Loop: Header=BB98_286 Depth=2
	s_or_b64 exec, exec, s[18:19]
	s_and_saveexec_b64 s[18:19], vcc
	s_cbranch_execz .LBB98_285
; %bb.289:                              ;   in Loop: Header=BB98_286 Depth=2
	s_waitcnt lgkmcnt(0)
	v_cmp_lt_i16_e32 vcc, -1, v4
	v_cndmask_b32_e32 v10, v29, v30, vcc
	v_xor_b32_sdwa v10, v10, v4 dst_sel:DWORD dst_unused:UNUSED_PAD src0_sel:DWORD src1_sel:WORD_0
	v_cmp_o_f16_e32 vcc, v4, v4
	v_cndmask_b32_e32 v10, v29, v10, vcc
	v_and_b32_e32 v10, v10, v34
	v_cmp_eq_u32_e32 vcc, v10, v35
	s_and_b64 exec, exec, vcc
	s_cbranch_execz .LBB98_285
; %bb.290:                              ;   in Loop: Header=BB98_286 Depth=2
	v_perm_b32 v4, v4, s9, v33
	ds_write_b32 v11, v4 offset:3072
	s_branch .LBB98_285
.LBB98_291:                             ;   in Loop: Header=BB98_6 Depth=1
	s_mov_b64 s[36:37], -1
	s_mov_b64 s[18:19], 0
                                        ; implicit-def: $sgpr38_sgpr39
                                        ; implicit-def: $vgpr36
	s_mov_b64 s[40:41], s[36:37]
	s_cbranch_execnz .LBB98_294
	s_branch .LBB98_304
.LBB98_292:                             ;   in Loop: Header=BB98_6 Depth=1
	s_or_b64 exec, exec, s[38:39]
	v_lshrrev_b32_e32 v36, 16, v4
	s_and_b64 s[18:19], s[40:41], exec
.LBB98_293:                             ;   in Loop: Header=BB98_6 Depth=1
	s_or_b64 exec, exec, s[36:37]
	s_mov_b64 s[36:37], 0
	s_mov_b64 s[38:39], -1
	s_mov_b64 s[40:41], s[36:37]
	s_branch .LBB98_304
.LBB98_294:                             ;   in Loop: Header=BB98_6 Depth=1
	s_mov_b64 s[18:19], 0
                                        ; implicit-def: $vgpr36
	s_mov_b64 s[36:37], exec
	v_readlane_b32 s38, v55, 53
	v_readlane_b32 s39, v55, 54
	s_and_b64 s[38:39], s[36:37], s[38:39]
	s_mov_b64 exec, s[38:39]
	s_cbranch_execz .LBB98_303
; %bb.295:                              ;   in Loop: Header=BB98_6 Depth=1
	s_mov_b64 s[38:39], 0
	v_mov_b32_e32 v10, v12
	v_mov_b32_e32 v2, v0
                                        ; implicit-def: $sgpr40_sgpr41
	s_branch .LBB98_297
.LBB98_296:                             ;   in Loop: Header=BB98_297 Depth=2
	s_or_b64 exec, exec, s[18:19]
	s_waitcnt lgkmcnt(0)
	s_barrier
	s_waitcnt vmcnt(0)
	ds_read_b32 v3, v11 offset:3072
	v_add_u32_e32 v2, s76, v2
	v_cmp_le_u32_e64 s[18:19], s78, v2
	v_add_u32_e32 v10, s6, v10
	s_waitcnt lgkmcnt(0)
	v_cmp_neq_f16_e32 vcc, 0, v3
	s_or_b64 s[18:19], s[18:19], vcc
	s_and_b64 s[18:19], exec, s[18:19]
	s_or_b64 s[38:39], s[18:19], s[38:39]
	s_andn2_b64 s[18:19], s[40:41], exec
	s_and_b64 s[40:41], vcc, exec
	s_or_b64 s[40:41], s[18:19], s[40:41]
	s_barrier
	s_andn2_b64 exec, exec, s[38:39]
	s_cbranch_execz .LBB98_302
.LBB98_297:                             ;   Parent Loop BB98_6 Depth=1
                                        ; =>  This Inner Loop Header: Depth=2
	v_cmp_gt_u32_e32 vcc, s60, v2
	v_mov_b32_e32 v3, 0
	s_and_saveexec_b64 s[42:43], vcc
	s_cbranch_execz .LBB98_299
; %bb.298:                              ;   in Loop: Header=BB98_297 Depth=2
	v_lshlrev_b64 v[36:37], 1, v[10:11]
	v_mov_b32_e32 v3, s7
	v_add_co_u32_e64 v36, s[18:19], s33, v36
	v_addc_co_u32_e64 v37, s[18:19], v3, v37, s[18:19]
	global_load_ushort v3, v[36:37], off
.LBB98_299:                             ;   in Loop: Header=BB98_297 Depth=2
	s_or_b64 exec, exec, s[42:43]
	s_and_saveexec_b64 s[18:19], vcc
	s_cbranch_execz .LBB98_296
; %bb.300:                              ;   in Loop: Header=BB98_297 Depth=2
	s_waitcnt vmcnt(0)
	v_cmp_lt_i16_e32 vcc, -1, v3
	v_cndmask_b32_e32 v4, v29, v30, vcc
	v_xor_b32_sdwa v4, v4, v3 dst_sel:DWORD dst_unused:UNUSED_PAD src0_sel:DWORD src1_sel:WORD_0
	v_cmp_o_f16_e32 vcc, v3, v3
	v_cndmask_b32_e32 v4, v29, v4, vcc
	v_and_b32_e32 v4, v4, v34
	v_cmp_eq_u32_e32 vcc, v4, v35
	s_and_b64 exec, exec, vcc
	s_cbranch_execz .LBB98_296
; %bb.301:                              ;   in Loop: Header=BB98_297 Depth=2
	v_perm_b32 v3, v3, s9, v33
	ds_write_b32 v11, v3 offset:3072
	s_branch .LBB98_296
.LBB98_302:                             ;   in Loop: Header=BB98_6 Depth=1
	s_or_b64 exec, exec, s[38:39]
	v_lshrrev_b32_e32 v36, 16, v3
	s_and_b64 s[18:19], s[40:41], exec
.LBB98_303:                             ;   in Loop: Header=BB98_6 Depth=1
	s_or_b64 exec, exec, s[36:37]
	s_mov_b64 s[38:39], 0
	s_mov_b64 s[36:37], -1
	s_mov_b64 s[40:41], 0
.LBB98_304:                             ;   in Loop: Header=BB98_6 Depth=1
	s_orn2_b64 s[46:47], s[18:19], exec
.LBB98_305:                             ;   in Loop: Header=BB98_6 Depth=1
	s_or_b64 exec, exec, s[16:17]
	s_mov_b64 s[18:19], 0
                                        ; implicit-def: $vgpr10
	s_and_saveexec_b64 s[42:43], s[46:47]
	s_cbranch_execz .LBB98_398
; %bb.306:                              ;   in Loop: Header=BB98_6 Depth=1
	s_xor_b64 s[18:19], s[44:45], -1
	s_mov_b64 s[48:49], 0
	v_mov_b32_e32 v2, 1
	v_mov_b32_e32 v10, 1
	s_and_saveexec_b64 s[16:17], s[18:19]
	s_cbranch_execz .LBB98_316
; %bb.307:                              ;   in Loop: Header=BB98_6 Depth=1
	v_cmp_ge_u32_e32 vcc, s63, v5
                                        ; implicit-def: $sgpr46
                                        ; implicit-def: $sgpr18_sgpr19
	s_and_saveexec_b64 s[44:45], vcc
	s_xor_b64 s[44:45], exec, s[44:45]
	s_cbranch_execz .LBB98_313
; %bb.308:                              ;   in Loop: Header=BB98_6 Depth=1
	ds_read_b32 v2, v11 offset:4096
	s_waitcnt lgkmcnt(0)
	v_cmp_ne_u32_e32 vcc, 0, v2
	s_cbranch_vccnz .LBB98_312
; %bb.309:                              ;   in Loop: Header=BB98_6 Depth=1
	s_mov_b64 s[18:19], exec
	v_readlane_b32 s46, v55, 13
	v_readlane_b32 s47, v55, 14
	s_and_b64 s[46:47], s[18:19], s[46:47]
	s_mov_b64 exec, s[46:47]
	s_cbranch_execz .LBB98_311
; %bb.310:                              ;   in Loop: Header=BB98_6 Depth=1
	v_mov_b32_e32 v2, s63
	ds_write_b32 v11, v2 offset:4100
.LBB98_311:                             ;   in Loop: Header=BB98_6 Depth=1
	s_or_b64 exec, exec, s[18:19]
	s_waitcnt lgkmcnt(0)
	s_barrier
.LBB98_312:                             ;   in Loop: Header=BB98_6 Depth=1
	v_and_b32_e32 v2, s10, v35
	v_lshl_or_b32 v35, 2, s62, v2
	v_or_b32_e32 v34, s4, v34
	s_mov_b64 s[18:19], 0
	s_mov_b32 s46, 5
.LBB98_313:                             ;   in Loop: Header=BB98_6 Depth=1
	s_or_saveexec_b64 s[44:45], s[44:45]
	v_mov_b32_e32 v10, s46
	s_xor_b64 exec, exec, s[44:45]
; %bb.314:                              ;   in Loop: Header=BB98_6 Depth=1
	v_subrev_u32_e32 v5, s63, v5
	v_mov_b32_e32 v10, 0
	s_or_b64 s[18:19], s[18:19], exec
; %bb.315:                              ;   in Loop: Header=BB98_6 Depth=1
	s_or_b64 exec, exec, s[44:45]
	s_and_b64 s[48:49], s[18:19], exec
	v_mov_b32_e32 v2, v5
.LBB98_316:                             ;   in Loop: Header=BB98_6 Depth=1
	s_or_b64 exec, exec, s[16:17]
	s_mov_b64 s[16:17], -1
                                        ; implicit-def: $sgpr18_sgpr19
                                        ; implicit-def: $sgpr46_sgpr47
                                        ; implicit-def: $sgpr52_sgpr53
	s_and_saveexec_b64 s[44:45], s[48:49]
	s_cbranch_execz .LBB98_397
; %bb.317:                              ;   in Loop: Header=BB98_6 Depth=1
	s_cmp_eq_u32 s11, 1
	s_cselect_b64 s[16:17], -1, 0
	v_cmp_eq_u32_e32 vcc, 1, v2
	s_and_b64 s[54:55], s[16:17], vcc
	s_mov_b64 s[18:19], -1
                                        ; implicit-def: $sgpr46_sgpr47
                                        ; implicit-def: $sgpr48_sgpr49
                                        ; implicit-def: $sgpr50_sgpr51
	s_and_saveexec_b64 s[16:17], s[54:55]
	s_cbranch_execz .LBB98_343
; %bb.318:                              ;   in Loop: Header=BB98_6 Depth=1
	ds_read_b32 v3, v11 offset:4096
	s_waitcnt lgkmcnt(0)
	s_barrier
	v_readfirstlane_b32 s52, v3
	s_mov_b64 s[18:19], exec
	v_readlane_b32 s46, v55, 37
	v_readlane_b32 s47, v55, 38
	s_and_b64 s[46:47], s[18:19], s[46:47]
	s_mov_b64 exec, s[46:47]
	s_cbranch_execz .LBB98_320
; %bb.319:                              ;   in Loop: Header=BB98_6 Depth=1
	ds_write_b16 v20, v11
.LBB98_320:                             ;   in Loop: Header=BB98_6 Depth=1
	s_or_b64 exec, exec, s[18:19]
	v_and_b32_e32 v3, s10, v35
	v_lshl_or_b32 v35, 1, s62, v3
	v_or_b32_e32 v34, s4, v34
	s_cmp_eq_u32 s52, 0
	s_waitcnt lgkmcnt(0)
	s_barrier
	s_cbranch_scc1 .LBB98_329
; %bb.321:                              ;   in Loop: Header=BB98_6 Depth=1
	v_readlane_b32 s18, v55, 28
	s_add_i32 s18, s52, s18
	v_readlane_b32 s19, v55, 52
	s_mul_hi_u32 s19, s18, s19
	s_mul_i32 s19, s19, s76
	s_sub_i32 s19, s18, s19
	s_sub_i32 s46, s19, s76
	s_cmp_ge_u32 s19, s76
	s_cselect_b32 s19, s46, s19
	s_sub_i32 s46, s19, s76
	s_cmp_ge_u32 s19, s76
	s_cselect_b32 s19, s46, s19
	s_sub_i32 s53, s18, s19
	v_cmp_gt_u32_e32 vcc, s53, v0
	s_mov_b64 s[18:19], 0
                                        ; implicit-def: $vgpr36
	s_and_saveexec_b64 s[46:47], vcc
	s_cbranch_execz .LBB98_331
; %bb.322:                              ;   in Loop: Header=BB98_6 Depth=1
	s_mov_b64 s[48:49], 0
	v_mov_b32_e32 v3, v19
	v_mov_b32_e32 v4, v0
                                        ; implicit-def: $sgpr50_sgpr51
	s_branch .LBB98_324
.LBB98_323:                             ;   in Loop: Header=BB98_324 Depth=2
	s_or_b64 exec, exec, s[18:19]
	s_waitcnt lgkmcnt(0)
	s_barrier
	ds_read_b32 v5, v11 offset:3072
	v_add_u32_e32 v4, s76, v4
	v_cmp_le_u32_e64 s[18:19], s53, v4
	v_add_u32_e32 v3, s13, v3
	s_waitcnt lgkmcnt(0)
	v_cmp_neq_f16_e32 vcc, 0, v5
	s_or_b64 s[18:19], s[18:19], vcc
	s_and_b64 s[18:19], exec, s[18:19]
	s_or_b64 s[48:49], s[18:19], s[48:49]
	s_andn2_b64 s[18:19], s[50:51], exec
	s_and_b64 s[50:51], vcc, exec
	s_or_b64 s[50:51], s[18:19], s[50:51]
	s_barrier
	s_andn2_b64 exec, exec, s[48:49]
	s_cbranch_execz .LBB98_330
.LBB98_324:                             ;   Parent Loop BB98_6 Depth=1
                                        ; =>  This Inner Loop Header: Depth=2
	v_cmp_gt_u32_e32 vcc, s52, v4
	v_mov_b32_e32 v5, 0
	s_and_saveexec_b64 s[18:19], vcc
	s_cbranch_execz .LBB98_326
; %bb.325:                              ;   in Loop: Header=BB98_324 Depth=2
	ds_read_u16 v5, v3
.LBB98_326:                             ;   in Loop: Header=BB98_324 Depth=2
	s_or_b64 exec, exec, s[18:19]
	s_and_saveexec_b64 s[18:19], vcc
	s_cbranch_execz .LBB98_323
; %bb.327:                              ;   in Loop: Header=BB98_324 Depth=2
	s_waitcnt lgkmcnt(0)
	v_cmp_lt_i16_e32 vcc, -1, v5
	v_cndmask_b32_e32 v10, v29, v30, vcc
	v_xor_b32_sdwa v10, v10, v5 dst_sel:DWORD dst_unused:UNUSED_PAD src0_sel:DWORD src1_sel:WORD_0
	v_cmp_o_f16_e32 vcc, v5, v5
	v_cndmask_b32_e32 v10, v29, v10, vcc
	v_and_b32_e32 v10, v10, v34
	v_cmp_eq_u32_e32 vcc, v10, v35
	s_and_b64 exec, exec, vcc
	s_cbranch_execz .LBB98_323
; %bb.328:                              ;   in Loop: Header=BB98_324 Depth=2
	v_perm_b32 v5, v5, s9, v33
	ds_write_b32 v11, v5 offset:3072
	s_branch .LBB98_323
.LBB98_329:                             ;   in Loop: Header=BB98_6 Depth=1
	s_mov_b64 s[46:47], -1
	s_mov_b64 s[18:19], 0
                                        ; implicit-def: $sgpr48_sgpr49
                                        ; implicit-def: $vgpr36
	s_mov_b64 s[50:51], s[46:47]
	s_cbranch_execnz .LBB98_332
	s_branch .LBB98_342
.LBB98_330:                             ;   in Loop: Header=BB98_6 Depth=1
	s_or_b64 exec, exec, s[48:49]
	v_lshrrev_b32_e32 v36, 16, v5
	s_and_b64 s[18:19], s[50:51], exec
.LBB98_331:                             ;   in Loop: Header=BB98_6 Depth=1
	s_or_b64 exec, exec, s[46:47]
	s_mov_b64 s[46:47], 0
	s_mov_b64 s[48:49], -1
	s_mov_b64 s[50:51], s[46:47]
	s_branch .LBB98_342
.LBB98_332:                             ;   in Loop: Header=BB98_6 Depth=1
	s_mov_b64 s[18:19], 0
                                        ; implicit-def: $vgpr36
	s_mov_b64 s[46:47], exec
	v_readlane_b32 s48, v55, 53
	v_readlane_b32 s49, v55, 54
	s_and_b64 s[48:49], s[46:47], s[48:49]
	s_mov_b64 exec, s[48:49]
	s_cbranch_execz .LBB98_341
; %bb.333:                              ;   in Loop: Header=BB98_6 Depth=1
	s_mov_b64 s[48:49], 0
	v_mov_b32_e32 v10, v12
	v_mov_b32_e32 v3, v0
                                        ; implicit-def: $sgpr50_sgpr51
	s_branch .LBB98_335
.LBB98_334:                             ;   in Loop: Header=BB98_335 Depth=2
	s_or_b64 exec, exec, s[18:19]
	s_waitcnt lgkmcnt(0)
	s_barrier
	s_waitcnt vmcnt(0)
	ds_read_b32 v4, v11 offset:3072
	v_add_u32_e32 v3, s76, v3
	v_cmp_le_u32_e64 s[18:19], s78, v3
	v_add_u32_e32 v10, s6, v10
	s_waitcnt lgkmcnt(0)
	v_cmp_neq_f16_e32 vcc, 0, v4
	s_or_b64 s[18:19], s[18:19], vcc
	s_and_b64 s[18:19], exec, s[18:19]
	s_or_b64 s[48:49], s[18:19], s[48:49]
	s_andn2_b64 s[18:19], s[50:51], exec
	s_and_b64 s[50:51], vcc, exec
	s_or_b64 s[50:51], s[18:19], s[50:51]
	s_barrier
	s_andn2_b64 exec, exec, s[48:49]
	s_cbranch_execz .LBB98_340
.LBB98_335:                             ;   Parent Loop BB98_6 Depth=1
                                        ; =>  This Inner Loop Header: Depth=2
	v_cmp_gt_u32_e32 vcc, s60, v3
	v_mov_b32_e32 v4, 0
	s_and_saveexec_b64 s[52:53], vcc
	s_cbranch_execz .LBB98_337
; %bb.336:                              ;   in Loop: Header=BB98_335 Depth=2
	v_lshlrev_b64 v[4:5], 1, v[10:11]
	v_mov_b32_e32 v36, s7
	v_add_co_u32_e64 v4, s[18:19], s33, v4
	v_addc_co_u32_e64 v5, s[18:19], v36, v5, s[18:19]
	global_load_ushort v4, v[4:5], off
.LBB98_337:                             ;   in Loop: Header=BB98_335 Depth=2
	s_or_b64 exec, exec, s[52:53]
	s_and_saveexec_b64 s[18:19], vcc
	s_cbranch_execz .LBB98_334
; %bb.338:                              ;   in Loop: Header=BB98_335 Depth=2
	s_waitcnt vmcnt(0)
	v_cmp_lt_i16_e32 vcc, -1, v4
	v_cndmask_b32_e32 v5, v29, v30, vcc
	v_xor_b32_sdwa v5, v5, v4 dst_sel:DWORD dst_unused:UNUSED_PAD src0_sel:DWORD src1_sel:WORD_0
	v_cmp_o_f16_e32 vcc, v4, v4
	v_cndmask_b32_e32 v5, v29, v5, vcc
	v_and_b32_e32 v5, v5, v34
	v_cmp_eq_u32_e32 vcc, v5, v35
	s_and_b64 exec, exec, vcc
	s_cbranch_execz .LBB98_334
; %bb.339:                              ;   in Loop: Header=BB98_335 Depth=2
	v_perm_b32 v4, v4, s9, v33
	ds_write_b32 v11, v4 offset:3072
	s_branch .LBB98_334
.LBB98_340:                             ;   in Loop: Header=BB98_6 Depth=1
	s_or_b64 exec, exec, s[48:49]
	v_lshrrev_b32_e32 v36, 16, v4
	s_and_b64 s[18:19], s[50:51], exec
.LBB98_341:                             ;   in Loop: Header=BB98_6 Depth=1
	s_or_b64 exec, exec, s[46:47]
	s_mov_b64 s[48:49], 0
	s_mov_b64 s[46:47], -1
	s_mov_b64 s[50:51], 0
.LBB98_342:                             ;   in Loop: Header=BB98_6 Depth=1
	s_orn2_b64 s[18:19], s[18:19], exec
.LBB98_343:                             ;   in Loop: Header=BB98_6 Depth=1
	s_or_b64 exec, exec, s[16:17]
	s_mov_b64 s[16:17], 0
                                        ; implicit-def: $vgpr10
	s_and_saveexec_b64 s[52:53], s[18:19]
	s_cbranch_execz .LBB98_396
; %bb.344:                              ;   in Loop: Header=BB98_6 Depth=1
	s_xor_b64 s[18:19], s[54:55], -1
	s_mov_b64 s[56:57], 0
	v_mov_b32_e32 v3, 1
	v_mov_b32_e32 v10, 1
	s_and_saveexec_b64 s[16:17], s[18:19]
	s_cbranch_execz .LBB98_354
; %bb.345:                              ;   in Loop: Header=BB98_6 Depth=1
	v_cmp_ge_u32_e32 vcc, s11, v2
                                        ; implicit-def: $sgpr56
                                        ; implicit-def: $sgpr18_sgpr19
	s_and_saveexec_b64 s[54:55], vcc
	s_xor_b64 s[54:55], exec, s[54:55]
	s_cbranch_execz .LBB98_351
; %bb.346:                              ;   in Loop: Header=BB98_6 Depth=1
	ds_read_b32 v3, v11 offset:4096
	s_waitcnt lgkmcnt(0)
	v_cmp_ne_u32_e32 vcc, 0, v3
	s_cbranch_vccnz .LBB98_350
; %bb.347:                              ;   in Loop: Header=BB98_6 Depth=1
	s_mov_b64 s[18:19], exec
	v_readlane_b32 s56, v55, 13
	v_readlane_b32 s57, v55, 14
	s_and_b64 s[56:57], s[18:19], s[56:57]
	s_mov_b64 exec, s[56:57]
	s_cbranch_execz .LBB98_349
; %bb.348:                              ;   in Loop: Header=BB98_6 Depth=1
	v_mov_b32_e32 v3, s11
	ds_write_b32 v11, v3 offset:4100
.LBB98_349:                             ;   in Loop: Header=BB98_6 Depth=1
	s_or_b64 exec, exec, s[18:19]
	s_waitcnt lgkmcnt(0)
	s_barrier
.LBB98_350:                             ;   in Loop: Header=BB98_6 Depth=1
	v_and_b32_e32 v3, s10, v35
	v_lshl_or_b32 v35, 1, s62, v3
	v_or_b32_e32 v34, s4, v34
	s_mov_b64 s[18:19], 0
	s_mov_b32 s56, 5
.LBB98_351:                             ;   in Loop: Header=BB98_6 Depth=1
	s_or_saveexec_b64 s[54:55], s[54:55]
	v_mov_b32_e32 v10, s56
	s_xor_b64 exec, exec, s[54:55]
; %bb.352:                              ;   in Loop: Header=BB98_6 Depth=1
	v_subrev_u32_e32 v2, s11, v2
	v_mov_b32_e32 v10, 0
	s_or_b64 s[18:19], s[18:19], exec
; %bb.353:                              ;   in Loop: Header=BB98_6 Depth=1
	s_or_b64 exec, exec, s[54:55]
	s_and_b64 s[56:57], s[18:19], exec
	v_mov_b32_e32 v3, v2
.LBB98_354:                             ;   in Loop: Header=BB98_6 Depth=1
	s_or_b64 exec, exec, s[16:17]
	s_mov_b64 s[16:17], -1
                                        ; implicit-def: $sgpr18_sgpr19
                                        ; implicit-def: $sgpr58_sgpr59
                                        ; implicit-def: $sgpr80_sgpr81
	s_and_saveexec_b64 s[54:55], s[56:57]
	s_cbranch_execz .LBB98_395
; %bb.355:                              ;   in Loop: Header=BB98_6 Depth=1
	s_cmp_eq_u32 s5, 1
	s_cselect_b64 s[16:17], -1, 0
	v_cmp_eq_u32_e32 vcc, 1, v3
	s_and_b64 s[56:57], s[16:17], vcc
	s_mov_b64 s[82:83], -1
                                        ; implicit-def: $sgpr18_sgpr19
                                        ; implicit-def: $sgpr58_sgpr59
                                        ; implicit-def: $sgpr80_sgpr81
	s_and_saveexec_b64 s[16:17], s[56:57]
	s_cbranch_execz .LBB98_382
; %bb.356:                              ;   in Loop: Header=BB98_6 Depth=1
	ds_read_b32 v2, v11 offset:4096
	s_waitcnt lgkmcnt(0)
	s_barrier
	v_readfirstlane_b32 s11, v2
	s_mov_b64 s[18:19], exec
	v_readlane_b32 s58, v55, 37
	v_readlane_b32 s59, v55, 38
	s_and_b64 s[58:59], s[18:19], s[58:59]
	s_mov_b64 exec, s[58:59]
	s_cbranch_execz .LBB98_358
; %bb.357:                              ;   in Loop: Header=BB98_6 Depth=1
	ds_write_b16 v20, v11
.LBB98_358:                             ;   in Loop: Header=BB98_6 Depth=1
	s_or_b64 exec, exec, s[18:19]
	v_and_b32_e32 v35, s10, v35
	v_or_b32_e32 v34, s4, v34
	s_cmp_eq_u32 s11, 0
	s_waitcnt lgkmcnt(0)
	s_barrier
	s_cbranch_scc1 .LBB98_367
; %bb.359:                              ;   in Loop: Header=BB98_6 Depth=1
	v_readlane_b32 s18, v55, 28
	s_add_i32 s18, s11, s18
	v_readlane_b32 s19, v55, 52
	s_mul_hi_u32 s19, s18, s19
	s_mul_i32 s19, s19, s76
	s_sub_i32 s19, s18, s19
	s_sub_i32 s58, s19, s76
	s_cmp_ge_u32 s19, s76
	s_cselect_b32 s19, s58, s19
	s_sub_i32 s58, s19, s76
	s_cmp_ge_u32 s19, s76
	s_cselect_b32 s19, s58, s19
	s_sub_i32 s62, s18, s19
	v_cmp_gt_u32_e32 vcc, s62, v0
	s_mov_b64 s[82:83], 0
                                        ; implicit-def: $vgpr36
	s_and_saveexec_b64 s[58:59], vcc
	s_cbranch_execz .LBB98_369
; %bb.360:                              ;   in Loop: Header=BB98_6 Depth=1
	s_mov_b64 s[80:81], 0
	v_mov_b32_e32 v2, v19
	v_mov_b32_e32 v4, v0
                                        ; implicit-def: $sgpr82_sgpr83
	s_branch .LBB98_362
.LBB98_361:                             ;   in Loop: Header=BB98_362 Depth=2
	s_or_b64 exec, exec, s[18:19]
	s_waitcnt lgkmcnt(0)
	s_barrier
	ds_read_b32 v5, v11 offset:3072
	v_add_u32_e32 v4, s76, v4
	v_cmp_le_u32_e64 s[18:19], s62, v4
	v_add_u32_e32 v2, s13, v2
	s_waitcnt lgkmcnt(0)
	v_cmp_neq_f16_e32 vcc, 0, v5
	s_or_b64 s[18:19], s[18:19], vcc
	s_and_b64 s[18:19], exec, s[18:19]
	s_or_b64 s[80:81], s[18:19], s[80:81]
	s_andn2_b64 s[18:19], s[82:83], exec
	s_and_b64 s[74:75], vcc, exec
	s_or_b64 s[82:83], s[18:19], s[74:75]
	s_barrier
	s_andn2_b64 exec, exec, s[80:81]
	s_cbranch_execz .LBB98_368
.LBB98_362:                             ;   Parent Loop BB98_6 Depth=1
                                        ; =>  This Inner Loop Header: Depth=2
	v_cmp_gt_u32_e32 vcc, s11, v4
	v_mov_b32_e32 v5, 0
	s_and_saveexec_b64 s[18:19], vcc
	s_cbranch_execz .LBB98_364
; %bb.363:                              ;   in Loop: Header=BB98_362 Depth=2
	ds_read_u16 v5, v2
.LBB98_364:                             ;   in Loop: Header=BB98_362 Depth=2
	s_or_b64 exec, exec, s[18:19]
	s_and_saveexec_b64 s[18:19], vcc
	s_cbranch_execz .LBB98_361
; %bb.365:                              ;   in Loop: Header=BB98_362 Depth=2
	s_waitcnt lgkmcnt(0)
	v_cmp_lt_i16_e32 vcc, -1, v5
	v_cndmask_b32_e32 v10, v29, v30, vcc
	v_xor_b32_sdwa v10, v10, v5 dst_sel:DWORD dst_unused:UNUSED_PAD src0_sel:DWORD src1_sel:WORD_0
	v_cmp_o_f16_e32 vcc, v5, v5
	v_cndmask_b32_e32 v10, v29, v10, vcc
	v_and_b32_e32 v10, v10, v34
	v_cmp_eq_u32_e32 vcc, v10, v35
	s_and_b64 exec, exec, vcc
	s_cbranch_execz .LBB98_361
; %bb.366:                              ;   in Loop: Header=BB98_362 Depth=2
	v_perm_b32 v5, v5, s9, v33
	ds_write_b32 v11, v5 offset:3072
	s_branch .LBB98_361
.LBB98_367:                             ;   in Loop: Header=BB98_6 Depth=1
	s_mov_b64 s[18:19], -1
	s_mov_b64 s[82:83], 0
                                        ; implicit-def: $sgpr58_sgpr59
                                        ; implicit-def: $vgpr36
	s_branch .LBB98_370
.LBB98_368:                             ;   in Loop: Header=BB98_6 Depth=1
	s_or_b64 exec, exec, s[80:81]
	v_lshrrev_b32_e32 v36, 16, v5
	s_and_b64 s[82:83], s[82:83], exec
.LBB98_369:                             ;   in Loop: Header=BB98_6 Depth=1
	s_or_b64 exec, exec, s[58:59]
	s_mov_b64 s[18:19], 0
	s_mov_b64 s[58:59], -1
.LBB98_370:                             ;   in Loop: Header=BB98_6 Depth=1
	s_and_b64 vcc, exec, s[18:19]
	s_mov_b64 s[80:81], s[18:19]
	s_cbranch_vccz .LBB98_381
; %bb.371:                              ;   in Loop: Header=BB98_6 Depth=1
	s_mov_b64 s[82:83], 0
                                        ; implicit-def: $vgpr36
	s_mov_b64 s[62:63], exec
	v_readlane_b32 s18, v55, 53
	v_readlane_b32 s19, v55, 54
	s_and_b64 s[18:19], s[62:63], s[18:19]
	s_mov_b64 exec, s[18:19]
	s_cbranch_execz .LBB98_380
; %bb.372:                              ;   in Loop: Header=BB98_6 Depth=1
	s_mov_b64 s[80:81], 0
	v_mov_b32_e32 v10, v12
	v_mov_b32_e32 v2, v0
                                        ; implicit-def: $sgpr82_sgpr83
	s_branch .LBB98_374
.LBB98_373:                             ;   in Loop: Header=BB98_374 Depth=2
	s_or_b64 exec, exec, s[18:19]
	s_waitcnt lgkmcnt(0)
	s_barrier
	s_waitcnt vmcnt(0)
	ds_read_b32 v4, v11 offset:3072
	v_add_u32_e32 v2, s76, v2
	v_cmp_le_u32_e64 s[18:19], s78, v2
	v_add_u32_e32 v10, s6, v10
	s_waitcnt lgkmcnt(0)
	v_cmp_neq_f16_e32 vcc, 0, v4
	s_or_b64 s[18:19], s[18:19], vcc
	s_and_b64 s[18:19], exec, s[18:19]
	s_or_b64 s[80:81], s[18:19], s[80:81]
	s_andn2_b64 s[18:19], s[82:83], exec
	s_and_b64 s[58:59], vcc, exec
	s_or_b64 s[82:83], s[18:19], s[58:59]
	s_barrier
	s_andn2_b64 exec, exec, s[80:81]
	s_cbranch_execz .LBB98_379
.LBB98_374:                             ;   Parent Loop BB98_6 Depth=1
                                        ; =>  This Inner Loop Header: Depth=2
	v_cmp_gt_u32_e32 vcc, s60, v2
	v_mov_b32_e32 v4, 0
	s_and_saveexec_b64 s[58:59], vcc
	s_cbranch_execz .LBB98_376
; %bb.375:                              ;   in Loop: Header=BB98_374 Depth=2
	v_lshlrev_b64 v[4:5], 1, v[10:11]
	v_mov_b32_e32 v36, s7
	v_add_co_u32_e64 v4, s[18:19], s33, v4
	v_addc_co_u32_e64 v5, s[18:19], v36, v5, s[18:19]
	global_load_ushort v4, v[4:5], off
.LBB98_376:                             ;   in Loop: Header=BB98_374 Depth=2
	s_or_b64 exec, exec, s[58:59]
	s_and_saveexec_b64 s[18:19], vcc
	s_cbranch_execz .LBB98_373
; %bb.377:                              ;   in Loop: Header=BB98_374 Depth=2
	s_waitcnt vmcnt(0)
	v_cmp_lt_i16_e32 vcc, -1, v4
	v_cndmask_b32_e32 v5, v29, v30, vcc
	v_xor_b32_sdwa v5, v5, v4 dst_sel:DWORD dst_unused:UNUSED_PAD src0_sel:DWORD src1_sel:WORD_0
	v_cmp_o_f16_e32 vcc, v4, v4
	v_cndmask_b32_e32 v5, v29, v5, vcc
	v_and_b32_e32 v5, v5, v34
	v_cmp_eq_u32_e32 vcc, v5, v35
	s_and_b64 exec, exec, vcc
	s_cbranch_execz .LBB98_373
; %bb.378:                              ;   in Loop: Header=BB98_374 Depth=2
	v_perm_b32 v4, v4, s9, v33
	ds_write_b32 v11, v4 offset:3072
	s_branch .LBB98_373
.LBB98_379:                             ;   in Loop: Header=BB98_6 Depth=1
	s_or_b64 exec, exec, s[80:81]
	v_lshrrev_b32_e32 v36, 16, v4
	s_and_b64 s[82:83], s[82:83], exec
.LBB98_380:                             ;   in Loop: Header=BB98_6 Depth=1
	s_or_b64 exec, exec, s[62:63]
	s_mov_b64 s[58:59], 0
	s_mov_b64 s[18:19], -1
	s_mov_b64 s[80:81], 0
.LBB98_381:                             ;   in Loop: Header=BB98_6 Depth=1
	s_orn2_b64 s[82:83], s[82:83], exec
.LBB98_382:                             ;   in Loop: Header=BB98_6 Depth=1
	s_or_b64 exec, exec, s[16:17]
	s_mov_b64 vcc, 0
                                        ; implicit-def: $vgpr10
                                        ; implicit-def: $vgpr2
	s_and_saveexec_b64 s[16:17], s[82:83]
	s_cbranch_execz .LBB98_394
; %bb.383:                              ;   in Loop: Header=BB98_6 Depth=1
	s_xor_b64 s[62:63], s[56:57], -1
	v_mov_b32_e32 v10, 1
	v_mov_b32_e32 v2, 1
	s_and_saveexec_b64 s[56:57], s[62:63]
	s_cbranch_execz .LBB98_393
; %bb.384:                              ;   in Loop: Header=BB98_6 Depth=1
	v_cmp_ge_u32_e32 vcc, s5, v3
                                        ; implicit-def: $sgpr11
	s_and_saveexec_b64 s[62:63], vcc
	s_xor_b64 s[82:83], exec, s[62:63]
	s_cbranch_execz .LBB98_390
; %bb.385:                              ;   in Loop: Header=BB98_6 Depth=1
	ds_read_b32 v2, v11 offset:4096
	s_waitcnt lgkmcnt(0)
	v_cmp_ne_u32_e32 vcc, 0, v2
	s_cbranch_vccnz .LBB98_389
; %bb.386:                              ;   in Loop: Header=BB98_6 Depth=1
	s_mov_b64 vcc, exec
	v_readlane_b32 s62, v55, 13
	v_readlane_b32 s63, v55, 14
	s_and_b64 s[62:63], vcc, s[62:63]
	s_mov_b64 exec, s[62:63]
	s_cbranch_execz .LBB98_388
; %bb.387:                              ;   in Loop: Header=BB98_6 Depth=1
	v_mov_b32_e32 v2, s5
	ds_write_b32 v11, v2 offset:4100
.LBB98_388:                             ;   in Loop: Header=BB98_6 Depth=1
	s_or_b64 exec, exec, vcc
	s_waitcnt lgkmcnt(0)
	s_barrier
.LBB98_389:                             ;   in Loop: Header=BB98_6 Depth=1
	v_and_b32_e32 v35, s10, v35
	v_or_b32_e32 v34, s4, v34
	s_mov_b32 s11, 5
.LBB98_390:                             ;   in Loop: Header=BB98_6 Depth=1
	s_or_saveexec_b64 s[82:83], s[82:83]
	v_mov_b32_e32 v10, s11
	s_xor_b64 exec, exec, s[82:83]
; %bb.391:                              ;   in Loop: Header=BB98_6 Depth=1
	v_subrev_u32_e32 v3, s5, v3
	v_mov_b32_e32 v10, 5
; %bb.392:                              ;   in Loop: Header=BB98_6 Depth=1
	s_or_b64 exec, exec, s[82:83]
	v_mov_b32_e32 v2, v3
.LBB98_393:                             ;   in Loop: Header=BB98_6 Depth=1
	s_or_b64 exec, exec, s[56:57]
	s_mov_b64 vcc, exec
.LBB98_394:                             ;   in Loop: Header=BB98_6 Depth=1
	s_or_b64 exec, exec, s[16:17]
	s_orn2_b64 s[16:17], vcc, exec
	v_mov_b32_e32 v3, v2
.LBB98_395:                             ;   in Loop: Header=BB98_6 Depth=1
	s_or_b64 exec, exec, s[54:55]
	s_andn2_b64 s[4:5], s[46:47], exec
	s_and_b64 s[10:11], s[18:19], exec
	s_or_b64 s[46:47], s[4:5], s[10:11]
	s_andn2_b64 s[4:5], s[48:49], exec
	s_and_b64 s[10:11], s[58:59], exec
	s_or_b64 s[48:49], s[4:5], s[10:11]
	;; [unrolled: 3-line block ×3, first 2 shown]
	s_and_b64 s[16:17], s[16:17], exec
	v_mov_b32_e32 v2, v3
.LBB98_396:                             ;   in Loop: Header=BB98_6 Depth=1
	s_or_b64 exec, exec, s[52:53]
	s_and_b64 s[52:53], s[46:47], exec
	s_and_b64 s[46:47], s[48:49], exec
	;; [unrolled: 1-line block ×3, first 2 shown]
	s_orn2_b64 s[16:17], s[16:17], exec
.LBB98_397:                             ;   in Loop: Header=BB98_6 Depth=1
	s_or_b64 exec, exec, s[44:45]
	s_andn2_b64 s[4:5], s[36:37], exec
	s_and_b64 s[10:11], s[52:53], exec
	s_or_b64 s[36:37], s[4:5], s[10:11]
	s_andn2_b64 s[4:5], s[38:39], exec
	s_and_b64 s[10:11], s[46:47], exec
	s_or_b64 s[38:39], s[4:5], s[10:11]
	s_andn2_b64 s[4:5], s[40:41], exec
	s_and_b64 s[10:11], s[18:19], exec
	s_or_b64 s[40:41], s[4:5], s[10:11]
	s_and_b64 s[18:19], s[16:17], exec
	v_mov_b32_e32 v5, v2
.LBB98_398:                             ;   in Loop: Header=BB98_6 Depth=1
	s_or_b64 exec, exec, s[42:43]
	s_and_b64 s[42:43], s[36:37], exec
	s_and_b64 s[36:37], s[38:39], exec
	;; [unrolled: 1-line block ×3, first 2 shown]
	s_orn2_b64 s[38:39], s[18:19], exec
.LBB98_399:                             ;   in Loop: Header=BB98_6 Depth=1
	s_or_b64 exec, exec, s[28:29]
	s_mov_b64 s[18:19], s[24:25]
	s_mov_b64 s[28:29], s[20:21]
	s_and_saveexec_b64 s[40:41], s[38:39]
; %bb.400:                              ;   in Loop: Header=BB98_6 Depth=1
	v_cmp_ne_u32_e64 s[18:19], 5, v10
	v_cmp_eq_u32_e32 vcc, 5, v10
	s_andn2_b64 s[4:5], s[20:21], exec
	s_and_b64 s[10:11], s[18:19], exec
	s_or_b64 s[28:29], s[4:5], s[10:11]
	s_andn2_b64 s[4:5], s[24:25], exec
	s_and_b64 s[10:11], vcc, exec
	s_andn2_b64 s[42:43], s[42:43], exec
	s_andn2_b64 s[36:37], s[36:37], exec
	s_andn2_b64 s[16:17], s[16:17], exec
	s_or_b64 s[18:19], s[4:5], s[10:11]
; %bb.401:                              ;   in Loop: Header=BB98_6 Depth=1
	s_or_b64 exec, exec, s[40:41]
	s_andn2_b64 s[4:5], s[30:31], exec
	s_and_b64 s[10:11], s[42:43], exec
	s_or_b64 s[30:31], s[4:5], s[10:11]
	s_andn2_b64 s[4:5], s[34:35], exec
	s_and_b64 s[10:11], s[36:37], exec
	s_or_b64 s[34:35], s[4:5], s[10:11]
	;; [unrolled: 3-line block ×5, first 2 shown]
	v_mov_b32_e32 v2, v35
	v_mov_b32_e32 v3, v34
	;; [unrolled: 1-line block ×3, first 2 shown]
.LBB98_402:                             ;   in Loop: Header=BB98_6 Depth=1
	s_or_b64 exec, exec, s[26:27]
	s_mov_b64 s[28:29], s[22:23]
	s_mov_b64 s[26:27], s[22:23]
	s_and_saveexec_b64 s[16:17], s[24:25]
.LBB98_403:                             ;   in Loop: Header=BB98_6 Depth=1
	v_mov_b32_e32 v10, 0
	s_andn2_b64 s[22:23], s[22:23], exec
	s_andn2_b64 s[30:31], s[30:31], exec
	;; [unrolled: 1-line block ×5, first 2 shown]
	s_or_b64 s[20:21], s[20:21], exec
.LBB98_404:                             ;   in Loop: Header=BB98_6 Depth=1
	s_or_b64 exec, exec, s[16:17]
	s_andn2_b64 s[4:5], s[88:89], exec
	s_and_b64 s[10:11], s[22:23], exec
	s_or_b64 s[88:89], s[4:5], s[10:11]
	s_andn2_b64 s[4:5], s[86:87], exec
	s_and_b64 s[10:11], s[30:31], exec
	s_or_b64 s[86:87], s[4:5], s[10:11]
	;; [unrolled: 3-line block ×4, first 2 shown]
	s_andn2_b64 s[4:5], s[70:71], exec
	s_and_b64 s[10:11], s[26:27], exec
	s_mov_b64 s[18:19], -1
	s_or_b64 s[70:71], s[4:5], s[10:11]
                                        ; implicit-def: $vgpr34
                                        ; implicit-def: $vgpr35
                                        ; implicit-def: $vgpr37
                                        ; implicit-def: $vgpr36
	s_and_saveexec_b64 s[4:5], s[20:21]
	s_xor_b64 s[16:17], exec, s[4:5]
	s_cbranch_execz .LBB98_5
; %bb.405:                              ;   in Loop: Header=BB98_6 Depth=1
	v_cmp_eq_u32_e32 vcc, 0, v10
	s_mov_b64 s[20:21], -1
	s_and_saveexec_b64 s[22:23], vcc
	s_cbranch_execz .LBB98_4
; %bb.406:                              ;   in Loop: Header=BB98_6 Depth=1
	s_xor_b32 s73, s73, 1
	s_add_i32 s10, s72, -2
	s_cmp_eq_u32 s72, 0
	s_cselect_b64 s[4:5], -1, 0
	s_xor_b64 s[20:21], exec, -1
	s_orn2_b64 s[18:19], s[4:5], exec
	s_mov_b32 s72, s10
	s_branch .LBB98_4
.LBB98_407:
	s_or_b64 exec, exec, s[90:91]
	s_xor_b64 s[16:17], s[68:69], -1
	s_xor_b64 s[20:21], s[66:67], -1
	;; [unrolled: 1-line block ×5, first 2 shown]
	s_mov_b64 s[12:13], 0
	s_and_saveexec_b64 s[8:9], s[4:5]
	s_xor_b64 s[10:11], exec, s[8:9]
	s_cbranch_execnz .LBB98_412
; %bb.408:
	s_andn2_saveexec_b64 s[0:1], s[10:11]
	s_cbranch_execnz .LBB98_431
.LBB98_409:
	s_or_b64 exec, exec, s[0:1]
	s_and_saveexec_b64 s[0:1], s[12:13]
.LBB98_410:
	; divergent unreachable
.LBB98_411:
	s_endpgm
.LBB98_412:
	s_mov_b64 s[14:15], 0
	s_and_saveexec_b64 s[4:5], s[18:19]
	s_xor_b64 s[12:13], exec, s[4:5]
	s_cbranch_execz .LBB98_429
; %bb.413:
	s_mov_b64 s[18:19], 0
	s_and_saveexec_b64 s[4:5], s[20:21]
	s_xor_b64 s[14:15], exec, s[4:5]
	s_cbranch_execz .LBB98_427
; %bb.414:
	s_and_saveexec_b64 s[4:5], s[16:17]
	s_xor_b64 s[16:17], exec, s[4:5]
	s_cbranch_execz .LBB98_425
; %bb.415:
	s_and_saveexec_b64 s[4:5], s[2:3]
	s_xor_b64 s[2:3], exec, s[4:5]
; %bb.416:
	v_and_b32_e32 v1, 0x8000, v2
	v_mov_b32_e32 v3, 0x8000
	v_mov_b32_e32 v4, 0xffff
	v_cmp_eq_u32_e32 vcc, 0, v1
	v_cndmask_b32_e32 v1, v3, v4, vcc
	v_xor_b32_e32 v4, v1, v2
; %bb.417:
	s_or_b64 exec, exec, s[2:3]
	s_mov_b64 s[2:3], exec
	v_readlane_b32 s4, v55, 13
	v_readlane_b32 s5, v55, 14
	;; [unrolled: 1-line block ×4, first 2 shown]
	s_and_b64 s[4:5], s[2:3], s[4:5]
	v_readlane_b32 s43, v55, 19
	v_readlane_b32 s19, v55, 34
	s_mov_b64 exec, s[4:5]
	s_cbranch_execz .LBB98_419
; %bb.418:
	v_mov_b32_e32 v1, 0
	ds_write_b32 v1, v1 offset:4108
.LBB98_419:
	s_or_b64 exec, exec, s[2:3]
	v_mov_b32_e32 v5, 0
	s_waitcnt lgkmcnt(0)
	s_barrier
	s_mov_b64 s[2:3], exec
	v_readlane_b32 s4, v55, 35
	v_readlane_b32 s5, v55, 36
	s_and_b64 s[4:5], s[2:3], s[4:5]
	s_mov_b64 exec, s[4:5]
	s_cbranch_execz .LBB98_421
; %bb.420:
	global_load_ushort v5, v[8:9], off
.LBB98_421:
	s_or_b64 exec, exec, s[2:3]
	v_readlane_b32 s5, v55, 9
	v_readlane_b32 s9, v55, 10
	s_mul_i32 s2, s9, s5
	v_readlane_b32 s8, v55, 15
	s_add_i32 s34, s60, 63
	s_sub_i32 s2, s8, s2
	s_andn2_b32 s34, s34, 63
	s_add_i32 s3, s9, 1
	s_sub_i32 s4, s2, s5
	s_cmp_ge_u32 s2, s5
	s_cselect_b32 s3, s3, s9
	s_cselect_b32 s2, s4, s2
	s_add_i32 s4, s3, 1
	s_cmp_ge_u32 s2, s5
	s_cselect_b32 s2, s4, s3
	s_mul_i32 s3, s2, s5
	v_readlane_b32 s4, v55, 3
	s_sub_i32 s3, s8, s3
	v_readlane_b32 s5, v55, 4
	s_mul_i32 s3, s3, s5
	s_mul_i32 s2, s2, s4
	v_readlane_b32 s9, v55, 11
	v_readlane_b32 s20, v55, 12
	s_add_i32 s2, s2, s3
	s_mul_i32 s3, s20, s9
	s_sub_i32 s3, s8, s3
	s_add_i32 s4, s20, 1
	s_sub_i32 s5, s3, s9
	s_cmp_ge_u32 s3, s9
	s_cselect_b32 s4, s4, s20
	s_cselect_b32 s3, s5, s3
	s_add_i32 s5, s4, 1
	s_cmp_ge_u32 s3, s9
	s_cselect_b32 s3, s5, s4
	s_mul_i32 s4, s3, s9
	s_sub_i32 s4, s8, s4
	v_readlane_b32 s8, v55, 5
	v_readlane_b32 s9, v55, 6
	s_mul_i32 s4, s4, s9
	s_mul_i32 s3, s3, s8
	s_add_i32 s4, s3, s4
	s_mov_b32 s3, 0
	s_lshl_b64 s[8:9], s[2:3], 1
	v_readlane_b32 s20, v55, 7
	s_load_dword s39, s[18:19], 0x1c8
	s_load_dword s40, s[18:19], 0x2a8
	v_mov_b32_e32 v1, 0xffff
	v_mov_b32_e32 v11, 0x8000
	v_cmp_lt_i16_e32 vcc, -1, v4
	v_readlane_b32 s21, v55, 8
	s_add_u32 s35, s20, s8
	s_mov_b32 s5, s3
	v_cndmask_b32_e32 v2, v1, v11, vcc
	s_addc_u32 s36, s21, s9
	s_lshl_b64 s[2:3], s[4:5], 3
	v_readlane_b32 s4, v55, 1
	v_xor_b32_sdwa v2, v2, v4 dst_sel:DWORD dst_unused:UNUSED_PAD src0_sel:DWORD src1_sel:WORD_0
	v_cmp_o_f16_e32 vcc, v4, v4
	v_readlane_b32 s5, v55, 2
	s_add_u32 s37, s4, s2
	v_cndmask_b32_e32 v10, v1, v2, vcc
	s_addc_u32 s38, s5, s3
	v_cmp_gt_u32_e32 vcc, s34, v0
	s_mov_b64 s[20:21], -1
	s_mov_b64 s[2:3], 0
	s_mov_b64 s[4:5], 0
	s_and_saveexec_b64 s[18:19], vcc
	s_cbranch_execnz .LBB98_432
; %bb.422:
	s_or_b64 exec, exec, s[18:19]
	s_and_saveexec_b64 s[8:9], s[20:21]
	s_cbranch_execnz .LBB98_449
.LBB98_423:
	s_or_b64 exec, exec, s[8:9]
	s_and_saveexec_b64 s[0:1], s[4:5]
	s_xor_b64 s[0:1], exec, s[0:1]
	s_cbranch_execnz .LBB98_472
.LBB98_424:
	s_or_b64 exec, exec, s[0:1]
	s_and_b64 s[18:19], s[2:3], exec
.LBB98_425:
	s_andn2_saveexec_b64 s[0:1], s[16:17]
	s_cbranch_execnz .LBB98_474
.LBB98_426:
	s_or_b64 exec, exec, s[0:1]
	s_and_b64 s[18:19], s[18:19], exec
.LBB98_427:
	s_andn2_saveexec_b64 s[0:1], s[14:15]
	s_cbranch_execnz .LBB98_473
.LBB98_428:
	s_or_b64 exec, exec, s[0:1]
	s_and_b64 s[14:15], s[18:19], exec
.LBB98_429:
	s_andn2_saveexec_b64 s[0:1], s[12:13]
	s_cbranch_execnz .LBB98_468
.LBB98_430:
	s_or_b64 exec, exec, s[0:1]
	s_and_b64 s[12:13], s[14:15], exec
	s_andn2_saveexec_b64 s[0:1], s[10:11]
	s_cbranch_execz .LBB98_409
.LBB98_431:
	s_or_b64 s[12:13], s[12:13], exec
	s_trap 2
	s_or_b64 exec, exec, s[0:1]
	s_and_saveexec_b64 s[0:1], s[12:13]
	s_cbranch_execnz .LBB98_410
	s_branch .LBB98_411
.LBB98_432:
	v_add_u32_e32 v2, s76, v0
	v_readlane_b32 s4, v55, 0
	v_mul_lo_u32 v2, s4, v2
	s_mov_b64 s[20:21], 0
	v_mov_b32_e32 v3, 0
	v_mov_b32_e32 v4, v0
                                        ; implicit-def: $sgpr22_sgpr23
                                        ; implicit-def: $vgpr14
	s_branch .LBB98_434
.LBB98_433:                             ;   in Loop: Header=BB98_434 Depth=1
	s_or_b64 exec, exec, s[24:25]
	s_xor_b64 s[4:5], s[28:29], -1
	s_and_b64 s[8:9], exec, s[8:9]
	s_or_b64 s[20:21], s[8:9], s[20:21]
	s_andn2_b64 s[8:9], s[22:23], exec
	s_and_b64 s[4:5], s[4:5], exec
	s_or_b64 s[22:23], s[8:9], s[4:5]
	v_mov_b32_e32 v4, v12
	s_waitcnt vmcnt(0)
	v_mov_b32_e32 v5, v15
	s_andn2_b64 exec, exec, s[20:21]
	s_cbranch_execz .LBB98_448
.LBB98_434:                             ; =>This Inner Loop Header: Depth=1
	v_add_u32_e32 v12, s76, v4
	v_cmp_gt_u32_e64 s[4:5], s60, v12
	v_mov_b32_e32 v15, 0
	s_and_saveexec_b64 s[8:9], s[4:5]
	s_cbranch_execz .LBB98_436
; %bb.435:                              ;   in Loop: Header=BB98_434 Depth=1
	v_lshlrev_b64 v[16:17], 1, v[2:3]
	v_mov_b32_e32 v15, s7
	v_add_co_u32_e64 v16, s[4:5], s33, v16
	v_addc_co_u32_e64 v17, s[4:5], v15, v17, s[4:5]
	global_load_ushort v15, v[16:17], off
.LBB98_436:                             ;   in Loop: Header=BB98_434 Depth=1
	s_or_b64 exec, exec, s[8:9]
	v_cmp_gt_u32_e64 s[4:5], s60, v4
	s_mov_b64 s[24:25], 0
	s_and_saveexec_b64 s[8:9], s[4:5]
	s_cbranch_execz .LBB98_438
; %bb.437:                              ;   in Loop: Header=BB98_434 Depth=1
	s_waitcnt vmcnt(0)
	v_cmp_lt_i16_e64 s[4:5], -1, v5
	v_cndmask_b32_e64 v16, v1, v11, s[4:5]
	v_xor_b32_sdwa v16, v16, v5 dst_sel:DWORD dst_unused:UNUSED_PAD src0_sel:DWORD src1_sel:WORD_0
	v_cmp_o_f16_e64 s[4:5], v5, v5
	v_cndmask_b32_e64 v16, v1, v16, s[4:5]
	v_cmp_gt_u32_e64 s[4:5], v16, v10
	v_cndmask_b32_e64 v17, 0, 1, s[4:5]
	v_cmp_lt_u32_e64 s[4:5], v16, v10
	v_cndmask_b32_e64 v16, 0, 1, s[4:5]
	v_cndmask_b32_e64 v16, v16, v17, s[42:43]
	v_and_b32_e32 v16, 1, v16
	v_cmp_eq_u32_e64 s[4:5], 1, v16
	s_and_b64 s[24:25], s[4:5], exec
.LBB98_438:                             ;   in Loop: Header=BB98_434 Depth=1
	s_or_b64 exec, exec, s[8:9]
	v_cndmask_b32_e64 v16, 0, 1, s[24:25]
	v_cmp_ne_u32_e64 s[4:5], 0, v16
	s_cmp_lg_u64 s[4:5], 0
	s_cselect_b64 s[8:9], -1, 0
	s_and_b64 s[8:9], s[0:1], s[8:9]
	s_and_saveexec_b64 s[26:27], s[8:9]
	s_cbranch_execz .LBB98_442
; %bb.439:                              ;   in Loop: Header=BB98_434 Depth=1
	s_mov_b64 s[30:31], exec
	s_waitcnt lgkmcnt(0)
	v_mbcnt_lo_u32_b32 v14, s30, 0
	v_mbcnt_hi_u32_b32 v14, s31, v14
	s_bcnt1_i32_b64 s41, s[4:5]
	v_cmp_eq_u32_e64 s[8:9], 0, v14
                                        ; implicit-def: $vgpr16
	s_and_saveexec_b64 s[28:29], s[8:9]
	s_cbranch_execz .LBB98_441
; %bb.440:                              ;   in Loop: Header=BB98_434 Depth=1
	s_bcnt1_i32_b64 s8, s[30:31]
	s_mul_i32 s8, s41, s8
	v_mov_b32_e32 v16, s8
	ds_add_rtn_u32 v16, v3, v16 offset:4108
.LBB98_441:                             ;   in Loop: Header=BB98_434 Depth=1
	s_or_b64 exec, exec, s[28:29]
	s_waitcnt lgkmcnt(0)
	v_readfirstlane_b32 s8, v16
	v_mov_b32_e32 v16, s8
	v_mad_u32_u24 v14, s41, v14, v16
.LBB98_442:                             ;   in Loop: Header=BB98_434 Depth=1
	s_or_b64 exec, exec, s[26:27]
	s_waitcnt lgkmcnt(0)
	ds_bpermute_b32 v14, v13, v14
	s_mov_b64 s[8:9], -1
	s_mov_b64 s[30:31], -1
                                        ; implicit-def: $sgpr28_sgpr29
	s_and_saveexec_b64 s[26:27], s[24:25]
	s_cbranch_execz .LBB98_446
; %bb.443:                              ;   in Loop: Header=BB98_434 Depth=1
	v_and_b32_e32 v17, s4, v6
	v_and_b32_e32 v16, s5, v7
	v_bcnt_u32_b32 v17, v17, 0
	v_bcnt_u32_b32 v16, v16, v17
	s_waitcnt lgkmcnt(0)
	v_add_u32_e32 v16, v14, v16
	v_cmp_gt_u32_e64 s[4:5], s61, v16
	s_mov_b64 s[24:25], 0
	s_and_saveexec_b64 s[28:29], s[4:5]
	s_cbranch_execz .LBB98_445
; %bb.444:                              ;   in Loop: Header=BB98_434 Depth=1
	v_mul_lo_u32 v18, v16, s39
	v_mov_b32_e32 v19, v3
	v_lshlrev_b64 v[18:19], 1, v[18:19]
	v_mov_b32_e32 v17, s36
	v_add_co_u32_e64 v18, s[4:5], s35, v18
	v_mul_lo_u32 v16, v16, s40
	v_addc_co_u32_e64 v19, s[4:5], v17, v19, s[4:5]
	v_mov_b32_e32 v17, v3
	v_lshlrev_b64 v[16:17], 3, v[16:17]
	s_waitcnt vmcnt(0)
	global_store_short v[18:19], v5, off
	v_mov_b32_e32 v18, s38
	v_add_co_u32_e64 v16, s[4:5], s37, v16
	s_mov_b64 s[24:25], exec
	v_mov_b32_e32 v5, v3
	v_addc_co_u32_e64 v17, s[4:5], v18, v17, s[4:5]
	global_store_dwordx2 v[16:17], v[4:5], off
.LBB98_445:                             ;   in Loop: Header=BB98_434 Depth=1
	s_or_b64 exec, exec, s[28:29]
	s_mov_b64 s[28:29], -1
	s_orn2_b64 s[30:31], s[24:25], exec
.LBB98_446:                             ;   in Loop: Header=BB98_434 Depth=1
	s_or_b64 exec, exec, s[26:27]
	s_and_saveexec_b64 s[24:25], s[30:31]
	s_cbranch_execz .LBB98_433
; %bb.447:                              ;   in Loop: Header=BB98_434 Depth=1
	v_cmp_le_u32_e64 s[4:5], s34, v12
	v_add_u32_e32 v2, s6, v2
	s_andn2_b64 s[28:29], s[28:29], exec
	s_orn2_b64 s[8:9], s[4:5], exec
	s_branch .LBB98_433
.LBB98_448:
	s_or_b64 exec, exec, s[20:21]
	s_mov_b64 s[4:5], exec
	s_orn2_b64 s[20:21], s[22:23], exec
	s_or_b64 exec, exec, s[18:19]
	s_and_saveexec_b64 s[8:9], s[20:21]
	s_cbranch_execz .LBB98_423
.LBB98_449:
	v_mov_b32_e32 v1, 0
	s_waitcnt lgkmcnt(0)
	s_barrier
	s_mov_b64 s[2:3], exec
	v_readlane_b32 s18, v55, 35
	v_readlane_b32 s19, v55, 36
	s_and_b64 s[18:19], s[2:3], s[18:19]
	s_mov_b64 exec, s[18:19]
	s_cbranch_execz .LBB98_451
; %bb.450:
	global_load_ushort v1, v[8:9], off
.LBB98_451:
	s_or_b64 exec, exec, s[2:3]
	s_mov_b64 s[2:3], 0
	s_and_saveexec_b64 s[30:31], vcc
	s_cbranch_execz .LBB98_471
; %bb.452:
	v_add_u32_e32 v2, s76, v0
	v_readlane_b32 s2, v55, 0
	v_mul_lo_u32 v2, s2, v2
	s_mov_b64 s[18:19], 0
	v_mov_b32_e32 v3, 0
	v_mov_b32_e32 v4, 0xffff
	s_waitcnt vmcnt(0)
	v_mov_b32_e32 v5, 0x8000
                                        ; implicit-def: $sgpr20_sgpr21
                                        ; implicit-def: $vgpr8
	s_branch .LBB98_455
.LBB98_453:                             ;   in Loop: Header=BB98_455 Depth=1
	s_or_b64 exec, exec, s[24:25]
	s_orn2_b64 s[26:27], s[26:27], exec
	s_orn2_b64 s[24:25], s[22:23], exec
	s_waitcnt vmcnt(0)
	v_mov_b32_e32 v1, v11
	v_mov_b32_e32 v0, v9
.LBB98_454:                             ;   in Loop: Header=BB98_455 Depth=1
	s_or_b64 exec, exec, s[2:3]
	s_xor_b64 s[2:3], s[26:27], -1
	s_and_b64 s[22:23], exec, s[24:25]
	s_or_b64 s[18:19], s[22:23], s[18:19]
	s_andn2_b64 s[20:21], s[20:21], exec
	s_and_b64 s[2:3], s[2:3], exec
	s_or_b64 s[20:21], s[20:21], s[2:3]
	s_andn2_b64 exec, exec, s[18:19]
	s_cbranch_execz .LBB98_469
.LBB98_455:                             ; =>This Inner Loop Header: Depth=1
	v_add_u32_e32 v9, s76, v0
	v_cmp_gt_u32_e32 vcc, s60, v9
	s_waitcnt vmcnt(0)
	v_mov_b32_e32 v11, 0
	s_and_saveexec_b64 s[2:3], vcc
	s_cbranch_execz .LBB98_457
; %bb.456:                              ;   in Loop: Header=BB98_455 Depth=1
	v_lshlrev_b64 v[14:15], 1, v[2:3]
	v_mov_b32_e32 v11, s7
	v_add_co_u32_e32 v14, vcc, s33, v14
	v_addc_co_u32_e32 v15, vcc, v11, v15, vcc
	global_load_ushort v11, v[14:15], off
.LBB98_457:                             ;   in Loop: Header=BB98_455 Depth=1
	s_or_b64 exec, exec, s[2:3]
	v_cmp_lt_i16_e64 s[2:3], -1, v1
	v_cndmask_b32_e64 v12, v4, v5, s[2:3]
	v_xor_b32_sdwa v12, v12, v1 dst_sel:DWORD dst_unused:UNUSED_PAD src0_sel:DWORD src1_sel:WORD_0
	v_cmp_o_f16_e64 s[2:3], v1, v1
	v_cndmask_b32_e64 v12, v4, v12, s[2:3]
	v_cmp_gt_u32_e32 vcc, s60, v0
	v_cmp_eq_u32_e64 s[2:3], v12, v10
	s_and_b64 s[22:23], vcc, s[2:3]
	v_cndmask_b32_e64 v12, 0, 1, s[22:23]
	v_cmp_ne_u32_e32 vcc, 0, v12
	s_cmp_lg_u64 vcc, 0
	s_cselect_b64 s[2:3], -1, 0
	s_and_b64 s[2:3], s[0:1], s[2:3]
	s_and_saveexec_b64 s[24:25], s[2:3]
	s_cbranch_execz .LBB98_461
; %bb.458:                              ;   in Loop: Header=BB98_455 Depth=1
	s_mov_b64 s[28:29], exec
	v_mbcnt_lo_u32_b32 v8, s28, 0
	v_mbcnt_hi_u32_b32 v8, s29, v8
	s_bcnt1_i32_b64 s41, vcc
	v_cmp_eq_u32_e64 s[2:3], 0, v8
                                        ; implicit-def: $vgpr12
	s_and_saveexec_b64 s[26:27], s[2:3]
	s_cbranch_execz .LBB98_460
; %bb.459:                              ;   in Loop: Header=BB98_455 Depth=1
	s_bcnt1_i32_b64 s2, s[28:29]
	s_mul_i32 s2, s41, s2
	v_mov_b32_e32 v12, s2
	ds_add_rtn_u32 v12, v3, v12 offset:4108
.LBB98_460:                             ;   in Loop: Header=BB98_455 Depth=1
	s_or_b64 exec, exec, s[26:27]
	s_waitcnt lgkmcnt(0)
	v_readfirstlane_b32 s2, v12
	v_mov_b32_e32 v12, s2
	v_mad_u32_u24 v8, s41, v8, v12
.LBB98_461:                             ;   in Loop: Header=BB98_455 Depth=1
	s_or_b64 exec, exec, s[24:25]
	ds_bpermute_b32 v8, v13, v8
	s_cmp_eq_u64 vcc, 0
	s_cselect_b64 s[26:27], -1, 0
	s_mov_b64 s[24:25], -1
	s_waitcnt lgkmcnt(0)
	v_cmp_gt_u32_e64 s[2:3], s61, v8
	s_or_b64 s[28:29], s[26:27], s[2:3]
	s_mov_b64 s[26:27], -1
	s_and_saveexec_b64 s[2:3], s[28:29]
	s_cbranch_execz .LBB98_454
; %bb.462:                              ;   in Loop: Header=BB98_455 Depth=1
	v_and_b32_e32 v14, vcc_lo, v6
	v_and_b32_e32 v12, vcc_hi, v7
	v_bcnt_u32_b32 v14, v14, 0
	v_bcnt_u32_b32 v12, v12, v14
	v_sub_u32_e32 v14, s61, v8
	v_cmp_gt_u32_e32 vcc, v14, v12
	s_and_b64 s[42:43], s[22:23], vcc
	s_mov_b64 s[22:23], -1
	s_mov_b64 s[28:29], -1
	s_and_saveexec_b64 s[24:25], s[42:43]
	s_cbranch_execz .LBB98_466
; %bb.463:                              ;   in Loop: Header=BB98_455 Depth=1
	v_add_u32_e32 v12, v8, v12
	v_cmp_gt_u32_e32 vcc, s61, v12
	s_mov_b64 s[28:29], 0
	s_and_saveexec_b64 s[26:27], vcc
	s_cbranch_execz .LBB98_465
; %bb.464:                              ;   in Loop: Header=BB98_455 Depth=1
	v_mul_lo_u32 v14, v12, s39
	v_mov_b32_e32 v15, v3
	v_lshlrev_b64 v[14:15], 1, v[14:15]
	v_mul_lo_u32 v16, v12, s40
	v_mov_b32_e32 v12, s36
	v_add_co_u32_e32 v14, vcc, s35, v14
	v_addc_co_u32_e32 v15, vcc, v12, v15, vcc
	v_mov_b32_e32 v17, v3
	global_store_short v[14:15], v1, off
	v_lshlrev_b64 v[14:15], 3, v[16:17]
	v_mov_b32_e32 v12, s38
	v_add_co_u32_e32 v14, vcc, s37, v14
	s_mov_b64 s[28:29], exec
	v_mov_b32_e32 v1, v3
	v_addc_co_u32_e32 v15, vcc, v12, v15, vcc
	global_store_dwordx2 v[14:15], v[0:1], off
.LBB98_465:                             ;   in Loop: Header=BB98_455 Depth=1
	s_or_b64 exec, exec, s[26:27]
	s_xor_b64 s[26:27], exec, -1
	s_orn2_b64 s[28:29], s[28:29], exec
.LBB98_466:                             ;   in Loop: Header=BB98_455 Depth=1
	s_or_b64 exec, exec, s[24:25]
	s_and_saveexec_b64 s[24:25], s[28:29]
	s_cbranch_execz .LBB98_453
; %bb.467:                              ;   in Loop: Header=BB98_455 Depth=1
	v_cmp_le_u32_e32 vcc, s34, v9
	v_add_u32_e32 v2, s6, v2
	s_or_b64 s[26:27], s[26:27], exec
	s_orn2_b64 s[22:23], vcc, exec
	s_branch .LBB98_453
.LBB98_468:
	s_or_b64 s[14:15], s[14:15], exec
	s_trap 2
	s_branch .LBB98_430
.LBB98_469:
	s_or_b64 exec, exec, s[18:19]
	s_mov_b64 s[0:1], 0
	s_and_saveexec_b64 s[2:3], s[20:21]
	s_xor_b64 s[2:3], exec, s[2:3]
	s_cbranch_execnz .LBB98_475
.LBB98_470:
	s_or_b64 exec, exec, s[2:3]
	s_and_b64 s[2:3], s[0:1], exec
.LBB98_471:
	s_or_b64 exec, exec, s[30:31]
	s_and_b64 s[2:3], s[2:3], exec
	s_andn2_b64 s[4:5], s[4:5], exec
	s_or_b64 exec, exec, s[8:9]
	s_and_saveexec_b64 s[0:1], s[4:5]
	s_xor_b64 s[0:1], exec, s[0:1]
	s_cbranch_execz .LBB98_424
.LBB98_472:
	s_trap 2
	s_or_b64 s[2:3], s[2:3], exec
	s_branch .LBB98_424
.LBB98_473:
	s_or_b64 s[18:19], s[18:19], exec
	s_trap 2
	s_branch .LBB98_428
.LBB98_474:
	s_trap 2
	s_or_b64 s[18:19], s[18:19], exec
	s_branch .LBB98_426
.LBB98_475:
	s_mov_b64 s[0:1], exec
	s_trap 2
	s_branch .LBB98_470
	.section	.rodata,"a",@progbits
	.p2align	6, 0x0
	.amdhsa_kernel _ZN2at6native6sbtopk10gatherTopKIN3c104HalfEjLi2ELb0EEEvNS_4cuda6detail10TensorInfoIKT_T0_EESA_SA_bSA_SA_NS7_IS8_SA_EESA_NS7_IlSA_EESA_PS8_
		.amdhsa_group_segment_fixed_size 4112
		.amdhsa_private_segment_fixed_size 0
		.amdhsa_kernarg_size 952
		.amdhsa_user_sgpr_count 6
		.amdhsa_user_sgpr_private_segment_buffer 1
		.amdhsa_user_sgpr_dispatch_ptr 0
		.amdhsa_user_sgpr_queue_ptr 0
		.amdhsa_user_sgpr_kernarg_segment_ptr 1
		.amdhsa_user_sgpr_dispatch_id 0
		.amdhsa_user_sgpr_flat_scratch_init 0
		.amdhsa_user_sgpr_kernarg_preload_length 0
		.amdhsa_user_sgpr_kernarg_preload_offset 0
		.amdhsa_user_sgpr_private_segment_size 0
		.amdhsa_uses_dynamic_stack 0
		.amdhsa_system_sgpr_private_segment_wavefront_offset 0
		.amdhsa_system_sgpr_workgroup_id_x 1
		.amdhsa_system_sgpr_workgroup_id_y 1
		.amdhsa_system_sgpr_workgroup_id_z 1
		.amdhsa_system_sgpr_workgroup_info 0
		.amdhsa_system_vgpr_workitem_id 0
		.amdhsa_next_free_vgpr 56
		.amdhsa_next_free_sgpr 96
		.amdhsa_accum_offset 56
		.amdhsa_reserve_vcc 1
		.amdhsa_reserve_flat_scratch 0
		.amdhsa_float_round_mode_32 0
		.amdhsa_float_round_mode_16_64 0
		.amdhsa_float_denorm_mode_32 3
		.amdhsa_float_denorm_mode_16_64 3
		.amdhsa_dx10_clamp 1
		.amdhsa_ieee_mode 1
		.amdhsa_fp16_overflow 0
		.amdhsa_tg_split 0
		.amdhsa_exception_fp_ieee_invalid_op 0
		.amdhsa_exception_fp_denorm_src 0
		.amdhsa_exception_fp_ieee_div_zero 0
		.amdhsa_exception_fp_ieee_overflow 0
		.amdhsa_exception_fp_ieee_underflow 0
		.amdhsa_exception_fp_ieee_inexact 0
		.amdhsa_exception_int_div_zero 0
	.end_amdhsa_kernel
	.section	.text._ZN2at6native6sbtopk10gatherTopKIN3c104HalfEjLi2ELb0EEEvNS_4cuda6detail10TensorInfoIKT_T0_EESA_SA_bSA_SA_NS7_IS8_SA_EESA_NS7_IlSA_EESA_PS8_,"axG",@progbits,_ZN2at6native6sbtopk10gatherTopKIN3c104HalfEjLi2ELb0EEEvNS_4cuda6detail10TensorInfoIKT_T0_EESA_SA_bSA_SA_NS7_IS8_SA_EESA_NS7_IlSA_EESA_PS8_,comdat
.Lfunc_end98:
	.size	_ZN2at6native6sbtopk10gatherTopKIN3c104HalfEjLi2ELb0EEEvNS_4cuda6detail10TensorInfoIKT_T0_EESA_SA_bSA_SA_NS7_IS8_SA_EESA_NS7_IlSA_EESA_PS8_, .Lfunc_end98-_ZN2at6native6sbtopk10gatherTopKIN3c104HalfEjLi2ELb0EEEvNS_4cuda6detail10TensorInfoIKT_T0_EESA_SA_bSA_SA_NS7_IS8_SA_EESA_NS7_IlSA_EESA_PS8_
                                        ; -- End function
	.section	.AMDGPU.csdata,"",@progbits
; Kernel info:
; codeLenInByte = 16892
; NumSgprs: 100
; NumVgprs: 56
; NumAgprs: 0
; TotalNumVgprs: 56
; ScratchSize: 0
; MemoryBound: 0
; FloatMode: 240
; IeeeMode: 1
; LDSByteSize: 4112 bytes/workgroup (compile time only)
; SGPRBlocks: 12
; VGPRBlocks: 6
; NumSGPRsForWavesPerEU: 100
; NumVGPRsForWavesPerEU: 56
; AccumOffset: 56
; Occupancy: 8
; WaveLimiterHint : 1
; COMPUTE_PGM_RSRC2:SCRATCH_EN: 0
; COMPUTE_PGM_RSRC2:USER_SGPR: 6
; COMPUTE_PGM_RSRC2:TRAP_HANDLER: 0
; COMPUTE_PGM_RSRC2:TGID_X_EN: 1
; COMPUTE_PGM_RSRC2:TGID_Y_EN: 1
; COMPUTE_PGM_RSRC2:TGID_Z_EN: 1
; COMPUTE_PGM_RSRC2:TIDIG_COMP_CNT: 0
; COMPUTE_PGM_RSRC3_GFX90A:ACCUM_OFFSET: 13
; COMPUTE_PGM_RSRC3_GFX90A:TG_SPLIT: 0
	.section	.text._ZN2at6native6mbtopk23computeBlockDigitCountsIN3c104HalfEjjLi3EEEvNS_4cuda6detail10TensorInfoIKT_T0_EEjPjjSA_iijT1_PSD_Ps,"axG",@progbits,_ZN2at6native6mbtopk23computeBlockDigitCountsIN3c104HalfEjjLi3EEEvNS_4cuda6detail10TensorInfoIKT_T0_EEjPjjSA_iijT1_PSD_Ps,comdat
	.protected	_ZN2at6native6mbtopk23computeBlockDigitCountsIN3c104HalfEjjLi3EEEvNS_4cuda6detail10TensorInfoIKT_T0_EEjPjjSA_iijT1_PSD_Ps ; -- Begin function _ZN2at6native6mbtopk23computeBlockDigitCountsIN3c104HalfEjjLi3EEEvNS_4cuda6detail10TensorInfoIKT_T0_EEjPjjSA_iijT1_PSD_Ps
	.globl	_ZN2at6native6mbtopk23computeBlockDigitCountsIN3c104HalfEjjLi3EEEvNS_4cuda6detail10TensorInfoIKT_T0_EEjPjjSA_iijT1_PSD_Ps
	.p2align	8
	.type	_ZN2at6native6mbtopk23computeBlockDigitCountsIN3c104HalfEjjLi3EEEvNS_4cuda6detail10TensorInfoIKT_T0_EEjPjjSA_iijT1_PSD_Ps,@function
_ZN2at6native6mbtopk23computeBlockDigitCountsIN3c104HalfEjjLi3EEEvNS_4cuda6detail10TensorInfoIKT_T0_EEjPjjSA_iijT1_PSD_Ps: ; @_ZN2at6native6mbtopk23computeBlockDigitCountsIN3c104HalfEjjLi3EEEvNS_4cuda6detail10TensorInfoIKT_T0_EEjPjjSA_iijT1_PSD_Ps
; %bb.0:
	s_load_dwordx2 s[10:11], s[4:5], 0xf8
	s_load_dwordx4 s[12:15], s[4:5], 0xe8
	s_load_dwordx2 s[0:1], s[4:5], 0x110
	s_waitcnt lgkmcnt(0)
	v_cvt_f32_u32_e32 v1, s10
	s_sub_i32 s2, 0, s10
	s_mul_i32 s1, s1, s8
	s_add_i32 s1, s1, s7
	v_rcp_iflag_f32_e32 v1, v1
	s_mul_i32 s18, s1, s0
	s_add_i32 s18, s18, s6
	s_mov_b32 s7, 0
	v_mul_f32_e32 v1, 0x4f7ffffe, v1
	v_cvt_u32_f32_e32 v1, v1
	v_readfirstlane_b32 s0, v1
	s_mul_i32 s2, s2, s0
	s_mul_hi_u32 s1, s0, s2
	s_add_i32 s0, s0, s1
	s_mul_hi_u32 s0, s18, s0
	s_mul_i32 s1, s0, s10
	s_sub_i32 s1, s18, s1
	s_add_i32 s2, s0, 1
	s_sub_i32 s3, s1, s10
	s_cmp_ge_u32 s1, s10
	s_cselect_b32 s0, s2, s0
	s_cselect_b32 s1, s3, s1
	s_add_i32 s2, s0, 1
	s_cmp_ge_u32 s1, s10
	s_cselect_b32 s6, s2, s0
	s_cmp_ge_u32 s6, s12
	s_cbranch_scc1 .LBB99_29
; %bb.1:
	s_load_dwordx2 s[8:9], s[4:5], 0xc
	s_load_dwordx4 s[0:3], s[4:5], 0x100
	s_lshl_b64 s[16:17], s[6:7], 2
	s_movk_i32 s7, 0x100
	v_cmp_gt_u32_e32 vcc, s7, v0
	s_waitcnt lgkmcnt(0)
	v_cvt_f32_u32_e32 v1, s9
	v_cvt_f32_u32_e32 v2, s8
	s_add_u32 s0, s0, s16
	s_addc_u32 s1, s1, s17
	v_rcp_iflag_f32_e32 v1, v1
	s_sub_i32 s12, 0, s9
	v_rcp_iflag_f32_e32 v2, v2
	v_mul_f32_e32 v1, 0x4f7ffffe, v1
	v_cvt_u32_f32_e32 v1, v1
	v_mul_f32_e32 v2, 0x4f7ffffe, v2
	v_cvt_u32_f32_e32 v2, v2
	v_readfirstlane_b32 s16, v1
	s_mul_i32 s12, s12, s16
	s_mul_hi_u32 s12, s16, s12
	s_add_i32 s16, s16, s12
	s_mul_hi_u32 s12, s6, s16
	s_mul_i32 s16, s12, s9
	s_sub_i32 s16, s6, s16
	s_add_i32 s17, s12, 1
	s_sub_i32 s19, s16, s9
	s_cmp_ge_u32 s16, s9
	s_cselect_b32 s12, s17, s12
	s_cselect_b32 s16, s19, s16
	s_add_i32 s17, s12, 1
	s_cmp_ge_u32 s16, s9
	v_readfirstlane_b32 s20, v2
	s_cselect_b32 s19, s17, s12
	v_lshlrev_b32_e32 v1, 2, v0
	s_and_saveexec_b64 s[16:17], vcc
	s_cbranch_execz .LBB99_3
; %bb.2:
	v_mov_b32_e32 v2, 0
	ds_write_b32 v1, v2
.LBB99_3:
	s_or_b64 exec, exec, s[16:17]
	s_load_dword s12, s[4:5], 0xd8
	s_mul_i32 s7, s6, s10
	s_sub_i32 s7, s18, s7
	s_add_i32 s17, s7, 1
	s_mul_i32 s7, s15, s7
	s_lshl_b32 s16, s7, 8
	s_waitcnt lgkmcnt(0)
	s_sub_i32 s7, s12, s16
	s_add_u32 s7, s7, 0xff
	s_addc_u32 s21, 0, 0
	v_mov_b32_e32 v2, s7
	v_alignbit_b32 v2, s21, v2, 8
	s_cmp_lt_u32 s17, s10
	v_readfirstlane_b32 s7, v2
	s_cselect_b32 s15, s15, s7
	s_cmp_lt_i32 s15, 1
	s_mov_b32 s7, 0
	s_barrier
	s_cbranch_scc1 .LBB99_25
; %bb.4:
	s_sub_i32 s10, 0, s8
	s_mul_i32 s10, s10, s20
	s_mul_hi_u32 s10, s20, s10
	s_add_i32 s10, s20, s10
	s_load_dwordx4 s[20:23], s[4:5], 0x6c
	s_load_dwordx2 s[24:25], s[4:5], 0x0
	s_mul_hi_u32 s4, s19, s10
	s_load_dword s10, s[0:1], 0x0
	s_mul_i32 s1, s4, s8
	s_mul_i32 s0, s19, s9
	s_sub_i32 s1, s19, s1
	s_sub_i32 s0, s6, s0
	s_add_i32 s5, s4, 1
	s_sub_i32 s6, s1, s8
	s_cmp_ge_u32 s1, s8
	s_cselect_b32 s4, s5, s4
	s_cselect_b32 s1, s6, s1
	s_add_i32 s5, s4, 1
	s_cmp_ge_u32 s1, s8
	s_cselect_b32 s1, s5, s4
	s_mul_i32 s4, s1, s8
	s_sub_i32 s4, s19, s4
	s_waitcnt lgkmcnt(0)
	s_mul_i32 s0, s0, s22
	s_mul_i32 s4, s4, s21
	s_add_i32 s0, s4, s0
	s_mul_i32 s1, s1, s20
	s_add_i32 s6, s0, s1
	s_lshl_b64 s[0:1], s[6:7], 1
	s_add_u32 s6, s24, s0
	s_addc_u32 s8, s25, s1
	s_and_b32 s9, s14, 0xff
	s_cmp_lt_u32 s15, 4
	s_cbranch_scc1 .LBB99_19
; %bb.5:
	v_add_u32_e32 v2, s16, v0
	v_add_u32_e32 v3, 0x200, v2
	v_add_u32_e32 v4, 0x300, v2
	v_mul_lo_u32 v6, s13, v3
	v_add_u32_e32 v3, 0x100, v2
	s_and_b32 s7, s15, 0x7ffffffc
	v_mul_lo_u32 v5, s13, v4
	s_lshl_b32 s14, s13, 10
	v_mul_lo_u32 v7, s13, v3
	v_mul_lo_u32 v8, s13, v2
	s_mov_b32 s17, 0
	v_mov_b32_e32 v3, 0
	v_mov_b32_e32 v9, 1
	;; [unrolled: 1-line block ×4, first 2 shown]
	s_mov_b32 s19, 0
	s_branch .LBB99_7
.LBB99_6:                               ;   in Loop: Header=BB99_7 Depth=1
	s_or_b64 exec, exec, s[4:5]
	s_add_i32 s19, s19, 4
	s_add_i32 s17, s17, s14
	s_cmp_eq_u32 s7, s19
	v_add_u32_e32 v4, 0x400, v4
	s_cbranch_scc1 .LBB99_19
.LBB99_7:                               ; =>This Inner Loop Header: Depth=1
	v_add_u32_e32 v2, 0xfffffd00, v4
	v_cmp_gt_u32_e64 s[0:1], s12, v2
	s_and_saveexec_b64 s[4:5], s[0:1]
	s_cbranch_execz .LBB99_10
; %bb.8:                                ;   in Loop: Header=BB99_7 Depth=1
	v_add_u32_e32 v2, s17, v8
	v_lshlrev_b64 v[12:13], 1, v[2:3]
	v_mov_b32_e32 v2, s8
	v_add_co_u32_e64 v12, s[0:1], s6, v12
	v_addc_co_u32_e64 v13, s[0:1], v2, v13, s[0:1]
	global_load_ushort v2, v[12:13], off
	s_waitcnt vmcnt(0)
	v_cmp_lt_i16_e64 s[0:1], -1, v2
	v_cndmask_b32_e64 v12, v10, v11, s[0:1]
	v_xor_b32_sdwa v12, v12, v2 dst_sel:DWORD dst_unused:UNUSED_PAD src0_sel:DWORD src1_sel:WORD_0
	v_cmp_o_f16_e64 s[0:1], v2, v2
	v_cndmask_b32_e64 v2, v10, v12, s[0:1]
	v_xor_b32_e32 v12, s10, v2
	v_and_b32_e32 v12, s11, v12
	v_cmp_eq_u32_e64 s[0:1], 0, v12
	s_and_b64 exec, exec, s[0:1]
	s_cbranch_execz .LBB99_10
; %bb.9:                                ;   in Loop: Header=BB99_7 Depth=1
	v_bfe_u32 v2, v2, s9, 8
	v_lshlrev_b32_e32 v2, 2, v2
	ds_add_u32 v2, v9
.LBB99_10:                              ;   in Loop: Header=BB99_7 Depth=1
	s_or_b64 exec, exec, s[4:5]
	v_add_u32_e32 v2, 0xfffffe00, v4
	v_cmp_gt_u32_e64 s[0:1], s12, v2
	s_and_saveexec_b64 s[4:5], s[0:1]
	s_cbranch_execz .LBB99_13
; %bb.11:                               ;   in Loop: Header=BB99_7 Depth=1
	v_add_u32_e32 v2, s17, v7
	v_lshlrev_b64 v[12:13], 1, v[2:3]
	v_mov_b32_e32 v2, s8
	v_add_co_u32_e64 v12, s[0:1], s6, v12
	v_addc_co_u32_e64 v13, s[0:1], v2, v13, s[0:1]
	global_load_ushort v2, v[12:13], off
	s_waitcnt vmcnt(0)
	v_cmp_lt_i16_e64 s[0:1], -1, v2
	v_cndmask_b32_e64 v12, v10, v11, s[0:1]
	v_xor_b32_sdwa v12, v12, v2 dst_sel:DWORD dst_unused:UNUSED_PAD src0_sel:DWORD src1_sel:WORD_0
	v_cmp_o_f16_e64 s[0:1], v2, v2
	v_cndmask_b32_e64 v2, v10, v12, s[0:1]
	v_xor_b32_e32 v12, s10, v2
	v_and_b32_e32 v12, s11, v12
	v_cmp_eq_u32_e64 s[0:1], 0, v12
	s_and_b64 exec, exec, s[0:1]
	s_cbranch_execz .LBB99_13
; %bb.12:                               ;   in Loop: Header=BB99_7 Depth=1
	v_bfe_u32 v2, v2, s9, 8
	v_lshlrev_b32_e32 v2, 2, v2
	ds_add_u32 v2, v9
.LBB99_13:                              ;   in Loop: Header=BB99_7 Depth=1
	s_or_b64 exec, exec, s[4:5]
	v_add_u32_e32 v2, 0xffffff00, v4
	v_cmp_gt_u32_e64 s[0:1], s12, v2
	s_and_saveexec_b64 s[4:5], s[0:1]
	s_cbranch_execz .LBB99_16
; %bb.14:                               ;   in Loop: Header=BB99_7 Depth=1
	v_add_u32_e32 v2, s17, v6
	v_lshlrev_b64 v[12:13], 1, v[2:3]
	v_mov_b32_e32 v2, s8
	v_add_co_u32_e64 v12, s[0:1], s6, v12
	v_addc_co_u32_e64 v13, s[0:1], v2, v13, s[0:1]
	global_load_ushort v2, v[12:13], off
	s_waitcnt vmcnt(0)
	v_cmp_lt_i16_e64 s[0:1], -1, v2
	v_cndmask_b32_e64 v12, v10, v11, s[0:1]
	v_xor_b32_sdwa v12, v12, v2 dst_sel:DWORD dst_unused:UNUSED_PAD src0_sel:DWORD src1_sel:WORD_0
	v_cmp_o_f16_e64 s[0:1], v2, v2
	v_cndmask_b32_e64 v2, v10, v12, s[0:1]
	v_xor_b32_e32 v12, s10, v2
	v_and_b32_e32 v12, s11, v12
	v_cmp_eq_u32_e64 s[0:1], 0, v12
	s_and_b64 exec, exec, s[0:1]
	s_cbranch_execz .LBB99_16
; %bb.15:                               ;   in Loop: Header=BB99_7 Depth=1
	v_bfe_u32 v2, v2, s9, 8
	v_lshlrev_b32_e32 v2, 2, v2
	ds_add_u32 v2, v9
.LBB99_16:                              ;   in Loop: Header=BB99_7 Depth=1
	s_or_b64 exec, exec, s[4:5]
	v_cmp_gt_u32_e64 s[0:1], s12, v4
	s_and_saveexec_b64 s[4:5], s[0:1]
	s_cbranch_execz .LBB99_6
; %bb.17:                               ;   in Loop: Header=BB99_7 Depth=1
	v_add_u32_e32 v2, s17, v5
	v_lshlrev_b64 v[12:13], 1, v[2:3]
	v_mov_b32_e32 v2, s8
	v_add_co_u32_e64 v12, s[0:1], s6, v12
	v_addc_co_u32_e64 v13, s[0:1], v2, v13, s[0:1]
	global_load_ushort v2, v[12:13], off
	s_waitcnt vmcnt(0)
	v_cmp_lt_i16_e64 s[0:1], -1, v2
	v_cndmask_b32_e64 v12, v10, v11, s[0:1]
	v_xor_b32_sdwa v12, v12, v2 dst_sel:DWORD dst_unused:UNUSED_PAD src0_sel:DWORD src1_sel:WORD_0
	v_cmp_o_f16_e64 s[0:1], v2, v2
	v_cndmask_b32_e64 v2, v10, v12, s[0:1]
	v_xor_b32_e32 v12, s10, v2
	v_and_b32_e32 v12, s11, v12
	v_cmp_eq_u32_e64 s[0:1], 0, v12
	s_and_b64 exec, exec, s[0:1]
	s_cbranch_execz .LBB99_6
; %bb.18:                               ;   in Loop: Header=BB99_7 Depth=1
	v_bfe_u32 v2, v2, s9, 8
	v_lshlrev_b32_e32 v2, 2, v2
	ds_add_u32 v2, v9
	s_branch .LBB99_6
.LBB99_19:
	s_and_b32 s14, s15, 3
	s_cmp_eq_u32 s14, 0
	s_cbranch_scc1 .LBB99_25
; %bb.20:
	s_lshl_b32 s0, s7, 8
	s_add_i32 s0, s0, s16
	v_add_u32_e32 v4, s0, v0
	v_mul_lo_u32 v2, s13, v4
	s_lshl_b32 s7, s13, 8
	v_mov_b32_e32 v3, 0
	v_mov_b32_e32 v5, 1
	;; [unrolled: 1-line block ×4, first 2 shown]
	s_branch .LBB99_22
.LBB99_21:                              ;   in Loop: Header=BB99_22 Depth=1
	s_or_b64 exec, exec, s[4:5]
	s_add_i32 s14, s14, -1
	v_add_u32_e32 v2, s7, v2
	s_cmp_lg_u32 s14, 0
	v_add_u32_e32 v4, 0x100, v4
	s_cbranch_scc0 .LBB99_25
.LBB99_22:                              ; =>This Inner Loop Header: Depth=1
	v_cmp_gt_u32_e64 s[0:1], s12, v4
	s_and_saveexec_b64 s[4:5], s[0:1]
	s_cbranch_execz .LBB99_21
; %bb.23:                               ;   in Loop: Header=BB99_22 Depth=1
	v_lshlrev_b64 v[8:9], 1, v[2:3]
	v_mov_b32_e32 v10, s8
	v_add_co_u32_e64 v8, s[0:1], s6, v8
	v_addc_co_u32_e64 v9, s[0:1], v10, v9, s[0:1]
	global_load_ushort v8, v[8:9], off
	s_waitcnt vmcnt(0)
	v_cmp_lt_i16_e64 s[0:1], -1, v8
	v_cndmask_b32_e64 v9, v6, v7, s[0:1]
	v_xor_b32_sdwa v9, v9, v8 dst_sel:DWORD dst_unused:UNUSED_PAD src0_sel:DWORD src1_sel:WORD_0
	v_cmp_o_f16_e64 s[0:1], v8, v8
	v_cndmask_b32_e64 v8, v6, v9, s[0:1]
	v_xor_b32_e32 v9, s10, v8
	v_and_b32_e32 v9, s11, v9
	v_cmp_eq_u32_e64 s[0:1], 0, v9
	s_and_b64 exec, exec, s[0:1]
	s_cbranch_execz .LBB99_21
; %bb.24:                               ;   in Loop: Header=BB99_22 Depth=1
	v_bfe_u32 v8, v8, s9, 8
	v_lshlrev_b32_e32 v8, 2, v8
	ds_add_u32 v8, v5
	s_branch .LBB99_21
.LBB99_25:
	v_mov_b32_e32 v2, 0
	s_waitcnt lgkmcnt(0)
	s_barrier
	s_and_saveexec_b64 s[0:1], vcc
	s_cbranch_execz .LBB99_27
; %bb.26:
	ds_read_b32 v2, v1
.LBB99_27:
	s_or_b64 exec, exec, s[0:1]
	s_and_saveexec_b64 s[0:1], vcc
	s_cbranch_execz .LBB99_29
; %bb.28:
	v_lshl_or_b32 v0, s18, 8, v0
	v_mov_b32_e32 v1, 0
	v_lshlrev_b64 v[0:1], 1, v[0:1]
	v_mov_b32_e32 v3, s3
	v_add_co_u32_e32 v0, vcc, s2, v0
	v_addc_co_u32_e32 v1, vcc, v3, v1, vcc
	s_waitcnt lgkmcnt(0)
	global_store_short v[0:1], v2, off
.LBB99_29:
	s_endpgm
	.section	.rodata,"a",@progbits
	.p2align	6, 0x0
	.amdhsa_kernel _ZN2at6native6mbtopk23computeBlockDigitCountsIN3c104HalfEjjLi3EEEvNS_4cuda6detail10TensorInfoIKT_T0_EEjPjjSA_iijT1_PSD_Ps
		.amdhsa_group_segment_fixed_size 1024
		.amdhsa_private_segment_fixed_size 0
		.amdhsa_kernarg_size 528
		.amdhsa_user_sgpr_count 6
		.amdhsa_user_sgpr_private_segment_buffer 1
		.amdhsa_user_sgpr_dispatch_ptr 0
		.amdhsa_user_sgpr_queue_ptr 0
		.amdhsa_user_sgpr_kernarg_segment_ptr 1
		.amdhsa_user_sgpr_dispatch_id 0
		.amdhsa_user_sgpr_flat_scratch_init 0
		.amdhsa_user_sgpr_kernarg_preload_length 0
		.amdhsa_user_sgpr_kernarg_preload_offset 0
		.amdhsa_user_sgpr_private_segment_size 0
		.amdhsa_uses_dynamic_stack 0
		.amdhsa_system_sgpr_private_segment_wavefront_offset 0
		.amdhsa_system_sgpr_workgroup_id_x 1
		.amdhsa_system_sgpr_workgroup_id_y 1
		.amdhsa_system_sgpr_workgroup_id_z 1
		.amdhsa_system_sgpr_workgroup_info 0
		.amdhsa_system_vgpr_workitem_id 0
		.amdhsa_next_free_vgpr 14
		.amdhsa_next_free_sgpr 26
		.amdhsa_accum_offset 16
		.amdhsa_reserve_vcc 1
		.amdhsa_reserve_flat_scratch 0
		.amdhsa_float_round_mode_32 0
		.amdhsa_float_round_mode_16_64 0
		.amdhsa_float_denorm_mode_32 3
		.amdhsa_float_denorm_mode_16_64 3
		.amdhsa_dx10_clamp 1
		.amdhsa_ieee_mode 1
		.amdhsa_fp16_overflow 0
		.amdhsa_tg_split 0
		.amdhsa_exception_fp_ieee_invalid_op 0
		.amdhsa_exception_fp_denorm_src 0
		.amdhsa_exception_fp_ieee_div_zero 0
		.amdhsa_exception_fp_ieee_overflow 0
		.amdhsa_exception_fp_ieee_underflow 0
		.amdhsa_exception_fp_ieee_inexact 0
		.amdhsa_exception_int_div_zero 0
	.end_amdhsa_kernel
	.section	.text._ZN2at6native6mbtopk23computeBlockDigitCountsIN3c104HalfEjjLi3EEEvNS_4cuda6detail10TensorInfoIKT_T0_EEjPjjSA_iijT1_PSD_Ps,"axG",@progbits,_ZN2at6native6mbtopk23computeBlockDigitCountsIN3c104HalfEjjLi3EEEvNS_4cuda6detail10TensorInfoIKT_T0_EEjPjjSA_iijT1_PSD_Ps,comdat
.Lfunc_end99:
	.size	_ZN2at6native6mbtopk23computeBlockDigitCountsIN3c104HalfEjjLi3EEEvNS_4cuda6detail10TensorInfoIKT_T0_EEjPjjSA_iijT1_PSD_Ps, .Lfunc_end99-_ZN2at6native6mbtopk23computeBlockDigitCountsIN3c104HalfEjjLi3EEEvNS_4cuda6detail10TensorInfoIKT_T0_EEjPjjSA_iijT1_PSD_Ps
                                        ; -- End function
	.section	.AMDGPU.csdata,"",@progbits
; Kernel info:
; codeLenInByte = 1632
; NumSgprs: 30
; NumVgprs: 14
; NumAgprs: 0
; TotalNumVgprs: 14
; ScratchSize: 0
; MemoryBound: 0
; FloatMode: 240
; IeeeMode: 1
; LDSByteSize: 1024 bytes/workgroup (compile time only)
; SGPRBlocks: 3
; VGPRBlocks: 1
; NumSGPRsForWavesPerEU: 30
; NumVGPRsForWavesPerEU: 14
; AccumOffset: 16
; Occupancy: 8
; WaveLimiterHint : 1
; COMPUTE_PGM_RSRC2:SCRATCH_EN: 0
; COMPUTE_PGM_RSRC2:USER_SGPR: 6
; COMPUTE_PGM_RSRC2:TRAP_HANDLER: 0
; COMPUTE_PGM_RSRC2:TGID_X_EN: 1
; COMPUTE_PGM_RSRC2:TGID_Y_EN: 1
; COMPUTE_PGM_RSRC2:TGID_Z_EN: 1
; COMPUTE_PGM_RSRC2:TIDIG_COMP_CNT: 0
; COMPUTE_PGM_RSRC3_GFX90A:ACCUM_OFFSET: 3
; COMPUTE_PGM_RSRC3_GFX90A:TG_SPLIT: 0
	.section	.text._ZN2at6native6mbtopk10gatherTopKIN3c104HalfEjLi3EEEvNS_4cuda6detail10TensorInfoIKT_T0_EESA_SA_bjSA_NS7_IS8_SA_EESA_NS7_IlSA_EESA_jjPS8_PjSF_j,"axG",@progbits,_ZN2at6native6mbtopk10gatherTopKIN3c104HalfEjLi3EEEvNS_4cuda6detail10TensorInfoIKT_T0_EESA_SA_bjSA_NS7_IS8_SA_EESA_NS7_IlSA_EESA_jjPS8_PjSF_j,comdat
	.protected	_ZN2at6native6mbtopk10gatherTopKIN3c104HalfEjLi3EEEvNS_4cuda6detail10TensorInfoIKT_T0_EESA_SA_bjSA_NS7_IS8_SA_EESA_NS7_IlSA_EESA_jjPS8_PjSF_j ; -- Begin function _ZN2at6native6mbtopk10gatherTopKIN3c104HalfEjLi3EEEvNS_4cuda6detail10TensorInfoIKT_T0_EESA_SA_bjSA_NS7_IS8_SA_EESA_NS7_IlSA_EESA_jjPS8_PjSF_j
	.globl	_ZN2at6native6mbtopk10gatherTopKIN3c104HalfEjLi3EEEvNS_4cuda6detail10TensorInfoIKT_T0_EESA_SA_bjSA_NS7_IS8_SA_EESA_NS7_IlSA_EESA_jjPS8_PjSF_j
	.p2align	8
	.type	_ZN2at6native6mbtopk10gatherTopKIN3c104HalfEjLi3EEEvNS_4cuda6detail10TensorInfoIKT_T0_EESA_SA_bjSA_NS7_IS8_SA_EESA_NS7_IlSA_EESA_jjPS8_PjSF_j,@function
_ZN2at6native6mbtopk10gatherTopKIN3c104HalfEjLi3EEEvNS_4cuda6detail10TensorInfoIKT_T0_EESA_SA_bjSA_NS7_IS8_SA_EESA_NS7_IlSA_EESA_jjPS8_PjSF_j: ; @_ZN2at6native6mbtopk10gatherTopKIN3c104HalfEjLi3EEEvNS_4cuda6detail10TensorInfoIKT_T0_EESA_SA_bjSA_NS7_IS8_SA_EESA_NS7_IlSA_EESA_jjPS8_PjSF_j
; %bb.0:
	s_load_dwordx2 s[0:1], s[4:5], 0x2d8
	s_load_dword s2, s[4:5], 0x2d0
	s_waitcnt lgkmcnt(0)
	s_mul_i32 s1, s1, s8
	s_add_i32 s1, s1, s7
	s_mul_i32 s0, s1, s0
	s_add_i32 s0, s0, s6
	s_cmp_ge_u32 s0, s2
	s_cbranch_scc1 .LBB100_40
; %bb.1:
	s_load_dwordx8 s[8:15], s[4:5], 0x2a8
	s_load_dwordx2 s[36:37], s[4:5], 0xc
	s_load_dwordx2 s[40:41], s[4:5], 0xfc
	;; [unrolled: 1-line block ×4, first 2 shown]
	s_mov_b32 s39, 0
	s_waitcnt lgkmcnt(0)
	v_cvt_f32_u32_e32 v1, s10
	s_sub_i32 s1, 0, s10
	v_cvt_f32_u32_e32 v2, s37
	v_rcp_iflag_f32_e32 v1, v1
	v_rcp_iflag_f32_e32 v2, v2
	v_mul_f32_e32 v1, 0x4f7ffffe, v1
	v_cvt_u32_f32_e32 v1, v1
	v_mul_f32_e32 v2, 0x4f7ffffe, v2
	v_cvt_u32_f32_e32 v2, v2
	v_readfirstlane_b32 s2, v1
	s_mul_i32 s1, s1, s2
	s_mul_hi_u32 s1, s2, s1
	s_add_i32 s2, s2, s1
	s_mul_hi_u32 s1, s0, s2
	s_mul_i32 s2, s1, s10
	s_sub_i32 s2, s0, s2
	s_add_i32 s3, s1, 1
	s_sub_i32 s11, s2, s10
	s_cmp_ge_u32 s2, s10
	s_cselect_b32 s1, s3, s1
	s_cselect_b32 s2, s11, s2
	s_add_i32 s3, s1, 1
	s_cmp_ge_u32 s2, s10
	s_cselect_b32 s38, s3, s1
	v_cvt_f32_u32_e32 v1, s36
	s_mul_i32 s28, s38, s10
	s_sub_i32 s1, 0, s37
	s_sub_i32 s11, s0, s28
	v_readfirstlane_b32 s0, v2
	s_mul_i32 s1, s1, s0
	s_mul_hi_u32 s1, s0, s1
	v_rcp_iflag_f32_e32 v1, v1
	s_add_i32 s0, s0, s1
	v_cvt_f32_u32_e32 v2, s41
	s_mul_hi_u32 s0, s38, s0
	s_mul_i32 s1, s0, s37
	s_sub_i32 s1, s38, s1
	v_mul_f32_e32 v1, 0x4f7ffffe, v1
	s_add_i32 s2, s0, 1
	s_sub_i32 s3, s1, s37
	v_cvt_u32_f32_e32 v1, v1
	v_rcp_iflag_f32_e32 v2, v2
	s_cmp_ge_u32 s1, s37
	s_cselect_b32 s0, s2, s0
	s_cselect_b32 s1, s3, s1
	s_add_i32 s2, s0, 1
	s_cmp_ge_u32 s1, s37
	v_readfirstlane_b32 s1, v1
	v_mul_f32_e32 v1, 0x4f7ffffe, v2
	v_cvt_u32_f32_e32 v1, v1
	s_cselect_b32 s33, s2, s0
	s_sub_i32 s0, 0, s36
	s_mul_i32 s0, s0, s1
	s_mul_hi_u32 s0, s1, s0
	s_add_i32 s2, s1, s0
	v_readfirstlane_b32 s1, v1
	v_cvt_f32_u32_e32 v1, s40
	s_sub_i32 s0, 0, s41
	s_mul_i32 s0, s0, s1
	s_mul_hi_u32 s0, s1, s0
	v_rcp_iflag_f32_e32 v1, v1
	s_add_i32 s1, s1, s0
	v_cvt_f32_u32_e32 v2, s35
	s_mul_hi_u32 s0, s38, s1
	s_mul_i32 s1, s0, s41
	s_sub_i32 s1, s38, s1
	v_mul_f32_e32 v1, 0x4f7ffffe, v1
	s_add_i32 s3, s0, 1
	s_sub_i32 s16, s1, s41
	v_cvt_u32_f32_e32 v1, v1
	v_rcp_iflag_f32_e32 v2, v2
	s_cmp_ge_u32 s1, s41
	s_cselect_b32 s0, s3, s0
	s_cselect_b32 s1, s16, s1
	s_add_i32 s3, s0, 1
	s_cmp_ge_u32 s1, s41
	v_readfirstlane_b32 s1, v1
	v_mul_f32_e32 v1, 0x4f7ffffe, v2
	v_cvt_u32_f32_e32 v1, v1
	s_cselect_b32 s52, s3, s0
	s_sub_i32 s0, 0, s40
	s_mul_i32 s0, s0, s1
	s_mul_hi_u32 s0, s1, s0
	s_add_i32 s3, s1, s0
	v_readfirstlane_b32 s1, v1
	v_cvt_f32_u32_e32 v1, s34
	s_sub_i32 s0, 0, s35
	s_mul_i32 s0, s0, s1
	s_mul_hi_u32 s0, s1, s0
	s_add_i32 s1, s1, s0
	v_rcp_iflag_f32_e32 v1, v1
	s_mul_hi_u32 s0, s38, s1
	s_mul_i32 s1, s0, s35
	s_sub_i32 s1, s38, s1
	s_add_i32 s16, s0, 1
	s_sub_i32 s17, s1, s35
	v_mul_f32_e32 v1, 0x4f7ffffe, v1
	s_cmp_ge_u32 s1, s35
	v_cvt_u32_f32_e32 v1, v1
	s_cselect_b32 s0, s16, s0
	s_cselect_b32 s1, s17, s1
	s_add_i32 s16, s0, 1
	s_cmp_ge_u32 s1, s35
	s_cselect_b32 s53, s16, s0
	s_sub_i32 s0, 0, s34
	v_readfirstlane_b32 s1, v1
	s_mul_i32 s0, s0, s1
	s_mul_hi_u32 s0, s1, s0
	s_add_i32 s29, s1, s0
	s_lshl_b64 s[0:1], s[38:39], 1
	s_add_u32 s0, s12, s0
	s_addc_u32 s1, s13, s1
	v_mov_b32_e32 v1, 0
	global_load_ushort v1, v1, s[0:1]
	s_load_dwordx2 s[44:45], s[4:5], 0x0
	s_load_dwordx4 s[20:23], s[4:5], 0x15c
	s_load_dwordx4 s[16:19], s[4:5], 0x23c
	s_load_dwordx2 s[42:43], s[4:5], 0xf0
	s_load_dwordx4 s[24:27], s[4:5], 0x6c
	v_cmp_ne_u32_e64 s[0:1], 0, v0
	s_mul_hi_u32 s54, s33, s2
	s_waitcnt lgkmcnt(0)
	s_mul_hi_u32 s27, s52, s3
	s_mul_hi_u32 s19, s53, s29
	v_cmp_eq_u32_e64 s[2:3], 0, v0
	s_waitcnt vmcnt(0)
	v_readfirstlane_b32 s23, v1
	s_and_saveexec_b64 s[12:13], s[2:3]
	s_cbranch_execz .LBB100_17
; %bb.2:
	s_load_dwordx2 s[46:47], s[4:5], 0x2c8
	s_mov_b32 s29, s39
	s_lshl_b64 s[48:49], s[28:29], 2
	s_add_u32 s28, s14, s48
	s_addc_u32 s29, s15, s49
	s_waitcnt lgkmcnt(0)
	s_add_u32 s30, s46, s48
	s_addc_u32 s31, s47, s49
	s_cmp_lt_u32 s10, 4
	s_cbranch_scc1 .LBB100_14
; %bb.3:
	s_mov_b32 s55, s39
	s_mov_b32 s56, s39
	;; [unrolled: 1-line block ×3, first 2 shown]
.LBB100_4:                              ; =>This Inner Loop Header: Depth=1
	s_add_u32 s28, s14, s48
	s_addc_u32 s29, s15, s49
	s_load_dwordx4 s[28:31], s[28:29], 0x0
	s_add_u32 s50, s46, s48
	s_addc_u32 s51, s47, s49
	s_cmp_ge_u32 s57, s11
	s_cbranch_scc0 .LBB100_11
; %bb.5:                                ;   in Loop: Header=BB100_4 Depth=1
	s_add_i32 s58, s57, 1
	s_cmp_ge_u32 s58, s11
	s_cbranch_scc0 .LBB100_12
.LBB100_6:                              ;   in Loop: Header=BB100_4 Depth=1
	s_add_i32 s58, s58, 1
	s_cmp_ge_u32 s58, s11
	s_cbranch_scc0 .LBB100_13
.LBB100_7:                              ;   in Loop: Header=BB100_4 Depth=1
	s_add_i32 s58, s58, 1
	s_cmp_ge_u32 s58, s11
	s_cbranch_scc1 .LBB100_9
.LBB100_8:                              ;   in Loop: Header=BB100_4 Depth=1
	s_load_dword s50, s[50:51], 0xc
	s_waitcnt lgkmcnt(0)
	s_add_i32 s39, s39, s31
	s_add_i32 s55, s50, s55
.LBB100_9:                              ;   in Loop: Header=BB100_4 Depth=1
	s_waitcnt lgkmcnt(0)
	s_add_i32 s28, s28, s56
	s_add_i32 s28, s28, s29
	;; [unrolled: 1-line block ×4, first 2 shown]
	s_add_u32 s14, s14, 16
	s_addc_u32 s15, s15, 0
	s_add_u32 s46, s46, 16
	s_addc_u32 s47, s47, 0
	s_add_i32 s51, s58, 4
	s_add_u32 s30, s46, s48
	s_addc_u32 s31, s47, s49
	s_add_u32 s28, s14, s48
	s_addc_u32 s29, s15, s49
	s_add_i32 s50, s58, 1
	s_cmp_ge_u32 s51, s10
	s_cbranch_scc1 .LBB100_15
; %bb.10:                               ;   in Loop: Header=BB100_4 Depth=1
	s_mov_b32 s57, s50
	s_branch .LBB100_4
.LBB100_11:                             ;   in Loop: Header=BB100_4 Depth=1
	s_load_dword s58, s[50:51], 0x0
	s_waitcnt lgkmcnt(0)
	s_add_i32 s39, s28, s39
	s_add_i32 s55, s58, s55
	;; [unrolled: 1-line block ×3, first 2 shown]
	s_cmp_ge_u32 s58, s11
	s_cbranch_scc1 .LBB100_6
.LBB100_12:                             ;   in Loop: Header=BB100_4 Depth=1
	s_load_dword s59, s[50:51], 0x4
	s_waitcnt lgkmcnt(0)
	s_add_i32 s39, s39, s29
	s_add_i32 s55, s59, s55
	;; [unrolled: 1-line block ×3, first 2 shown]
	s_cmp_ge_u32 s58, s11
	s_cbranch_scc1 .LBB100_7
.LBB100_13:                             ;   in Loop: Header=BB100_4 Depth=1
	s_load_dword s59, s[50:51], 0x8
	s_waitcnt lgkmcnt(0)
	s_add_i32 s39, s39, s30
	s_add_i32 s55, s59, s55
	;; [unrolled: 1-line block ×3, first 2 shown]
	s_cmp_ge_u32 s58, s11
	s_cbranch_scc0 .LBB100_8
	s_branch .LBB100_9
.LBB100_14:
	s_mov_b32 s55, 0
	s_mov_b32 s56, 0
	;; [unrolled: 1-line block ×3, first 2 shown]
	s_cmp_ge_u32 s14, s10
	s_cbranch_scc0 .LBB100_38
	s_branch .LBB100_16
.LBB100_15:
	s_add_i32 s14, s57, 4
	s_cmp_ge_u32 s14, s10
	s_cbranch_scc0 .LBB100_38
.LBB100_16:
	v_mov_b32_e32 v2, s55
	v_mov_b32_e32 v3, s56
	;; [unrolled: 1-line block ×4, first 2 shown]
	ds_write_b96 v1, v[2:4] offset:1056
.LBB100_17:
	s_or_b64 exec, exec, s[12:13]
	s_load_dwordx4 s[12:15], s[4:5], 0xd8
	s_mul_i32 s28, s9, s11
	s_lshl_b32 s28, s28, 8
	s_waitcnt lgkmcnt(0)
	s_add_i32 s15, s11, 1
	s_mov_b32 s11, 0
	s_sub_i32 s29, s12, s28
	s_add_u32 s29, s29, 0xff
	s_addc_u32 s30, 0, 0
	v_mov_b32_e32 v1, s29
	v_alignbit_b32 v1, s30, v1, 8
	s_cmp_lt_u32 s15, s10
	v_readfirstlane_b32 s10, v1
	s_cselect_b32 s9, s9, s10
	s_cmp_eq_u32 s9, 0
	s_barrier
	s_cbranch_scc1 .LBB100_40
; %bb.18:
	s_mul_i32 s10, s33, s37
	s_mul_i32 s15, s54, s36
	s_sub_i32 s10, s38, s10
	s_sub_i32 s15, s33, s15
	s_mul_i32 s10, s10, s26
	s_add_i32 s26, s54, 1
	s_sub_i32 s29, s15, s36
	s_cmp_ge_u32 s15, s36
	s_cselect_b32 s26, s26, s54
	s_cselect_b32 s15, s29, s15
	s_add_i32 s29, s26, 1
	s_cmp_ge_u32 s15, s36
	s_cselect_b32 s15, s29, s26
	s_mul_i32 s26, s15, s36
	s_sub_i32 s26, s33, s26
	s_mul_i32 s25, s26, s25
	s_add_i32 s10, s25, s10
	s_mul_i32 s15, s15, s24
	s_add_i32 s10, s10, s15
	s_mul_i32 s15, s52, s41
	s_sub_i32 s15, s38, s15
	s_mul_i32 s15, s15, s22
	s_mul_i32 s22, s27, s40
	s_sub_i32 s22, s52, s22
	s_add_i32 s24, s27, 1
	s_sub_i32 s25, s22, s40
	s_cmp_ge_u32 s22, s40
	s_cselect_b32 s24, s24, s27
	s_cselect_b32 s22, s25, s22
	s_add_i32 s25, s24, 1
	s_cmp_ge_u32 s22, s40
	s_cselect_b32 s22, s25, s24
	s_mul_i32 s24, s22, s40
	s_sub_i32 s24, s52, s24
	s_mul_i32 s21, s24, s21
	s_add_i32 s15, s21, s15
	s_mul_i32 s22, s22, s20
	s_add_i32 s20, s15, s22
	s_mul_i32 s15, s53, s35
	s_sub_i32 s15, s38, s15
	s_mul_i32 s15, s15, s18
	s_mul_i32 s18, s19, s34
	s_sub_i32 s18, s53, s18
	s_add_i32 s21, s19, 1
	s_sub_i32 s22, s18, s34
	s_cmp_ge_u32 s18, s34
	s_cselect_b32 s19, s21, s19
	s_cselect_b32 s18, s22, s18
	s_add_i32 s21, s19, 1
	s_cmp_ge_u32 s18, s34
	s_cselect_b32 s18, s21, s19
	s_mul_i32 s19, s18, s34
	s_sub_i32 s19, s53, s19
	s_mul_i32 s17, s19, s17
	s_add_i32 s15, s17, s15
	s_mul_i32 s18, s18, s16
	s_add_i32 s24, s15, s18
	s_lshl_b64 s[16:17], s[10:11], 1
	s_add_u32 s15, s44, s16
	s_mov_b32 s21, s11
	s_addc_u32 s16, s45, s17
	s_lshl_b64 s[18:19], s[20:21], 1
	s_add_u32 s17, s42, s18
	s_mov_b32 s25, s11
	v_mov_b32_e32 v1, 0
	s_addc_u32 s18, s43, s19
	s_lshl_b64 s[10:11], s[24:25], 3
	ds_read_b96 v[2:4], v1 offset:1056
	s_add_u32 s19, s6, s10
	s_addc_u32 s20, s7, s11
	s_and_b32 s10, 0xffff, s23
	s_sext_i32_i16 s6, s23
	s_cmp_gt_i32 s6, -1
	s_mov_b32 s6, 0x8000
	s_cselect_b32 s11, s6, 0xffff
	v_cmp_o_f16_e64 s[6:7], s23, s23
	s_xor_b32 s10, s11, s10
	s_waitcnt lgkmcnt(0)
	v_add_u32_e32 v5, v2, v3
	v_lshrrev_b32_e32 v2, 5, v0
	s_and_b64 s[6:7], s[6:7], exec
	v_add_lshl_u32 v6, v2, v0, 2
	v_lshlrev_b32_e32 v2, 2, v0
	v_lshrrev_b32_e32 v3, 3, v0
	s_cselect_b32 s21, s10, 0xffff
	s_bitcmp1_b32 s14, 0
	s_load_dword s10, s[4:5], 0xe8
	s_load_dword s14, s[4:5], 0x1c8
	v_add_lshl_u32 v7, v3, v2, 2
	v_add_u32_e32 v2, -1, v0
	v_lshrrev_b32_e32 v3, 5, v2
	v_add_lshl_u32 v8, v3, v2, 2
	v_mbcnt_lo_u32_b32 v3, -1, 0
	v_add_u32_e32 v2, s28, v0
	v_mbcnt_hi_u32_b32 v11, -1, v3
	s_cselect_b64 s[6:7], -1, 0
	v_cmp_gt_u32_e64 s[4:5], 64, v0
	s_waitcnt lgkmcnt(0)
	v_mul_lo_u32 v0, s10, v2
	s_lshl_b32 s22, s10, 8
	v_mov_b32_e32 v9, 0xffff
	v_mov_b32_e32 v10, 0x8000
	v_and_b32_e32 v12, 15, v11
	v_bfe_i32 v13, v11, 4, 1
	v_add_u32_e32 v14, -1, v11
	v_and_b32_e32 v15, 64, v11
                                        ; implicit-def: $vgpr16
	s_branch .LBB100_21
.LBB100_19:                             ;   in Loop: Header=BB100_21 Depth=1
	s_or_b64 exec, exec, s[10:11]
	v_add_u32_e32 v5, v19, v5
.LBB100_20:                             ;   in Loop: Header=BB100_21 Depth=1
	s_add_i32 s9, s9, -1
	v_add_u32_e32 v4, v18, v4
	v_add_u32_e32 v0, s22, v0
	s_cmp_lg_u32 s9, 0
	v_add_u32_e32 v2, 0x100, v2
	s_cbranch_scc0 .LBB100_40
.LBB100_21:                             ; =>This Inner Loop Header: Depth=1
	v_cmp_gt_u32_e32 vcc, s12, v2
	v_mov_b32_e32 v3, 0
	v_mov_b32_e32 v17, 0
	s_and_saveexec_b64 s[10:11], vcc
	s_cbranch_execz .LBB100_23
; %bb.22:                               ;   in Loop: Header=BB100_21 Depth=1
	v_lshlrev_b64 v[16:17], 1, v[0:1]
	v_mov_b32_e32 v3, s16
	v_add_co_u32_e32 v16, vcc, s15, v16
	v_addc_co_u32_e32 v17, vcc, v3, v17, vcc
	global_load_ushort v16, v[16:17], off
	s_waitcnt vmcnt(0)
	v_cmp_lt_i16_e32 vcc, -1, v16
	v_cndmask_b32_e32 v3, v9, v10, vcc
	v_xor_b32_sdwa v3, v3, v16 dst_sel:DWORD dst_unused:UNUSED_PAD src0_sel:DWORD src1_sel:WORD_0
	v_cmp_o_f16_e32 vcc, v16, v16
	v_cndmask_b32_e32 v17, v9, v3, vcc
	v_cmp_lt_u32_e32 vcc, s21, v17
	v_cndmask_b32_e64 v3, 0, 1, vcc
	v_cmp_gt_u32_e32 vcc, s21, v17
	v_cndmask_b32_e64 v18, 0, 1, vcc
	v_cndmask_b32_e64 v3, v18, v3, s[6:7]
	v_cmp_eq_u32_e32 vcc, s21, v17
	v_and_b32_e32 v3, 1, v3
	v_cndmask_b32_e64 v17, 0, 1, vcc
.LBB100_23:                             ;   in Loop: Header=BB100_21 Depth=1
	s_or_b64 exec, exec, s[10:11]
	ds_write_b32 v6, v3
	s_waitcnt lgkmcnt(0)
	s_barrier
	s_and_saveexec_b64 s[10:11], s[4:5]
	s_cbranch_execz .LBB100_25
; %bb.24:                               ;   in Loop: Header=BB100_21 Depth=1
	ds_read2_b32 v[18:19], v7 offset1:1
	ds_read2_b32 v[20:21], v7 offset0:2 offset1:3
	v_cmp_ne_u32_e32 vcc, 0, v12
	; wave barrier
	s_waitcnt lgkmcnt(1)
	v_add_u32_e32 v19, v19, v18
	s_waitcnt lgkmcnt(0)
	v_add3_u32 v19, v19, v20, v21
	s_nop 1
	v_mov_b32_dpp v20, v19 row_shr:1 row_mask:0xf bank_mask:0xf
	v_cndmask_b32_e32 v20, 0, v20, vcc
	v_add_u32_e32 v19, v20, v19
	v_cmp_lt_u32_e32 vcc, 1, v12
	s_nop 0
	v_mov_b32_dpp v20, v19 row_shr:2 row_mask:0xf bank_mask:0xf
	v_cndmask_b32_e32 v20, 0, v20, vcc
	v_add_u32_e32 v19, v19, v20
	v_cmp_lt_u32_e32 vcc, 3, v12
	;; [unrolled: 5-line block ×4, first 2 shown]
	s_nop 0
	v_mov_b32_dpp v20, v19 row_bcast:15 row_mask:0xf bank_mask:0xf
	v_and_b32_e32 v20, v13, v20
	v_add_u32_e32 v19, v19, v20
	s_nop 1
	v_mov_b32_dpp v20, v19 row_bcast:31 row_mask:0xf bank_mask:0xf
	v_cndmask_b32_e32 v20, 0, v20, vcc
	v_cmp_lt_i32_e32 vcc, v14, v15
	v_add_u32_e32 v19, v19, v20
	v_cndmask_b32_e32 v20, v14, v11, vcc
	v_lshlrev_b32_e32 v20, 2, v20
	ds_bpermute_b32 v19, v20, v19
	s_waitcnt lgkmcnt(0)
	v_add_u32_e32 v18, v19, v18
	v_cndmask_b32_e64 v20, v18, v3, s[2:3]
	ds_write_b32 v7, v20
	; wave barrier
	ds_read2_b32 v[18:19], v7 offset0:1 offset1:2
	ds_read_b32 v21, v7 offset:12
	s_waitcnt lgkmcnt(1)
	v_add_u32_e32 v18, v18, v20
	v_add_u32_e32 v19, v19, v18
	ds_write2_b32 v7, v18, v19 offset0:1 offset1:2
	s_waitcnt lgkmcnt(1)
	v_add_u32_e32 v18, v21, v19
	ds_write_b32 v7, v18 offset:12
.LBB100_25:                             ;   in Loop: Header=BB100_21 Depth=1
	s_or_b64 exec, exec, s[10:11]
	v_mov_b32_e32 v19, 0
	s_waitcnt lgkmcnt(0)
	s_barrier
	s_and_saveexec_b64 s[10:11], s[0:1]
	s_cbranch_execz .LBB100_27
; %bb.26:                               ;   in Loop: Header=BB100_21 Depth=1
	ds_read_b32 v19, v8
.LBB100_27:                             ;   in Loop: Header=BB100_21 Depth=1
	s_or_b64 exec, exec, s[10:11]
	ds_read_b32 v18, v1 offset:1048
	v_cmp_ne_u32_e32 vcc, 0, v3
	s_waitcnt lgkmcnt(0)
	s_barrier
	s_and_saveexec_b64 s[10:11], vcc
	s_cbranch_execz .LBB100_29
; %bb.28:                               ;   in Loop: Header=BB100_21 Depth=1
	v_add_u32_e32 v19, v19, v4
	v_mul_lo_u32 v20, v19, s14
	v_mov_b32_e32 v21, v1
	v_lshlrev_b64 v[20:21], 1, v[20:21]
	v_mov_b32_e32 v3, s18
	v_add_co_u32_e32 v20, vcc, s17, v20
	v_addc_co_u32_e32 v21, vcc, v3, v21, vcc
	global_store_short v[20:21], v16, off
	v_mul_lo_u32 v20, v19, s8
	v_mov_b32_e32 v21, v1
	v_lshlrev_b64 v[20:21], 3, v[20:21]
	v_mov_b32_e32 v19, s20
	v_add_co_u32_e32 v20, vcc, s19, v20
	v_mov_b32_e32 v3, v1
	v_addc_co_u32_e32 v21, vcc, v19, v21, vcc
	global_store_dwordx2 v[20:21], v[2:3], off
.LBB100_29:                             ;   in Loop: Header=BB100_21 Depth=1
	s_or_b64 exec, exec, s[10:11]
	v_cmp_le_u32_e32 vcc, s13, v5
	s_cbranch_vccnz .LBB100_20
; %bb.30:                               ;   in Loop: Header=BB100_21 Depth=1
	ds_write_b32 v6, v17
	s_waitcnt lgkmcnt(0)
	s_barrier
	s_and_saveexec_b64 s[10:11], s[4:5]
	s_cbranch_execz .LBB100_32
; %bb.31:                               ;   in Loop: Header=BB100_21 Depth=1
	ds_read2_b32 v[20:21], v7 offset1:1
	ds_read2_b32 v[22:23], v7 offset0:2 offset1:3
	v_cmp_ne_u32_e32 vcc, 0, v12
	; wave barrier
	s_waitcnt lgkmcnt(1)
	v_add_u32_e32 v3, v21, v20
	s_waitcnt lgkmcnt(0)
	v_add3_u32 v3, v3, v22, v23
	s_nop 1
	v_mov_b32_dpp v19, v3 row_shr:1 row_mask:0xf bank_mask:0xf
	v_cndmask_b32_e32 v19, 0, v19, vcc
	v_add_u32_e32 v3, v19, v3
	v_cmp_lt_u32_e32 vcc, 1, v12
	s_nop 0
	v_mov_b32_dpp v19, v3 row_shr:2 row_mask:0xf bank_mask:0xf
	v_cndmask_b32_e32 v19, 0, v19, vcc
	v_add_u32_e32 v3, v3, v19
	v_cmp_lt_u32_e32 vcc, 3, v12
	;; [unrolled: 5-line block ×4, first 2 shown]
	s_nop 0
	v_mov_b32_dpp v19, v3 row_bcast:15 row_mask:0xf bank_mask:0xf
	v_and_b32_e32 v19, v13, v19
	v_add_u32_e32 v3, v3, v19
	s_nop 1
	v_mov_b32_dpp v19, v3 row_bcast:31 row_mask:0xf bank_mask:0xf
	v_cndmask_b32_e32 v19, 0, v19, vcc
	v_cmp_lt_i32_e32 vcc, v14, v15
	v_add_u32_e32 v3, v3, v19
	v_cndmask_b32_e32 v19, v14, v11, vcc
	v_lshlrev_b32_e32 v19, 2, v19
	ds_bpermute_b32 v3, v19, v3
	s_waitcnt lgkmcnt(0)
	v_add_u32_e32 v3, v3, v20
	v_cndmask_b32_e64 v3, v3, v17, s[2:3]
	ds_write_b32 v7, v3
	; wave barrier
	ds_read2_b32 v[20:21], v7 offset0:1 offset1:2
	ds_read_b32 v19, v7 offset:12
	s_waitcnt lgkmcnt(1)
	v_add_u32_e32 v3, v20, v3
	v_add_u32_e32 v20, v21, v3
	ds_write2_b32 v7, v3, v20 offset0:1 offset1:2
	s_waitcnt lgkmcnt(1)
	v_add_u32_e32 v3, v19, v20
	ds_write_b32 v7, v3 offset:12
.LBB100_32:                             ;   in Loop: Header=BB100_21 Depth=1
	s_or_b64 exec, exec, s[10:11]
	v_mov_b32_e32 v3, 0
	s_waitcnt lgkmcnt(0)
	s_barrier
	s_and_saveexec_b64 s[10:11], s[0:1]
	s_cbranch_execz .LBB100_34
; %bb.33:                               ;   in Loop: Header=BB100_21 Depth=1
	ds_read_b32 v3, v8
.LBB100_34:                             ;   in Loop: Header=BB100_21 Depth=1
	s_or_b64 exec, exec, s[10:11]
	ds_read_b32 v19, v1 offset:1048
	v_cmp_ne_u32_e32 vcc, 0, v17
	s_waitcnt lgkmcnt(0)
	s_barrier
	s_and_saveexec_b64 s[10:11], vcc
	s_cbranch_execz .LBB100_19
; %bb.35:                               ;   in Loop: Header=BB100_21 Depth=1
	v_add_u32_e32 v17, v3, v5
	v_cmp_gt_u32_e32 vcc, s13, v17
	s_and_b64 exec, exec, vcc
	s_cbranch_execz .LBB100_19
; %bb.36:                               ;   in Loop: Header=BB100_21 Depth=1
	v_mul_lo_u32 v20, v17, s14
	v_mov_b32_e32 v21, v1
	v_lshlrev_b64 v[20:21], 1, v[20:21]
	v_mov_b32_e32 v3, s18
	v_add_co_u32_e32 v20, vcc, s17, v20
	v_addc_co_u32_e32 v21, vcc, v3, v21, vcc
	global_store_short v[20:21], v16, off
	v_mul_lo_u32 v20, v17, s8
	v_mov_b32_e32 v21, v1
	v_lshlrev_b64 v[20:21], 3, v[20:21]
	v_mov_b32_e32 v17, s20
	v_add_co_u32_e32 v20, vcc, s19, v20
	v_mov_b32_e32 v3, v1
	v_addc_co_u32_e32 v21, vcc, v17, v21, vcc
	global_store_dwordx2 v[20:21], v[2:3], off
	s_branch .LBB100_19
.LBB100_37:                             ;   in Loop: Header=BB100_38 Depth=1
	s_add_u32 s28, s28, 4
	s_addc_u32 s29, s29, 0
	s_waitcnt lgkmcnt(0)
	s_add_i32 s56, s15, s56
	s_add_u32 s30, s30, 4
	s_addc_u32 s31, s31, 0
	s_add_i32 s14, s14, 1
	s_cmp_lt_u32 s14, s10
	s_cbranch_scc0 .LBB100_16
.LBB100_38:                             ; =>This Inner Loop Header: Depth=1
	s_load_dword s15, s[28:29], 0x0
	s_cmp_ge_u32 s14, s11
	s_cbranch_scc1 .LBB100_37
; %bb.39:                               ;   in Loop: Header=BB100_38 Depth=1
	s_load_dword s46, s[30:31], 0x0
	s_waitcnt lgkmcnt(0)
	s_add_i32 s39, s15, s39
	s_add_i32 s55, s46, s55
	s_branch .LBB100_37
.LBB100_40:
	s_endpgm
	.section	.rodata,"a",@progbits
	.p2align	6, 0x0
	.amdhsa_kernel _ZN2at6native6mbtopk10gatherTopKIN3c104HalfEjLi3EEEvNS_4cuda6detail10TensorInfoIKT_T0_EESA_SA_bjSA_NS7_IS8_SA_EESA_NS7_IlSA_EESA_jjPS8_PjSF_j
		.amdhsa_group_segment_fixed_size 1068
		.amdhsa_private_segment_fixed_size 0
		.amdhsa_kernarg_size 984
		.amdhsa_user_sgpr_count 6
		.amdhsa_user_sgpr_private_segment_buffer 1
		.amdhsa_user_sgpr_dispatch_ptr 0
		.amdhsa_user_sgpr_queue_ptr 0
		.amdhsa_user_sgpr_kernarg_segment_ptr 1
		.amdhsa_user_sgpr_dispatch_id 0
		.amdhsa_user_sgpr_flat_scratch_init 0
		.amdhsa_user_sgpr_kernarg_preload_length 0
		.amdhsa_user_sgpr_kernarg_preload_offset 0
		.amdhsa_user_sgpr_private_segment_size 0
		.amdhsa_uses_dynamic_stack 0
		.amdhsa_system_sgpr_private_segment_wavefront_offset 0
		.amdhsa_system_sgpr_workgroup_id_x 1
		.amdhsa_system_sgpr_workgroup_id_y 1
		.amdhsa_system_sgpr_workgroup_id_z 1
		.amdhsa_system_sgpr_workgroup_info 0
		.amdhsa_system_vgpr_workitem_id 0
		.amdhsa_next_free_vgpr 24
		.amdhsa_next_free_sgpr 60
		.amdhsa_accum_offset 24
		.amdhsa_reserve_vcc 1
		.amdhsa_reserve_flat_scratch 0
		.amdhsa_float_round_mode_32 0
		.amdhsa_float_round_mode_16_64 0
		.amdhsa_float_denorm_mode_32 3
		.amdhsa_float_denorm_mode_16_64 3
		.amdhsa_dx10_clamp 1
		.amdhsa_ieee_mode 1
		.amdhsa_fp16_overflow 0
		.amdhsa_tg_split 0
		.amdhsa_exception_fp_ieee_invalid_op 0
		.amdhsa_exception_fp_denorm_src 0
		.amdhsa_exception_fp_ieee_div_zero 0
		.amdhsa_exception_fp_ieee_overflow 0
		.amdhsa_exception_fp_ieee_underflow 0
		.amdhsa_exception_fp_ieee_inexact 0
		.amdhsa_exception_int_div_zero 0
	.end_amdhsa_kernel
	.section	.text._ZN2at6native6mbtopk10gatherTopKIN3c104HalfEjLi3EEEvNS_4cuda6detail10TensorInfoIKT_T0_EESA_SA_bjSA_NS7_IS8_SA_EESA_NS7_IlSA_EESA_jjPS8_PjSF_j,"axG",@progbits,_ZN2at6native6mbtopk10gatherTopKIN3c104HalfEjLi3EEEvNS_4cuda6detail10TensorInfoIKT_T0_EESA_SA_bjSA_NS7_IS8_SA_EESA_NS7_IlSA_EESA_jjPS8_PjSF_j,comdat
.Lfunc_end100:
	.size	_ZN2at6native6mbtopk10gatherTopKIN3c104HalfEjLi3EEEvNS_4cuda6detail10TensorInfoIKT_T0_EESA_SA_bjSA_NS7_IS8_SA_EESA_NS7_IlSA_EESA_jjPS8_PjSF_j, .Lfunc_end100-_ZN2at6native6mbtopk10gatherTopKIN3c104HalfEjLi3EEEvNS_4cuda6detail10TensorInfoIKT_T0_EESA_SA_bjSA_NS7_IS8_SA_EESA_NS7_IlSA_EESA_jjPS8_PjSF_j
                                        ; -- End function
	.section	.AMDGPU.csdata,"",@progbits
; Kernel info:
; codeLenInByte = 2800
; NumSgprs: 64
; NumVgprs: 24
; NumAgprs: 0
; TotalNumVgprs: 24
; ScratchSize: 0
; MemoryBound: 0
; FloatMode: 240
; IeeeMode: 1
; LDSByteSize: 1068 bytes/workgroup (compile time only)
; SGPRBlocks: 7
; VGPRBlocks: 2
; NumSGPRsForWavesPerEU: 64
; NumVGPRsForWavesPerEU: 24
; AccumOffset: 24
; Occupancy: 8
; WaveLimiterHint : 1
; COMPUTE_PGM_RSRC2:SCRATCH_EN: 0
; COMPUTE_PGM_RSRC2:USER_SGPR: 6
; COMPUTE_PGM_RSRC2:TRAP_HANDLER: 0
; COMPUTE_PGM_RSRC2:TGID_X_EN: 1
; COMPUTE_PGM_RSRC2:TGID_Y_EN: 1
; COMPUTE_PGM_RSRC2:TGID_Z_EN: 1
; COMPUTE_PGM_RSRC2:TIDIG_COMP_CNT: 0
; COMPUTE_PGM_RSRC3_GFX90A:ACCUM_OFFSET: 5
; COMPUTE_PGM_RSRC3_GFX90A:TG_SPLIT: 0
	.section	.text._ZN2at6native6sbtopk10gatherTopKIN3c104HalfEjLi3ELb0EEEvNS_4cuda6detail10TensorInfoIKT_T0_EESA_SA_bSA_SA_NS7_IS8_SA_EESA_NS7_IlSA_EESA_PS8_,"axG",@progbits,_ZN2at6native6sbtopk10gatherTopKIN3c104HalfEjLi3ELb0EEEvNS_4cuda6detail10TensorInfoIKT_T0_EESA_SA_bSA_SA_NS7_IS8_SA_EESA_NS7_IlSA_EESA_PS8_,comdat
	.protected	_ZN2at6native6sbtopk10gatherTopKIN3c104HalfEjLi3ELb0EEEvNS_4cuda6detail10TensorInfoIKT_T0_EESA_SA_bSA_SA_NS7_IS8_SA_EESA_NS7_IlSA_EESA_PS8_ ; -- Begin function _ZN2at6native6sbtopk10gatherTopKIN3c104HalfEjLi3ELb0EEEvNS_4cuda6detail10TensorInfoIKT_T0_EESA_SA_bSA_SA_NS7_IS8_SA_EESA_NS7_IlSA_EESA_PS8_
	.globl	_ZN2at6native6sbtopk10gatherTopKIN3c104HalfEjLi3ELb0EEEvNS_4cuda6detail10TensorInfoIKT_T0_EESA_SA_bSA_SA_NS7_IS8_SA_EESA_NS7_IlSA_EESA_PS8_
	.p2align	8
	.type	_ZN2at6native6sbtopk10gatherTopKIN3c104HalfEjLi3ELb0EEEvNS_4cuda6detail10TensorInfoIKT_T0_EESA_SA_bSA_SA_NS7_IS8_SA_EESA_NS7_IlSA_EESA_PS8_,@function
_ZN2at6native6sbtopk10gatherTopKIN3c104HalfEjLi3ELb0EEEvNS_4cuda6detail10TensorInfoIKT_T0_EESA_SA_bSA_SA_NS7_IS8_SA_EESA_NS7_IlSA_EESA_PS8_: ; @_ZN2at6native6sbtopk10gatherTopKIN3c104HalfEjLi3ELb0EEEvNS_4cuda6detail10TensorInfoIKT_T0_EESA_SA_bSA_SA_NS7_IS8_SA_EESA_NS7_IlSA_EESA_PS8_
; %bb.0:
	s_load_dwordx2 s[12:13], s[4:5], 0x2b8
	s_load_dwordx4 s[60:63], s[4:5], 0xd8
	s_mov_b64 s[20:21], s[4:5]
	s_add_u32 s10, s20, 0x2b8
	s_addc_u32 s11, s21, 0
	s_waitcnt lgkmcnt(0)
	s_mul_i32 s0, s13, s8
	s_add_i32 s0, s0, s7
	s_mul_i32 s0, s0, s12
	s_add_i32 s13, s0, s6
	s_cmp_ge_u32 s13, s63
	s_cbranch_scc1 .LBB101_411
; %bb.1:
	s_load_dwordx4 s[0:3], s[20:21], 0x23c
                                        ; implicit-def: $vgpr55 : SGPR spill to VGPR lane
	s_load_dwordx2 s[16:17], s[20:21], 0xc
	s_load_dwordx2 s[14:15], s[20:21], 0x0
	s_mov_b32 s24, 0
	s_waitcnt lgkmcnt(0)
	v_cvt_f32_u32_e32 v1, s17
	v_writelane_b32 v55, s0, 0
	v_writelane_b32 v55, s1, 1
	;; [unrolled: 1-line block ×4, first 2 shown]
	s_load_dwordx2 s[18:19], s[20:21], 0x1dc
	s_load_dwordx2 s[0:1], s[20:21], 0x1d0
	v_rcp_iflag_f32_e32 v1, v1
	v_mul_f32_e32 v1, 0x4f7ffffe, v1
	s_waitcnt lgkmcnt(0)
	v_writelane_b32 v55, s0, 4
	v_writelane_b32 v55, s1, 5
	s_load_dwordx4 s[0:3], s[20:21], 0x15c
	v_cvt_u32_f32_e32 v1, v1
	s_waitcnt lgkmcnt(0)
	v_writelane_b32 v55, s0, 6
	v_writelane_b32 v55, s1, 7
	;; [unrolled: 1-line block ×4, first 2 shown]
	s_load_dwordx2 s[22:23], s[20:21], 0xfc
	s_load_dwordx2 s[0:1], s[20:21], 0xf0
	v_readfirstlane_b32 s4, v1
	v_cvt_f32_u32_e32 v1, s16
	s_waitcnt lgkmcnt(0)
	v_cvt_f32_u32_e32 v2, s23
	v_writelane_b32 v55, s0, 10
	v_writelane_b32 v55, s1, 11
	s_load_dword s0, s[20:21], 0xe8
	v_rcp_iflag_f32_e32 v1, v1
	v_rcp_iflag_f32_e32 v2, v2
	s_waitcnt lgkmcnt(0)
	v_writelane_b32 v55, s0, 12
	s_load_dwordx4 s[0:3], s[20:21], 0x6c
	s_waitcnt lgkmcnt(0)
	s_sub_i32 s3, 0, s17
	s_mul_i32 s3, s3, s4
	s_mul_hi_u32 s3, s4, s3
	s_add_i32 s4, s4, s3
	s_mul_hi_u32 s3, s13, s4
	s_mul_i32 s4, s3, s17
	s_sub_i32 s4, s13, s4
	s_add_i32 s5, s3, 1
	s_sub_i32 s7, s4, s17
	v_mul_f32_e32 v1, 0x4f7ffffe, v1
	s_cmp_ge_u32 s4, s17
	v_cvt_u32_f32_e32 v1, v1
	s_cselect_b32 s3, s5, s3
	s_cselect_b32 s4, s7, s4
	s_add_i32 s5, s3, 1
	s_cmp_ge_u32 s4, s17
	s_cselect_b32 s3, s5, s3
	v_readfirstlane_b32 s5, v1
	v_mul_f32_e32 v1, 0x4f7ffffe, v2
	v_cvt_u32_f32_e32 v1, v1
	s_sub_i32 s4, 0, s16
	s_mul_i32 s4, s4, s5
	s_mul_hi_u32 s4, s5, s4
	v_readfirstlane_b32 s7, v1
	v_cvt_f32_u32_e32 v1, s22
	s_add_i32 s5, s5, s4
	s_mul_hi_u32 s4, s3, s5
	s_sub_i32 s5, 0, s23
	s_mul_i32 s5, s5, s7
	s_mul_hi_u32 s5, s7, s5
	v_rcp_iflag_f32_e32 v1, v1
	s_add_i32 s7, s7, s5
	v_cvt_f32_u32_e32 v2, s19
	s_mul_hi_u32 s5, s13, s7
	s_mul_i32 s7, s5, s23
	s_sub_i32 s7, s13, s7
	v_mul_f32_e32 v1, 0x4f7ffffe, v1
	s_add_i32 s8, s5, 1
	s_sub_i32 s9, s7, s23
	v_cvt_u32_f32_e32 v1, v1
	v_rcp_iflag_f32_e32 v2, v2
	s_cmp_ge_u32 s7, s23
	s_cselect_b32 s5, s8, s5
	s_cselect_b32 s7, s9, s7
	s_add_i32 s8, s5, 1
	s_cmp_ge_u32 s7, s23
	v_readfirstlane_b32 s7, v1
	v_mul_f32_e32 v1, 0x4f7ffffe, v2
	s_cselect_b32 s8, s8, s5
	v_writelane_b32 v55, s22, 13
	s_sub_i32 s5, 0, s22
	v_cvt_u32_f32_e32 v1, v1
	s_mul_i32 s5, s5, s7
	s_mul_hi_u32 s5, s7, s5
	v_writelane_b32 v55, s23, 14
	s_add_i32 s7, s7, s5
	v_writelane_b32 v55, s8, 15
	s_mul_hi_u32 s5, s8, s7
	v_readfirstlane_b32 s7, v1
	v_cvt_f32_u32_e32 v1, s18
	v_writelane_b32 v55, s5, 16
	s_sub_i32 s5, 0, s19
	s_mul_i32 s5, s5, s7
	s_mul_hi_u32 s5, s7, s5
	s_add_i32 s7, s7, s5
	v_rcp_iflag_f32_e32 v1, v1
	s_mul_hi_u32 s5, s13, s7
	s_mul_i32 s7, s5, s19
	s_sub_i32 s7, s13, s7
	s_add_i32 s8, s5, 1
	s_sub_i32 s9, s7, s19
	v_mul_f32_e32 v1, 0x4f7ffffe, v1
	s_cmp_ge_u32 s7, s19
	v_cvt_u32_f32_e32 v1, v1
	s_cselect_b32 s5, s8, s5
	s_cselect_b32 s7, s9, s7
	s_add_i32 s8, s5, 1
	s_cmp_ge_u32 s7, s19
	s_cselect_b32 s8, s8, s5
	v_writelane_b32 v55, s18, 17
	s_sub_i32 s5, 0, s18
	v_readfirstlane_b32 s7, v1
	s_mul_i32 s5, s5, s7
	s_mul_hi_u32 s5, s7, s5
	v_writelane_b32 v55, s19, 18
	s_add_i32 s7, s7, s5
	v_writelane_b32 v55, s8, 19
	s_mul_hi_u32 s5, s8, s7
	v_writelane_b32 v55, s5, 20
	v_cmp_eq_u32_e64 s[8:9], 0, v0
	s_mov_b64 s[18:19], exec
	v_writelane_b32 v55, s8, 21
	v_writelane_b32 v55, s9, 22
	s_and_b64 s[8:9], s[18:19], s[8:9]
	s_mov_b64 exec, s[8:9]
	s_cbranch_execz .LBB101_3
; %bb.2:
	v_mov_b32_e32 v2, 0
	v_mov_b32_e32 v3, s60
	;; [unrolled: 1-line block ×3, first 2 shown]
	ds_write_b96 v2, v[2:4] offset:4096
.LBB101_3:
	s_or_b64 exec, exec, s[18:19]
	s_mul_i32 s5, s3, s17
	s_sub_i32 s5, s13, s5
	s_mul_i32 s5, s5, s2
	s_mul_i32 s2, s4, s16
	s_sub_i32 s2, s3, s2
	s_add_i32 s7, s4, 1
	s_sub_i32 s8, s2, s16
	s_cmp_ge_u32 s2, s16
	s_cselect_b32 s4, s7, s4
	s_cselect_b32 s2, s8, s2
	s_add_i32 s7, s4, 1
	s_cmp_ge_u32 s2, s16
	s_cselect_b32 s2, s7, s4
	s_mul_i32 s4, s2, s16
	s_sub_i32 s3, s3, s4
	s_mul_i32 s1, s3, s1
	s_add_i32 s1, s1, s5
	s_mul_i32 s2, s2, s0
	s_add_i32 s0, s1, s2
	s_mov_b32 s1, s24
	s_lshl_b64 s[0:1], s[0:1], 1
	s_add_u32 s33, s14, s0
	v_writelane_b32 v55, s13, 23
	s_mov_b32 s2, 0
	s_waitcnt lgkmcnt(0)
	s_barrier
	s_load_dword s0, s[10:11], 0xc
	s_addc_u32 s7, s15, s1
	v_writelane_b32 v55, s2, 24
	s_bitcmp1_b32 s62, 0
	v_writelane_b32 v55, s3, 25
	s_cselect_b64 s[2:3], -1, 0
	v_writelane_b32 v55, s2, 26
	v_mbcnt_lo_u32_b32 v1, -1, 0
	v_writelane_b32 v55, s3, 27
	s_xor_b64 s[2:3], s[2:3], -1
	v_mbcnt_hi_u32_b32 v1, -1, v1
	v_writelane_b32 v55, s2, 28
	s_waitcnt lgkmcnt(0)
	s_and_b32 s84, s0, 0xffff
	s_bfe_u32 s8, s0, 0xa0006
	v_cmp_gt_u32_e32 vcc, 64, v0
	v_cmp_gt_i32_e64 s[0:1], 4, v1
	v_writelane_b32 v55, s3, 29
	s_lshl_b32 s85, s84, 2
	s_and_b64 s[0:1], vcc, s[0:1]
	v_writelane_b32 v55, s0, 30
	s_cmpk_gt_u32 s60, 0x600
	v_writelane_b32 v55, s1, 31
	s_cselect_b64 s[0:1], -1, 0
	v_writelane_b32 v55, s0, 32
	s_cmp_gt_u32 s84, 63
	v_writelane_b32 v55, s1, 33
	s_cselect_b64 s[0:1], -1, 0
	v_writelane_b32 v55, s0, 34
	v_writelane_b32 v55, s1, 35
	s_add_i32 s0, s84, -1
	s_add_i32 s2, s0, s60
	s_cmp_lt_u32 s6, s12
	v_writelane_b32 v55, s0, 36
	s_cselect_b32 s0, 12, 18
	s_add_u32 s0, s10, s0
	s_addc_u32 s1, s11, 0
	v_writelane_b32 v55, s0, 37
	s_add_i32 s3, s8, -2
	v_writelane_b32 v55, s1, 38
	s_lshr_b32 s0, s3, 1
	s_add_i32 s4, s0, 1
	s_cmpk_gt_u32 s84, 0x7f
	s_cselect_b64 s[0:1], -1, 0
	v_writelane_b32 v55, s0, 39
	v_writelane_b32 v55, s1, 40
	;; [unrolled: 1-line block ×3, first 2 shown]
	s_load_dword s9, s[20:21], 0xe8
	v_mov_b32_e32 v11, 0
	v_mov_b32_e32 v13, v11
	;; [unrolled: 1-line block ×3, first 2 shown]
	v_writelane_b32 v55, s21, 42
	s_waitcnt lgkmcnt(0)
	v_mul_lo_u32 v12, v0, s9
	v_lshlrev_b64 v[2:3], 1, v[12:13]
	v_add_co_u32_e32 v8, vcc, s33, v2
	v_lshrrev_b32_e32 v2, 4, v0
	v_addc_co_u32_e32 v9, vcc, v17, v3, vcc
	v_cmp_gt_u32_e64 s[10:11], s60, v0
	v_and_b32_e32 v18, 60, v2
	v_lshlrev_b64 v[2:3], v1, -1
	v_writelane_b32 v55, s10, 43
	v_not_b32_e32 v6, v2
	v_cvt_f32_u32_e32 v2, s85
	v_writelane_b32 v55, s11, 44
	v_cmp_gt_u32_e64 s[10:11], 2, v0
	s_and_b32 s5, s8, 0x3fe
	s_and_b32 s6, s4, 7
	v_writelane_b32 v55, s10, 45
	s_cmp_gt_u32 s3, 13
	v_writelane_b32 v55, s11, 46
	s_cselect_b64 s[10:11], -1, 0
	v_writelane_b32 v55, s10, 47
	v_rcp_iflag_f32_e32 v2, v2
	v_writelane_b32 v55, s11, 48
	s_and_b32 s3, s4, -8
	v_writelane_b32 v55, s3, 49
	s_cmp_lg_u32 s6, 0
	v_writelane_b32 v55, s6, 50
	s_cselect_b64 s[10:11], -1, 0
	v_writelane_b32 v55, s10, 51
	v_mul_f32_e32 v2, 0x4f7ffffe, v2
	v_writelane_b32 v55, s11, 52
	v_cvt_u32_f32_e32 v2, v2
	v_writelane_b32 v55, s8, 53
	s_cmp_lg_u32 s5, s8
	v_writelane_b32 v55, s5, 54
	s_cselect_b64 s[4:5], -1, 0
	v_writelane_b32 v55, s4, 55
	v_writelane_b32 v55, s5, 56
	s_sub_i32 s3, 0, s85
	v_readfirstlane_b32 s4, v2
	s_mul_i32 s3, s3, s4
	s_mul_hi_u32 s3, s4, s3
	s_add_i32 s3, s4, s3
	v_cvt_f32_u32_e32 v2, s84
	v_writelane_b32 v55, s3, 57
	s_mul_hi_u32 s3, s60, s3
	s_mul_i32 s3, s3, s85
	s_sub_i32 s3, s60, s3
	s_sub_i32 s4, s3, s85
	v_rcp_iflag_f32_e32 v5, v2
	s_cmp_ge_u32 s3, s85
	s_cselect_b32 s3, s4, s3
	s_sub_i32 s4, s3, s85
	s_cmp_ge_u32 s3, s85
	v_mul_f32_e32 v5, 0x4f7ffffe, v5
	s_cselect_b32 s3, s4, s3
	v_cvt_u32_f32_e32 v5, v5
	v_lshlrev_b32_e32 v16, 2, v0
	s_sub_i32 s8, s60, s3
	v_cmp_gt_u32_e64 s[4:5], s8, v16
	v_writelane_b32 v55, s4, 58
	v_writelane_b32 v55, s5, 59
	s_sub_i32 s4, 0, s84
	v_readfirstlane_b32 s5, v5
	s_mul_i32 s4, s4, s5
	s_mul_hi_u32 s4, s5, s4
	s_add_i32 s4, s5, s4
	v_writelane_b32 v55, s4, 60
	s_mul_hi_u32 s4, s2, s4
	s_mul_i32 s4, s4, s84
	s_sub_i32 s4, s2, s4
	s_sub_i32 s5, s4, s84
	v_add_u32_e32 v21, s8, v0
	s_cmp_ge_u32 s4, s84
	v_mul_lo_u32 v10, v21, s9
	s_cselect_b32 s4, s5, s4
	v_not_b32_e32 v7, v3
	v_lshlrev_b64 v[2:3], 1, v[10:11]
	s_sub_i32 s5, s4, s84
	v_add_co_u32_e32 v14, vcc, s33, v2
	s_cmp_ge_u32 s4, s84
	v_mul_lo_u32 v2, s9, v16
	s_cselect_b32 s4, s5, s4
	v_add_u32_e32 v22, s9, v2
	v_or_b32_e32 v2, 2, v16
	s_sub_i32 s86, s2, s4
	v_mul_lo_u32 v23, s9, v2
	v_or_b32_e32 v2, 3, v16
	s_add_i32 s2, s84, s60
	v_mul_lo_u32 v24, s9, v2
	v_add_u32_e32 v2, s2, v0
	v_lshlrev_b32_e32 v19, 1, v0
	v_lshlrev_b32_e32 v4, 2, v1
	v_mov_b32_e32 v10, s7
	v_cmp_gt_u32_e64 s[4:5], s86, v0
	s_mul_i32 s6, s9, s84
	v_subrev_u32_e32 v2, s3, v2
	v_cmp_eq_u32_e64 s[0:1], 0, v1
	v_add_u32_e32 v20, 0xc00, v19
	v_and_b32_e32 v13, 0x100, v4
	v_cmp_gt_u32_e64 s[14:15], s60, v21
	v_addc_co_u32_e32 v15, vcc, v10, v3, vcc
	v_writelane_b32 v55, s4, 61
	s_lshl_b32 s87, s6, 2
	v_lshlrev_b32_e32 v25, 2, v12
	v_mul_lo_u32 v26, s9, v2
	v_lshlrev_b32_e32 v27, 3, v0
	s_lshl_b32 s12, s84, 3
	s_lshl_b32 s13, s84, 1
	v_or_b32_e32 v28, 0xc00, v4
	s_mov_b32 s80, 14
	s_mov_b64 s[74:75], 0
	v_mov_b32_e32 v37, s61
	s_movk_i32 s9, 0x3c00
	v_mov_b32_e32 v29, 0xffff
	v_mov_b32_e32 v30, 0x8000
	v_mov_b32_e32 v31, -1
	v_mov_b32_e32 v32, 0xc00
	v_mov_b32_e32 v33, 0x5040100
	;; [unrolled: 1-line block ×5, first 2 shown]
	s_mov_b32 s81, 0
	v_writelane_b32 v55, s5, 62
                                        ; implicit-def: $sgpr64_sgpr65
                                        ; implicit-def: $sgpr66_sgpr67
                                        ; implicit-def: $sgpr68_sgpr69
                                        ; implicit-def: $sgpr2_sgpr3
                                        ; implicit-def: $sgpr70_sgpr71
                                        ; implicit-def: $sgpr76_sgpr77
                                        ; implicit-def: $sgpr78_sgpr79
                                        ; implicit-def: $sgpr92_sgpr93
                                        ; implicit-def: $sgpr94_sgpr95
                                        ; implicit-def: $sgpr72_sgpr73
	s_branch .LBB101_6
.LBB101_4:                              ;   in Loop: Header=BB101_6 Depth=1
	s_or_b64 exec, exec, s[22:23]
	s_andn2_b64 s[4:5], s[72:73], exec
	s_and_b64 s[10:11], s[20:21], exec
	s_or_b64 s[72:73], s[4:5], s[10:11]
	s_andn2_b64 s[94:95], s[94:95], exec
	s_andn2_b64 s[92:93], s[92:93], exec
	;; [unrolled: 1-line block ×4, first 2 shown]
	s_orn2_b64 s[18:19], s[18:19], exec
	v_mov_b32_e32 v34, v3
	v_mov_b32_e32 v35, v2
	;; [unrolled: 1-line block ×4, first 2 shown]
.LBB101_5:                              ;   in Loop: Header=BB101_6 Depth=1
	s_or_b64 exec, exec, s[16:17]
	s_and_b64 s[4:5], exec, s[18:19]
	s_or_b64 s[74:75], s[4:5], s[74:75]
	s_andn2_b64 s[4:5], s[70:71], exec
	s_and_b64 s[10:11], s[72:73], exec
	s_or_b64 s[70:71], s[4:5], s[10:11]
	s_andn2_b64 s[2:3], s[2:3], exec
	s_and_b64 s[4:5], s[94:95], exec
	;; [unrolled: 3-line block ×5, first 2 shown]
	s_or_b64 s[64:65], s[4:5], s[10:11]
	s_andn2_b64 exec, exec, s[74:75]
	s_cbranch_execz .LBB101_407
.LBB101_6:                              ; =>This Loop Header: Depth=1
                                        ;     Child Loop BB101_11 Depth 2
                                        ;     Child Loop BB101_29 Depth 2
	;; [unrolled: 1-line block ×25, first 2 shown]
	ds_read_b64 v[2:3], v11 offset:4096
	s_waitcnt lgkmcnt(0)
	v_readfirstlane_b32 s4, v2
	s_cmp_lg_u32 s4, 0
	s_cbranch_scc1 .LBB101_36
; %bb.7:                                ;   in Loop: Header=BB101_6 Depth=1
	v_readlane_b32 s4, v55, 32
	v_readlane_b32 s5, v55, 33
	s_and_b64 vcc, exec, s[4:5]
	s_cbranch_vccz .LBB101_19
; %bb.8:                                ;   in Loop: Header=BB101_6 Depth=1
	s_movk_i32 s4, 0x601
	v_cmp_gt_u32_e32 vcc, s4, v3
	s_mov_b64 s[16:17], 0
	s_mov_b64 s[18:19], 0
	s_cbranch_vccz .LBB101_20
; %bb.9:                                ;   in Loop: Header=BB101_6 Depth=1
	v_readlane_b32 s4, v55, 37
	v_readlane_b32 s5, v55, 38
	s_nop 4
	global_load_ushort v2, v11, s[4:5]
	global_load_ushort v3, v[8:9], off
	v_readlane_b32 s4, v55, 41
	v_readlane_b32 s5, v55, 42
	s_load_dword s4, s[4:5], 0xe8
	s_mov_b64 s[22:23], 0
	s_waitcnt vmcnt(1)
	v_add_u32_e32 v5, v0, v2
	s_waitcnt lgkmcnt(0)
	v_mul_lo_u32 v4, s4, v2
	v_mul_lo_u32 v10, s4, v5
	v_mov_b32_e32 v5, v0
	s_branch .LBB101_11
.LBB101_10:                             ;   in Loop: Header=BB101_11 Depth=2
	s_or_b64 exec, exec, s[20:21]
	v_add_u32_e32 v10, v10, v4
	v_mov_b32_e32 v3, v38
	s_andn2_b64 exec, exec, s[22:23]
	s_cbranch_execz .LBB101_21
.LBB101_11:                             ;   Parent Loop BB101_6 Depth=1
                                        ; =>  This Inner Loop Header: Depth=2
	v_add_u32_e32 v5, v5, v2
	v_cmp_gt_u32_e64 s[18:19], s60, v5
	v_cmp_le_u32_e32 vcc, s60, v5
	s_waitcnt lgkmcnt(0)
	v_mov_b32_e32 v39, 0
	v_mov_b32_e32 v38, 0
	s_and_saveexec_b64 s[20:21], s[18:19]
	s_cbranch_execz .LBB101_13
; %bb.12:                               ;   in Loop: Header=BB101_11 Depth=2
	v_lshlrev_b64 v[40:41], 1, v[10:11]
	v_add_co_u32_e64 v40, s[18:19], s33, v40
	v_addc_co_u32_e64 v41, s[18:19], v17, v41, s[18:19]
	global_load_ushort v38, v[40:41], off
.LBB101_13:                             ;   in Loop: Header=BB101_11 Depth=2
	s_or_b64 exec, exec, s[20:21]
	s_waitcnt vmcnt(0)
	v_cmp_lt_i16_e64 s[18:19], -1, v3
	v_cndmask_b32_e64 v40, v29, v30, s[18:19]
	v_xor_b32_sdwa v40, v40, v3 dst_sel:DWORD dst_unused:UNUSED_PAD src0_sel:DWORD src1_sel:WORD_0
	v_cmp_o_f16_e64 s[18:19], v3, v3
	v_cndmask_b32_e64 v40, v29, v40, s[18:19]
	v_and_b32_e32 v40, v40, v34
	v_cmp_eq_u32_e64 s[18:19], v40, v35
	s_cmp_lg_u64 s[18:19], 0
	s_cselect_b64 s[4:5], -1, 0
	s_and_b64 s[4:5], s[0:1], s[4:5]
	s_and_saveexec_b64 s[24:25], s[4:5]
	s_cbranch_execz .LBB101_17
; %bb.14:                               ;   in Loop: Header=BB101_11 Depth=2
	s_mov_b64 s[28:29], exec
	v_mbcnt_lo_u32_b32 v39, s28, 0
	v_mbcnt_hi_u32_b32 v39, s29, v39
	s_bcnt1_i32_b64 s4, s[18:19]
	v_cmp_eq_u32_e64 s[20:21], 0, v39
                                        ; implicit-def: $vgpr40
	s_and_saveexec_b64 s[26:27], s[20:21]
	s_cbranch_execz .LBB101_16
; %bb.15:                               ;   in Loop: Header=BB101_11 Depth=2
	s_bcnt1_i32_b64 s5, s[28:29]
	s_mul_i32 s5, s4, s5
	v_mov_b32_e32 v40, s5
	ds_add_rtn_u32 v40, v11, v40 offset:4104
.LBB101_16:                             ;   in Loop: Header=BB101_11 Depth=2
	s_or_b64 exec, exec, s[26:27]
	s_waitcnt lgkmcnt(0)
	v_readfirstlane_b32 s5, v40
	v_mov_b32_e32 v40, s5
	v_mad_u32_u24 v39, s4, v39, v40
.LBB101_17:                             ;   in Loop: Header=BB101_11 Depth=2
	s_or_b64 exec, exec, s[24:25]
	ds_bpermute_b32 v39, v13, v39
	s_and_b64 s[4:5], exec, vcc
	s_or_b64 s[22:23], s[4:5], s[22:23]
	s_and_saveexec_b64 s[20:21], s[18:19]
	s_cbranch_execz .LBB101_10
; %bb.18:                               ;   in Loop: Header=BB101_11 Depth=2
	v_and_b32_e32 v41, s18, v6
	v_and_b32_e32 v40, s19, v7
	v_bcnt_u32_b32 v41, v41, 0
	v_bcnt_u32_b32 v40, v40, v41
	v_lshlrev_b32_e32 v40, 1, v40
	s_waitcnt lgkmcnt(0)
	v_lshl_add_u32 v39, v39, 1, v40
	ds_write_b16 v39, v3
	s_branch .LBB101_10
.LBB101_19:                             ;   in Loop: Header=BB101_6 Depth=1
	s_mov_b64 s[18:19], 0
                                        ; implicit-def: $sgpr4
	s_cbranch_execnz .LBB101_24
	s_branch .LBB101_34
.LBB101_20:                             ;   in Loop: Header=BB101_6 Depth=1
	s_mov_b32 s4, 0
	s_and_b64 vcc, exec, s[16:17]
	s_cbranch_vccnz .LBB101_24
	s_branch .LBB101_34
.LBB101_21:                             ;   in Loop: Header=BB101_6 Depth=1
	s_or_b64 exec, exec, s[22:23]
	s_waitcnt lgkmcnt(0)
	s_barrier
	s_mov_b64 s[18:19], exec
	v_readlane_b32 s4, v55, 21
	v_readlane_b32 s5, v55, 22
	s_and_b64 s[4:5], s[18:19], s[4:5]
	s_mov_b64 exec, s[4:5]
	s_cbranch_execz .LBB101_23
; %bb.22:                               ;   in Loop: Header=BB101_6 Depth=1
	ds_read_b32 v2, v11 offset:4104
	s_waitcnt lgkmcnt(0)
	ds_write_b32 v11, v2 offset:4096
.LBB101_23:                             ;   in Loop: Header=BB101_6 Depth=1
	s_or_b64 exec, exec, s[18:19]
	s_waitcnt lgkmcnt(0)
	s_barrier
	s_mov_b64 s[18:19], -1
	s_mov_b32 s4, 0
	s_and_b64 vcc, exec, s[16:17]
	s_cbranch_vccz .LBB101_34
.LBB101_24:                             ;   in Loop: Header=BB101_6 Depth=1
	v_mov_b32_e32 v2, 0
	s_mov_b64 s[16:17], exec
	v_readlane_b32 s4, v55, 43
	v_readlane_b32 s5, v55, 44
	s_and_b64 s[4:5], s[16:17], s[4:5]
	s_mov_b64 exec, s[4:5]
	s_cbranch_execz .LBB101_26
; %bb.25:                               ;   in Loop: Header=BB101_6 Depth=1
	global_load_ushort v2, v[8:9], off
.LBB101_26:                             ;   in Loop: Header=BB101_6 Depth=1
	s_or_b64 exec, exec, s[16:17]
	s_mov_b64 s[16:17], exec
	v_readlane_b32 s4, v55, 43
	v_readlane_b32 s5, v55, 44
	s_and_b64 s[4:5], s[16:17], s[4:5]
	s_mov_b64 exec, s[4:5]
	s_cbranch_execz .LBB101_31
; %bb.27:                               ;   in Loop: Header=BB101_6 Depth=1
	v_readlane_b32 s4, v55, 37
	v_readlane_b32 s5, v55, 38
	s_mov_b64 s[20:21], 0
	v_mov_b32_e32 v4, v19
	v_mov_b32_e32 v39, v0
	s_nop 1
	global_load_ushort v3, v11, s[4:5]
	v_readlane_b32 s4, v55, 41
	v_readlane_b32 s5, v55, 42
	s_load_dword s4, s[4:5], 0xe8
	s_waitcnt vmcnt(0)
	v_add_u32_e32 v10, v0, v3
	v_lshlrev_b32_e32 v5, 1, v3
	s_waitcnt lgkmcnt(0)
	v_mul_lo_u32 v38, s4, v3
	v_mul_lo_u32 v10, s4, v10
	s_branch .LBB101_29
.LBB101_28:                             ;   in Loop: Header=BB101_29 Depth=2
	s_or_b64 exec, exec, s[22:23]
	s_and_b64 s[4:5], exec, vcc
	s_or_b64 s[20:21], s[4:5], s[20:21]
	ds_write_b16 v4, v2
	v_add_u32_e32 v4, v4, v5
	v_add_u32_e32 v10, v10, v38
	s_waitcnt vmcnt(0)
	v_mov_b32_e32 v2, v40
	s_andn2_b64 exec, exec, s[20:21]
	s_cbranch_execz .LBB101_31
.LBB101_29:                             ;   Parent Loop BB101_6 Depth=1
                                        ; =>  This Inner Loop Header: Depth=2
	v_add_u32_e32 v39, v39, v3
	v_cmp_gt_u32_e64 s[18:19], s60, v39
	v_cmp_le_u32_e32 vcc, s60, v39
	v_mov_b32_e32 v40, 0
	s_and_saveexec_b64 s[22:23], s[18:19]
	s_cbranch_execz .LBB101_28
; %bb.30:                               ;   in Loop: Header=BB101_29 Depth=2
	v_lshlrev_b64 v[40:41], 1, v[10:11]
	v_mov_b32_e32 v42, s7
	v_add_co_u32_e64 v40, s[18:19], s33, v40
	v_addc_co_u32_e64 v41, s[18:19], v42, v41, s[18:19]
	global_load_ushort v40, v[40:41], off
	s_branch .LBB101_28
.LBB101_31:                             ;   in Loop: Header=BB101_6 Depth=1
	s_or_b64 exec, exec, s[16:17]
	s_waitcnt lgkmcnt(0)
	s_barrier
	s_mov_b64 s[16:17], exec
	v_readlane_b32 s4, v55, 21
	v_readlane_b32 s5, v55, 22
	s_and_b64 s[4:5], s[16:17], s[4:5]
	s_mov_b64 exec, s[4:5]
	s_cbranch_execz .LBB101_33
; %bb.32:                               ;   in Loop: Header=BB101_6 Depth=1
	s_waitcnt vmcnt(0)
	v_mov_b32_e32 v2, s60
	ds_write_b32 v11, v2 offset:4096
.LBB101_33:                             ;   in Loop: Header=BB101_6 Depth=1
	s_or_b64 exec, exec, s[16:17]
	s_mov_b64 s[18:19], -1
	s_waitcnt lgkmcnt(0)
	s_barrier
                                        ; implicit-def: $sgpr4
.LBB101_34:                             ;   in Loop: Header=BB101_6 Depth=1
	s_and_b64 vcc, exec, s[18:19]
	s_cbranch_vccz .LBB101_36
; %bb.35:                               ;   in Loop: Header=BB101_6 Depth=1
	s_waitcnt vmcnt(0)
	ds_read_b32 v2, v11 offset:4096
	s_waitcnt lgkmcnt(0)
	v_readfirstlane_b32 s4, v2
.LBB101_36:                             ;   in Loop: Header=BB101_6 Depth=1
	s_cmp_lt_i32 s4, 1
	s_cbranch_scc0 .LBB101_48
; %bb.37:                               ;   in Loop: Header=BB101_6 Depth=1
	s_waitcnt vmcnt(0)
	v_mov_b32_e32 v2, 0
	s_mov_b32 s5, 0
	v_mov_b32_e32 v3, 0
	v_mov_b32_e32 v4, v2
	;; [unrolled: 1-line block ×3, first 2 shown]
	s_mov_b64 s[48:49], exec
	v_readlane_b32 s10, v55, 58
	v_readlane_b32 s11, v55, 59
	s_and_b64 s[10:11], s[48:49], s[10:11]
	s_mov_b64 exec, s[10:11]
	s_cbranch_execz .LBB101_41
; %bb.38:                               ;   in Loop: Header=BB101_6 Depth=1
	s_and_b32 s10, s80, 0xfe
	s_mov_b64 s[50:51], 0
	s_mov_b32 s11, 0
	s_mov_b32 s16, 0
	;; [unrolled: 1-line block ×4, first 2 shown]
	v_mov_b32_e32 v38, v16
.LBB101_39:                             ;   Parent Loop BB101_6 Depth=1
                                        ; =>  This Inner Loop Header: Depth=2
	v_add_u32_e32 v10, s5, v25
	v_lshlrev_b64 v[2:3], 1, v[10:11]
	v_mov_b32_e32 v39, s7
	v_add_u32_e32 v10, s5, v22
	v_add_co_u32_e64 v2, s[18:19], s33, v2
	v_lshlrev_b64 v[4:5], 1, v[10:11]
	v_addc_co_u32_e64 v3, s[18:19], v39, v3, s[18:19]
	v_add_u32_e32 v10, s5, v23
	global_load_ushort v42, v[2:3], off
	v_add_co_u32_e64 v2, s[18:19], s33, v4
	v_lshlrev_b64 v[40:41], 1, v[10:11]
	v_add_u32_e32 v10, s5, v24
	v_addc_co_u32_e64 v3, s[18:19], v39, v5, s[18:19]
	v_lshlrev_b64 v[4:5], 1, v[10:11]
	global_load_ushort v10, v[2:3], off
	v_add_co_u32_e64 v2, s[18:19], s33, v40
	v_addc_co_u32_e64 v3, s[18:19], v39, v41, s[18:19]
	global_load_ushort v40, v[2:3], off
	v_add_co_u32_e64 v2, s[18:19], s33, v4
	v_addc_co_u32_e64 v3, s[18:19], v39, v5, s[18:19]
	global_load_ushort v2, v[2:3], off
	v_add_u32_e32 v38, s85, v38
	v_cmp_le_u32_e32 vcc, s8, v38
	s_add_i32 s5, s5, s87
	s_waitcnt vmcnt(3)
	v_cmp_lt_i16_e64 s[18:19], -1, v42
	v_cndmask_b32_e64 v3, v29, v30, s[18:19]
	v_xor_b32_sdwa v3, v3, v42 dst_sel:DWORD dst_unused:UNUSED_PAD src0_sel:DWORD src1_sel:WORD_0
	s_waitcnt vmcnt(2)
	v_cmp_lt_i16_e64 s[18:19], -1, v10
	v_cndmask_b32_e64 v4, v29, v30, s[18:19]
	v_cmp_o_f16_e64 s[18:19], v42, v42
	v_cndmask_b32_e64 v3, v29, v3, s[18:19]
	v_xor_b32_sdwa v4, v4, v10 dst_sel:DWORD dst_unused:UNUSED_PAD src0_sel:DWORD src1_sel:WORD_0
	s_waitcnt vmcnt(1)
	v_cmp_lt_i16_e64 s[18:19], -1, v40
	v_cndmask_b32_e64 v5, v29, v30, s[18:19]
	v_cmp_o_f16_e64 s[18:19], v10, v10
	v_cndmask_b32_e64 v4, v29, v4, s[18:19]
	v_xor_b32_sdwa v5, v5, v40 dst_sel:DWORD dst_unused:UNUSED_PAD src0_sel:DWORD src1_sel:WORD_0
	s_waitcnt vmcnt(0)
	v_cmp_lt_i16_e64 s[18:19], -1, v2
	v_cndmask_b32_e64 v10, v29, v30, s[18:19]
	v_and_b32_e32 v39, v3, v34
	v_bfe_u32 v3, v3, s10, 2
	v_cmp_o_f16_e64 s[18:19], v40, v40
	v_cndmask_b32_e64 v5, v29, v5, s[18:19]
	v_cmp_eq_u32_e64 s[18:19], v39, v35
	v_cmp_eq_u32_e64 s[20:21], 0, v3
	v_and_b32_e32 v39, v4, v34
	v_bfe_u32 v4, v4, s10, 2
	v_cmp_eq_u32_e64 s[22:23], 1, v3
	s_and_b64 s[20:21], s[18:19], s[20:21]
	v_xor_b32_sdwa v10, v10, v2 dst_sel:DWORD dst_unused:UNUSED_PAD src0_sel:DWORD src1_sel:WORD_0
	v_cmp_eq_u32_e64 s[24:25], 2, v3
	v_cmp_eq_u32_e64 s[26:27], 3, v3
	v_cmp_o_f16_e64 s[28:29], v2, v2
	v_cmp_eq_u32_e64 s[30:31], 0, v4
	v_cmp_eq_u32_e64 s[34:35], 1, v4
	;; [unrolled: 1-line block ×4, first 2 shown]
	v_cndmask_b32_e64 v4, 0, 1, s[20:21]
	s_and_b64 s[20:21], s[18:19], s[22:23]
	v_cndmask_b32_e64 v2, v29, v10, s[28:29]
	v_cmp_eq_u32_e64 s[28:29], v39, v35
	v_and_b32_e32 v3, v5, v34
	v_bfe_u32 v5, v5, s10, 2
	v_cndmask_b32_e64 v10, 0, 1, s[20:21]
	s_and_b64 s[20:21], s[18:19], s[24:25]
	s_and_b64 s[18:19], s[18:19], s[26:27]
	v_cndmask_b32_e64 v39, 0, 1, s[20:21]
	v_cndmask_b32_e64 v40, 0, 1, s[18:19]
	v_cmp_eq_u32_e64 s[18:19], v3, v35
	v_and_b32_e32 v3, v2, v34
	v_bfe_u32 v2, v2, s10, 2
	v_cmp_eq_u32_e64 s[20:21], 0, v5
	s_and_b64 s[30:31], s[28:29], s[30:31]
	s_and_b64 s[34:35], s[28:29], s[34:35]
	;; [unrolled: 1-line block ×4, first 2 shown]
	v_cmp_eq_u32_e64 s[22:23], 1, v5
	v_cmp_eq_u32_e64 s[24:25], 2, v5
	;; [unrolled: 1-line block ×3, first 2 shown]
	v_cndmask_b32_e64 v5, 0, 1, s[34:35]
	v_cmp_ne_u32_e64 s[34:35], 0, v39
	v_cndmask_b32_e64 v39, 0, 1, s[28:29]
	v_cmp_eq_u32_e64 s[28:29], v3, v35
	v_cmp_eq_u32_e64 s[38:39], 0, v2
	s_and_b64 s[20:21], s[18:19], s[20:21]
	v_cmp_eq_u32_e64 s[42:43], 1, v2
	v_cmp_eq_u32_e64 s[44:45], 2, v2
	;; [unrolled: 1-line block ×3, first 2 shown]
	v_cndmask_b32_e64 v2, 0, 1, s[20:21]
	s_and_b64 s[22:23], s[18:19], s[22:23]
	s_and_b64 s[24:25], s[18:19], s[24:25]
	;; [unrolled: 1-line block ×4, first 2 shown]
	v_cmp_ne_u32_e64 s[40:41], 0, v4
	v_cndmask_b32_e64 v4, 0, 1, s[30:31]
	v_cmp_ne_u32_e64 s[30:31], 0, v10
	v_cndmask_b32_e64 v10, 0, 1, s[36:37]
	v_cmp_ne_u32_e64 s[36:37], 0, v40
	v_cmp_ne_u32_e64 s[20:21], 0, v5
	v_cndmask_b32_e64 v3, 0, 1, s[22:23]
	v_cndmask_b32_e64 v5, 0, 1, s[18:19]
	v_cmp_ne_u32_e64 s[18:19], 0, v2
	v_cndmask_b32_e64 v2, 0, 1, s[26:27]
	s_and_b64 s[26:27], s[28:29], s[42:43]
	s_bcnt1_i32_b64 s53, s[40:41]
	v_cmp_ne_u32_e64 s[40:41], 0, v4
	s_bcnt1_i32_b64 s30, s[30:31]
	s_bcnt1_i32_b64 s31, s[34:35]
	v_cmp_ne_u32_e64 s[22:23], 0, v10
	v_cndmask_b32_e64 v4, 0, 1, s[24:25]
	s_bcnt1_i32_b64 s34, s[36:37]
	s_bcnt1_i32_b64 s37, s[20:21]
	v_cmp_ne_u32_e64 s[20:21], 0, v3
	v_cndmask_b32_e64 v3, 0, 1, s[26:27]
	s_and_b64 s[26:27], s[28:29], s[44:45]
	v_cmp_ne_u32_e64 s[24:25], 0, v39
	s_add_i32 s30, s17, s30
	s_bcnt1_i32_b64 s38, s[22:23]
	v_cmp_ne_u32_e64 s[22:23], 0, v4
	v_cndmask_b32_e64 v4, 0, 1, s[26:27]
	s_add_i32 s26, s16, s31
	s_and_b64 s[16:17], s[28:29], s[46:47]
	s_bcnt1_i32_b64 s35, s[40:41]
	s_add_i32 s36, s52, s53
	s_bcnt1_i32_b64 s27, s[24:25]
	v_cmp_ne_u32_e64 s[24:25], 0, v5
	v_cndmask_b32_e64 v5, 0, 1, s[16:17]
	s_add_i32 s11, s11, s34
	s_bcnt1_i32_b64 s16, s[18:19]
	v_cmp_ne_u32_e64 s[18:19], 0, v2
	s_add_i32 s17, s36, s35
	s_bcnt1_i32_b64 s28, s[20:21]
	v_cmp_ne_u32_e64 s[20:21], 0, v3
	;; [unrolled: 3-line block ×4, first 2 shown]
	s_add_i32 s11, s11, s27
	s_bcnt1_i32_b64 s18, s[18:19]
	s_add_i32 s16, s17, s16
	s_bcnt1_i32_b64 s17, s[20:21]
	;; [unrolled: 2-line block ×4, first 2 shown]
	s_add_i32 s11, s11, s31
	s_add_i32 s52, s16, s18
	;; [unrolled: 1-line block ×5, first 2 shown]
	s_or_b64 s[50:51], vcc, s[50:51]
	v_mov_b32_e32 v2, s52
	v_mov_b32_e32 v3, s17
	;; [unrolled: 1-line block ×4, first 2 shown]
	s_andn2_b64 exec, exec, s[50:51]
	s_cbranch_execnz .LBB101_39
; %bb.40:                               ;   in Loop: Header=BB101_6 Depth=1
	s_or_b64 exec, exec, s[50:51]
.LBB101_41:                             ;   in Loop: Header=BB101_6 Depth=1
	s_or_b64 exec, exec, s[48:49]
	v_mov_b32_e32 v38, 0
	s_and_saveexec_b64 s[16:17], s[14:15]
	s_cbranch_execz .LBB101_43
; %bb.42:                               ;   in Loop: Header=BB101_6 Depth=1
	global_load_ushort v38, v[14:15], off
.LBB101_43:                             ;   in Loop: Header=BB101_6 Depth=1
	s_or_b64 exec, exec, s[16:17]
	s_mov_b64 s[16:17], 0
	s_mov_b64 s[88:89], 0
	s_and_saveexec_b64 s[20:21], s[14:15]
	s_cbranch_execz .LBB101_50
; %bb.44:                               ;   in Loop: Header=BB101_6 Depth=1
	s_and_b32 s5, s80, 0xfe
	s_mov_b64 s[22:23], 0
	v_mov_b32_e32 v10, v26
	v_mov_b32_e32 v39, v21
	s_branch .LBB101_46
.LBB101_45:                             ;   in Loop: Header=BB101_46 Depth=2
	s_or_b64 exec, exec, s[24:25]
	s_and_b64 s[10:11], exec, vcc
	s_waitcnt vmcnt(0)
	v_cmp_lt_i16_e32 vcc, -1, v38
	v_cndmask_b32_e32 v41, v29, v30, vcc
	v_xor_b32_sdwa v41, v41, v38 dst_sel:DWORD dst_unused:UNUSED_PAD src0_sel:DWORD src1_sel:WORD_0
	v_cmp_o_f16_e32 vcc, v38, v38
	v_cndmask_b32_e32 v38, v29, v41, vcc
	v_and_b32_e32 v41, v38, v34
	v_bfe_u32 v38, v38, s5, 2
	s_or_b64 s[22:23], s[10:11], s[22:23]
	v_cmp_eq_u32_e32 vcc, v41, v35
	v_cmp_eq_u32_e64 s[18:19], 0, v38
	s_and_b64 s[10:11], vcc, s[18:19]
	v_cndmask_b32_e64 v41, 0, 1, s[10:11]
	v_cmp_ne_u32_e64 s[18:19], 0, v41
	s_bcnt1_i32_b64 s10, s[18:19]
	v_cmp_eq_u32_e64 s[18:19], 1, v38
	v_add_u32_e32 v2, s10, v2
	s_and_b64 s[10:11], vcc, s[18:19]
	v_cndmask_b32_e64 v41, 0, 1, s[10:11]
	v_cmp_ne_u32_e64 s[18:19], 0, v41
	s_bcnt1_i32_b64 s10, s[18:19]
	v_cmp_eq_u32_e64 s[18:19], 2, v38
	v_add_u32_e32 v3, s10, v3
	;; [unrolled: 6-line block ×3, first 2 shown]
	s_and_b64 s[10:11], vcc, s[18:19]
	v_cndmask_b32_e64 v38, 0, 1, s[10:11]
	v_cmp_ne_u32_e32 vcc, 0, v38
	s_bcnt1_i32_b64 s10, vcc
	v_add_u32_e32 v5, s10, v5
	v_add_u32_e32 v10, s6, v10
	v_mov_b32_e32 v38, v40
	s_andn2_b64 exec, exec, s[22:23]
	s_cbranch_execz .LBB101_49
.LBB101_46:                             ;   Parent Loop BB101_6 Depth=1
                                        ; =>  This Inner Loop Header: Depth=2
	v_add_u32_e32 v39, s84, v39
	v_cmp_gt_u32_e64 s[18:19], s60, v39
	v_cmp_le_u32_e32 vcc, s60, v39
	v_mov_b32_e32 v40, 0
	s_and_saveexec_b64 s[24:25], s[18:19]
	s_cbranch_execz .LBB101_45
; %bb.47:                               ;   in Loop: Header=BB101_46 Depth=2
	v_lshlrev_b64 v[40:41], 1, v[10:11]
	v_mov_b32_e32 v42, s7
	v_add_co_u32_e64 v40, s[18:19], s33, v40
	v_addc_co_u32_e64 v41, s[18:19], v42, v41, s[18:19]
	global_load_ushort v40, v[40:41], off
	s_branch .LBB101_45
.LBB101_48:                             ;   in Loop: Header=BB101_6 Depth=1
	s_mov_b64 s[88:89], 0
                                        ; implicit-def: $vgpr5
	s_cbranch_execnz .LBB101_51
	s_branch .LBB101_60
.LBB101_49:                             ;   in Loop: Header=BB101_6 Depth=1
	s_or_b64 exec, exec, s[22:23]
	s_mov_b64 s[88:89], exec
.LBB101_50:                             ;   in Loop: Header=BB101_6 Depth=1
	s_or_b64 exec, exec, s[20:21]
	s_and_b64 vcc, exec, s[16:17]
	s_cbranch_vccz .LBB101_60
.LBB101_51:                             ;   in Loop: Header=BB101_6 Depth=1
	v_readlane_b32 s5, v55, 57
	s_mul_hi_u32 s5, s4, s5
	s_mul_i32 s5, s5, s85
	s_sub_i32 s5, s4, s5
	s_sub_i32 s10, s5, s85
	s_cmp_ge_u32 s5, s85
	s_cselect_b32 s5, s10, s5
	s_sub_i32 s10, s5, s85
	s_cmp_ge_u32 s5, s85
	s_cselect_b32 s5, s10, s5
	s_sub_i32 s5, s4, s5
	v_cmp_gt_u32_e32 vcc, s5, v16
	s_mov_b32 s11, 0
	s_waitcnt vmcnt(0)
	v_mov_b32_e32 v2, 0
	v_mov_b32_e32 v3, 0
	;; [unrolled: 1-line block ×4, first 2 shown]
	s_and_saveexec_b64 s[90:91], vcc
	s_cbranch_execz .LBB101_55
; %bb.52:                               ;   in Loop: Header=BB101_6 Depth=1
	s_and_b32 s10, s80, 0xfe
	s_mov_b64 s[16:17], 0
	v_mov_b32_e32 v10, v27
	s_mov_b32 s62, 0
	s_mov_b32 s63, 0
	;; [unrolled: 1-line block ×3, first 2 shown]
	v_mov_b32_e32 v38, v16
.LBB101_53:                             ;   Parent Loop BB101_6 Depth=1
                                        ; =>  This Inner Loop Header: Depth=2
	ds_read_b64 v[2:3], v10
	v_add_u32_e32 v38, s85, v38
	v_cmp_le_u32_e32 vcc, s5, v38
	v_add_u32_e32 v10, s12, v10
	s_waitcnt lgkmcnt(0)
	v_cmp_lt_i16_e64 s[18:19], -1, v2
	v_cndmask_b32_e64 v4, v29, v30, s[18:19]
	v_cmp_gt_i16_sdwa s[18:19], v2, v31 src0_sel:WORD_1 src1_sel:DWORD
	v_cndmask_b32_e64 v5, v29, v30, s[18:19]
	v_cmp_lt_i16_e64 s[18:19], -1, v3
	v_cndmask_b32_e64 v39, v29, v30, s[18:19]
	v_cmp_gt_i16_sdwa s[18:19], v3, v31 src0_sel:WORD_1 src1_sel:DWORD
	v_cndmask_b32_e64 v40, v29, v30, s[18:19]
	v_xor_b32_sdwa v39, v39, v3 dst_sel:DWORD dst_unused:UNUSED_PAD src0_sel:DWORD src1_sel:WORD_0
	v_cmp_o_f16_e64 s[20:21], v3, v3
	v_xor_b32_sdwa v40, v40, v3 dst_sel:DWORD dst_unused:UNUSED_PAD src0_sel:DWORD src1_sel:WORD_1
	v_cmp_o_f16_sdwa s[22:23], v3, v3 src0_sel:WORD_1 src1_sel:WORD_1
	v_xor_b32_sdwa v3, v4, v2 dst_sel:DWORD dst_unused:UNUSED_PAD src0_sel:DWORD src1_sel:WORD_0
	v_cmp_o_f16_e64 s[24:25], v2, v2
	v_xor_b32_sdwa v5, v5, v2 dst_sel:DWORD dst_unused:UNUSED_PAD src0_sel:DWORD src1_sel:WORD_1
	v_cmp_o_f16_sdwa s[18:19], v2, v2 src0_sel:WORD_1 src1_sel:WORD_1
	v_cndmask_b32_e64 v2, v29, v3, s[24:25]
	v_cndmask_b32_e64 v3, v29, v5, s[18:19]
	;; [unrolled: 1-line block ×3, first 2 shown]
	v_and_b32_e32 v39, v2, v34
	v_bfe_u32 v2, v2, s10, 2
	v_cndmask_b32_e64 v5, v29, v40, s[22:23]
	v_and_b32_e32 v40, v3, v34
	v_bfe_u32 v3, v3, s10, 2
	v_cmp_eq_u32_e64 s[18:19], v39, v35
	v_cmp_eq_u32_e64 s[26:27], 0, v2
	v_and_b32_e32 v41, v4, v34
	v_bfe_u32 v4, v4, s10, 2
	v_cmp_eq_u32_e64 s[20:21], v40, v35
	v_cmp_eq_u32_e64 s[28:29], 0, v3
	s_and_b64 s[26:27], s[18:19], s[26:27]
	v_and_b32_e32 v42, v5, v34
	v_bfe_u32 v5, v5, s10, 2
	v_cmp_eq_u32_e64 s[22:23], v41, v35
	v_cmp_eq_u32_e64 s[30:31], 0, v4
	;; [unrolled: 1-line block ×5, first 2 shown]
	v_cndmask_b32_e64 v2, 0, 1, s[26:27]
	s_and_b64 s[26:27], s[20:21], s[28:29]
	v_cmp_eq_u32_e64 s[24:25], v42, v35
	v_cmp_eq_u32_e64 s[34:35], 0, v5
	;; [unrolled: 1-line block ×5, first 2 shown]
	v_cndmask_b32_e64 v3, 0, 1, s[26:27]
	s_and_b64 s[26:27], s[22:23], s[30:31]
	v_cmp_eq_u32_e64 s[40:41], 1, v4
	v_cmp_eq_u32_e64 s[48:49], 2, v4
	;; [unrolled: 1-line block ×3, first 2 shown]
	v_cndmask_b32_e64 v4, 0, 1, s[26:27]
	s_and_b64 s[26:27], s[24:25], s[34:35]
	v_cmp_eq_u32_e64 s[42:43], 1, v5
	v_cmp_eq_u32_e64 s[50:51], 2, v5
	;; [unrolled: 1-line block ×3, first 2 shown]
	v_cndmask_b32_e64 v5, 0, 1, s[26:27]
	s_and_b64 s[26:27], s[18:19], s[36:37]
	v_cndmask_b32_e64 v39, 0, 1, s[26:27]
	s_and_b64 s[26:27], s[20:21], s[38:39]
	;; [unrolled: 2-line block ×5, first 2 shown]
	s_and_b64 s[18:19], s[18:19], s[52:53]
	v_cndmask_b32_e64 v43, 0, 1, s[26:27]
	s_and_b64 s[26:27], s[20:21], s[46:47]
	v_cndmask_b32_e64 v47, 0, 1, s[18:19]
	;; [unrolled: 2-line block ×7, first 2 shown]
	v_cndmask_b32_e64 v50, 0, 1, s[18:19]
	v_cmp_ne_u32_e64 s[18:19], 0, v2
	v_cmp_ne_u32_e64 s[20:21], 0, v3
	;; [unrolled: 1-line block ×11, first 2 shown]
	s_bcnt1_i32_b64 s18, s[18:19]
	s_bcnt1_i32_b64 s19, s[20:21]
	s_bcnt1_i32_b64 s20, s[22:23]
	s_bcnt1_i32_b64 s21, s[24:25]
	s_bcnt1_i32_b64 s22, s[26:27]
	s_bcnt1_i32_b64 s24, s[30:31]
	s_bcnt1_i32_b64 s26, s[36:37]
	s_bcnt1_i32_b64 s30, s[44:45]
	v_cmp_ne_u32_e64 s[34:35], 0, v42
	v_cmp_ne_u32_e64 s[40:41], 0, v45
	;; [unrolled: 1-line block ×3, first 2 shown]
	s_bcnt1_i32_b64 s23, s[28:29]
	s_bcnt1_i32_b64 s27, s[38:39]
	;; [unrolled: 1-line block ×3, first 2 shown]
	s_add_i32 s18, s82, s18
	s_add_i32 s22, s63, s22
	;; [unrolled: 1-line block ×4, first 2 shown]
	v_cmp_ne_u32_e64 s[42:43], 0, v46
	v_cmp_ne_u32_e64 s[50:51], 0, v50
	s_bcnt1_i32_b64 s25, s[34:35]
	s_bcnt1_i32_b64 s28, s[40:41]
	;; [unrolled: 1-line block ×3, first 2 shown]
	s_add_i32 s18, s18, s19
	s_add_i32 s19, s22, s23
	;; [unrolled: 1-line block ×4, first 2 shown]
	s_bcnt1_i32_b64 s29, s[42:43]
	s_bcnt1_i32_b64 s35, s[50:51]
	s_add_i32 s18, s18, s20
	s_add_i32 s19, s19, s24
	;; [unrolled: 1-line block ×8, first 2 shown]
	s_or_b64 s[16:17], vcc, s[16:17]
	v_mov_b32_e32 v2, s82
	v_mov_b32_e32 v3, s63
	;; [unrolled: 1-line block ×4, first 2 shown]
	s_andn2_b64 exec, exec, s[16:17]
	s_cbranch_execnz .LBB101_53
; %bb.54:                               ;   in Loop: Header=BB101_6 Depth=1
	s_or_b64 exec, exec, s[16:17]
.LBB101_55:                             ;   in Loop: Header=BB101_6 Depth=1
	s_or_b64 exec, exec, s[90:91]
	v_add_u32_e32 v10, s5, v0
	v_cmp_gt_u32_e32 vcc, s4, v10
	s_and_saveexec_b64 s[16:17], vcc
	s_cbranch_execz .LBB101_59
; %bb.56:                               ;   in Loop: Header=BB101_6 Depth=1
	s_and_b32 s5, s80, 0xfe
	v_lshlrev_b32_e32 v38, 1, v10
	s_mov_b64 s[28:29], 0
.LBB101_57:                             ;   Parent Loop BB101_6 Depth=1
                                        ; =>  This Inner Loop Header: Depth=2
	ds_read_u16 v39, v38
	v_add_u32_e32 v10, s84, v10
	v_cmp_le_u32_e32 vcc, s4, v10
	v_add_u32_e32 v38, s13, v38
	s_waitcnt lgkmcnt(0)
	v_cmp_lt_i16_e64 s[18:19], -1, v39
	v_cndmask_b32_e64 v40, v29, v30, s[18:19]
	v_xor_b32_sdwa v40, v40, v39 dst_sel:DWORD dst_unused:UNUSED_PAD src0_sel:DWORD src1_sel:WORD_0
	v_cmp_o_f16_e64 s[18:19], v39, v39
	v_cndmask_b32_e64 v39, v29, v40, s[18:19]
	v_and_b32_e32 v40, v39, v34
	v_bfe_u32 v39, v39, s5, 2
	v_cmp_eq_u32_e64 s[18:19], v40, v35
	v_cmp_eq_u32_e64 s[20:21], 0, v39
	;; [unrolled: 1-line block ×3, first 2 shown]
	s_and_b64 s[10:11], s[18:19], s[20:21]
	v_cmp_eq_u32_e64 s[24:25], 2, v39
	v_cmp_eq_u32_e64 s[26:27], 3, v39
	v_cndmask_b32_e64 v39, 0, 1, s[10:11]
	s_and_b64 s[10:11], s[18:19], s[22:23]
	v_cndmask_b32_e64 v40, 0, 1, s[10:11]
	s_and_b64 s[10:11], s[18:19], s[24:25]
	;; [unrolled: 2-line block ×3, first 2 shown]
	v_cndmask_b32_e64 v42, 0, 1, s[10:11]
	v_cmp_ne_u32_e64 s[18:19], 0, v39
	v_cmp_ne_u32_e64 s[20:21], 0, v40
	;; [unrolled: 1-line block ×4, first 2 shown]
	s_bcnt1_i32_b64 s10, s[18:19]
	s_bcnt1_i32_b64 s11, s[20:21]
	;; [unrolled: 1-line block ×4, first 2 shown]
	v_add_u32_e32 v2, s10, v2
	v_add_u32_e32 v3, s11, v3
	;; [unrolled: 1-line block ×3, first 2 shown]
	s_or_b64 s[28:29], vcc, s[28:29]
	v_add_u32_e32 v5, s19, v5
	s_andn2_b64 exec, exec, s[28:29]
	s_cbranch_execnz .LBB101_57
; %bb.58:                               ;   in Loop: Header=BB101_6 Depth=1
	s_or_b64 exec, exec, s[28:29]
	s_or_b64 s[88:89], s[88:89], exec
.LBB101_59:                             ;   in Loop: Header=BB101_6 Depth=1
	s_or_b64 exec, exec, s[16:17]
.LBB101_60:                             ;   in Loop: Header=BB101_6 Depth=1
	s_and_saveexec_b64 s[16:17], s[88:89]
	s_or_b64 exec, exec, s[16:17]
	s_lshl_b32 s4, s81, 6
	s_and_saveexec_b64 s[16:17], s[0:1]
	s_cbranch_execz .LBB101_62
; %bb.61:                               ;   in Loop: Header=BB101_6 Depth=1
	v_or_b32_e32 v10, s4, v18
	v_lshlrev_b32_e32 v10, 2, v10
	s_waitcnt vmcnt(0)
	ds_write_b128 v10, v[2:5] offset:3072
.LBB101_62:                             ;   in Loop: Header=BB101_6 Depth=1
	s_or_b64 exec, exec, s[16:17]
	s_waitcnt lgkmcnt(0)
	s_barrier
	s_mov_b64 s[16:17], exec
	v_readlane_b32 s10, v55, 30
	v_readlane_b32 s11, v55, 31
	s_and_b64 s[10:11], s[16:17], s[10:11]
	s_mov_b64 exec, s[10:11]
	s_cbranch_execz .LBB101_76
; %bb.63:                               ;   in Loop: Header=BB101_6 Depth=1
	v_readlane_b32 s10, v55, 34
	v_readlane_b32 s11, v55, 35
	v_add_u32_e32 v4, s4, v1
	s_andn2_b64 vcc, exec, s[10:11]
	s_waitcnt vmcnt(0)
	v_mov_b32_e32 v2, 0
	s_cbranch_vccnz .LBB101_75
; %bb.64:                               ;   in Loop: Header=BB101_6 Depth=1
	v_readlane_b32 s10, v55, 39
	v_readlane_b32 s11, v55, 40
	s_mov_b32 s5, 0
	s_and_b64 vcc, exec, s[10:11]
	v_mov_b32_e32 v2, 0
	s_cbranch_vccz .LBB101_68
; %bb.65:                               ;   in Loop: Header=BB101_6 Depth=1
	v_readlane_b32 s10, v55, 47
	v_readlane_b32 s18, v55, 24
	;; [unrolled: 1-line block ×3, first 2 shown]
	v_lshl_add_u32 v5, v4, 2, v32
	v_readlane_b32 s19, v55, 25
	s_andn2_b64 vcc, exec, s[10:11]
	s_cbranch_vccnz .LBB101_69
; %bb.66:                               ;   in Loop: Header=BB101_6 Depth=1
	v_writelane_b32 v55, s18, 24
	v_writelane_b32 v55, s19, 25
	s_mov_b32 s19, 1
	s_mov_b32 s18, 0
	v_mov_b32_e32 v2, 0
	v_readlane_b32 s5, v55, 49
	v_mov_b32_e32 v3, 0
.LBB101_67:                             ;   Parent Loop BB101_6 Depth=1
                                        ; =>  This Inner Loop Header: Depth=2
	v_lshl_add_u32 v10, s18, 4, v5
	v_lshl_add_u32 v52, s19, 4, v5
	ds_read2_b32 v[38:39], v10 offset1:8
	ds_read2_b32 v[40:41], v52 offset1:8
	ds_read2_b32 v[42:43], v10 offset0:16 offset1:24
	ds_read2_b32 v[44:45], v52 offset0:16 offset1:24
	;; [unrolled: 1-line block ×6, first 2 shown]
	s_waitcnt lgkmcnt(7)
	v_add3_u32 v2, v38, v2, v39
	s_waitcnt lgkmcnt(6)
	v_add3_u32 v3, v40, v3, v41
	;; [unrolled: 2-line block ×3, first 2 shown]
	v_add3_u32 v2, v42, v2, v43
	s_add_i32 s19, s19, 16
	s_add_i32 s18, s18, 16
	s_add_i32 s5, s5, -8
	s_waitcnt lgkmcnt(3)
	v_add3_u32 v2, v46, v2, v47
	s_waitcnt lgkmcnt(2)
	v_add3_u32 v3, v48, v3, v49
	s_cmp_lg_u32 s5, 0
	s_waitcnt lgkmcnt(0)
	v_add3_u32 v3, v52, v3, v53
	v_add3_u32 v2, v50, v2, v51
	s_cbranch_scc1 .LBB101_67
	s_branch .LBB101_70
.LBB101_68:                             ;   in Loop: Header=BB101_6 Depth=1
	s_cbranch_execnz .LBB101_73
	s_branch .LBB101_75
.LBB101_69:                             ;   in Loop: Header=BB101_6 Depth=1
	s_mov_b32 s10, s18
	s_mov_b32 s19, s18
	v_writelane_b32 v55, s10, 24
	v_pk_mov_b32 v[2:3], s[18:19], s[18:19] op_sel:[0,1]
	s_mov_b32 s19, 1
	v_writelane_b32 v55, s11, 25
.LBB101_70:                             ;   in Loop: Header=BB101_6 Depth=1
	v_readlane_b32 s10, v55, 51
	v_readlane_b32 s11, v55, 52
	s_andn2_b64 vcc, exec, s[10:11]
	v_readlane_b32 s5, v55, 50
	s_cbranch_vccnz .LBB101_72
.LBB101_71:                             ;   Parent Loop BB101_6 Depth=1
                                        ; =>  This Inner Loop Header: Depth=2
	v_lshl_add_u32 v10, s18, 4, v5
	v_lshl_add_u32 v38, s19, 4, v5
	ds_read_b32 v38, v38
	ds_read_b32 v10, v10
	s_add_i32 s19, s19, 2
	s_add_i32 s18, s18, 2
	s_add_i32 s5, s5, -1
	s_cmp_lg_u32 s5, 0
	s_waitcnt lgkmcnt(1)
	v_add_u32_e32 v3, v38, v3
	s_waitcnt lgkmcnt(0)
	v_add_u32_e32 v2, v10, v2
	s_cbranch_scc1 .LBB101_71
.LBB101_72:                             ;   in Loop: Header=BB101_6 Depth=1
	v_readlane_b32 s18, v55, 55
	v_add_u32_e32 v2, v2, v3
	v_readlane_b32 s5, v55, 54
	v_readlane_b32 s19, v55, 56
	s_and_b64 vcc, exec, s[18:19]
	s_cbranch_vccz .LBB101_75
.LBB101_73:                             ;   in Loop: Header=BB101_6 Depth=1
	s_lshl_b32 s10, s81, 8
	s_lshl_b32 s11, s5, 4
	s_add_i32 s10, s10, s11
	v_add_u32_e32 v3, s10, v28
	v_readlane_b32 s10, v55, 53
	s_sub_i32 s5, s10, s5
.LBB101_74:                             ;   Parent Loop BB101_6 Depth=1
                                        ; =>  This Inner Loop Header: Depth=2
	ds_read_b32 v5, v3
	s_add_i32 s5, s5, -1
	v_add_u32_e32 v3, 16, v3
	s_cmp_eq_u32 s5, 0
	s_waitcnt lgkmcnt(0)
	v_add_u32_e32 v2, v5, v2
	s_cbranch_scc0 .LBB101_74
.LBB101_75:                             ;   in Loop: Header=BB101_6 Depth=1
	v_lshlrev_b32_e32 v3, 2, v4
	ds_write_b32 v3, v2 offset:3072
.LBB101_76:                             ;   in Loop: Header=BB101_6 Depth=1
	s_or_b64 exec, exec, s[16:17]
	s_lshl_b32 s4, s4, 2
	s_waitcnt vmcnt(0)
	v_mov_b32_e32 v2, s4
	s_waitcnt lgkmcnt(0)
	s_barrier
	ds_read_b128 v[2:5], v2 offset:3072
	s_and_b32 s62, s80, 0xfe
	v_readlane_b32 s16, v55, 28
	s_lshl_b32 s4, 3, s62
	v_readlane_b32 s17, v55, 29
	s_waitcnt lgkmcnt(0)
	v_readfirstlane_b32 s5, v2
	v_readfirstlane_b32 s11, v3
	v_readfirstlane_b32 s63, v4
	v_readfirstlane_b32 s82, v5
	s_not_b32 s10, s4
	s_andn2_b64 vcc, exec, s[16:17]
	v_cmp_eq_u32_e64 s[18:19], 1, v37
	s_cbranch_vccnz .LBB101_89
; %bb.77:                               ;   in Loop: Header=BB101_6 Depth=1
	s_cmp_eq_u32 s5, 1
	s_cselect_b64 s[16:17], -1, 0
	s_and_b64 s[36:37], s[16:17], s[18:19]
	s_mov_b64 s[38:39], -1
	v_mov_b32_e32 v2, v35
	v_mov_b32_e32 v3, v34
	;; [unrolled: 1-line block ×3, first 2 shown]
                                        ; implicit-def: $sgpr22_sgpr23
                                        ; implicit-def: $sgpr28_sgpr29
                                        ; implicit-def: $sgpr26_sgpr27
	s_and_saveexec_b64 s[16:17], s[36:37]
	s_cbranch_execz .LBB101_105
; %bb.78:                               ;   in Loop: Header=BB101_6 Depth=1
	ds_read_b32 v2, v11 offset:4096
	s_waitcnt lgkmcnt(0)
	s_barrier
	v_readfirstlane_b32 s28, v2
	s_mov_b64 s[20:21], exec
	v_readlane_b32 s22, v55, 45
	v_readlane_b32 s23, v55, 46
	s_and_b64 s[22:23], s[20:21], s[22:23]
	s_mov_b64 exec, s[22:23]
	s_cbranch_execz .LBB101_80
; %bb.79:                               ;   in Loop: Header=BB101_6 Depth=1
	ds_write_b16 v20, v11
.LBB101_80:                             ;   in Loop: Header=BB101_6 Depth=1
	s_or_b64 exec, exec, s[20:21]
	v_and_b32_e32 v2, s10, v35
	v_or_b32_e32 v3, s4, v34
	s_cmp_eq_u32 s28, 0
	s_waitcnt lgkmcnt(0)
	s_barrier
	s_cbranch_scc1 .LBB101_91
; %bb.81:                               ;   in Loop: Header=BB101_6 Depth=1
	v_readlane_b32 s20, v55, 36
	s_add_i32 s20, s28, s20
	v_readlane_b32 s21, v55, 60
	s_mul_hi_u32 s21, s20, s21
	s_mul_i32 s21, s21, s84
	s_sub_i32 s21, s20, s21
	s_sub_i32 s22, s21, s84
	s_cmp_ge_u32 s21, s84
	s_cselect_b32 s21, s22, s21
	s_sub_i32 s22, s21, s84
	s_cmp_ge_u32 s21, s84
	s_cselect_b32 s21, s22, s21
	s_sub_i32 s29, s20, s21
	v_cmp_gt_u32_e32 vcc, s29, v0
	s_mov_b64 s[20:21], 0
                                        ; implicit-def: $vgpr4
	s_and_saveexec_b64 s[22:23], vcc
	s_cbranch_execz .LBB101_93
; %bb.82:                               ;   in Loop: Header=BB101_6 Depth=1
	s_mov_b64 s[24:25], 0
	v_mov_b32_e32 v4, v19
	v_mov_b32_e32 v5, v0
                                        ; implicit-def: $sgpr26_sgpr27
	s_branch .LBB101_84
.LBB101_83:                             ;   in Loop: Header=BB101_84 Depth=2
	s_or_b64 exec, exec, s[20:21]
	s_waitcnt lgkmcnt(0)
	s_barrier
	ds_read_b32 v10, v11 offset:3072
	v_add_u32_e32 v5, s84, v5
	v_cmp_le_u32_e64 s[20:21], s29, v5
	v_add_u32_e32 v4, s13, v4
	s_waitcnt lgkmcnt(0)
	v_cmp_neq_f16_e32 vcc, 0, v10
	s_or_b64 s[20:21], s[20:21], vcc
	s_and_b64 s[20:21], exec, s[20:21]
	s_or_b64 s[24:25], s[20:21], s[24:25]
	s_andn2_b64 s[20:21], s[26:27], exec
	s_and_b64 s[26:27], vcc, exec
	s_or_b64 s[26:27], s[20:21], s[26:27]
	s_barrier
	s_andn2_b64 exec, exec, s[24:25]
	s_cbranch_execz .LBB101_92
.LBB101_84:                             ;   Parent Loop BB101_6 Depth=1
                                        ; =>  This Inner Loop Header: Depth=2
	v_cmp_gt_u32_e32 vcc, s28, v5
	v_mov_b32_e32 v10, 0
	s_and_saveexec_b64 s[20:21], vcc
	s_cbranch_execz .LBB101_86
; %bb.85:                               ;   in Loop: Header=BB101_84 Depth=2
	ds_read_u16 v10, v4
.LBB101_86:                             ;   in Loop: Header=BB101_84 Depth=2
	s_or_b64 exec, exec, s[20:21]
	s_and_saveexec_b64 s[20:21], vcc
	s_cbranch_execz .LBB101_83
; %bb.87:                               ;   in Loop: Header=BB101_84 Depth=2
	s_waitcnt lgkmcnt(0)
	v_cmp_lt_i16_e32 vcc, -1, v10
	v_cndmask_b32_e32 v38, v29, v30, vcc
	v_xor_b32_sdwa v38, v38, v10 dst_sel:DWORD dst_unused:UNUSED_PAD src0_sel:DWORD src1_sel:WORD_0
	v_cmp_o_f16_e32 vcc, v10, v10
	v_cndmask_b32_e32 v38, v29, v38, vcc
	v_and_b32_e32 v38, v38, v3
	v_cmp_eq_u32_e32 vcc, v38, v2
	s_and_b64 exec, exec, vcc
	s_cbranch_execz .LBB101_83
; %bb.88:                               ;   in Loop: Header=BB101_84 Depth=2
	v_perm_b32 v10, v10, s9, v33
	ds_write_b32 v11, v10 offset:3072
	s_branch .LBB101_83
.LBB101_89:                             ;   in Loop: Header=BB101_6 Depth=1
	s_mov_b64 s[24:25], 0
	s_mov_b64 s[20:21], 0
                                        ; implicit-def: $sgpr26_sgpr27
                                        ; implicit-def: $sgpr28_sgpr29
                                        ; implicit-def: $sgpr22_sgpr23
                                        ; implicit-def: $vgpr10
                                        ; implicit-def: $vgpr5
                                        ; implicit-def: $vgpr2
                                        ; implicit-def: $vgpr3
                                        ; implicit-def: $vgpr4
	s_cbranch_execnz .LBB101_241
.LBB101_90:                             ;   in Loop: Header=BB101_6 Depth=1
	s_mov_b64 s[30:31], s[22:23]
	s_mov_b64 s[34:35], s[22:23]
	s_and_saveexec_b64 s[16:17], s[24:25]
	s_cbranch_execnz .LBB101_403
	s_branch .LBB101_404
.LBB101_91:                             ;   in Loop: Header=BB101_6 Depth=1
	s_mov_b64 s[22:23], -1
	s_mov_b64 s[20:21], 0
                                        ; implicit-def: $sgpr26_sgpr27
                                        ; implicit-def: $vgpr4
	s_mov_b64 s[28:29], s[22:23]
	s_cbranch_execnz .LBB101_94
	s_branch .LBB101_104
.LBB101_92:                             ;   in Loop: Header=BB101_6 Depth=1
	s_or_b64 exec, exec, s[24:25]
	v_lshrrev_b32_e32 v4, 16, v10
	s_and_b64 s[20:21], s[26:27], exec
.LBB101_93:                             ;   in Loop: Header=BB101_6 Depth=1
	s_or_b64 exec, exec, s[22:23]
	s_mov_b64 s[26:27], -1
	s_mov_b64 s[22:23], 0
	s_mov_b64 s[28:29], s[22:23]
	s_branch .LBB101_104
.LBB101_94:                             ;   in Loop: Header=BB101_6 Depth=1
	s_mov_b64 s[20:21], 0
                                        ; implicit-def: $vgpr4
	s_mov_b64 s[22:23], exec
	v_readlane_b32 s24, v55, 61
	v_readlane_b32 s25, v55, 62
	s_and_b64 s[24:25], s[22:23], s[24:25]
	s_mov_b64 exec, s[24:25]
	s_cbranch_execz .LBB101_103
; %bb.95:                               ;   in Loop: Header=BB101_6 Depth=1
	s_mov_b64 s[24:25], 0
	v_mov_b32_e32 v10, v12
	v_mov_b32_e32 v4, v0
                                        ; implicit-def: $sgpr26_sgpr27
	s_branch .LBB101_97
.LBB101_96:                             ;   in Loop: Header=BB101_97 Depth=2
	s_or_b64 exec, exec, s[20:21]
	s_waitcnt lgkmcnt(0)
	s_barrier
	s_waitcnt vmcnt(0)
	ds_read_b32 v5, v11 offset:3072
	v_add_u32_e32 v4, s84, v4
	v_cmp_le_u32_e64 s[20:21], s86, v4
	v_add_u32_e32 v10, s6, v10
	s_waitcnt lgkmcnt(0)
	v_cmp_neq_f16_e32 vcc, 0, v5
	s_or_b64 s[20:21], s[20:21], vcc
	s_and_b64 s[20:21], exec, s[20:21]
	s_or_b64 s[24:25], s[20:21], s[24:25]
	s_andn2_b64 s[20:21], s[26:27], exec
	s_and_b64 s[26:27], vcc, exec
	s_or_b64 s[26:27], s[20:21], s[26:27]
	s_barrier
	s_andn2_b64 exec, exec, s[24:25]
	s_cbranch_execz .LBB101_102
.LBB101_97:                             ;   Parent Loop BB101_6 Depth=1
                                        ; =>  This Inner Loop Header: Depth=2
	v_cmp_gt_u32_e32 vcc, s60, v4
	v_mov_b32_e32 v5, 0
	s_and_saveexec_b64 s[28:29], vcc
	s_cbranch_execz .LBB101_99
; %bb.98:                               ;   in Loop: Header=BB101_97 Depth=2
	v_lshlrev_b64 v[38:39], 1, v[10:11]
	v_mov_b32_e32 v5, s7
	v_add_co_u32_e64 v38, s[20:21], s33, v38
	v_addc_co_u32_e64 v39, s[20:21], v5, v39, s[20:21]
	global_load_ushort v5, v[38:39], off
.LBB101_99:                             ;   in Loop: Header=BB101_97 Depth=2
	s_or_b64 exec, exec, s[28:29]
	s_and_saveexec_b64 s[20:21], vcc
	s_cbranch_execz .LBB101_96
; %bb.100:                              ;   in Loop: Header=BB101_97 Depth=2
	s_waitcnt vmcnt(0)
	v_cmp_lt_i16_e32 vcc, -1, v5
	v_cndmask_b32_e32 v38, v29, v30, vcc
	v_xor_b32_sdwa v38, v38, v5 dst_sel:DWORD dst_unused:UNUSED_PAD src0_sel:DWORD src1_sel:WORD_0
	v_cmp_o_f16_e32 vcc, v5, v5
	v_cndmask_b32_e32 v38, v29, v38, vcc
	v_and_b32_e32 v38, v38, v3
	v_cmp_eq_u32_e32 vcc, v38, v2
	s_and_b64 exec, exec, vcc
	s_cbranch_execz .LBB101_96
; %bb.101:                              ;   in Loop: Header=BB101_97 Depth=2
	v_perm_b32 v5, v5, s9, v33
	ds_write_b32 v11, v5 offset:3072
	s_branch .LBB101_96
.LBB101_102:                            ;   in Loop: Header=BB101_6 Depth=1
	s_or_b64 exec, exec, s[24:25]
	v_lshrrev_b32_e32 v4, 16, v5
	s_and_b64 s[20:21], s[26:27], exec
.LBB101_103:                            ;   in Loop: Header=BB101_6 Depth=1
	s_or_b64 exec, exec, s[22:23]
	s_mov_b64 s[28:29], -1
	s_mov_b64 s[22:23], 0
	s_mov_b64 s[26:27], 0
.LBB101_104:                            ;   in Loop: Header=BB101_6 Depth=1
	s_orn2_b64 s[38:39], s[20:21], exec
.LBB101_105:                            ;   in Loop: Header=BB101_6 Depth=1
	s_or_b64 exec, exec, s[16:17]
	s_mov_b64 s[30:31], 0
	s_mov_b64 s[24:25], 0
	;; [unrolled: 1-line block ×3, first 2 shown]
                                        ; implicit-def: $vgpr10
                                        ; implicit-def: $vgpr5
	s_and_saveexec_b64 s[34:35], s[38:39]
	s_cbranch_execz .LBB101_240
; %bb.106:                              ;   in Loop: Header=BB101_6 Depth=1
	s_xor_b64 s[24:25], s[36:37], -1
	v_mov_b32_e32 v5, 1
	v_mov_b32_e32 v10, 1
	s_and_saveexec_b64 s[16:17], s[24:25]
	s_cbranch_execz .LBB101_116
; %bb.107:                              ;   in Loop: Header=BB101_6 Depth=1
	v_cmp_ge_u32_e32 vcc, s5, v37
                                        ; implicit-def: $sgpr36
                                        ; implicit-def: $sgpr20_sgpr21
	s_and_saveexec_b64 s[24:25], vcc
	s_xor_b64 s[24:25], exec, s[24:25]
	s_cbranch_execz .LBB101_113
; %bb.108:                              ;   in Loop: Header=BB101_6 Depth=1
	ds_read_b32 v5, v11 offset:4096
	s_waitcnt lgkmcnt(0)
	v_cmp_ne_u32_e32 vcc, 0, v5
	s_cbranch_vccnz .LBB101_112
; %bb.109:                              ;   in Loop: Header=BB101_6 Depth=1
	s_mov_b64 s[20:21], exec
	v_readlane_b32 s36, v55, 21
	v_readlane_b32 s37, v55, 22
	s_and_b64 s[36:37], s[20:21], s[36:37]
	s_mov_b64 exec, s[36:37]
	s_cbranch_execz .LBB101_111
; %bb.110:                              ;   in Loop: Header=BB101_6 Depth=1
	v_mov_b32_e32 v5, s5
	ds_write_b32 v11, v5 offset:4100
.LBB101_111:                            ;   in Loop: Header=BB101_6 Depth=1
	s_or_b64 exec, exec, s[20:21]
	s_waitcnt lgkmcnt(0)
	s_barrier
.LBB101_112:                            ;   in Loop: Header=BB101_6 Depth=1
	v_and_b32_e32 v2, s10, v2
	v_or_b32_e32 v3, s4, v3
	s_mov_b64 s[20:21], 0
	s_mov_b32 s36, 8
.LBB101_113:                            ;   in Loop: Header=BB101_6 Depth=1
	s_or_saveexec_b64 s[24:25], s[24:25]
	v_mov_b32_e32 v10, s36
	v_mov_b32_e32 v5, v37
	s_xor_b64 exec, exec, s[24:25]
; %bb.114:                              ;   in Loop: Header=BB101_6 Depth=1
	v_subrev_u32_e32 v5, s5, v37
	v_mov_b32_e32 v10, 0
	s_or_b64 s[20:21], s[20:21], exec
; %bb.115:                              ;   in Loop: Header=BB101_6 Depth=1
	s_or_b64 exec, exec, s[24:25]
	s_and_b64 s[20:21], s[20:21], exec
.LBB101_116:                            ;   in Loop: Header=BB101_6 Depth=1
	s_or_b64 exec, exec, s[16:17]
	s_mov_b64 s[38:39], -1
                                        ; implicit-def: $sgpr16_sgpr17
                                        ; implicit-def: $sgpr36_sgpr37
                                        ; implicit-def: $sgpr42_sgpr43
	s_and_saveexec_b64 s[24:25], s[20:21]
	s_xor_b64 s[24:25], exec, s[24:25]
	s_cbranch_execz .LBB101_237
; %bb.117:                              ;   in Loop: Header=BB101_6 Depth=1
	s_cmp_eq_u32 s11, 1
	s_cselect_b64 s[16:17], -1, 0
	v_cmp_eq_u32_e32 vcc, 1, v5
	s_and_b64 s[44:45], s[16:17], vcc
	s_mov_b64 s[46:47], -1
                                        ; implicit-def: $sgpr36_sgpr37
                                        ; implicit-def: $sgpr40_sgpr41
                                        ; implicit-def: $sgpr38_sgpr39
	s_and_saveexec_b64 s[16:17], s[44:45]
	s_cbranch_execz .LBB101_143
; %bb.118:                              ;   in Loop: Header=BB101_6 Depth=1
	ds_read_b32 v4, v11 offset:4096
	s_waitcnt lgkmcnt(0)
	s_barrier
	v_readfirstlane_b32 s42, v4
	s_mov_b64 s[20:21], exec
	v_readlane_b32 s36, v55, 45
	v_readlane_b32 s37, v55, 46
	s_and_b64 s[36:37], s[20:21], s[36:37]
	s_mov_b64 exec, s[36:37]
	s_cbranch_execz .LBB101_120
; %bb.119:                              ;   in Loop: Header=BB101_6 Depth=1
	ds_write_b16 v20, v11
.LBB101_120:                            ;   in Loop: Header=BB101_6 Depth=1
	s_or_b64 exec, exec, s[20:21]
	v_and_b32_e32 v2, s10, v2
	v_lshl_or_b32 v2, 1, s62, v2
	v_or_b32_e32 v3, s4, v3
	s_cmp_eq_u32 s42, 0
	s_waitcnt lgkmcnt(0)
	s_barrier
	s_cbranch_scc1 .LBB101_129
; %bb.121:                              ;   in Loop: Header=BB101_6 Depth=1
	v_readlane_b32 s20, v55, 36
	s_add_i32 s20, s42, s20
	v_readlane_b32 s21, v55, 60
	s_mul_hi_u32 s21, s20, s21
	s_mul_i32 s21, s21, s84
	s_sub_i32 s21, s20, s21
	s_sub_i32 s36, s21, s84
	s_cmp_ge_u32 s21, s84
	s_cselect_b32 s21, s36, s21
	s_sub_i32 s36, s21, s84
	s_cmp_ge_u32 s21, s84
	s_cselect_b32 s21, s36, s21
	s_sub_i32 s43, s20, s21
	v_cmp_gt_u32_e32 vcc, s43, v0
	s_mov_b64 s[20:21], 0
                                        ; implicit-def: $vgpr4
	s_and_saveexec_b64 s[36:37], vcc
	s_cbranch_execz .LBB101_131
; %bb.122:                              ;   in Loop: Header=BB101_6 Depth=1
	s_mov_b64 s[38:39], 0
	v_mov_b32_e32 v4, v19
	v_mov_b32_e32 v10, v0
                                        ; implicit-def: $sgpr40_sgpr41
	s_branch .LBB101_124
.LBB101_123:                            ;   in Loop: Header=BB101_124 Depth=2
	s_or_b64 exec, exec, s[20:21]
	s_waitcnt lgkmcnt(0)
	s_barrier
	ds_read_b32 v38, v11 offset:3072
	v_add_u32_e32 v10, s84, v10
	v_cmp_le_u32_e64 s[20:21], s43, v10
	v_add_u32_e32 v4, s13, v4
	s_waitcnt lgkmcnt(0)
	v_cmp_neq_f16_e32 vcc, 0, v38
	s_or_b64 s[20:21], s[20:21], vcc
	s_and_b64 s[20:21], exec, s[20:21]
	s_or_b64 s[38:39], s[20:21], s[38:39]
	s_andn2_b64 s[20:21], s[40:41], exec
	s_and_b64 s[40:41], vcc, exec
	s_or_b64 s[40:41], s[20:21], s[40:41]
	s_barrier
	s_andn2_b64 exec, exec, s[38:39]
	s_cbranch_execz .LBB101_130
.LBB101_124:                            ;   Parent Loop BB101_6 Depth=1
                                        ; =>  This Inner Loop Header: Depth=2
	v_cmp_gt_u32_e32 vcc, s42, v10
	v_mov_b32_e32 v38, 0
	s_and_saveexec_b64 s[20:21], vcc
	s_cbranch_execz .LBB101_126
; %bb.125:                              ;   in Loop: Header=BB101_124 Depth=2
	ds_read_u16 v38, v4
.LBB101_126:                            ;   in Loop: Header=BB101_124 Depth=2
	s_or_b64 exec, exec, s[20:21]
	s_and_saveexec_b64 s[20:21], vcc
	s_cbranch_execz .LBB101_123
; %bb.127:                              ;   in Loop: Header=BB101_124 Depth=2
	s_waitcnt lgkmcnt(0)
	v_cmp_lt_i16_e32 vcc, -1, v38
	v_cndmask_b32_e32 v39, v29, v30, vcc
	v_xor_b32_sdwa v39, v39, v38 dst_sel:DWORD dst_unused:UNUSED_PAD src0_sel:DWORD src1_sel:WORD_0
	v_cmp_o_f16_e32 vcc, v38, v38
	v_cndmask_b32_e32 v39, v29, v39, vcc
	v_and_b32_e32 v39, v39, v3
	v_cmp_eq_u32_e32 vcc, v39, v2
	s_and_b64 exec, exec, vcc
	s_cbranch_execz .LBB101_123
; %bb.128:                              ;   in Loop: Header=BB101_124 Depth=2
	v_perm_b32 v38, v38, s9, v33
	ds_write_b32 v11, v38 offset:3072
	s_branch .LBB101_123
.LBB101_129:                            ;   in Loop: Header=BB101_6 Depth=1
	s_mov_b64 s[36:37], -1
	s_mov_b64 s[20:21], 0
                                        ; implicit-def: $sgpr38_sgpr39
                                        ; implicit-def: $vgpr4
	s_mov_b64 s[40:41], s[36:37]
	s_cbranch_execnz .LBB101_132
	s_branch .LBB101_142
.LBB101_130:                            ;   in Loop: Header=BB101_6 Depth=1
	s_or_b64 exec, exec, s[38:39]
	v_lshrrev_b32_e32 v4, 16, v38
	s_and_b64 s[20:21], s[40:41], exec
.LBB101_131:                            ;   in Loop: Header=BB101_6 Depth=1
	s_or_b64 exec, exec, s[36:37]
	s_mov_b64 s[38:39], -1
	s_mov_b64 s[36:37], 0
	s_mov_b64 s[40:41], s[36:37]
	s_branch .LBB101_142
.LBB101_132:                            ;   in Loop: Header=BB101_6 Depth=1
	s_mov_b64 s[20:21], 0
                                        ; implicit-def: $vgpr4
	s_mov_b64 s[36:37], exec
	v_readlane_b32 s38, v55, 61
	v_readlane_b32 s39, v55, 62
	s_and_b64 s[38:39], s[36:37], s[38:39]
	s_mov_b64 exec, s[38:39]
	s_cbranch_execz .LBB101_141
; %bb.133:                              ;   in Loop: Header=BB101_6 Depth=1
	s_mov_b64 s[38:39], 0
	v_mov_b32_e32 v10, v12
	v_mov_b32_e32 v4, v0
                                        ; implicit-def: $sgpr40_sgpr41
	s_branch .LBB101_135
.LBB101_134:                            ;   in Loop: Header=BB101_135 Depth=2
	s_or_b64 exec, exec, s[20:21]
	s_waitcnt lgkmcnt(0)
	s_barrier
	s_waitcnt vmcnt(0)
	ds_read_b32 v38, v11 offset:3072
	v_add_u32_e32 v4, s84, v4
	v_cmp_le_u32_e64 s[20:21], s86, v4
	v_add_u32_e32 v10, s6, v10
	s_waitcnt lgkmcnt(0)
	v_cmp_neq_f16_e32 vcc, 0, v38
	s_or_b64 s[20:21], s[20:21], vcc
	s_and_b64 s[20:21], exec, s[20:21]
	s_or_b64 s[38:39], s[20:21], s[38:39]
	s_andn2_b64 s[20:21], s[40:41], exec
	s_and_b64 s[40:41], vcc, exec
	s_or_b64 s[40:41], s[20:21], s[40:41]
	s_barrier
	s_andn2_b64 exec, exec, s[38:39]
	s_cbranch_execz .LBB101_140
.LBB101_135:                            ;   Parent Loop BB101_6 Depth=1
                                        ; =>  This Inner Loop Header: Depth=2
	v_cmp_gt_u32_e32 vcc, s60, v4
	v_mov_b32_e32 v38, 0
	s_and_saveexec_b64 s[42:43], vcc
	s_cbranch_execz .LBB101_137
; %bb.136:                              ;   in Loop: Header=BB101_135 Depth=2
	v_lshlrev_b64 v[38:39], 1, v[10:11]
	v_mov_b32_e32 v40, s7
	v_add_co_u32_e64 v38, s[20:21], s33, v38
	v_addc_co_u32_e64 v39, s[20:21], v40, v39, s[20:21]
	global_load_ushort v38, v[38:39], off
.LBB101_137:                            ;   in Loop: Header=BB101_135 Depth=2
	s_or_b64 exec, exec, s[42:43]
	s_and_saveexec_b64 s[20:21], vcc
	s_cbranch_execz .LBB101_134
; %bb.138:                              ;   in Loop: Header=BB101_135 Depth=2
	s_waitcnt vmcnt(0)
	v_cmp_lt_i16_e32 vcc, -1, v38
	v_cndmask_b32_e32 v39, v29, v30, vcc
	v_xor_b32_sdwa v39, v39, v38 dst_sel:DWORD dst_unused:UNUSED_PAD src0_sel:DWORD src1_sel:WORD_0
	v_cmp_o_f16_e32 vcc, v38, v38
	v_cndmask_b32_e32 v39, v29, v39, vcc
	v_and_b32_e32 v39, v39, v3
	v_cmp_eq_u32_e32 vcc, v39, v2
	s_and_b64 exec, exec, vcc
	s_cbranch_execz .LBB101_134
; %bb.139:                              ;   in Loop: Header=BB101_135 Depth=2
	v_perm_b32 v38, v38, s9, v33
	ds_write_b32 v11, v38 offset:3072
	s_branch .LBB101_134
.LBB101_140:                            ;   in Loop: Header=BB101_6 Depth=1
	s_or_b64 exec, exec, s[38:39]
	v_lshrrev_b32_e32 v4, 16, v38
	s_and_b64 s[20:21], s[40:41], exec
.LBB101_141:                            ;   in Loop: Header=BB101_6 Depth=1
	s_or_b64 exec, exec, s[36:37]
	s_mov_b64 s[40:41], -1
	s_mov_b64 s[36:37], 0
	s_mov_b64 s[38:39], 0
.LBB101_142:                            ;   in Loop: Header=BB101_6 Depth=1
	s_orn2_b64 s[46:47], s[20:21], exec
.LBB101_143:                            ;   in Loop: Header=BB101_6 Depth=1
	s_or_b64 exec, exec, s[16:17]
	s_mov_b64 s[20:21], 0
                                        ; implicit-def: $vgpr10
	s_and_saveexec_b64 s[42:43], s[46:47]
	s_cbranch_execz .LBB101_236
; %bb.144:                              ;   in Loop: Header=BB101_6 Depth=1
	s_xor_b64 s[20:21], s[44:45], -1
	s_mov_b64 s[48:49], 0
	v_mov_b32_e32 v38, 1
	v_mov_b32_e32 v10, 1
	s_and_saveexec_b64 s[16:17], s[20:21]
	s_cbranch_execz .LBB101_154
; %bb.145:                              ;   in Loop: Header=BB101_6 Depth=1
	v_cmp_ge_u32_e32 vcc, s11, v5
                                        ; implicit-def: $sgpr46
                                        ; implicit-def: $sgpr20_sgpr21
	s_and_saveexec_b64 s[44:45], vcc
	s_xor_b64 s[44:45], exec, s[44:45]
	s_cbranch_execz .LBB101_151
; %bb.146:                              ;   in Loop: Header=BB101_6 Depth=1
	ds_read_b32 v10, v11 offset:4096
	s_waitcnt lgkmcnt(0)
	v_cmp_ne_u32_e32 vcc, 0, v10
	s_cbranch_vccnz .LBB101_150
; %bb.147:                              ;   in Loop: Header=BB101_6 Depth=1
	s_mov_b64 s[20:21], exec
	v_readlane_b32 s46, v55, 21
	v_readlane_b32 s47, v55, 22
	s_and_b64 s[46:47], s[20:21], s[46:47]
	s_mov_b64 exec, s[46:47]
	s_cbranch_execz .LBB101_149
; %bb.148:                              ;   in Loop: Header=BB101_6 Depth=1
	v_mov_b32_e32 v10, s11
	ds_write_b32 v11, v10 offset:4100
.LBB101_149:                            ;   in Loop: Header=BB101_6 Depth=1
	s_or_b64 exec, exec, s[20:21]
	s_waitcnt lgkmcnt(0)
	s_barrier
.LBB101_150:                            ;   in Loop: Header=BB101_6 Depth=1
	v_and_b32_e32 v2, s10, v2
	v_lshl_or_b32 v2, 1, s62, v2
	v_or_b32_e32 v3, s4, v3
	s_mov_b64 s[20:21], 0
	s_mov_b32 s46, 8
.LBB101_151:                            ;   in Loop: Header=BB101_6 Depth=1
	s_or_saveexec_b64 s[44:45], s[44:45]
	v_mov_b32_e32 v10, s46
	s_xor_b64 exec, exec, s[44:45]
; %bb.152:                              ;   in Loop: Header=BB101_6 Depth=1
	v_subrev_u32_e32 v5, s11, v5
	v_mov_b32_e32 v10, 0
	s_or_b64 s[20:21], s[20:21], exec
; %bb.153:                              ;   in Loop: Header=BB101_6 Depth=1
	s_or_b64 exec, exec, s[44:45]
	s_and_b64 s[48:49], s[20:21], exec
	v_mov_b32_e32 v38, v5
.LBB101_154:                            ;   in Loop: Header=BB101_6 Depth=1
	s_or_b64 exec, exec, s[16:17]
	s_mov_b64 s[16:17], -1
                                        ; implicit-def: $sgpr20_sgpr21
                                        ; implicit-def: $sgpr46_sgpr47
                                        ; implicit-def: $sgpr52_sgpr53
	s_and_saveexec_b64 s[44:45], s[48:49]
	s_cbranch_execz .LBB101_235
; %bb.155:                              ;   in Loop: Header=BB101_6 Depth=1
	s_cmp_eq_u32 s63, 1
	s_cselect_b64 s[16:17], -1, 0
	v_cmp_eq_u32_e32 vcc, 1, v38
	s_and_b64 s[54:55], s[16:17], vcc
	s_mov_b64 s[20:21], -1
                                        ; implicit-def: $sgpr46_sgpr47
                                        ; implicit-def: $sgpr50_sgpr51
                                        ; implicit-def: $sgpr48_sgpr49
	s_and_saveexec_b64 s[16:17], s[54:55]
	s_cbranch_execz .LBB101_181
; %bb.156:                              ;   in Loop: Header=BB101_6 Depth=1
	ds_read_b32 v4, v11 offset:4096
	s_waitcnt lgkmcnt(0)
	s_barrier
	v_readfirstlane_b32 s52, v4
	s_mov_b64 s[20:21], exec
	v_readlane_b32 s46, v55, 45
	v_readlane_b32 s47, v55, 46
	s_and_b64 s[46:47], s[20:21], s[46:47]
	s_mov_b64 exec, s[46:47]
	s_cbranch_execz .LBB101_158
; %bb.157:                              ;   in Loop: Header=BB101_6 Depth=1
	ds_write_b16 v20, v11
.LBB101_158:                            ;   in Loop: Header=BB101_6 Depth=1
	s_or_b64 exec, exec, s[20:21]
	v_and_b32_e32 v2, s10, v2
	v_lshl_or_b32 v2, 2, s62, v2
	v_or_b32_e32 v3, s4, v3
	s_cmp_eq_u32 s52, 0
	s_waitcnt lgkmcnt(0)
	s_barrier
	s_cbranch_scc1 .LBB101_167
; %bb.159:                              ;   in Loop: Header=BB101_6 Depth=1
	v_readlane_b32 s20, v55, 36
	s_add_i32 s20, s52, s20
	v_readlane_b32 s21, v55, 60
	s_mul_hi_u32 s21, s20, s21
	s_mul_i32 s21, s21, s84
	s_sub_i32 s21, s20, s21
	s_sub_i32 s46, s21, s84
	s_cmp_ge_u32 s21, s84
	s_cselect_b32 s21, s46, s21
	s_sub_i32 s46, s21, s84
	s_cmp_ge_u32 s21, s84
	s_cselect_b32 s21, s46, s21
	s_sub_i32 s53, s20, s21
	v_cmp_gt_u32_e32 vcc, s53, v0
	s_mov_b64 s[20:21], 0
                                        ; implicit-def: $vgpr4
	s_and_saveexec_b64 s[46:47], vcc
	s_cbranch_execz .LBB101_169
; %bb.160:                              ;   in Loop: Header=BB101_6 Depth=1
	s_mov_b64 s[48:49], 0
	v_mov_b32_e32 v4, v19
	v_mov_b32_e32 v5, v0
                                        ; implicit-def: $sgpr50_sgpr51
	s_branch .LBB101_162
.LBB101_161:                            ;   in Loop: Header=BB101_162 Depth=2
	s_or_b64 exec, exec, s[20:21]
	s_waitcnt lgkmcnt(0)
	s_barrier
	ds_read_b32 v10, v11 offset:3072
	v_add_u32_e32 v5, s84, v5
	v_cmp_le_u32_e64 s[20:21], s53, v5
	v_add_u32_e32 v4, s13, v4
	s_waitcnt lgkmcnt(0)
	v_cmp_neq_f16_e32 vcc, 0, v10
	s_or_b64 s[20:21], s[20:21], vcc
	s_and_b64 s[20:21], exec, s[20:21]
	s_or_b64 s[48:49], s[20:21], s[48:49]
	s_andn2_b64 s[20:21], s[50:51], exec
	s_and_b64 s[50:51], vcc, exec
	s_or_b64 s[50:51], s[20:21], s[50:51]
	s_barrier
	s_andn2_b64 exec, exec, s[48:49]
	s_cbranch_execz .LBB101_168
.LBB101_162:                            ;   Parent Loop BB101_6 Depth=1
                                        ; =>  This Inner Loop Header: Depth=2
	v_cmp_gt_u32_e32 vcc, s52, v5
	v_mov_b32_e32 v10, 0
	s_and_saveexec_b64 s[20:21], vcc
	s_cbranch_execz .LBB101_164
; %bb.163:                              ;   in Loop: Header=BB101_162 Depth=2
	ds_read_u16 v10, v4
.LBB101_164:                            ;   in Loop: Header=BB101_162 Depth=2
	s_or_b64 exec, exec, s[20:21]
	s_and_saveexec_b64 s[20:21], vcc
	s_cbranch_execz .LBB101_161
; %bb.165:                              ;   in Loop: Header=BB101_162 Depth=2
	s_waitcnt lgkmcnt(0)
	v_cmp_lt_i16_e32 vcc, -1, v10
	v_cndmask_b32_e32 v39, v29, v30, vcc
	v_xor_b32_sdwa v39, v39, v10 dst_sel:DWORD dst_unused:UNUSED_PAD src0_sel:DWORD src1_sel:WORD_0
	v_cmp_o_f16_e32 vcc, v10, v10
	v_cndmask_b32_e32 v39, v29, v39, vcc
	v_and_b32_e32 v39, v39, v3
	v_cmp_eq_u32_e32 vcc, v39, v2
	s_and_b64 exec, exec, vcc
	s_cbranch_execz .LBB101_161
; %bb.166:                              ;   in Loop: Header=BB101_162 Depth=2
	v_perm_b32 v10, v10, s9, v33
	ds_write_b32 v11, v10 offset:3072
	s_branch .LBB101_161
.LBB101_167:                            ;   in Loop: Header=BB101_6 Depth=1
	s_mov_b64 s[46:47], -1
	s_mov_b64 s[20:21], 0
                                        ; implicit-def: $sgpr48_sgpr49
                                        ; implicit-def: $vgpr4
	s_mov_b64 s[50:51], s[46:47]
	s_cbranch_execnz .LBB101_170
	s_branch .LBB101_180
.LBB101_168:                            ;   in Loop: Header=BB101_6 Depth=1
	s_or_b64 exec, exec, s[48:49]
	v_lshrrev_b32_e32 v4, 16, v10
	s_and_b64 s[20:21], s[50:51], exec
.LBB101_169:                            ;   in Loop: Header=BB101_6 Depth=1
	s_or_b64 exec, exec, s[46:47]
	s_mov_b64 s[48:49], -1
	s_mov_b64 s[46:47], 0
	s_mov_b64 s[50:51], s[46:47]
	s_branch .LBB101_180
.LBB101_170:                            ;   in Loop: Header=BB101_6 Depth=1
	s_mov_b64 s[20:21], 0
                                        ; implicit-def: $vgpr4
	s_mov_b64 s[46:47], exec
	v_readlane_b32 s48, v55, 61
	v_readlane_b32 s49, v55, 62
	s_and_b64 s[48:49], s[46:47], s[48:49]
	s_mov_b64 exec, s[48:49]
	s_cbranch_execz .LBB101_179
; %bb.171:                              ;   in Loop: Header=BB101_6 Depth=1
	s_mov_b64 s[48:49], 0
	v_mov_b32_e32 v10, v12
	v_mov_b32_e32 v4, v0
                                        ; implicit-def: $sgpr50_sgpr51
	s_branch .LBB101_173
.LBB101_172:                            ;   in Loop: Header=BB101_173 Depth=2
	s_or_b64 exec, exec, s[20:21]
	s_waitcnt lgkmcnt(0)
	s_barrier
	s_waitcnt vmcnt(0)
	ds_read_b32 v5, v11 offset:3072
	v_add_u32_e32 v4, s84, v4
	v_cmp_le_u32_e64 s[20:21], s86, v4
	v_add_u32_e32 v10, s6, v10
	s_waitcnt lgkmcnt(0)
	v_cmp_neq_f16_e32 vcc, 0, v5
	s_or_b64 s[20:21], s[20:21], vcc
	s_and_b64 s[20:21], exec, s[20:21]
	s_or_b64 s[48:49], s[20:21], s[48:49]
	s_andn2_b64 s[20:21], s[50:51], exec
	s_and_b64 s[50:51], vcc, exec
	s_or_b64 s[50:51], s[20:21], s[50:51]
	s_barrier
	s_andn2_b64 exec, exec, s[48:49]
	s_cbranch_execz .LBB101_178
.LBB101_173:                            ;   Parent Loop BB101_6 Depth=1
                                        ; =>  This Inner Loop Header: Depth=2
	v_cmp_gt_u32_e32 vcc, s60, v4
	v_mov_b32_e32 v5, 0
	s_and_saveexec_b64 s[52:53], vcc
	s_cbranch_execz .LBB101_175
; %bb.174:                              ;   in Loop: Header=BB101_173 Depth=2
	v_lshlrev_b64 v[40:41], 1, v[10:11]
	v_mov_b32_e32 v5, s7
	v_add_co_u32_e64 v40, s[20:21], s33, v40
	v_addc_co_u32_e64 v41, s[20:21], v5, v41, s[20:21]
	global_load_ushort v5, v[40:41], off
.LBB101_175:                            ;   in Loop: Header=BB101_173 Depth=2
	s_or_b64 exec, exec, s[52:53]
	s_and_saveexec_b64 s[20:21], vcc
	s_cbranch_execz .LBB101_172
; %bb.176:                              ;   in Loop: Header=BB101_173 Depth=2
	s_waitcnt vmcnt(0)
	v_cmp_lt_i16_e32 vcc, -1, v5
	v_cndmask_b32_e32 v39, v29, v30, vcc
	v_xor_b32_sdwa v39, v39, v5 dst_sel:DWORD dst_unused:UNUSED_PAD src0_sel:DWORD src1_sel:WORD_0
	v_cmp_o_f16_e32 vcc, v5, v5
	v_cndmask_b32_e32 v39, v29, v39, vcc
	v_and_b32_e32 v39, v39, v3
	v_cmp_eq_u32_e32 vcc, v39, v2
	s_and_b64 exec, exec, vcc
	s_cbranch_execz .LBB101_172
; %bb.177:                              ;   in Loop: Header=BB101_173 Depth=2
	v_perm_b32 v5, v5, s9, v33
	ds_write_b32 v11, v5 offset:3072
	s_branch .LBB101_172
.LBB101_178:                            ;   in Loop: Header=BB101_6 Depth=1
	s_or_b64 exec, exec, s[48:49]
	v_lshrrev_b32_e32 v4, 16, v5
	s_and_b64 s[20:21], s[50:51], exec
.LBB101_179:                            ;   in Loop: Header=BB101_6 Depth=1
	s_or_b64 exec, exec, s[46:47]
	s_mov_b64 s[50:51], -1
	s_mov_b64 s[46:47], 0
	s_mov_b64 s[48:49], 0
.LBB101_180:                            ;   in Loop: Header=BB101_6 Depth=1
	s_orn2_b64 s[20:21], s[20:21], exec
.LBB101_181:                            ;   in Loop: Header=BB101_6 Depth=1
	s_or_b64 exec, exec, s[16:17]
	s_mov_b64 s[16:17], 0
                                        ; implicit-def: $vgpr10
	s_and_saveexec_b64 s[52:53], s[20:21]
	s_cbranch_execz .LBB101_234
; %bb.182:                              ;   in Loop: Header=BB101_6 Depth=1
	s_xor_b64 s[20:21], s[54:55], -1
	s_mov_b64 s[56:57], 0
	v_mov_b32_e32 v5, 1
	v_mov_b32_e32 v10, 1
	s_and_saveexec_b64 s[16:17], s[20:21]
	s_cbranch_execz .LBB101_192
; %bb.183:                              ;   in Loop: Header=BB101_6 Depth=1
	v_cmp_ge_u32_e32 vcc, s63, v38
                                        ; implicit-def: $sgpr56
                                        ; implicit-def: $sgpr20_sgpr21
	s_and_saveexec_b64 s[54:55], vcc
	s_xor_b64 s[54:55], exec, s[54:55]
	s_cbranch_execz .LBB101_189
; %bb.184:                              ;   in Loop: Header=BB101_6 Depth=1
	ds_read_b32 v5, v11 offset:4096
	s_waitcnt lgkmcnt(0)
	v_cmp_ne_u32_e32 vcc, 0, v5
	s_cbranch_vccnz .LBB101_188
; %bb.185:                              ;   in Loop: Header=BB101_6 Depth=1
	s_mov_b64 s[20:21], exec
	v_readlane_b32 s56, v55, 21
	v_readlane_b32 s57, v55, 22
	s_and_b64 s[56:57], s[20:21], s[56:57]
	s_mov_b64 exec, s[56:57]
	s_cbranch_execz .LBB101_187
; %bb.186:                              ;   in Loop: Header=BB101_6 Depth=1
	v_mov_b32_e32 v5, s63
	ds_write_b32 v11, v5 offset:4100
.LBB101_187:                            ;   in Loop: Header=BB101_6 Depth=1
	s_or_b64 exec, exec, s[20:21]
	s_waitcnt lgkmcnt(0)
	s_barrier
.LBB101_188:                            ;   in Loop: Header=BB101_6 Depth=1
	v_and_b32_e32 v2, s10, v2
	v_lshl_or_b32 v2, 2, s62, v2
	v_or_b32_e32 v3, s4, v3
	s_mov_b64 s[20:21], 0
	s_mov_b32 s56, 8
.LBB101_189:                            ;   in Loop: Header=BB101_6 Depth=1
	s_or_saveexec_b64 s[54:55], s[54:55]
	v_mov_b32_e32 v10, s56
	s_xor_b64 exec, exec, s[54:55]
; %bb.190:                              ;   in Loop: Header=BB101_6 Depth=1
	v_subrev_u32_e32 v38, s63, v38
	v_mov_b32_e32 v10, 0
	s_or_b64 s[20:21], s[20:21], exec
; %bb.191:                              ;   in Loop: Header=BB101_6 Depth=1
	s_or_b64 exec, exec, s[54:55]
	s_and_b64 s[56:57], s[20:21], exec
	v_mov_b32_e32 v5, v38
.LBB101_192:                            ;   in Loop: Header=BB101_6 Depth=1
	s_or_b64 exec, exec, s[16:17]
	s_mov_b64 s[16:17], -1
                                        ; implicit-def: $sgpr20_sgpr21
                                        ; implicit-def: $sgpr88_sgpr89
                                        ; implicit-def: $sgpr58_sgpr59
	s_and_saveexec_b64 s[54:55], s[56:57]
	s_cbranch_execz .LBB101_233
; %bb.193:                              ;   in Loop: Header=BB101_6 Depth=1
	s_cmp_eq_u32 s82, 1
	s_cselect_b64 s[16:17], -1, 0
	v_cmp_eq_u32_e32 vcc, 1, v5
	s_mov_b64 s[90:91], -1
	s_and_b64 s[56:57], s[16:17], vcc
                                        ; implicit-def: $sgpr20_sgpr21
                                        ; implicit-def: $sgpr88_sgpr89
                                        ; implicit-def: $sgpr58_sgpr59
	s_mov_b64 s[16:17], exec
                                        ; implicit-def: $vgpr54 : SGPR spill to VGPR lane
	v_writelane_b32 v55, s56, 63
	v_writelane_b32 v54, s57, 0
	s_and_b64 s[56:57], s[16:17], s[56:57]
	s_mov_b64 exec, s[56:57]
	s_cbranch_execz .LBB101_220
; %bb.194:                              ;   in Loop: Header=BB101_6 Depth=1
	ds_read_b32 v4, v11 offset:4096
	s_waitcnt lgkmcnt(0)
	s_barrier
	v_readfirstlane_b32 s83, v4
	s_mov_b64 s[20:21], exec
	v_readlane_b32 s56, v55, 45
	v_readlane_b32 s57, v55, 46
	s_and_b64 s[56:57], s[20:21], s[56:57]
	s_mov_b64 exec, s[56:57]
	s_cbranch_execz .LBB101_196
; %bb.195:                              ;   in Loop: Header=BB101_6 Depth=1
	ds_write_b16 v20, v11
.LBB101_196:                            ;   in Loop: Header=BB101_6 Depth=1
	s_or_b64 exec, exec, s[20:21]
	v_or_b32_e32 v2, s4, v2
	v_or_b32_e32 v3, s4, v3
	s_cmp_eq_u32 s83, 0
	s_waitcnt lgkmcnt(0)
	s_barrier
	s_cbranch_scc1 .LBB101_205
; %bb.197:                              ;   in Loop: Header=BB101_6 Depth=1
	v_readlane_b32 s20, v55, 36
	s_add_i32 s20, s83, s20
	v_readlane_b32 s21, v55, 60
	s_mul_hi_u32 s21, s20, s21
	s_mul_i32 s21, s21, s84
	s_sub_i32 s21, s20, s21
	s_sub_i32 s56, s21, s84
	s_cmp_ge_u32 s21, s84
	s_cselect_b32 s21, s56, s21
	s_sub_i32 s56, s21, s84
	s_cmp_ge_u32 s21, s84
	s_cselect_b32 s21, s56, s21
	s_sub_i32 s56, s20, s21
	s_mov_b64 s[90:91], 0
	v_cmp_gt_u32_e32 vcc, s56, v0
                                        ; implicit-def: $vgpr4
	s_mov_b64 s[20:21], exec
	v_writelane_b32 v54, s20, 1
	v_writelane_b32 v54, s21, 2
	s_and_b64 s[20:21], s[20:21], vcc
	s_mov_b64 exec, s[20:21]
	s_cbranch_execz .LBB101_207
; %bb.198:                              ;   in Loop: Header=BB101_6 Depth=1
	s_mov_b64 s[88:89], 0
	v_mov_b32_e32 v4, v19
	v_mov_b32_e32 v10, v0
                                        ; implicit-def: $sgpr90_sgpr91
	s_branch .LBB101_200
.LBB101_199:                            ;   in Loop: Header=BB101_200 Depth=2
	s_or_b64 exec, exec, s[20:21]
	s_waitcnt lgkmcnt(0)
	s_barrier
	ds_read_b32 v38, v11 offset:3072
	v_add_u32_e32 v10, s84, v10
	v_cmp_le_u32_e64 s[20:21], s56, v10
	v_add_u32_e32 v4, s13, v4
	s_waitcnt lgkmcnt(0)
	v_cmp_neq_f16_e32 vcc, 0, v38
	s_or_b64 s[20:21], s[20:21], vcc
	s_and_b64 s[20:21], exec, s[20:21]
	s_or_b64 s[88:89], s[20:21], s[88:89]
	s_andn2_b64 s[20:21], s[90:91], exec
	s_and_b64 s[58:59], vcc, exec
	s_or_b64 s[90:91], s[20:21], s[58:59]
	s_barrier
	s_andn2_b64 exec, exec, s[88:89]
	s_cbranch_execz .LBB101_206
.LBB101_200:                            ;   Parent Loop BB101_6 Depth=1
                                        ; =>  This Inner Loop Header: Depth=2
	v_cmp_gt_u32_e32 vcc, s83, v10
	v_mov_b32_e32 v38, 0
	s_and_saveexec_b64 s[20:21], vcc
	s_cbranch_execz .LBB101_202
; %bb.201:                              ;   in Loop: Header=BB101_200 Depth=2
	ds_read_u16 v38, v4
.LBB101_202:                            ;   in Loop: Header=BB101_200 Depth=2
	s_or_b64 exec, exec, s[20:21]
	s_and_saveexec_b64 s[20:21], vcc
	s_cbranch_execz .LBB101_199
; %bb.203:                              ;   in Loop: Header=BB101_200 Depth=2
	s_waitcnt lgkmcnt(0)
	v_cmp_lt_i16_e32 vcc, -1, v38
	v_cndmask_b32_e32 v39, v29, v30, vcc
	v_xor_b32_sdwa v39, v39, v38 dst_sel:DWORD dst_unused:UNUSED_PAD src0_sel:DWORD src1_sel:WORD_0
	v_cmp_o_f16_e32 vcc, v38, v38
	v_cndmask_b32_e32 v39, v29, v39, vcc
	v_and_b32_e32 v39, v39, v3
	v_cmp_eq_u32_e32 vcc, v39, v2
	s_and_b64 exec, exec, vcc
	s_cbranch_execz .LBB101_199
; %bb.204:                              ;   in Loop: Header=BB101_200 Depth=2
	v_perm_b32 v38, v38, s9, v33
	ds_write_b32 v11, v38 offset:3072
	s_branch .LBB101_199
.LBB101_205:                            ;   in Loop: Header=BB101_6 Depth=1
	s_mov_b64 s[20:21], -1
	s_mov_b64 s[90:91], 0
                                        ; implicit-def: $sgpr58_sgpr59
                                        ; implicit-def: $vgpr4
	s_branch .LBB101_208
.LBB101_206:                            ;   in Loop: Header=BB101_6 Depth=1
	s_or_b64 exec, exec, s[88:89]
	v_lshrrev_b32_e32 v4, 16, v38
	s_and_b64 s[90:91], s[90:91], exec
.LBB101_207:                            ;   in Loop: Header=BB101_6 Depth=1
	v_readlane_b32 s20, v54, 1
	v_readlane_b32 s21, v54, 2
	s_or_b64 exec, exec, s[20:21]
	s_mov_b64 s[58:59], -1
	s_mov_b64 s[20:21], 0
.LBB101_208:                            ;   in Loop: Header=BB101_6 Depth=1
	s_and_b64 vcc, exec, s[20:21]
	s_mov_b64 s[88:89], s[20:21]
	s_cbranch_vccz .LBB101_219
; %bb.209:                              ;   in Loop: Header=BB101_6 Depth=1
	s_mov_b64 s[90:91], 0
                                        ; implicit-def: $vgpr4
	s_mov_b64 s[56:57], exec
	v_readlane_b32 s20, v55, 61
	v_readlane_b32 s21, v55, 62
	v_writelane_b32 v54, s56, 3
	s_and_b64 s[20:21], s[56:57], s[20:21]
	v_writelane_b32 v54, s57, 4
	s_mov_b64 exec, s[20:21]
	s_cbranch_execz .LBB101_218
; %bb.210:                              ;   in Loop: Header=BB101_6 Depth=1
	s_mov_b64 s[88:89], 0
	v_mov_b32_e32 v10, v12
	v_mov_b32_e32 v4, v0
                                        ; implicit-def: $sgpr90_sgpr91
	s_branch .LBB101_212
.LBB101_211:                            ;   in Loop: Header=BB101_212 Depth=2
	s_or_b64 exec, exec, s[20:21]
	s_waitcnt lgkmcnt(0)
	s_barrier
	s_waitcnt vmcnt(0)
	ds_read_b32 v38, v11 offset:3072
	v_add_u32_e32 v4, s84, v4
	v_cmp_le_u32_e64 s[20:21], s86, v4
	v_add_u32_e32 v10, s6, v10
	s_waitcnt lgkmcnt(0)
	v_cmp_neq_f16_e32 vcc, 0, v38
	s_or_b64 s[20:21], s[20:21], vcc
	s_and_b64 s[20:21], exec, s[20:21]
	s_or_b64 s[88:89], s[20:21], s[88:89]
	s_andn2_b64 s[20:21], s[90:91], exec
	s_and_b64 s[56:57], vcc, exec
	s_or_b64 s[90:91], s[20:21], s[56:57]
	s_barrier
	s_andn2_b64 exec, exec, s[88:89]
	s_cbranch_execz .LBB101_217
.LBB101_212:                            ;   Parent Loop BB101_6 Depth=1
                                        ; =>  This Inner Loop Header: Depth=2
	v_cmp_gt_u32_e32 vcc, s60, v4
	v_mov_b32_e32 v38, 0
	s_and_saveexec_b64 s[58:59], vcc
	s_cbranch_execz .LBB101_214
; %bb.213:                              ;   in Loop: Header=BB101_212 Depth=2
	v_lshlrev_b64 v[38:39], 1, v[10:11]
	v_mov_b32_e32 v40, s7
	v_add_co_u32_e64 v38, s[20:21], s33, v38
	v_addc_co_u32_e64 v39, s[20:21], v40, v39, s[20:21]
	global_load_ushort v38, v[38:39], off
.LBB101_214:                            ;   in Loop: Header=BB101_212 Depth=2
	s_or_b64 exec, exec, s[58:59]
	s_and_saveexec_b64 s[20:21], vcc
	s_cbranch_execz .LBB101_211
; %bb.215:                              ;   in Loop: Header=BB101_212 Depth=2
	s_waitcnt vmcnt(0)
	v_cmp_lt_i16_e32 vcc, -1, v38
	v_cndmask_b32_e32 v39, v29, v30, vcc
	v_xor_b32_sdwa v39, v39, v38 dst_sel:DWORD dst_unused:UNUSED_PAD src0_sel:DWORD src1_sel:WORD_0
	v_cmp_o_f16_e32 vcc, v38, v38
	v_cndmask_b32_e32 v39, v29, v39, vcc
	v_and_b32_e32 v39, v39, v3
	v_cmp_eq_u32_e32 vcc, v39, v2
	s_and_b64 exec, exec, vcc
	s_cbranch_execz .LBB101_211
; %bb.216:                              ;   in Loop: Header=BB101_212 Depth=2
	v_perm_b32 v38, v38, s9, v33
	ds_write_b32 v11, v38 offset:3072
	s_branch .LBB101_211
.LBB101_217:                            ;   in Loop: Header=BB101_6 Depth=1
	s_or_b64 exec, exec, s[88:89]
	v_lshrrev_b32_e32 v4, 16, v38
	s_and_b64 s[90:91], s[90:91], exec
.LBB101_218:                            ;   in Loop: Header=BB101_6 Depth=1
	v_readlane_b32 s20, v54, 3
	v_readlane_b32 s21, v54, 4
	s_or_b64 exec, exec, s[20:21]
	s_mov_b64 s[88:89], -1
	s_mov_b64 s[20:21], 0
	s_mov_b64 s[58:59], 0
.LBB101_219:                            ;   in Loop: Header=BB101_6 Depth=1
	s_orn2_b64 s[90:91], s[90:91], exec
.LBB101_220:                            ;   in Loop: Header=BB101_6 Depth=1
	s_or_b64 exec, exec, s[16:17]
	s_mov_b64 vcc, 0
                                        ; implicit-def: $vgpr10
                                        ; implicit-def: $vgpr38
	s_and_saveexec_b64 s[16:17], s[90:91]
	s_cbranch_execz .LBB101_232
; %bb.221:                              ;   in Loop: Header=BB101_6 Depth=1
	v_readlane_b32 s56, v55, 63
	v_readlane_b32 s57, v54, 0
	s_xor_b64 s[90:91], s[56:57], -1
	v_mov_b32_e32 v10, 1
	v_mov_b32_e32 v38, 1
	s_and_saveexec_b64 s[56:57], s[90:91]
	s_cbranch_execz .LBB101_231
; %bb.222:                              ;   in Loop: Header=BB101_6 Depth=1
	v_cmp_ge_u32_e32 vcc, s82, v5
                                        ; implicit-def: $sgpr83
	s_and_saveexec_b64 s[90:91], vcc
	s_xor_b64 s[90:91], exec, s[90:91]
	s_cbranch_execz .LBB101_228
; %bb.223:                              ;   in Loop: Header=BB101_6 Depth=1
	ds_read_b32 v10, v11 offset:4096
	s_waitcnt lgkmcnt(0)
	v_cmp_ne_u32_e32 vcc, 0, v10
	s_cbranch_vccnz .LBB101_227
; %bb.224:                              ;   in Loop: Header=BB101_6 Depth=1
	v_writelane_b32 v54, s90, 5
	v_writelane_b32 v54, s91, 6
	s_mov_b64 s[90:91], exec
	v_writelane_b32 v54, s90, 7
	v_writelane_b32 v54, s91, 8
	v_readlane_b32 vcc_lo, v55, 21
	v_readlane_b32 s90, v54, 7
	v_readlane_b32 vcc_hi, v55, 22
	v_readlane_b32 s91, v54, 8
	s_and_b64 vcc, s[90:91], vcc
	s_mov_b64 exec, vcc
	s_cbranch_execz .LBB101_226
; %bb.225:                              ;   in Loop: Header=BB101_6 Depth=1
	v_mov_b32_e32 v10, s82
	ds_write_b32 v11, v10 offset:4100
.LBB101_226:                            ;   in Loop: Header=BB101_6 Depth=1
	v_readlane_b32 vcc_lo, v54, 7
	v_readlane_b32 vcc_hi, v54, 8
	s_or_b64 exec, exec, vcc
	v_readlane_b32 s90, v54, 5
	v_readlane_b32 s91, v54, 6
	s_waitcnt lgkmcnt(0)
	s_barrier
.LBB101_227:                            ;   in Loop: Header=BB101_6 Depth=1
	v_or_b32_e32 v2, s4, v2
	v_or_b32_e32 v3, s4, v3
	s_mov_b32 s83, 8
.LBB101_228:                            ;   in Loop: Header=BB101_6 Depth=1
	s_or_saveexec_b64 s[90:91], s[90:91]
	v_mov_b32_e32 v10, s83
	s_xor_b64 exec, exec, s[90:91]
; %bb.229:                              ;   in Loop: Header=BB101_6 Depth=1
	v_subrev_u32_e32 v5, s82, v5
	v_mov_b32_e32 v10, 8
; %bb.230:                              ;   in Loop: Header=BB101_6 Depth=1
	s_or_b64 exec, exec, s[90:91]
	v_mov_b32_e32 v38, v5
.LBB101_231:                            ;   in Loop: Header=BB101_6 Depth=1
	s_or_b64 exec, exec, s[56:57]
	s_mov_b64 vcc, exec
.LBB101_232:                            ;   in Loop: Header=BB101_6 Depth=1
	s_or_b64 exec, exec, s[16:17]
	s_orn2_b64 s[16:17], vcc, exec
	v_mov_b32_e32 v5, v38
.LBB101_233:                            ;   in Loop: Header=BB101_6 Depth=1
	s_or_b64 exec, exec, s[54:55]
	s_andn2_b64 s[46:47], s[46:47], exec
	s_and_b64 s[20:21], s[20:21], exec
	s_or_b64 s[46:47], s[46:47], s[20:21]
	s_andn2_b64 s[20:21], s[50:51], exec
	s_and_b64 s[50:51], s[88:89], exec
	s_or_b64 s[50:51], s[20:21], s[50:51]
	;; [unrolled: 3-line block ×3, first 2 shown]
	s_and_b64 s[16:17], s[16:17], exec
	v_mov_b32_e32 v38, v5
.LBB101_234:                            ;   in Loop: Header=BB101_6 Depth=1
	s_or_b64 exec, exec, s[52:53]
	s_and_b64 s[52:53], s[46:47], exec
	s_and_b64 s[46:47], s[50:51], exec
	;; [unrolled: 1-line block ×3, first 2 shown]
	s_orn2_b64 s[16:17], s[16:17], exec
.LBB101_235:                            ;   in Loop: Header=BB101_6 Depth=1
	s_or_b64 exec, exec, s[44:45]
	s_andn2_b64 s[36:37], s[36:37], exec
	s_and_b64 s[44:45], s[52:53], exec
	s_or_b64 s[36:37], s[36:37], s[44:45]
	s_andn2_b64 s[40:41], s[40:41], exec
	s_and_b64 s[44:45], s[46:47], exec
	s_andn2_b64 s[38:39], s[38:39], exec
	s_and_b64 s[20:21], s[20:21], exec
	s_or_b64 s[40:41], s[40:41], s[44:45]
	s_or_b64 s[38:39], s[38:39], s[20:21]
	s_and_b64 s[20:21], s[16:17], exec
	v_mov_b32_e32 v5, v38
.LBB101_236:                            ;   in Loop: Header=BB101_6 Depth=1
	s_or_b64 exec, exec, s[42:43]
	s_and_b64 s[42:43], s[36:37], exec
	s_and_b64 s[36:37], s[40:41], exec
	;; [unrolled: 1-line block ×3, first 2 shown]
	s_orn2_b64 s[38:39], s[20:21], exec
.LBB101_237:                            ;   in Loop: Header=BB101_6 Depth=1
	s_or_b64 exec, exec, s[24:25]
	s_mov_b64 s[24:25], 0
	s_mov_b64 s[20:21], 0
	s_and_saveexec_b64 s[40:41], s[38:39]
	s_xor_b64 s[38:39], exec, s[40:41]
; %bb.238:                              ;   in Loop: Header=BB101_6 Depth=1
	v_cmp_eq_u32_e32 vcc, 8, v10
	v_cmp_ne_u32_e64 s[20:21], 8, v10
	s_andn2_b64 s[42:43], s[42:43], exec
	s_andn2_b64 s[36:37], s[36:37], exec
	;; [unrolled: 1-line block ×3, first 2 shown]
	s_and_b64 s[20:21], s[20:21], exec
	s_and_b64 s[24:25], vcc, exec
; %bb.239:                              ;   in Loop: Header=BB101_6 Depth=1
	s_or_b64 exec, exec, s[38:39]
	s_andn2_b64 s[22:23], s[22:23], exec
	s_and_b64 s[38:39], s[42:43], exec
	s_andn2_b64 s[28:29], s[28:29], exec
	s_and_b64 s[36:37], s[36:37], exec
	;; [unrolled: 2-line block ×3, first 2 shown]
	s_or_b64 s[22:23], s[22:23], s[38:39]
	s_or_b64 s[28:29], s[28:29], s[36:37]
	;; [unrolled: 1-line block ×3, first 2 shown]
	s_and_b64 s[20:21], s[20:21], exec
	s_and_b64 s[24:25], s[24:25], exec
.LBB101_240:                            ;   in Loop: Header=BB101_6 Depth=1
	s_or_b64 exec, exec, s[34:35]
	s_and_b64 vcc, exec, s[30:31]
	s_cbranch_vccz .LBB101_90
.LBB101_241:                            ;   in Loop: Header=BB101_6 Depth=1
	s_cmp_eq_u32 s82, 1
	s_cselect_b64 s[16:17], -1, 0
	s_and_b64 s[28:29], s[16:17], s[18:19]
	s_mov_b64 s[18:19], -1
                                        ; implicit-def: $sgpr30_sgpr31
                                        ; implicit-def: $sgpr34_sgpr35
                                        ; implicit-def: $sgpr22_sgpr23
	s_and_saveexec_b64 s[16:17], s[28:29]
	s_cbranch_execz .LBB101_267
; %bb.242:                              ;   in Loop: Header=BB101_6 Depth=1
	ds_read_b32 v2, v11 offset:4096
	s_waitcnt lgkmcnt(0)
	s_barrier
	v_readfirstlane_b32 s34, v2
	s_mov_b64 s[18:19], exec
	v_readlane_b32 s22, v55, 45
	v_readlane_b32 s23, v55, 46
	s_and_b64 s[22:23], s[18:19], s[22:23]
	s_mov_b64 exec, s[22:23]
	s_cbranch_execz .LBB101_244
; %bb.243:                              ;   in Loop: Header=BB101_6 Depth=1
	ds_write_b16 v20, v11
.LBB101_244:                            ;   in Loop: Header=BB101_6 Depth=1
	s_or_b64 exec, exec, s[18:19]
	v_or_b32_e32 v35, s4, v35
	v_or_b32_e32 v34, s4, v34
	s_cmp_eq_u32 s34, 0
	s_waitcnt lgkmcnt(0)
	s_barrier
	s_cbranch_scc1 .LBB101_253
; %bb.245:                              ;   in Loop: Header=BB101_6 Depth=1
	v_readlane_b32 s18, v55, 36
	s_add_i32 s18, s34, s18
	v_readlane_b32 s19, v55, 60
	s_mul_hi_u32 s19, s18, s19
	s_mul_i32 s19, s19, s84
	s_sub_i32 s19, s18, s19
	s_sub_i32 s22, s19, s84
	s_cmp_ge_u32 s19, s84
	s_cselect_b32 s19, s22, s19
	s_sub_i32 s22, s19, s84
	s_cmp_ge_u32 s19, s84
	s_cselect_b32 s19, s22, s19
	s_sub_i32 s35, s18, s19
	v_cmp_gt_u32_e32 vcc, s35, v0
	s_mov_b64 s[18:19], 0
                                        ; implicit-def: $vgpr36
	s_and_saveexec_b64 s[22:23], vcc
	s_cbranch_execz .LBB101_255
; %bb.246:                              ;   in Loop: Header=BB101_6 Depth=1
	s_mov_b64 s[26:27], 0
	v_mov_b32_e32 v2, v19
	v_mov_b32_e32 v3, v0
                                        ; implicit-def: $sgpr30_sgpr31
	s_branch .LBB101_248
.LBB101_247:                            ;   in Loop: Header=BB101_248 Depth=2
	s_or_b64 exec, exec, s[18:19]
	s_waitcnt lgkmcnt(0)
	s_barrier
	ds_read_b32 v4, v11 offset:3072
	v_add_u32_e32 v3, s84, v3
	v_cmp_le_u32_e64 s[18:19], s35, v3
	v_add_u32_e32 v2, s13, v2
	s_waitcnt lgkmcnt(0)
	v_cmp_neq_f16_e32 vcc, 0, v4
	s_or_b64 s[18:19], s[18:19], vcc
	s_and_b64 s[18:19], exec, s[18:19]
	s_or_b64 s[26:27], s[18:19], s[26:27]
	s_andn2_b64 s[18:19], s[30:31], exec
	s_and_b64 s[30:31], vcc, exec
	s_or_b64 s[30:31], s[18:19], s[30:31]
	s_barrier
	s_andn2_b64 exec, exec, s[26:27]
	s_cbranch_execz .LBB101_254
.LBB101_248:                            ;   Parent Loop BB101_6 Depth=1
                                        ; =>  This Inner Loop Header: Depth=2
	v_cmp_gt_u32_e32 vcc, s34, v3
	v_mov_b32_e32 v4, 0
	s_and_saveexec_b64 s[18:19], vcc
	s_cbranch_execz .LBB101_250
; %bb.249:                              ;   in Loop: Header=BB101_248 Depth=2
	ds_read_u16 v4, v2
.LBB101_250:                            ;   in Loop: Header=BB101_248 Depth=2
	s_or_b64 exec, exec, s[18:19]
	s_and_saveexec_b64 s[18:19], vcc
	s_cbranch_execz .LBB101_247
; %bb.251:                              ;   in Loop: Header=BB101_248 Depth=2
	s_waitcnt lgkmcnt(0)
	v_cmp_lt_i16_e32 vcc, -1, v4
	v_cndmask_b32_e32 v5, v29, v30, vcc
	v_xor_b32_sdwa v5, v5, v4 dst_sel:DWORD dst_unused:UNUSED_PAD src0_sel:DWORD src1_sel:WORD_0
	v_cmp_o_f16_e32 vcc, v4, v4
	v_cndmask_b32_e32 v5, v29, v5, vcc
	v_and_b32_e32 v5, v5, v34
	v_cmp_eq_u32_e32 vcc, v5, v35
	s_and_b64 exec, exec, vcc
	s_cbranch_execz .LBB101_247
; %bb.252:                              ;   in Loop: Header=BB101_248 Depth=2
	v_perm_b32 v4, v4, s9, v33
	ds_write_b32 v11, v4 offset:3072
	s_branch .LBB101_247
.LBB101_253:                            ;   in Loop: Header=BB101_6 Depth=1
	s_mov_b64 s[30:31], -1
	s_mov_b64 s[18:19], 0
                                        ; implicit-def: $sgpr34_sgpr35
                                        ; implicit-def: $vgpr36
	s_mov_b64 s[22:23], s[30:31]
	s_cbranch_execnz .LBB101_256
	s_branch .LBB101_266
.LBB101_254:                            ;   in Loop: Header=BB101_6 Depth=1
	s_or_b64 exec, exec, s[26:27]
	v_lshrrev_b32_e32 v36, 16, v4
	s_and_b64 s[18:19], s[30:31], exec
.LBB101_255:                            ;   in Loop: Header=BB101_6 Depth=1
	s_or_b64 exec, exec, s[22:23]
	s_mov_b64 s[30:31], 0
	s_mov_b64 s[34:35], -1
	s_mov_b64 s[22:23], s[30:31]
	s_branch .LBB101_266
.LBB101_256:                            ;   in Loop: Header=BB101_6 Depth=1
	s_mov_b64 s[18:19], 0
                                        ; implicit-def: $vgpr36
	s_mov_b64 s[22:23], exec
	v_readlane_b32 s26, v55, 61
	v_readlane_b32 s27, v55, 62
	s_and_b64 s[26:27], s[22:23], s[26:27]
	s_mov_b64 exec, s[26:27]
	s_cbranch_execz .LBB101_265
; %bb.257:                              ;   in Loop: Header=BB101_6 Depth=1
	s_mov_b64 s[26:27], 0
	v_mov_b32_e32 v10, v12
	v_mov_b32_e32 v2, v0
                                        ; implicit-def: $sgpr30_sgpr31
	s_branch .LBB101_259
.LBB101_258:                            ;   in Loop: Header=BB101_259 Depth=2
	s_or_b64 exec, exec, s[18:19]
	s_waitcnt lgkmcnt(0)
	s_barrier
	s_waitcnt vmcnt(0)
	ds_read_b32 v3, v11 offset:3072
	v_add_u32_e32 v2, s84, v2
	v_cmp_le_u32_e64 s[18:19], s86, v2
	v_add_u32_e32 v10, s6, v10
	s_waitcnt lgkmcnt(0)
	v_cmp_neq_f16_e32 vcc, 0, v3
	s_or_b64 s[18:19], s[18:19], vcc
	s_and_b64 s[18:19], exec, s[18:19]
	s_or_b64 s[26:27], s[18:19], s[26:27]
	s_andn2_b64 s[18:19], s[30:31], exec
	s_and_b64 s[30:31], vcc, exec
	s_or_b64 s[30:31], s[18:19], s[30:31]
	s_barrier
	s_andn2_b64 exec, exec, s[26:27]
	s_cbranch_execz .LBB101_264
.LBB101_259:                            ;   Parent Loop BB101_6 Depth=1
                                        ; =>  This Inner Loop Header: Depth=2
	v_cmp_gt_u32_e32 vcc, s60, v2
	v_mov_b32_e32 v3, 0
	s_and_saveexec_b64 s[34:35], vcc
	s_cbranch_execz .LBB101_261
; %bb.260:                              ;   in Loop: Header=BB101_259 Depth=2
	v_lshlrev_b64 v[4:5], 1, v[10:11]
	v_mov_b32_e32 v3, s7
	v_add_co_u32_e64 v4, s[18:19], s33, v4
	v_addc_co_u32_e64 v5, s[18:19], v3, v5, s[18:19]
	global_load_ushort v3, v[4:5], off
.LBB101_261:                            ;   in Loop: Header=BB101_259 Depth=2
	s_or_b64 exec, exec, s[34:35]
	s_and_saveexec_b64 s[18:19], vcc
	s_cbranch_execz .LBB101_258
; %bb.262:                              ;   in Loop: Header=BB101_259 Depth=2
	s_waitcnt vmcnt(0)
	v_cmp_lt_i16_e32 vcc, -1, v3
	v_cndmask_b32_e32 v4, v29, v30, vcc
	v_xor_b32_sdwa v4, v4, v3 dst_sel:DWORD dst_unused:UNUSED_PAD src0_sel:DWORD src1_sel:WORD_0
	v_cmp_o_f16_e32 vcc, v3, v3
	v_cndmask_b32_e32 v4, v29, v4, vcc
	v_and_b32_e32 v4, v4, v34
	v_cmp_eq_u32_e32 vcc, v4, v35
	s_and_b64 exec, exec, vcc
	s_cbranch_execz .LBB101_258
; %bb.263:                              ;   in Loop: Header=BB101_259 Depth=2
	v_perm_b32 v3, v3, s9, v33
	ds_write_b32 v11, v3 offset:3072
	s_branch .LBB101_258
.LBB101_264:                            ;   in Loop: Header=BB101_6 Depth=1
	s_or_b64 exec, exec, s[26:27]
	v_lshrrev_b32_e32 v36, 16, v3
	s_and_b64 s[18:19], s[30:31], exec
.LBB101_265:                            ;   in Loop: Header=BB101_6 Depth=1
	s_or_b64 exec, exec, s[22:23]
	s_mov_b64 s[34:35], 0
	s_mov_b64 s[30:31], -1
	s_mov_b64 s[22:23], 0
.LBB101_266:                            ;   in Loop: Header=BB101_6 Depth=1
	s_orn2_b64 s[18:19], s[18:19], exec
.LBB101_267:                            ;   in Loop: Header=BB101_6 Depth=1
	s_or_b64 exec, exec, s[16:17]
                                        ; implicit-def: $vgpr10
                                        ; implicit-def: $vgpr5
                                        ; implicit-def: $vgpr2
                                        ; implicit-def: $vgpr3
                                        ; implicit-def: $vgpr4
	s_and_saveexec_b64 s[26:27], s[18:19]
	s_cbranch_execz .LBB101_402
; %bb.268:                              ;   in Loop: Header=BB101_6 Depth=1
	s_xor_b64 s[28:29], s[28:29], -1
	s_mov_b64 s[18:19], 0
	v_mov_b32_e32 v5, 1
	v_mov_b32_e32 v10, 1
	s_and_saveexec_b64 s[16:17], s[28:29]
	s_cbranch_execz .LBB101_278
; %bb.269:                              ;   in Loop: Header=BB101_6 Depth=1
	v_cmp_ge_u32_e32 vcc, s82, v37
                                        ; implicit-def: $sgpr36
                                        ; implicit-def: $sgpr18_sgpr19
	s_and_saveexec_b64 s[28:29], vcc
	s_xor_b64 s[28:29], exec, s[28:29]
	s_cbranch_execz .LBB101_275
; %bb.270:                              ;   in Loop: Header=BB101_6 Depth=1
	ds_read_b32 v2, v11 offset:4096
	s_waitcnt lgkmcnt(0)
	v_cmp_ne_u32_e32 vcc, 0, v2
	s_cbranch_vccnz .LBB101_274
; %bb.271:                              ;   in Loop: Header=BB101_6 Depth=1
	s_mov_b64 s[18:19], exec
	v_readlane_b32 s36, v55, 21
	v_readlane_b32 s37, v55, 22
	s_and_b64 s[36:37], s[18:19], s[36:37]
	s_mov_b64 exec, s[36:37]
	s_cbranch_execz .LBB101_273
; %bb.272:                              ;   in Loop: Header=BB101_6 Depth=1
	v_mov_b32_e32 v2, s82
	ds_write_b32 v11, v2 offset:4100
.LBB101_273:                            ;   in Loop: Header=BB101_6 Depth=1
	s_or_b64 exec, exec, s[18:19]
	s_waitcnt lgkmcnt(0)
	s_barrier
.LBB101_274:                            ;   in Loop: Header=BB101_6 Depth=1
	v_or_b32_e32 v35, s4, v35
	v_or_b32_e32 v34, s4, v34
	s_mov_b64 s[18:19], 0
	s_mov_b32 s36, 5
.LBB101_275:                            ;   in Loop: Header=BB101_6 Depth=1
	s_or_saveexec_b64 s[28:29], s[28:29]
	v_mov_b32_e32 v10, s36
	s_xor_b64 exec, exec, s[28:29]
; %bb.276:                              ;   in Loop: Header=BB101_6 Depth=1
	v_subrev_u32_e32 v37, s82, v37
	v_mov_b32_e32 v10, 0
	s_or_b64 s[18:19], s[18:19], exec
; %bb.277:                              ;   in Loop: Header=BB101_6 Depth=1
	s_or_b64 exec, exec, s[28:29]
	s_and_b64 s[18:19], s[18:19], exec
	v_mov_b32_e32 v5, v37
.LBB101_278:                            ;   in Loop: Header=BB101_6 Depth=1
	s_or_b64 exec, exec, s[16:17]
	s_mov_b64 s[38:39], -1
                                        ; implicit-def: $sgpr16_sgpr17
                                        ; implicit-def: $sgpr36_sgpr37
                                        ; implicit-def: $sgpr42_sgpr43
	s_and_saveexec_b64 s[28:29], s[18:19]
	s_xor_b64 s[28:29], exec, s[28:29]
	s_cbranch_execz .LBB101_399
; %bb.279:                              ;   in Loop: Header=BB101_6 Depth=1
	s_cmp_eq_u32 s63, 1
	s_cselect_b64 s[16:17], -1, 0
	v_cmp_eq_u32_e32 vcc, 1, v5
	s_and_b64 s[44:45], s[16:17], vcc
	s_mov_b64 s[46:47], -1
                                        ; implicit-def: $sgpr36_sgpr37
                                        ; implicit-def: $sgpr38_sgpr39
                                        ; implicit-def: $sgpr40_sgpr41
	s_and_saveexec_b64 s[16:17], s[44:45]
	s_cbranch_execz .LBB101_305
; %bb.280:                              ;   in Loop: Header=BB101_6 Depth=1
	ds_read_b32 v2, v11 offset:4096
	s_waitcnt lgkmcnt(0)
	s_barrier
	v_readfirstlane_b32 s42, v2
	s_mov_b64 s[18:19], exec
	v_readlane_b32 s36, v55, 45
	v_readlane_b32 s37, v55, 46
	s_and_b64 s[36:37], s[18:19], s[36:37]
	s_mov_b64 exec, s[36:37]
	s_cbranch_execz .LBB101_282
; %bb.281:                              ;   in Loop: Header=BB101_6 Depth=1
	ds_write_b16 v20, v11
.LBB101_282:                            ;   in Loop: Header=BB101_6 Depth=1
	s_or_b64 exec, exec, s[18:19]
	v_and_b32_e32 v2, s10, v35
	v_lshl_or_b32 v35, 2, s62, v2
	v_or_b32_e32 v34, s4, v34
	s_cmp_eq_u32 s42, 0
	s_waitcnt lgkmcnt(0)
	s_barrier
	s_cbranch_scc1 .LBB101_291
; %bb.283:                              ;   in Loop: Header=BB101_6 Depth=1
	v_readlane_b32 s18, v55, 36
	s_add_i32 s18, s42, s18
	v_readlane_b32 s19, v55, 60
	s_mul_hi_u32 s19, s18, s19
	s_mul_i32 s19, s19, s84
	s_sub_i32 s19, s18, s19
	s_sub_i32 s36, s19, s84
	s_cmp_ge_u32 s19, s84
	s_cselect_b32 s19, s36, s19
	s_sub_i32 s36, s19, s84
	s_cmp_ge_u32 s19, s84
	s_cselect_b32 s19, s36, s19
	s_sub_i32 s43, s18, s19
	v_cmp_gt_u32_e32 vcc, s43, v0
	s_mov_b64 s[18:19], 0
                                        ; implicit-def: $vgpr36
	s_and_saveexec_b64 s[36:37], vcc
	s_cbranch_execz .LBB101_293
; %bb.284:                              ;   in Loop: Header=BB101_6 Depth=1
	s_mov_b64 s[38:39], 0
	v_mov_b32_e32 v2, v19
	v_mov_b32_e32 v3, v0
                                        ; implicit-def: $sgpr40_sgpr41
	s_branch .LBB101_286
.LBB101_285:                            ;   in Loop: Header=BB101_286 Depth=2
	s_or_b64 exec, exec, s[18:19]
	s_waitcnt lgkmcnt(0)
	s_barrier
	ds_read_b32 v4, v11 offset:3072
	v_add_u32_e32 v3, s84, v3
	v_cmp_le_u32_e64 s[18:19], s43, v3
	v_add_u32_e32 v2, s13, v2
	s_waitcnt lgkmcnt(0)
	v_cmp_neq_f16_e32 vcc, 0, v4
	s_or_b64 s[18:19], s[18:19], vcc
	s_and_b64 s[18:19], exec, s[18:19]
	s_or_b64 s[38:39], s[18:19], s[38:39]
	s_andn2_b64 s[18:19], s[40:41], exec
	s_and_b64 s[40:41], vcc, exec
	s_or_b64 s[40:41], s[18:19], s[40:41]
	s_barrier
	s_andn2_b64 exec, exec, s[38:39]
	s_cbranch_execz .LBB101_292
.LBB101_286:                            ;   Parent Loop BB101_6 Depth=1
                                        ; =>  This Inner Loop Header: Depth=2
	v_cmp_gt_u32_e32 vcc, s42, v3
	v_mov_b32_e32 v4, 0
	s_and_saveexec_b64 s[18:19], vcc
	s_cbranch_execz .LBB101_288
; %bb.287:                              ;   in Loop: Header=BB101_286 Depth=2
	ds_read_u16 v4, v2
.LBB101_288:                            ;   in Loop: Header=BB101_286 Depth=2
	s_or_b64 exec, exec, s[18:19]
	s_and_saveexec_b64 s[18:19], vcc
	s_cbranch_execz .LBB101_285
; %bb.289:                              ;   in Loop: Header=BB101_286 Depth=2
	s_waitcnt lgkmcnt(0)
	v_cmp_lt_i16_e32 vcc, -1, v4
	v_cndmask_b32_e32 v10, v29, v30, vcc
	v_xor_b32_sdwa v10, v10, v4 dst_sel:DWORD dst_unused:UNUSED_PAD src0_sel:DWORD src1_sel:WORD_0
	v_cmp_o_f16_e32 vcc, v4, v4
	v_cndmask_b32_e32 v10, v29, v10, vcc
	v_and_b32_e32 v10, v10, v34
	v_cmp_eq_u32_e32 vcc, v10, v35
	s_and_b64 exec, exec, vcc
	s_cbranch_execz .LBB101_285
; %bb.290:                              ;   in Loop: Header=BB101_286 Depth=2
	v_perm_b32 v4, v4, s9, v33
	ds_write_b32 v11, v4 offset:3072
	s_branch .LBB101_285
.LBB101_291:                            ;   in Loop: Header=BB101_6 Depth=1
	s_mov_b64 s[36:37], -1
	s_mov_b64 s[18:19], 0
                                        ; implicit-def: $sgpr38_sgpr39
                                        ; implicit-def: $vgpr36
	s_mov_b64 s[40:41], s[36:37]
	s_cbranch_execnz .LBB101_294
	s_branch .LBB101_304
.LBB101_292:                            ;   in Loop: Header=BB101_6 Depth=1
	s_or_b64 exec, exec, s[38:39]
	v_lshrrev_b32_e32 v36, 16, v4
	s_and_b64 s[18:19], s[40:41], exec
.LBB101_293:                            ;   in Loop: Header=BB101_6 Depth=1
	s_or_b64 exec, exec, s[36:37]
	s_mov_b64 s[36:37], 0
	s_mov_b64 s[38:39], -1
	s_mov_b64 s[40:41], s[36:37]
	s_branch .LBB101_304
.LBB101_294:                            ;   in Loop: Header=BB101_6 Depth=1
	s_mov_b64 s[18:19], 0
                                        ; implicit-def: $vgpr36
	s_mov_b64 s[36:37], exec
	v_readlane_b32 s38, v55, 61
	v_readlane_b32 s39, v55, 62
	s_and_b64 s[38:39], s[36:37], s[38:39]
	s_mov_b64 exec, s[38:39]
	s_cbranch_execz .LBB101_303
; %bb.295:                              ;   in Loop: Header=BB101_6 Depth=1
	s_mov_b64 s[38:39], 0
	v_mov_b32_e32 v10, v12
	v_mov_b32_e32 v2, v0
                                        ; implicit-def: $sgpr40_sgpr41
	s_branch .LBB101_297
.LBB101_296:                            ;   in Loop: Header=BB101_297 Depth=2
	s_or_b64 exec, exec, s[18:19]
	s_waitcnt lgkmcnt(0)
	s_barrier
	s_waitcnt vmcnt(0)
	ds_read_b32 v3, v11 offset:3072
	v_add_u32_e32 v2, s84, v2
	v_cmp_le_u32_e64 s[18:19], s86, v2
	v_add_u32_e32 v10, s6, v10
	s_waitcnt lgkmcnt(0)
	v_cmp_neq_f16_e32 vcc, 0, v3
	s_or_b64 s[18:19], s[18:19], vcc
	s_and_b64 s[18:19], exec, s[18:19]
	s_or_b64 s[38:39], s[18:19], s[38:39]
	s_andn2_b64 s[18:19], s[40:41], exec
	s_and_b64 s[40:41], vcc, exec
	s_or_b64 s[40:41], s[18:19], s[40:41]
	s_barrier
	s_andn2_b64 exec, exec, s[38:39]
	s_cbranch_execz .LBB101_302
.LBB101_297:                            ;   Parent Loop BB101_6 Depth=1
                                        ; =>  This Inner Loop Header: Depth=2
	v_cmp_gt_u32_e32 vcc, s60, v2
	v_mov_b32_e32 v3, 0
	s_and_saveexec_b64 s[42:43], vcc
	s_cbranch_execz .LBB101_299
; %bb.298:                              ;   in Loop: Header=BB101_297 Depth=2
	v_lshlrev_b64 v[36:37], 1, v[10:11]
	v_mov_b32_e32 v3, s7
	v_add_co_u32_e64 v36, s[18:19], s33, v36
	v_addc_co_u32_e64 v37, s[18:19], v3, v37, s[18:19]
	global_load_ushort v3, v[36:37], off
.LBB101_299:                            ;   in Loop: Header=BB101_297 Depth=2
	s_or_b64 exec, exec, s[42:43]
	s_and_saveexec_b64 s[18:19], vcc
	s_cbranch_execz .LBB101_296
; %bb.300:                              ;   in Loop: Header=BB101_297 Depth=2
	s_waitcnt vmcnt(0)
	v_cmp_lt_i16_e32 vcc, -1, v3
	v_cndmask_b32_e32 v4, v29, v30, vcc
	v_xor_b32_sdwa v4, v4, v3 dst_sel:DWORD dst_unused:UNUSED_PAD src0_sel:DWORD src1_sel:WORD_0
	v_cmp_o_f16_e32 vcc, v3, v3
	v_cndmask_b32_e32 v4, v29, v4, vcc
	v_and_b32_e32 v4, v4, v34
	v_cmp_eq_u32_e32 vcc, v4, v35
	s_and_b64 exec, exec, vcc
	s_cbranch_execz .LBB101_296
; %bb.301:                              ;   in Loop: Header=BB101_297 Depth=2
	v_perm_b32 v3, v3, s9, v33
	ds_write_b32 v11, v3 offset:3072
	s_branch .LBB101_296
.LBB101_302:                            ;   in Loop: Header=BB101_6 Depth=1
	s_or_b64 exec, exec, s[38:39]
	v_lshrrev_b32_e32 v36, 16, v3
	s_and_b64 s[18:19], s[40:41], exec
.LBB101_303:                            ;   in Loop: Header=BB101_6 Depth=1
	s_or_b64 exec, exec, s[36:37]
	s_mov_b64 s[38:39], 0
	s_mov_b64 s[36:37], -1
	s_mov_b64 s[40:41], 0
.LBB101_304:                            ;   in Loop: Header=BB101_6 Depth=1
	s_orn2_b64 s[46:47], s[18:19], exec
.LBB101_305:                            ;   in Loop: Header=BB101_6 Depth=1
	s_or_b64 exec, exec, s[16:17]
	s_mov_b64 s[18:19], 0
                                        ; implicit-def: $vgpr10
	s_and_saveexec_b64 s[42:43], s[46:47]
	s_cbranch_execz .LBB101_398
; %bb.306:                              ;   in Loop: Header=BB101_6 Depth=1
	s_xor_b64 s[18:19], s[44:45], -1
	s_mov_b64 s[48:49], 0
	v_mov_b32_e32 v2, 1
	v_mov_b32_e32 v10, 1
	s_and_saveexec_b64 s[16:17], s[18:19]
	s_cbranch_execz .LBB101_316
; %bb.307:                              ;   in Loop: Header=BB101_6 Depth=1
	v_cmp_ge_u32_e32 vcc, s63, v5
                                        ; implicit-def: $sgpr46
                                        ; implicit-def: $sgpr18_sgpr19
	s_and_saveexec_b64 s[44:45], vcc
	s_xor_b64 s[44:45], exec, s[44:45]
	s_cbranch_execz .LBB101_313
; %bb.308:                              ;   in Loop: Header=BB101_6 Depth=1
	ds_read_b32 v2, v11 offset:4096
	s_waitcnt lgkmcnt(0)
	v_cmp_ne_u32_e32 vcc, 0, v2
	s_cbranch_vccnz .LBB101_312
; %bb.309:                              ;   in Loop: Header=BB101_6 Depth=1
	s_mov_b64 s[18:19], exec
	v_readlane_b32 s46, v55, 21
	v_readlane_b32 s47, v55, 22
	s_and_b64 s[46:47], s[18:19], s[46:47]
	s_mov_b64 exec, s[46:47]
	s_cbranch_execz .LBB101_311
; %bb.310:                              ;   in Loop: Header=BB101_6 Depth=1
	v_mov_b32_e32 v2, s63
	ds_write_b32 v11, v2 offset:4100
.LBB101_311:                            ;   in Loop: Header=BB101_6 Depth=1
	s_or_b64 exec, exec, s[18:19]
	s_waitcnt lgkmcnt(0)
	s_barrier
.LBB101_312:                            ;   in Loop: Header=BB101_6 Depth=1
	v_and_b32_e32 v2, s10, v35
	v_lshl_or_b32 v35, 2, s62, v2
	v_or_b32_e32 v34, s4, v34
	s_mov_b64 s[18:19], 0
	s_mov_b32 s46, 5
.LBB101_313:                            ;   in Loop: Header=BB101_6 Depth=1
	s_or_saveexec_b64 s[44:45], s[44:45]
	v_mov_b32_e32 v10, s46
	s_xor_b64 exec, exec, s[44:45]
; %bb.314:                              ;   in Loop: Header=BB101_6 Depth=1
	v_subrev_u32_e32 v5, s63, v5
	v_mov_b32_e32 v10, 0
	s_or_b64 s[18:19], s[18:19], exec
; %bb.315:                              ;   in Loop: Header=BB101_6 Depth=1
	s_or_b64 exec, exec, s[44:45]
	s_and_b64 s[48:49], s[18:19], exec
	v_mov_b32_e32 v2, v5
.LBB101_316:                            ;   in Loop: Header=BB101_6 Depth=1
	s_or_b64 exec, exec, s[16:17]
	s_mov_b64 s[16:17], -1
                                        ; implicit-def: $sgpr18_sgpr19
                                        ; implicit-def: $sgpr46_sgpr47
                                        ; implicit-def: $sgpr52_sgpr53
	s_and_saveexec_b64 s[44:45], s[48:49]
	s_cbranch_execz .LBB101_397
; %bb.317:                              ;   in Loop: Header=BB101_6 Depth=1
	s_cmp_eq_u32 s11, 1
	s_cselect_b64 s[16:17], -1, 0
	v_cmp_eq_u32_e32 vcc, 1, v2
	s_and_b64 s[54:55], s[16:17], vcc
	s_mov_b64 s[18:19], -1
                                        ; implicit-def: $sgpr46_sgpr47
                                        ; implicit-def: $sgpr48_sgpr49
                                        ; implicit-def: $sgpr50_sgpr51
	s_and_saveexec_b64 s[16:17], s[54:55]
	s_cbranch_execz .LBB101_343
; %bb.318:                              ;   in Loop: Header=BB101_6 Depth=1
	ds_read_b32 v3, v11 offset:4096
	s_waitcnt lgkmcnt(0)
	s_barrier
	v_readfirstlane_b32 s52, v3
	s_mov_b64 s[18:19], exec
	v_readlane_b32 s46, v55, 45
	v_readlane_b32 s47, v55, 46
	s_and_b64 s[46:47], s[18:19], s[46:47]
	s_mov_b64 exec, s[46:47]
	s_cbranch_execz .LBB101_320
; %bb.319:                              ;   in Loop: Header=BB101_6 Depth=1
	ds_write_b16 v20, v11
.LBB101_320:                            ;   in Loop: Header=BB101_6 Depth=1
	s_or_b64 exec, exec, s[18:19]
	v_and_b32_e32 v3, s10, v35
	v_lshl_or_b32 v35, 1, s62, v3
	v_or_b32_e32 v34, s4, v34
	s_cmp_eq_u32 s52, 0
	s_waitcnt lgkmcnt(0)
	s_barrier
	s_cbranch_scc1 .LBB101_329
; %bb.321:                              ;   in Loop: Header=BB101_6 Depth=1
	v_readlane_b32 s18, v55, 36
	s_add_i32 s18, s52, s18
	v_readlane_b32 s19, v55, 60
	s_mul_hi_u32 s19, s18, s19
	s_mul_i32 s19, s19, s84
	s_sub_i32 s19, s18, s19
	s_sub_i32 s46, s19, s84
	s_cmp_ge_u32 s19, s84
	s_cselect_b32 s19, s46, s19
	s_sub_i32 s46, s19, s84
	s_cmp_ge_u32 s19, s84
	s_cselect_b32 s19, s46, s19
	s_sub_i32 s53, s18, s19
	v_cmp_gt_u32_e32 vcc, s53, v0
	s_mov_b64 s[18:19], 0
                                        ; implicit-def: $vgpr36
	s_and_saveexec_b64 s[46:47], vcc
	s_cbranch_execz .LBB101_331
; %bb.322:                              ;   in Loop: Header=BB101_6 Depth=1
	s_mov_b64 s[48:49], 0
	v_mov_b32_e32 v3, v19
	v_mov_b32_e32 v4, v0
                                        ; implicit-def: $sgpr50_sgpr51
	s_branch .LBB101_324
.LBB101_323:                            ;   in Loop: Header=BB101_324 Depth=2
	s_or_b64 exec, exec, s[18:19]
	s_waitcnt lgkmcnt(0)
	s_barrier
	ds_read_b32 v5, v11 offset:3072
	v_add_u32_e32 v4, s84, v4
	v_cmp_le_u32_e64 s[18:19], s53, v4
	v_add_u32_e32 v3, s13, v3
	s_waitcnt lgkmcnt(0)
	v_cmp_neq_f16_e32 vcc, 0, v5
	s_or_b64 s[18:19], s[18:19], vcc
	s_and_b64 s[18:19], exec, s[18:19]
	s_or_b64 s[48:49], s[18:19], s[48:49]
	s_andn2_b64 s[18:19], s[50:51], exec
	s_and_b64 s[50:51], vcc, exec
	s_or_b64 s[50:51], s[18:19], s[50:51]
	s_barrier
	s_andn2_b64 exec, exec, s[48:49]
	s_cbranch_execz .LBB101_330
.LBB101_324:                            ;   Parent Loop BB101_6 Depth=1
                                        ; =>  This Inner Loop Header: Depth=2
	v_cmp_gt_u32_e32 vcc, s52, v4
	v_mov_b32_e32 v5, 0
	s_and_saveexec_b64 s[18:19], vcc
	s_cbranch_execz .LBB101_326
; %bb.325:                              ;   in Loop: Header=BB101_324 Depth=2
	ds_read_u16 v5, v3
.LBB101_326:                            ;   in Loop: Header=BB101_324 Depth=2
	s_or_b64 exec, exec, s[18:19]
	s_and_saveexec_b64 s[18:19], vcc
	s_cbranch_execz .LBB101_323
; %bb.327:                              ;   in Loop: Header=BB101_324 Depth=2
	s_waitcnt lgkmcnt(0)
	v_cmp_lt_i16_e32 vcc, -1, v5
	v_cndmask_b32_e32 v10, v29, v30, vcc
	v_xor_b32_sdwa v10, v10, v5 dst_sel:DWORD dst_unused:UNUSED_PAD src0_sel:DWORD src1_sel:WORD_0
	v_cmp_o_f16_e32 vcc, v5, v5
	v_cndmask_b32_e32 v10, v29, v10, vcc
	v_and_b32_e32 v10, v10, v34
	v_cmp_eq_u32_e32 vcc, v10, v35
	s_and_b64 exec, exec, vcc
	s_cbranch_execz .LBB101_323
; %bb.328:                              ;   in Loop: Header=BB101_324 Depth=2
	v_perm_b32 v5, v5, s9, v33
	ds_write_b32 v11, v5 offset:3072
	s_branch .LBB101_323
.LBB101_329:                            ;   in Loop: Header=BB101_6 Depth=1
	s_mov_b64 s[46:47], -1
	s_mov_b64 s[18:19], 0
                                        ; implicit-def: $sgpr48_sgpr49
                                        ; implicit-def: $vgpr36
	s_mov_b64 s[50:51], s[46:47]
	s_cbranch_execnz .LBB101_332
	s_branch .LBB101_342
.LBB101_330:                            ;   in Loop: Header=BB101_6 Depth=1
	s_or_b64 exec, exec, s[48:49]
	v_lshrrev_b32_e32 v36, 16, v5
	s_and_b64 s[18:19], s[50:51], exec
.LBB101_331:                            ;   in Loop: Header=BB101_6 Depth=1
	s_or_b64 exec, exec, s[46:47]
	s_mov_b64 s[46:47], 0
	s_mov_b64 s[48:49], -1
	s_mov_b64 s[50:51], s[46:47]
	s_branch .LBB101_342
.LBB101_332:                            ;   in Loop: Header=BB101_6 Depth=1
	s_mov_b64 s[18:19], 0
                                        ; implicit-def: $vgpr36
	s_mov_b64 s[46:47], exec
	v_readlane_b32 s48, v55, 61
	v_readlane_b32 s49, v55, 62
	s_and_b64 s[48:49], s[46:47], s[48:49]
	s_mov_b64 exec, s[48:49]
	s_cbranch_execz .LBB101_341
; %bb.333:                              ;   in Loop: Header=BB101_6 Depth=1
	s_mov_b64 s[48:49], 0
	v_mov_b32_e32 v10, v12
	v_mov_b32_e32 v3, v0
                                        ; implicit-def: $sgpr50_sgpr51
	s_branch .LBB101_335
.LBB101_334:                            ;   in Loop: Header=BB101_335 Depth=2
	s_or_b64 exec, exec, s[18:19]
	s_waitcnt lgkmcnt(0)
	s_barrier
	s_waitcnt vmcnt(0)
	ds_read_b32 v4, v11 offset:3072
	v_add_u32_e32 v3, s84, v3
	v_cmp_le_u32_e64 s[18:19], s86, v3
	v_add_u32_e32 v10, s6, v10
	s_waitcnt lgkmcnt(0)
	v_cmp_neq_f16_e32 vcc, 0, v4
	s_or_b64 s[18:19], s[18:19], vcc
	s_and_b64 s[18:19], exec, s[18:19]
	s_or_b64 s[48:49], s[18:19], s[48:49]
	s_andn2_b64 s[18:19], s[50:51], exec
	s_and_b64 s[50:51], vcc, exec
	s_or_b64 s[50:51], s[18:19], s[50:51]
	s_barrier
	s_andn2_b64 exec, exec, s[48:49]
	s_cbranch_execz .LBB101_340
.LBB101_335:                            ;   Parent Loop BB101_6 Depth=1
                                        ; =>  This Inner Loop Header: Depth=2
	v_cmp_gt_u32_e32 vcc, s60, v3
	v_mov_b32_e32 v4, 0
	s_and_saveexec_b64 s[52:53], vcc
	s_cbranch_execz .LBB101_337
; %bb.336:                              ;   in Loop: Header=BB101_335 Depth=2
	v_lshlrev_b64 v[4:5], 1, v[10:11]
	v_mov_b32_e32 v36, s7
	v_add_co_u32_e64 v4, s[18:19], s33, v4
	v_addc_co_u32_e64 v5, s[18:19], v36, v5, s[18:19]
	global_load_ushort v4, v[4:5], off
.LBB101_337:                            ;   in Loop: Header=BB101_335 Depth=2
	s_or_b64 exec, exec, s[52:53]
	s_and_saveexec_b64 s[18:19], vcc
	s_cbranch_execz .LBB101_334
; %bb.338:                              ;   in Loop: Header=BB101_335 Depth=2
	s_waitcnt vmcnt(0)
	v_cmp_lt_i16_e32 vcc, -1, v4
	v_cndmask_b32_e32 v5, v29, v30, vcc
	v_xor_b32_sdwa v5, v5, v4 dst_sel:DWORD dst_unused:UNUSED_PAD src0_sel:DWORD src1_sel:WORD_0
	v_cmp_o_f16_e32 vcc, v4, v4
	v_cndmask_b32_e32 v5, v29, v5, vcc
	v_and_b32_e32 v5, v5, v34
	v_cmp_eq_u32_e32 vcc, v5, v35
	s_and_b64 exec, exec, vcc
	s_cbranch_execz .LBB101_334
; %bb.339:                              ;   in Loop: Header=BB101_335 Depth=2
	v_perm_b32 v4, v4, s9, v33
	ds_write_b32 v11, v4 offset:3072
	s_branch .LBB101_334
.LBB101_340:                            ;   in Loop: Header=BB101_6 Depth=1
	s_or_b64 exec, exec, s[48:49]
	v_lshrrev_b32_e32 v36, 16, v4
	s_and_b64 s[18:19], s[50:51], exec
.LBB101_341:                            ;   in Loop: Header=BB101_6 Depth=1
	s_or_b64 exec, exec, s[46:47]
	s_mov_b64 s[48:49], 0
	s_mov_b64 s[46:47], -1
	s_mov_b64 s[50:51], 0
.LBB101_342:                            ;   in Loop: Header=BB101_6 Depth=1
	s_orn2_b64 s[18:19], s[18:19], exec
.LBB101_343:                            ;   in Loop: Header=BB101_6 Depth=1
	s_or_b64 exec, exec, s[16:17]
	s_mov_b64 s[16:17], 0
                                        ; implicit-def: $vgpr10
	s_and_saveexec_b64 s[52:53], s[18:19]
	s_cbranch_execz .LBB101_396
; %bb.344:                              ;   in Loop: Header=BB101_6 Depth=1
	s_xor_b64 s[18:19], s[54:55], -1
	s_mov_b64 s[56:57], 0
	v_mov_b32_e32 v3, 1
	v_mov_b32_e32 v10, 1
	s_and_saveexec_b64 s[16:17], s[18:19]
	s_cbranch_execz .LBB101_354
; %bb.345:                              ;   in Loop: Header=BB101_6 Depth=1
	v_cmp_ge_u32_e32 vcc, s11, v2
                                        ; implicit-def: $sgpr56
                                        ; implicit-def: $sgpr18_sgpr19
	s_and_saveexec_b64 s[54:55], vcc
	s_xor_b64 s[54:55], exec, s[54:55]
	s_cbranch_execz .LBB101_351
; %bb.346:                              ;   in Loop: Header=BB101_6 Depth=1
	ds_read_b32 v3, v11 offset:4096
	s_waitcnt lgkmcnt(0)
	v_cmp_ne_u32_e32 vcc, 0, v3
	s_cbranch_vccnz .LBB101_350
; %bb.347:                              ;   in Loop: Header=BB101_6 Depth=1
	s_mov_b64 s[18:19], exec
	v_readlane_b32 s56, v55, 21
	v_readlane_b32 s57, v55, 22
	s_and_b64 s[56:57], s[18:19], s[56:57]
	s_mov_b64 exec, s[56:57]
	s_cbranch_execz .LBB101_349
; %bb.348:                              ;   in Loop: Header=BB101_6 Depth=1
	v_mov_b32_e32 v3, s11
	ds_write_b32 v11, v3 offset:4100
.LBB101_349:                            ;   in Loop: Header=BB101_6 Depth=1
	s_or_b64 exec, exec, s[18:19]
	s_waitcnt lgkmcnt(0)
	s_barrier
.LBB101_350:                            ;   in Loop: Header=BB101_6 Depth=1
	v_and_b32_e32 v3, s10, v35
	v_lshl_or_b32 v35, 1, s62, v3
	v_or_b32_e32 v34, s4, v34
	s_mov_b64 s[18:19], 0
	s_mov_b32 s56, 5
.LBB101_351:                            ;   in Loop: Header=BB101_6 Depth=1
	s_or_saveexec_b64 s[54:55], s[54:55]
	v_mov_b32_e32 v10, s56
	s_xor_b64 exec, exec, s[54:55]
; %bb.352:                              ;   in Loop: Header=BB101_6 Depth=1
	v_subrev_u32_e32 v2, s11, v2
	v_mov_b32_e32 v10, 0
	s_or_b64 s[18:19], s[18:19], exec
; %bb.353:                              ;   in Loop: Header=BB101_6 Depth=1
	s_or_b64 exec, exec, s[54:55]
	s_and_b64 s[56:57], s[18:19], exec
	v_mov_b32_e32 v3, v2
.LBB101_354:                            ;   in Loop: Header=BB101_6 Depth=1
	s_or_b64 exec, exec, s[16:17]
	s_mov_b64 s[16:17], -1
                                        ; implicit-def: $sgpr18_sgpr19
                                        ; implicit-def: $sgpr58_sgpr59
                                        ; implicit-def: $sgpr88_sgpr89
	s_and_saveexec_b64 s[54:55], s[56:57]
	s_cbranch_execz .LBB101_395
; %bb.355:                              ;   in Loop: Header=BB101_6 Depth=1
	s_cmp_eq_u32 s5, 1
	s_cselect_b64 s[16:17], -1, 0
	v_cmp_eq_u32_e32 vcc, 1, v3
	s_and_b64 s[56:57], s[16:17], vcc
	s_mov_b64 s[90:91], -1
                                        ; implicit-def: $sgpr18_sgpr19
                                        ; implicit-def: $sgpr58_sgpr59
                                        ; implicit-def: $sgpr88_sgpr89
	s_and_saveexec_b64 s[16:17], s[56:57]
	s_cbranch_execz .LBB101_382
; %bb.356:                              ;   in Loop: Header=BB101_6 Depth=1
	ds_read_b32 v2, v11 offset:4096
	s_waitcnt lgkmcnt(0)
	s_barrier
	v_readfirstlane_b32 s11, v2
	s_mov_b64 s[18:19], exec
	v_readlane_b32 s58, v55, 45
	v_readlane_b32 s59, v55, 46
	s_and_b64 s[58:59], s[18:19], s[58:59]
	s_mov_b64 exec, s[58:59]
	s_cbranch_execz .LBB101_358
; %bb.357:                              ;   in Loop: Header=BB101_6 Depth=1
	ds_write_b16 v20, v11
.LBB101_358:                            ;   in Loop: Header=BB101_6 Depth=1
	s_or_b64 exec, exec, s[18:19]
	v_and_b32_e32 v35, s10, v35
	v_or_b32_e32 v34, s4, v34
	s_cmp_eq_u32 s11, 0
	s_waitcnt lgkmcnt(0)
	s_barrier
	s_cbranch_scc1 .LBB101_367
; %bb.359:                              ;   in Loop: Header=BB101_6 Depth=1
	v_readlane_b32 s18, v55, 36
	s_add_i32 s18, s11, s18
	v_readlane_b32 s19, v55, 60
	s_mul_hi_u32 s19, s18, s19
	s_mul_i32 s19, s19, s84
	s_sub_i32 s19, s18, s19
	s_sub_i32 s58, s19, s84
	s_cmp_ge_u32 s19, s84
	s_cselect_b32 s19, s58, s19
	s_sub_i32 s58, s19, s84
	s_cmp_ge_u32 s19, s84
	s_cselect_b32 s19, s58, s19
	s_sub_i32 s62, s18, s19
	v_cmp_gt_u32_e32 vcc, s62, v0
	s_mov_b64 s[90:91], 0
                                        ; implicit-def: $vgpr36
	s_and_saveexec_b64 s[58:59], vcc
	s_cbranch_execz .LBB101_369
; %bb.360:                              ;   in Loop: Header=BB101_6 Depth=1
	s_mov_b64 s[88:89], 0
	v_mov_b32_e32 v2, v19
	v_mov_b32_e32 v4, v0
                                        ; implicit-def: $sgpr90_sgpr91
	s_branch .LBB101_362
.LBB101_361:                            ;   in Loop: Header=BB101_362 Depth=2
	s_or_b64 exec, exec, s[18:19]
	s_waitcnt lgkmcnt(0)
	s_barrier
	ds_read_b32 v5, v11 offset:3072
	v_add_u32_e32 v4, s84, v4
	v_cmp_le_u32_e64 s[18:19], s62, v4
	v_add_u32_e32 v2, s13, v2
	s_waitcnt lgkmcnt(0)
	v_cmp_neq_f16_e32 vcc, 0, v5
	s_or_b64 s[18:19], s[18:19], vcc
	s_and_b64 s[18:19], exec, s[18:19]
	s_or_b64 s[88:89], s[18:19], s[88:89]
	s_andn2_b64 s[18:19], s[90:91], exec
	s_and_b64 s[82:83], vcc, exec
	s_or_b64 s[90:91], s[18:19], s[82:83]
	s_barrier
	s_andn2_b64 exec, exec, s[88:89]
	s_cbranch_execz .LBB101_368
.LBB101_362:                            ;   Parent Loop BB101_6 Depth=1
                                        ; =>  This Inner Loop Header: Depth=2
	v_cmp_gt_u32_e32 vcc, s11, v4
	v_mov_b32_e32 v5, 0
	s_and_saveexec_b64 s[18:19], vcc
	s_cbranch_execz .LBB101_364
; %bb.363:                              ;   in Loop: Header=BB101_362 Depth=2
	ds_read_u16 v5, v2
.LBB101_364:                            ;   in Loop: Header=BB101_362 Depth=2
	s_or_b64 exec, exec, s[18:19]
	s_and_saveexec_b64 s[18:19], vcc
	s_cbranch_execz .LBB101_361
; %bb.365:                              ;   in Loop: Header=BB101_362 Depth=2
	s_waitcnt lgkmcnt(0)
	v_cmp_lt_i16_e32 vcc, -1, v5
	v_cndmask_b32_e32 v10, v29, v30, vcc
	v_xor_b32_sdwa v10, v10, v5 dst_sel:DWORD dst_unused:UNUSED_PAD src0_sel:DWORD src1_sel:WORD_0
	v_cmp_o_f16_e32 vcc, v5, v5
	v_cndmask_b32_e32 v10, v29, v10, vcc
	v_and_b32_e32 v10, v10, v34
	v_cmp_eq_u32_e32 vcc, v10, v35
	s_and_b64 exec, exec, vcc
	s_cbranch_execz .LBB101_361
; %bb.366:                              ;   in Loop: Header=BB101_362 Depth=2
	v_perm_b32 v5, v5, s9, v33
	ds_write_b32 v11, v5 offset:3072
	s_branch .LBB101_361
.LBB101_367:                            ;   in Loop: Header=BB101_6 Depth=1
	s_mov_b64 s[18:19], -1
	s_mov_b64 s[90:91], 0
                                        ; implicit-def: $sgpr58_sgpr59
                                        ; implicit-def: $vgpr36
	s_branch .LBB101_370
.LBB101_368:                            ;   in Loop: Header=BB101_6 Depth=1
	s_or_b64 exec, exec, s[88:89]
	v_lshrrev_b32_e32 v36, 16, v5
	s_and_b64 s[90:91], s[90:91], exec
.LBB101_369:                            ;   in Loop: Header=BB101_6 Depth=1
	s_or_b64 exec, exec, s[58:59]
	s_mov_b64 s[18:19], 0
	s_mov_b64 s[58:59], -1
.LBB101_370:                            ;   in Loop: Header=BB101_6 Depth=1
	s_and_b64 vcc, exec, s[18:19]
	s_mov_b64 s[88:89], s[18:19]
	s_cbranch_vccz .LBB101_381
; %bb.371:                              ;   in Loop: Header=BB101_6 Depth=1
	s_mov_b64 s[90:91], 0
                                        ; implicit-def: $vgpr36
	s_mov_b64 s[62:63], exec
	v_readlane_b32 s18, v55, 61
	v_readlane_b32 s19, v55, 62
	s_and_b64 s[18:19], s[62:63], s[18:19]
	s_mov_b64 exec, s[18:19]
	s_cbranch_execz .LBB101_380
; %bb.372:                              ;   in Loop: Header=BB101_6 Depth=1
	s_mov_b64 s[88:89], 0
	v_mov_b32_e32 v10, v12
	v_mov_b32_e32 v2, v0
                                        ; implicit-def: $sgpr90_sgpr91
	s_branch .LBB101_374
.LBB101_373:                            ;   in Loop: Header=BB101_374 Depth=2
	s_or_b64 exec, exec, s[18:19]
	s_waitcnt lgkmcnt(0)
	s_barrier
	s_waitcnt vmcnt(0)
	ds_read_b32 v4, v11 offset:3072
	v_add_u32_e32 v2, s84, v2
	v_cmp_le_u32_e64 s[18:19], s86, v2
	v_add_u32_e32 v10, s6, v10
	s_waitcnt lgkmcnt(0)
	v_cmp_neq_f16_e32 vcc, 0, v4
	s_or_b64 s[18:19], s[18:19], vcc
	s_and_b64 s[18:19], exec, s[18:19]
	s_or_b64 s[88:89], s[18:19], s[88:89]
	s_andn2_b64 s[18:19], s[90:91], exec
	s_and_b64 s[58:59], vcc, exec
	s_or_b64 s[90:91], s[18:19], s[58:59]
	s_barrier
	s_andn2_b64 exec, exec, s[88:89]
	s_cbranch_execz .LBB101_379
.LBB101_374:                            ;   Parent Loop BB101_6 Depth=1
                                        ; =>  This Inner Loop Header: Depth=2
	v_cmp_gt_u32_e32 vcc, s60, v2
	v_mov_b32_e32 v4, 0
	s_and_saveexec_b64 s[58:59], vcc
	s_cbranch_execz .LBB101_376
; %bb.375:                              ;   in Loop: Header=BB101_374 Depth=2
	v_lshlrev_b64 v[4:5], 1, v[10:11]
	v_mov_b32_e32 v36, s7
	v_add_co_u32_e64 v4, s[18:19], s33, v4
	v_addc_co_u32_e64 v5, s[18:19], v36, v5, s[18:19]
	global_load_ushort v4, v[4:5], off
.LBB101_376:                            ;   in Loop: Header=BB101_374 Depth=2
	s_or_b64 exec, exec, s[58:59]
	s_and_saveexec_b64 s[18:19], vcc
	s_cbranch_execz .LBB101_373
; %bb.377:                              ;   in Loop: Header=BB101_374 Depth=2
	s_waitcnt vmcnt(0)
	v_cmp_lt_i16_e32 vcc, -1, v4
	v_cndmask_b32_e32 v5, v29, v30, vcc
	v_xor_b32_sdwa v5, v5, v4 dst_sel:DWORD dst_unused:UNUSED_PAD src0_sel:DWORD src1_sel:WORD_0
	v_cmp_o_f16_e32 vcc, v4, v4
	v_cndmask_b32_e32 v5, v29, v5, vcc
	v_and_b32_e32 v5, v5, v34
	v_cmp_eq_u32_e32 vcc, v5, v35
	s_and_b64 exec, exec, vcc
	s_cbranch_execz .LBB101_373
; %bb.378:                              ;   in Loop: Header=BB101_374 Depth=2
	v_perm_b32 v4, v4, s9, v33
	ds_write_b32 v11, v4 offset:3072
	s_branch .LBB101_373
.LBB101_379:                            ;   in Loop: Header=BB101_6 Depth=1
	s_or_b64 exec, exec, s[88:89]
	v_lshrrev_b32_e32 v36, 16, v4
	s_and_b64 s[90:91], s[90:91], exec
.LBB101_380:                            ;   in Loop: Header=BB101_6 Depth=1
	s_or_b64 exec, exec, s[62:63]
	s_mov_b64 s[58:59], 0
	s_mov_b64 s[18:19], -1
	s_mov_b64 s[88:89], 0
.LBB101_381:                            ;   in Loop: Header=BB101_6 Depth=1
	s_orn2_b64 s[90:91], s[90:91], exec
.LBB101_382:                            ;   in Loop: Header=BB101_6 Depth=1
	s_or_b64 exec, exec, s[16:17]
	s_mov_b64 vcc, 0
                                        ; implicit-def: $vgpr10
                                        ; implicit-def: $vgpr2
	s_and_saveexec_b64 s[16:17], s[90:91]
	s_cbranch_execz .LBB101_394
; %bb.383:                              ;   in Loop: Header=BB101_6 Depth=1
	s_xor_b64 s[62:63], s[56:57], -1
	v_mov_b32_e32 v10, 1
	v_mov_b32_e32 v2, 1
	s_and_saveexec_b64 s[56:57], s[62:63]
	s_cbranch_execz .LBB101_393
; %bb.384:                              ;   in Loop: Header=BB101_6 Depth=1
	v_cmp_ge_u32_e32 vcc, s5, v3
                                        ; implicit-def: $sgpr11
	s_and_saveexec_b64 s[62:63], vcc
	s_xor_b64 s[90:91], exec, s[62:63]
	s_cbranch_execz .LBB101_390
; %bb.385:                              ;   in Loop: Header=BB101_6 Depth=1
	ds_read_b32 v2, v11 offset:4096
	s_waitcnt lgkmcnt(0)
	v_cmp_ne_u32_e32 vcc, 0, v2
	s_cbranch_vccnz .LBB101_389
; %bb.386:                              ;   in Loop: Header=BB101_6 Depth=1
	s_mov_b64 vcc, exec
	v_readlane_b32 s62, v55, 21
	v_readlane_b32 s63, v55, 22
	s_and_b64 s[62:63], vcc, s[62:63]
	s_mov_b64 exec, s[62:63]
	s_cbranch_execz .LBB101_388
; %bb.387:                              ;   in Loop: Header=BB101_6 Depth=1
	v_mov_b32_e32 v2, s5
	ds_write_b32 v11, v2 offset:4100
.LBB101_388:                            ;   in Loop: Header=BB101_6 Depth=1
	s_or_b64 exec, exec, vcc
	s_waitcnt lgkmcnt(0)
	s_barrier
.LBB101_389:                            ;   in Loop: Header=BB101_6 Depth=1
	v_and_b32_e32 v35, s10, v35
	v_or_b32_e32 v34, s4, v34
	s_mov_b32 s11, 5
.LBB101_390:                            ;   in Loop: Header=BB101_6 Depth=1
	s_or_saveexec_b64 s[90:91], s[90:91]
	v_mov_b32_e32 v10, s11
	s_xor_b64 exec, exec, s[90:91]
; %bb.391:                              ;   in Loop: Header=BB101_6 Depth=1
	v_subrev_u32_e32 v3, s5, v3
	v_mov_b32_e32 v10, 5
; %bb.392:                              ;   in Loop: Header=BB101_6 Depth=1
	s_or_b64 exec, exec, s[90:91]
	v_mov_b32_e32 v2, v3
.LBB101_393:                            ;   in Loop: Header=BB101_6 Depth=1
	s_or_b64 exec, exec, s[56:57]
	s_mov_b64 vcc, exec
.LBB101_394:                            ;   in Loop: Header=BB101_6 Depth=1
	s_or_b64 exec, exec, s[16:17]
	s_orn2_b64 s[16:17], vcc, exec
	v_mov_b32_e32 v3, v2
.LBB101_395:                            ;   in Loop: Header=BB101_6 Depth=1
	s_or_b64 exec, exec, s[54:55]
	s_andn2_b64 s[4:5], s[46:47], exec
	s_and_b64 s[10:11], s[18:19], exec
	s_or_b64 s[46:47], s[4:5], s[10:11]
	s_andn2_b64 s[4:5], s[48:49], exec
	s_and_b64 s[10:11], s[58:59], exec
	s_or_b64 s[48:49], s[4:5], s[10:11]
	;; [unrolled: 3-line block ×3, first 2 shown]
	s_and_b64 s[16:17], s[16:17], exec
	v_mov_b32_e32 v2, v3
.LBB101_396:                            ;   in Loop: Header=BB101_6 Depth=1
	s_or_b64 exec, exec, s[52:53]
	s_and_b64 s[52:53], s[46:47], exec
	s_and_b64 s[46:47], s[48:49], exec
	;; [unrolled: 1-line block ×3, first 2 shown]
	s_orn2_b64 s[16:17], s[16:17], exec
.LBB101_397:                            ;   in Loop: Header=BB101_6 Depth=1
	s_or_b64 exec, exec, s[44:45]
	s_andn2_b64 s[4:5], s[36:37], exec
	s_and_b64 s[10:11], s[52:53], exec
	s_or_b64 s[36:37], s[4:5], s[10:11]
	s_andn2_b64 s[4:5], s[38:39], exec
	s_and_b64 s[10:11], s[46:47], exec
	s_or_b64 s[38:39], s[4:5], s[10:11]
	;; [unrolled: 3-line block ×3, first 2 shown]
	s_and_b64 s[18:19], s[16:17], exec
	v_mov_b32_e32 v5, v2
.LBB101_398:                            ;   in Loop: Header=BB101_6 Depth=1
	s_or_b64 exec, exec, s[42:43]
	s_and_b64 s[42:43], s[36:37], exec
	s_and_b64 s[36:37], s[38:39], exec
	s_and_b64 s[16:17], s[40:41], exec
	s_orn2_b64 s[38:39], s[18:19], exec
.LBB101_399:                            ;   in Loop: Header=BB101_6 Depth=1
	s_or_b64 exec, exec, s[28:29]
	s_mov_b64 s[18:19], s[24:25]
	s_mov_b64 s[28:29], s[20:21]
	s_and_saveexec_b64 s[40:41], s[38:39]
; %bb.400:                              ;   in Loop: Header=BB101_6 Depth=1
	v_cmp_ne_u32_e64 s[18:19], 5, v10
	v_cmp_eq_u32_e32 vcc, 5, v10
	s_andn2_b64 s[4:5], s[20:21], exec
	s_and_b64 s[10:11], s[18:19], exec
	s_or_b64 s[28:29], s[4:5], s[10:11]
	s_andn2_b64 s[4:5], s[24:25], exec
	s_and_b64 s[10:11], vcc, exec
	s_andn2_b64 s[42:43], s[42:43], exec
	s_andn2_b64 s[36:37], s[36:37], exec
	;; [unrolled: 1-line block ×3, first 2 shown]
	s_or_b64 s[18:19], s[4:5], s[10:11]
; %bb.401:                              ;   in Loop: Header=BB101_6 Depth=1
	s_or_b64 exec, exec, s[40:41]
	s_andn2_b64 s[4:5], s[30:31], exec
	s_and_b64 s[10:11], s[42:43], exec
	s_or_b64 s[30:31], s[4:5], s[10:11]
	s_andn2_b64 s[4:5], s[34:35], exec
	s_and_b64 s[10:11], s[36:37], exec
	s_or_b64 s[34:35], s[4:5], s[10:11]
	;; [unrolled: 3-line block ×5, first 2 shown]
	v_mov_b32_e32 v2, v35
	v_mov_b32_e32 v3, v34
	;; [unrolled: 1-line block ×3, first 2 shown]
.LBB101_402:                            ;   in Loop: Header=BB101_6 Depth=1
	s_or_b64 exec, exec, s[26:27]
	s_mov_b64 s[28:29], s[22:23]
	s_mov_b64 s[26:27], s[22:23]
	s_and_saveexec_b64 s[16:17], s[24:25]
.LBB101_403:                            ;   in Loop: Header=BB101_6 Depth=1
	v_mov_b32_e32 v10, 0
	s_andn2_b64 s[22:23], s[22:23], exec
	s_andn2_b64 s[30:31], s[30:31], exec
	;; [unrolled: 1-line block ×5, first 2 shown]
	s_or_b64 s[20:21], s[20:21], exec
.LBB101_404:                            ;   in Loop: Header=BB101_6 Depth=1
	s_or_b64 exec, exec, s[16:17]
	s_andn2_b64 s[4:5], s[72:73], exec
	s_and_b64 s[10:11], s[22:23], exec
	s_or_b64 s[72:73], s[4:5], s[10:11]
	s_andn2_b64 s[4:5], s[94:95], exec
	s_and_b64 s[10:11], s[30:31], exec
	s_or_b64 s[94:95], s[4:5], s[10:11]
	;; [unrolled: 3-line block ×4, first 2 shown]
	s_andn2_b64 s[4:5], s[76:77], exec
	s_and_b64 s[10:11], s[26:27], exec
	s_mov_b64 s[18:19], -1
	s_or_b64 s[76:77], s[4:5], s[10:11]
                                        ; implicit-def: $vgpr34
                                        ; implicit-def: $vgpr35
                                        ; implicit-def: $vgpr37
                                        ; implicit-def: $vgpr36
	s_and_saveexec_b64 s[4:5], s[20:21]
	s_xor_b64 s[16:17], exec, s[4:5]
	s_cbranch_execz .LBB101_5
; %bb.405:                              ;   in Loop: Header=BB101_6 Depth=1
	v_cmp_eq_u32_e32 vcc, 0, v10
	s_mov_b64 s[20:21], -1
	s_and_saveexec_b64 s[22:23], vcc
	s_cbranch_execz .LBB101_4
; %bb.406:                              ;   in Loop: Header=BB101_6 Depth=1
	s_xor_b32 s81, s81, 1
	s_add_i32 s10, s80, -2
	s_cmp_eq_u32 s80, 0
	s_cselect_b64 s[4:5], -1, 0
	s_xor_b64 s[20:21], exec, -1
	s_orn2_b64 s[18:19], s[4:5], exec
	s_mov_b32 s80, s10
	s_branch .LBB101_4
.LBB101_407:
	s_or_b64 exec, exec, s[74:75]
	s_xor_b64 s[16:17], s[2:3], -1
	s_xor_b64 s[20:21], s[68:69], -1
	s_xor_b64 s[18:19], s[66:67], -1
	s_xor_b64 s[4:5], s[64:65], -1
	s_xor_b64 s[2:3], s[70:71], -1
	s_mov_b64 s[12:13], 0
	s_and_saveexec_b64 s[8:9], s[4:5]
	s_xor_b64 s[10:11], exec, s[8:9]
	s_cbranch_execnz .LBB101_412
; %bb.408:
	s_andn2_saveexec_b64 s[0:1], s[10:11]
	s_cbranch_execnz .LBB101_431
.LBB101_409:
	s_or_b64 exec, exec, s[0:1]
	s_and_saveexec_b64 s[0:1], s[12:13]
.LBB101_410:
	; divergent unreachable
.LBB101_411:
	s_endpgm
.LBB101_412:
	s_mov_b64 s[14:15], 0
	s_and_saveexec_b64 s[4:5], s[18:19]
	s_xor_b64 s[12:13], exec, s[4:5]
	s_cbranch_execz .LBB101_429
; %bb.413:
	s_mov_b64 s[18:19], 0
	s_and_saveexec_b64 s[4:5], s[20:21]
	s_xor_b64 s[14:15], exec, s[4:5]
	s_cbranch_execz .LBB101_427
; %bb.414:
	s_and_saveexec_b64 s[4:5], s[16:17]
	s_xor_b64 s[16:17], exec, s[4:5]
	s_cbranch_execz .LBB101_425
; %bb.415:
	s_and_saveexec_b64 s[4:5], s[2:3]
	s_xor_b64 s[2:3], exec, s[4:5]
; %bb.416:
	v_and_b32_e32 v1, 0x8000, v2
	v_mov_b32_e32 v3, 0x8000
	v_mov_b32_e32 v4, 0xffff
	v_cmp_eq_u32_e32 vcc, 0, v1
	v_cndmask_b32_e32 v1, v3, v4, vcc
	v_xor_b32_e32 v4, v1, v2
; %bb.417:
	s_or_b64 exec, exec, s[2:3]
	s_mov_b64 s[2:3], exec
	v_readlane_b32 s4, v55, 21
	v_readlane_b32 s5, v55, 22
	v_readlane_b32 s42, v55, 26
	v_readlane_b32 s18, v55, 41
	s_and_b64 s[4:5], s[2:3], s[4:5]
	v_readlane_b32 s43, v55, 27
	v_readlane_b32 s19, v55, 42
	s_mov_b64 exec, s[4:5]
	s_cbranch_execz .LBB101_419
; %bb.418:
	v_mov_b32_e32 v1, 0
	ds_write_b32 v1, v1 offset:4108
.LBB101_419:
	s_or_b64 exec, exec, s[2:3]
	v_mov_b32_e32 v5, 0
	s_waitcnt lgkmcnt(0)
	s_barrier
	s_mov_b64 s[2:3], exec
	v_readlane_b32 s4, v55, 43
	v_readlane_b32 s5, v55, 44
	s_and_b64 s[4:5], s[2:3], s[4:5]
	s_mov_b64 exec, s[4:5]
	s_cbranch_execz .LBB101_421
; %bb.420:
	global_load_ushort v5, v[8:9], off
.LBB101_421:
	s_or_b64 exec, exec, s[2:3]
	v_readlane_b32 s24, v55, 13
	v_readlane_b32 s25, v55, 14
	;; [unrolled: 1-line block ×3, first 2 shown]
	s_mul_i32 s2, s9, s25
	v_readlane_b32 s8, v55, 23
	v_readlane_b32 s20, v55, 6
	s_sub_i32 s2, s8, s2
	v_readlane_b32 s22, v55, 8
	s_mul_i32 s2, s2, s22
	v_readlane_b32 s22, v55, 16
	s_mul_i32 s3, s22, s24
	s_add_i32 s34, s60, 63
	s_sub_i32 s3, s9, s3
	s_andn2_b32 s34, s34, 63
	s_add_i32 s4, s22, 1
	s_sub_i32 s5, s3, s24
	s_cmp_ge_u32 s3, s24
	s_cselect_b32 s4, s4, s22
	s_cselect_b32 s3, s5, s3
	s_add_i32 s5, s4, 1
	s_cmp_ge_u32 s3, s24
	s_cselect_b32 s3, s5, s4
	s_mul_i32 s4, s3, s24
	v_readlane_b32 s21, v55, 7
	s_sub_i32 s4, s9, s4
	s_mul_i32 s4, s4, s21
	v_readlane_b32 s24, v55, 17
	v_readlane_b32 s23, v55, 9
	s_add_i32 s2, s4, s2
	s_mul_i32 s3, s3, s20
	v_readlane_b32 s25, v55, 18
	v_readlane_b32 s9, v55, 19
	s_add_i32 s2, s2, s3
	s_mul_i32 s3, s9, s25
	v_readlane_b32 s20, v55, 0
	s_sub_i32 s3, s8, s3
	v_readlane_b32 s22, v55, 2
	s_mul_i32 s3, s3, s22
	v_readlane_b32 s22, v55, 20
	s_mul_i32 s4, s22, s24
	s_sub_i32 s4, s9, s4
	s_add_i32 s5, s22, 1
	s_sub_i32 s8, s4, s24
	s_cmp_ge_u32 s4, s24
	s_cselect_b32 s5, s5, s22
	s_cselect_b32 s4, s8, s4
	s_add_i32 s8, s5, 1
	s_cmp_ge_u32 s4, s24
	s_cselect_b32 s4, s8, s5
	s_mul_i32 s5, s4, s24
	v_readlane_b32 s21, v55, 1
	s_sub_i32 s5, s9, s5
	s_mul_i32 s5, s5, s21
	s_add_i32 s3, s5, s3
	s_mul_i32 s4, s4, s20
	s_add_i32 s4, s3, s4
	s_mov_b32 s3, 0
	s_lshl_b64 s[8:9], s[2:3], 1
	v_readlane_b32 s20, v55, 10
	s_load_dword s39, s[18:19], 0x1c8
	s_load_dword s40, s[18:19], 0x2a8
	v_mov_b32_e32 v1, 0xffff
	v_mov_b32_e32 v11, 0x8000
	v_cmp_lt_i16_e32 vcc, -1, v4
	v_readlane_b32 s21, v55, 11
	s_add_u32 s35, s20, s8
	s_mov_b32 s5, s3
	v_cndmask_b32_e32 v2, v1, v11, vcc
	s_addc_u32 s36, s21, s9
	s_lshl_b64 s[2:3], s[4:5], 3
	v_readlane_b32 s4, v55, 4
	v_xor_b32_sdwa v2, v2, v4 dst_sel:DWORD dst_unused:UNUSED_PAD src0_sel:DWORD src1_sel:WORD_0
	v_cmp_o_f16_e32 vcc, v4, v4
	v_readlane_b32 s5, v55, 5
	s_add_u32 s37, s4, s2
	v_cndmask_b32_e32 v10, v1, v2, vcc
	s_addc_u32 s38, s5, s3
	v_cmp_gt_u32_e32 vcc, s34, v0
	s_mov_b64 s[20:21], -1
	s_mov_b64 s[2:3], 0
	s_mov_b64 s[4:5], 0
	v_readlane_b32 s23, v55, 3
	s_and_saveexec_b64 s[18:19], vcc
	s_cbranch_execnz .LBB101_432
; %bb.422:
	s_or_b64 exec, exec, s[18:19]
	s_and_saveexec_b64 s[8:9], s[20:21]
	s_cbranch_execnz .LBB101_449
.LBB101_423:
	s_or_b64 exec, exec, s[8:9]
	s_and_saveexec_b64 s[0:1], s[4:5]
	s_xor_b64 s[0:1], exec, s[0:1]
	s_cbranch_execnz .LBB101_472
.LBB101_424:
	s_or_b64 exec, exec, s[0:1]
	s_and_b64 s[18:19], s[2:3], exec
.LBB101_425:
	s_andn2_saveexec_b64 s[0:1], s[16:17]
	s_cbranch_execnz .LBB101_474
.LBB101_426:
	s_or_b64 exec, exec, s[0:1]
	s_and_b64 s[18:19], s[18:19], exec
.LBB101_427:
	s_andn2_saveexec_b64 s[0:1], s[14:15]
	s_cbranch_execnz .LBB101_473
.LBB101_428:
	s_or_b64 exec, exec, s[0:1]
	s_and_b64 s[14:15], s[18:19], exec
.LBB101_429:
	s_andn2_saveexec_b64 s[0:1], s[12:13]
	s_cbranch_execnz .LBB101_468
.LBB101_430:
	s_or_b64 exec, exec, s[0:1]
	s_and_b64 s[12:13], s[14:15], exec
	s_andn2_saveexec_b64 s[0:1], s[10:11]
	s_cbranch_execz .LBB101_409
.LBB101_431:
	s_or_b64 s[12:13], s[12:13], exec
	s_trap 2
	s_or_b64 exec, exec, s[0:1]
	s_and_saveexec_b64 s[0:1], s[12:13]
	s_cbranch_execnz .LBB101_410
	s_branch .LBB101_411
.LBB101_432:
	v_add_u32_e32 v2, s84, v0
	v_readlane_b32 s4, v55, 12
	v_mul_lo_u32 v2, s4, v2
	s_mov_b64 s[20:21], 0
	v_mov_b32_e32 v3, 0
	v_mov_b32_e32 v4, v0
                                        ; implicit-def: $sgpr22_sgpr23
                                        ; implicit-def: $vgpr14
	s_branch .LBB101_434
.LBB101_433:                            ;   in Loop: Header=BB101_434 Depth=1
	s_or_b64 exec, exec, s[24:25]
	s_xor_b64 s[4:5], s[28:29], -1
	s_and_b64 s[8:9], exec, s[8:9]
	s_or_b64 s[20:21], s[8:9], s[20:21]
	s_andn2_b64 s[8:9], s[22:23], exec
	s_and_b64 s[4:5], s[4:5], exec
	s_or_b64 s[22:23], s[8:9], s[4:5]
	v_mov_b32_e32 v4, v12
	s_waitcnt vmcnt(0)
	v_mov_b32_e32 v5, v15
	s_andn2_b64 exec, exec, s[20:21]
	s_cbranch_execz .LBB101_448
.LBB101_434:                            ; =>This Inner Loop Header: Depth=1
	v_add_u32_e32 v12, s84, v4
	v_cmp_gt_u32_e64 s[4:5], s60, v12
	v_mov_b32_e32 v15, 0
	s_and_saveexec_b64 s[8:9], s[4:5]
	s_cbranch_execz .LBB101_436
; %bb.435:                              ;   in Loop: Header=BB101_434 Depth=1
	v_lshlrev_b64 v[16:17], 1, v[2:3]
	v_mov_b32_e32 v15, s7
	v_add_co_u32_e64 v16, s[4:5], s33, v16
	v_addc_co_u32_e64 v17, s[4:5], v15, v17, s[4:5]
	global_load_ushort v15, v[16:17], off
.LBB101_436:                            ;   in Loop: Header=BB101_434 Depth=1
	s_or_b64 exec, exec, s[8:9]
	v_cmp_gt_u32_e64 s[4:5], s60, v4
	s_mov_b64 s[24:25], 0
	s_and_saveexec_b64 s[8:9], s[4:5]
	s_cbranch_execz .LBB101_438
; %bb.437:                              ;   in Loop: Header=BB101_434 Depth=1
	s_waitcnt vmcnt(0)
	v_cmp_lt_i16_e64 s[4:5], -1, v5
	v_cndmask_b32_e64 v16, v1, v11, s[4:5]
	v_xor_b32_sdwa v16, v16, v5 dst_sel:DWORD dst_unused:UNUSED_PAD src0_sel:DWORD src1_sel:WORD_0
	v_cmp_o_f16_e64 s[4:5], v5, v5
	v_cndmask_b32_e64 v16, v1, v16, s[4:5]
	v_cmp_gt_u32_e64 s[4:5], v16, v10
	v_cndmask_b32_e64 v17, 0, 1, s[4:5]
	v_cmp_lt_u32_e64 s[4:5], v16, v10
	v_cndmask_b32_e64 v16, 0, 1, s[4:5]
	v_cndmask_b32_e64 v16, v16, v17, s[42:43]
	v_and_b32_e32 v16, 1, v16
	v_cmp_eq_u32_e64 s[4:5], 1, v16
	s_and_b64 s[24:25], s[4:5], exec
.LBB101_438:                            ;   in Loop: Header=BB101_434 Depth=1
	s_or_b64 exec, exec, s[8:9]
	v_cndmask_b32_e64 v16, 0, 1, s[24:25]
	v_cmp_ne_u32_e64 s[4:5], 0, v16
	s_cmp_lg_u64 s[4:5], 0
	s_cselect_b64 s[8:9], -1, 0
	s_and_b64 s[8:9], s[0:1], s[8:9]
	s_and_saveexec_b64 s[26:27], s[8:9]
	s_cbranch_execz .LBB101_442
; %bb.439:                              ;   in Loop: Header=BB101_434 Depth=1
	s_mov_b64 s[30:31], exec
	s_waitcnt lgkmcnt(0)
	v_mbcnt_lo_u32_b32 v14, s30, 0
	v_mbcnt_hi_u32_b32 v14, s31, v14
	s_bcnt1_i32_b64 s41, s[4:5]
	v_cmp_eq_u32_e64 s[8:9], 0, v14
                                        ; implicit-def: $vgpr16
	s_and_saveexec_b64 s[28:29], s[8:9]
	s_cbranch_execz .LBB101_441
; %bb.440:                              ;   in Loop: Header=BB101_434 Depth=1
	s_bcnt1_i32_b64 s8, s[30:31]
	s_mul_i32 s8, s41, s8
	v_mov_b32_e32 v16, s8
	ds_add_rtn_u32 v16, v3, v16 offset:4108
.LBB101_441:                            ;   in Loop: Header=BB101_434 Depth=1
	s_or_b64 exec, exec, s[28:29]
	s_waitcnt lgkmcnt(0)
	v_readfirstlane_b32 s8, v16
	v_mov_b32_e32 v16, s8
	v_mad_u32_u24 v14, s41, v14, v16
.LBB101_442:                            ;   in Loop: Header=BB101_434 Depth=1
	s_or_b64 exec, exec, s[26:27]
	s_waitcnt lgkmcnt(0)
	ds_bpermute_b32 v14, v13, v14
	s_mov_b64 s[8:9], -1
	s_mov_b64 s[30:31], -1
                                        ; implicit-def: $sgpr28_sgpr29
	s_and_saveexec_b64 s[26:27], s[24:25]
	s_cbranch_execz .LBB101_446
; %bb.443:                              ;   in Loop: Header=BB101_434 Depth=1
	v_and_b32_e32 v17, s4, v6
	v_and_b32_e32 v16, s5, v7
	v_bcnt_u32_b32 v17, v17, 0
	v_bcnt_u32_b32 v16, v16, v17
	s_waitcnt lgkmcnt(0)
	v_add_u32_e32 v16, v14, v16
	v_cmp_gt_u32_e64 s[4:5], s61, v16
	s_mov_b64 s[24:25], 0
	s_and_saveexec_b64 s[28:29], s[4:5]
	s_cbranch_execz .LBB101_445
; %bb.444:                              ;   in Loop: Header=BB101_434 Depth=1
	v_mul_lo_u32 v18, v16, s39
	v_mov_b32_e32 v19, v3
	v_lshlrev_b64 v[18:19], 1, v[18:19]
	v_mov_b32_e32 v17, s36
	v_add_co_u32_e64 v18, s[4:5], s35, v18
	v_mul_lo_u32 v16, v16, s40
	v_addc_co_u32_e64 v19, s[4:5], v17, v19, s[4:5]
	v_mov_b32_e32 v17, v3
	v_lshlrev_b64 v[16:17], 3, v[16:17]
	s_waitcnt vmcnt(0)
	global_store_short v[18:19], v5, off
	v_mov_b32_e32 v18, s38
	v_add_co_u32_e64 v16, s[4:5], s37, v16
	s_mov_b64 s[24:25], exec
	v_mov_b32_e32 v5, v3
	v_addc_co_u32_e64 v17, s[4:5], v18, v17, s[4:5]
	global_store_dwordx2 v[16:17], v[4:5], off
.LBB101_445:                            ;   in Loop: Header=BB101_434 Depth=1
	s_or_b64 exec, exec, s[28:29]
	s_mov_b64 s[28:29], -1
	s_orn2_b64 s[30:31], s[24:25], exec
.LBB101_446:                            ;   in Loop: Header=BB101_434 Depth=1
	s_or_b64 exec, exec, s[26:27]
	s_and_saveexec_b64 s[24:25], s[30:31]
	s_cbranch_execz .LBB101_433
; %bb.447:                              ;   in Loop: Header=BB101_434 Depth=1
	v_cmp_le_u32_e64 s[4:5], s34, v12
	v_add_u32_e32 v2, s6, v2
	s_andn2_b64 s[28:29], s[28:29], exec
	s_orn2_b64 s[8:9], s[4:5], exec
	s_branch .LBB101_433
.LBB101_448:
	s_or_b64 exec, exec, s[20:21]
	s_mov_b64 s[4:5], exec
	s_orn2_b64 s[20:21], s[22:23], exec
	s_or_b64 exec, exec, s[18:19]
	s_and_saveexec_b64 s[8:9], s[20:21]
	s_cbranch_execz .LBB101_423
.LBB101_449:
	v_mov_b32_e32 v1, 0
	s_waitcnt lgkmcnt(0)
	s_barrier
	s_mov_b64 s[2:3], exec
	v_readlane_b32 s18, v55, 43
	v_readlane_b32 s19, v55, 44
	s_and_b64 s[18:19], s[2:3], s[18:19]
	s_mov_b64 exec, s[18:19]
	s_cbranch_execz .LBB101_451
; %bb.450:
	global_load_ushort v1, v[8:9], off
.LBB101_451:
	s_or_b64 exec, exec, s[2:3]
	s_mov_b64 s[2:3], 0
	s_and_saveexec_b64 s[30:31], vcc
	s_cbranch_execz .LBB101_471
; %bb.452:
	v_add_u32_e32 v2, s84, v0
	v_readlane_b32 s2, v55, 12
	v_mul_lo_u32 v2, s2, v2
	s_mov_b64 s[18:19], 0
	v_mov_b32_e32 v3, 0
	v_mov_b32_e32 v4, 0xffff
	s_waitcnt vmcnt(0)
	v_mov_b32_e32 v5, 0x8000
                                        ; implicit-def: $sgpr20_sgpr21
                                        ; implicit-def: $vgpr8
	s_branch .LBB101_455
.LBB101_453:                            ;   in Loop: Header=BB101_455 Depth=1
	s_or_b64 exec, exec, s[24:25]
	s_orn2_b64 s[26:27], s[26:27], exec
	s_orn2_b64 s[24:25], s[22:23], exec
	s_waitcnt vmcnt(0)
	v_mov_b32_e32 v1, v11
	v_mov_b32_e32 v0, v9
.LBB101_454:                            ;   in Loop: Header=BB101_455 Depth=1
	s_or_b64 exec, exec, s[2:3]
	s_xor_b64 s[2:3], s[26:27], -1
	s_and_b64 s[22:23], exec, s[24:25]
	s_or_b64 s[18:19], s[22:23], s[18:19]
	s_andn2_b64 s[20:21], s[20:21], exec
	s_and_b64 s[2:3], s[2:3], exec
	s_or_b64 s[20:21], s[20:21], s[2:3]
	s_andn2_b64 exec, exec, s[18:19]
	s_cbranch_execz .LBB101_469
.LBB101_455:                            ; =>This Inner Loop Header: Depth=1
	v_add_u32_e32 v9, s84, v0
	v_cmp_gt_u32_e32 vcc, s60, v9
	s_waitcnt vmcnt(0)
	v_mov_b32_e32 v11, 0
	s_and_saveexec_b64 s[2:3], vcc
	s_cbranch_execz .LBB101_457
; %bb.456:                              ;   in Loop: Header=BB101_455 Depth=1
	v_lshlrev_b64 v[14:15], 1, v[2:3]
	v_mov_b32_e32 v11, s7
	v_add_co_u32_e32 v14, vcc, s33, v14
	v_addc_co_u32_e32 v15, vcc, v11, v15, vcc
	global_load_ushort v11, v[14:15], off
.LBB101_457:                            ;   in Loop: Header=BB101_455 Depth=1
	s_or_b64 exec, exec, s[2:3]
	v_cmp_lt_i16_e64 s[2:3], -1, v1
	v_cndmask_b32_e64 v12, v4, v5, s[2:3]
	v_xor_b32_sdwa v12, v12, v1 dst_sel:DWORD dst_unused:UNUSED_PAD src0_sel:DWORD src1_sel:WORD_0
	v_cmp_o_f16_e64 s[2:3], v1, v1
	v_cndmask_b32_e64 v12, v4, v12, s[2:3]
	v_cmp_gt_u32_e32 vcc, s60, v0
	v_cmp_eq_u32_e64 s[2:3], v12, v10
	s_and_b64 s[22:23], vcc, s[2:3]
	v_cndmask_b32_e64 v12, 0, 1, s[22:23]
	v_cmp_ne_u32_e32 vcc, 0, v12
	s_cmp_lg_u64 vcc, 0
	s_cselect_b64 s[2:3], -1, 0
	s_and_b64 s[2:3], s[0:1], s[2:3]
	s_and_saveexec_b64 s[24:25], s[2:3]
	s_cbranch_execz .LBB101_461
; %bb.458:                              ;   in Loop: Header=BB101_455 Depth=1
	s_mov_b64 s[28:29], exec
	v_mbcnt_lo_u32_b32 v8, s28, 0
	v_mbcnt_hi_u32_b32 v8, s29, v8
	s_bcnt1_i32_b64 s41, vcc
	v_cmp_eq_u32_e64 s[2:3], 0, v8
                                        ; implicit-def: $vgpr12
	s_and_saveexec_b64 s[26:27], s[2:3]
	s_cbranch_execz .LBB101_460
; %bb.459:                              ;   in Loop: Header=BB101_455 Depth=1
	s_bcnt1_i32_b64 s2, s[28:29]
	s_mul_i32 s2, s41, s2
	v_mov_b32_e32 v12, s2
	ds_add_rtn_u32 v12, v3, v12 offset:4108
.LBB101_460:                            ;   in Loop: Header=BB101_455 Depth=1
	s_or_b64 exec, exec, s[26:27]
	s_waitcnt lgkmcnt(0)
	v_readfirstlane_b32 s2, v12
	v_mov_b32_e32 v12, s2
	v_mad_u32_u24 v8, s41, v8, v12
.LBB101_461:                            ;   in Loop: Header=BB101_455 Depth=1
	s_or_b64 exec, exec, s[24:25]
	ds_bpermute_b32 v8, v13, v8
	s_cmp_eq_u64 vcc, 0
	s_cselect_b64 s[26:27], -1, 0
	s_mov_b64 s[24:25], -1
	s_waitcnt lgkmcnt(0)
	v_cmp_gt_u32_e64 s[2:3], s61, v8
	s_or_b64 s[28:29], s[26:27], s[2:3]
	s_mov_b64 s[26:27], -1
	s_and_saveexec_b64 s[2:3], s[28:29]
	s_cbranch_execz .LBB101_454
; %bb.462:                              ;   in Loop: Header=BB101_455 Depth=1
	v_and_b32_e32 v14, vcc_lo, v6
	v_and_b32_e32 v12, vcc_hi, v7
	v_bcnt_u32_b32 v14, v14, 0
	v_bcnt_u32_b32 v12, v12, v14
	v_sub_u32_e32 v14, s61, v8
	v_cmp_gt_u32_e32 vcc, v14, v12
	s_and_b64 s[42:43], s[22:23], vcc
	s_mov_b64 s[22:23], -1
	s_mov_b64 s[28:29], -1
	s_and_saveexec_b64 s[24:25], s[42:43]
	s_cbranch_execz .LBB101_466
; %bb.463:                              ;   in Loop: Header=BB101_455 Depth=1
	v_add_u32_e32 v12, v8, v12
	v_cmp_gt_u32_e32 vcc, s61, v12
	s_mov_b64 s[28:29], 0
	s_and_saveexec_b64 s[26:27], vcc
	s_cbranch_execz .LBB101_465
; %bb.464:                              ;   in Loop: Header=BB101_455 Depth=1
	v_mul_lo_u32 v14, v12, s39
	v_mov_b32_e32 v15, v3
	v_lshlrev_b64 v[14:15], 1, v[14:15]
	v_mul_lo_u32 v16, v12, s40
	v_mov_b32_e32 v12, s36
	v_add_co_u32_e32 v14, vcc, s35, v14
	v_addc_co_u32_e32 v15, vcc, v12, v15, vcc
	v_mov_b32_e32 v17, v3
	global_store_short v[14:15], v1, off
	v_lshlrev_b64 v[14:15], 3, v[16:17]
	v_mov_b32_e32 v12, s38
	v_add_co_u32_e32 v14, vcc, s37, v14
	s_mov_b64 s[28:29], exec
	v_mov_b32_e32 v1, v3
	v_addc_co_u32_e32 v15, vcc, v12, v15, vcc
	global_store_dwordx2 v[14:15], v[0:1], off
.LBB101_465:                            ;   in Loop: Header=BB101_455 Depth=1
	s_or_b64 exec, exec, s[26:27]
	s_xor_b64 s[26:27], exec, -1
	s_orn2_b64 s[28:29], s[28:29], exec
.LBB101_466:                            ;   in Loop: Header=BB101_455 Depth=1
	s_or_b64 exec, exec, s[24:25]
	s_and_saveexec_b64 s[24:25], s[28:29]
	s_cbranch_execz .LBB101_453
; %bb.467:                              ;   in Loop: Header=BB101_455 Depth=1
	v_cmp_le_u32_e32 vcc, s34, v9
	v_add_u32_e32 v2, s6, v2
	s_or_b64 s[26:27], s[26:27], exec
	s_orn2_b64 s[22:23], vcc, exec
	s_branch .LBB101_453
.LBB101_468:
	s_or_b64 s[14:15], s[14:15], exec
	s_trap 2
	s_branch .LBB101_430
.LBB101_469:
	s_or_b64 exec, exec, s[18:19]
	s_mov_b64 s[0:1], 0
	s_and_saveexec_b64 s[2:3], s[20:21]
	s_xor_b64 s[2:3], exec, s[2:3]
	s_cbranch_execnz .LBB101_475
.LBB101_470:
	s_or_b64 exec, exec, s[2:3]
	s_and_b64 s[2:3], s[0:1], exec
.LBB101_471:
	s_or_b64 exec, exec, s[30:31]
	s_and_b64 s[2:3], s[2:3], exec
	s_andn2_b64 s[4:5], s[4:5], exec
	s_or_b64 exec, exec, s[8:9]
	s_and_saveexec_b64 s[0:1], s[4:5]
	s_xor_b64 s[0:1], exec, s[0:1]
	s_cbranch_execz .LBB101_424
.LBB101_472:
	s_trap 2
	s_or_b64 s[2:3], s[2:3], exec
	s_branch .LBB101_424
.LBB101_473:
	s_or_b64 s[18:19], s[18:19], exec
	s_trap 2
	s_branch .LBB101_428
.LBB101_474:
	s_trap 2
	s_or_b64 s[18:19], s[18:19], exec
	s_branch .LBB101_426
.LBB101_475:
	s_mov_b64 s[0:1], exec
	s_trap 2
	s_branch .LBB101_470
	.section	.rodata,"a",@progbits
	.p2align	6, 0x0
	.amdhsa_kernel _ZN2at6native6sbtopk10gatherTopKIN3c104HalfEjLi3ELb0EEEvNS_4cuda6detail10TensorInfoIKT_T0_EESA_SA_bSA_SA_NS7_IS8_SA_EESA_NS7_IlSA_EESA_PS8_
		.amdhsa_group_segment_fixed_size 4112
		.amdhsa_private_segment_fixed_size 0
		.amdhsa_kernarg_size 952
		.amdhsa_user_sgpr_count 6
		.amdhsa_user_sgpr_private_segment_buffer 1
		.amdhsa_user_sgpr_dispatch_ptr 0
		.amdhsa_user_sgpr_queue_ptr 0
		.amdhsa_user_sgpr_kernarg_segment_ptr 1
		.amdhsa_user_sgpr_dispatch_id 0
		.amdhsa_user_sgpr_flat_scratch_init 0
		.amdhsa_user_sgpr_kernarg_preload_length 0
		.amdhsa_user_sgpr_kernarg_preload_offset 0
		.amdhsa_user_sgpr_private_segment_size 0
		.amdhsa_uses_dynamic_stack 0
		.amdhsa_system_sgpr_private_segment_wavefront_offset 0
		.amdhsa_system_sgpr_workgroup_id_x 1
		.amdhsa_system_sgpr_workgroup_id_y 1
		.amdhsa_system_sgpr_workgroup_id_z 1
		.amdhsa_system_sgpr_workgroup_info 0
		.amdhsa_system_vgpr_workitem_id 0
		.amdhsa_next_free_vgpr 56
		.amdhsa_next_free_sgpr 96
		.amdhsa_accum_offset 56
		.amdhsa_reserve_vcc 1
		.amdhsa_reserve_flat_scratch 0
		.amdhsa_float_round_mode_32 0
		.amdhsa_float_round_mode_16_64 0
		.amdhsa_float_denorm_mode_32 3
		.amdhsa_float_denorm_mode_16_64 3
		.amdhsa_dx10_clamp 1
		.amdhsa_ieee_mode 1
		.amdhsa_fp16_overflow 0
		.amdhsa_tg_split 0
		.amdhsa_exception_fp_ieee_invalid_op 0
		.amdhsa_exception_fp_denorm_src 0
		.amdhsa_exception_fp_ieee_div_zero 0
		.amdhsa_exception_fp_ieee_overflow 0
		.amdhsa_exception_fp_ieee_underflow 0
		.amdhsa_exception_fp_ieee_inexact 0
		.amdhsa_exception_int_div_zero 0
	.end_amdhsa_kernel
	.section	.text._ZN2at6native6sbtopk10gatherTopKIN3c104HalfEjLi3ELb0EEEvNS_4cuda6detail10TensorInfoIKT_T0_EESA_SA_bSA_SA_NS7_IS8_SA_EESA_NS7_IlSA_EESA_PS8_,"axG",@progbits,_ZN2at6native6sbtopk10gatherTopKIN3c104HalfEjLi3ELb0EEEvNS_4cuda6detail10TensorInfoIKT_T0_EESA_SA_bSA_SA_NS7_IS8_SA_EESA_NS7_IlSA_EESA_PS8_,comdat
.Lfunc_end101:
	.size	_ZN2at6native6sbtopk10gatherTopKIN3c104HalfEjLi3ELb0EEEvNS_4cuda6detail10TensorInfoIKT_T0_EESA_SA_bSA_SA_NS7_IS8_SA_EESA_NS7_IlSA_EESA_PS8_, .Lfunc_end101-_ZN2at6native6sbtopk10gatherTopKIN3c104HalfEjLi3ELb0EEEvNS_4cuda6detail10TensorInfoIKT_T0_EESA_SA_bSA_SA_NS7_IS8_SA_EESA_NS7_IlSA_EESA_PS8_
                                        ; -- End function
	.section	.AMDGPU.csdata,"",@progbits
; Kernel info:
; codeLenInByte = 17328
; NumSgprs: 100
; NumVgprs: 56
; NumAgprs: 0
; TotalNumVgprs: 56
; ScratchSize: 0
; MemoryBound: 0
; FloatMode: 240
; IeeeMode: 1
; LDSByteSize: 4112 bytes/workgroup (compile time only)
; SGPRBlocks: 12
; VGPRBlocks: 6
; NumSGPRsForWavesPerEU: 100
; NumVGPRsForWavesPerEU: 56
; AccumOffset: 56
; Occupancy: 8
; WaveLimiterHint : 1
; COMPUTE_PGM_RSRC2:SCRATCH_EN: 0
; COMPUTE_PGM_RSRC2:USER_SGPR: 6
; COMPUTE_PGM_RSRC2:TRAP_HANDLER: 0
; COMPUTE_PGM_RSRC2:TGID_X_EN: 1
; COMPUTE_PGM_RSRC2:TGID_Y_EN: 1
; COMPUTE_PGM_RSRC2:TGID_Z_EN: 1
; COMPUTE_PGM_RSRC2:TIDIG_COMP_CNT: 0
; COMPUTE_PGM_RSRC3_GFX90A:ACCUM_OFFSET: 13
; COMPUTE_PGM_RSRC3_GFX90A:TG_SPLIT: 0
	.section	.text._ZN2at6native6mbtopk23computeBlockDigitCountsIN3c104HalfEjjLin1EEEvNS_4cuda6detail10TensorInfoIKT_T0_EEjPjjSA_iijT1_PSD_Ps,"axG",@progbits,_ZN2at6native6mbtopk23computeBlockDigitCountsIN3c104HalfEjjLin1EEEvNS_4cuda6detail10TensorInfoIKT_T0_EEjPjjSA_iijT1_PSD_Ps,comdat
	.protected	_ZN2at6native6mbtopk23computeBlockDigitCountsIN3c104HalfEjjLin1EEEvNS_4cuda6detail10TensorInfoIKT_T0_EEjPjjSA_iijT1_PSD_Ps ; -- Begin function _ZN2at6native6mbtopk23computeBlockDigitCountsIN3c104HalfEjjLin1EEEvNS_4cuda6detail10TensorInfoIKT_T0_EEjPjjSA_iijT1_PSD_Ps
	.globl	_ZN2at6native6mbtopk23computeBlockDigitCountsIN3c104HalfEjjLin1EEEvNS_4cuda6detail10TensorInfoIKT_T0_EEjPjjSA_iijT1_PSD_Ps
	.p2align	8
	.type	_ZN2at6native6mbtopk23computeBlockDigitCountsIN3c104HalfEjjLin1EEEvNS_4cuda6detail10TensorInfoIKT_T0_EEjPjjSA_iijT1_PSD_Ps,@function
_ZN2at6native6mbtopk23computeBlockDigitCountsIN3c104HalfEjjLin1EEEvNS_4cuda6detail10TensorInfoIKT_T0_EEjPjjSA_iijT1_PSD_Ps: ; @_ZN2at6native6mbtopk23computeBlockDigitCountsIN3c104HalfEjjLin1EEEvNS_4cuda6detail10TensorInfoIKT_T0_EEjPjjSA_iijT1_PSD_Ps
; %bb.0:
	s_load_dwordx2 s[10:11], s[4:5], 0xf8
	s_load_dwordx4 s[12:15], s[4:5], 0xe8
	s_load_dwordx2 s[0:1], s[4:5], 0x110
	s_mov_b32 s9, 0
	s_waitcnt lgkmcnt(0)
	v_cvt_f32_u32_e32 v1, s10
	s_sub_i32 s2, 0, s10
	s_mul_i32 s1, s1, s8
	s_add_i32 s1, s1, s7
	v_rcp_iflag_f32_e32 v1, v1
	s_mul_i32 s16, s1, s0
	s_add_i32 s16, s16, s6
	v_mul_f32_e32 v1, 0x4f7ffffe, v1
	v_cvt_u32_f32_e32 v1, v1
	v_readfirstlane_b32 s0, v1
	s_mul_i32 s2, s2, s0
	s_mul_hi_u32 s1, s0, s2
	s_add_i32 s0, s0, s1
	s_mul_hi_u32 s0, s16, s0
	s_mul_i32 s1, s0, s10
	s_sub_i32 s1, s16, s1
	s_add_i32 s2, s0, 1
	s_sub_i32 s3, s1, s10
	s_cmp_ge_u32 s1, s10
	s_cselect_b32 s0, s2, s0
	s_cselect_b32 s1, s3, s1
	s_add_i32 s2, s0, 1
	s_cmp_ge_u32 s1, s10
	s_cselect_b32 s8, s2, s0
	s_cmp_ge_u32 s8, s12
	s_cbranch_scc1 .LBB102_32
; %bb.1:
	s_load_dwordx4 s[0:3], s[4:5], 0x100
	s_load_dword s6, s[4:5], 0xd0
	s_lshl_b64 s[18:19], s[8:9], 2
	s_waitcnt lgkmcnt(0)
	s_add_u32 s0, s0, s18
	s_addc_u32 s1, s1, s19
	s_cmp_lt_i32 s6, 2
	s_mov_b32 s19, s8
	s_cbranch_scc1 .LBB102_4
; %bb.2:
	s_add_i32 s20, s6, -1
	s_mov_b32 s21, 0
	s_add_i32 s12, s6, 1
	s_lshl_b64 s[6:7], s[20:21], 2
	s_add_u32 s6, s6, s4
	s_addc_u32 s7, s7, s5
	s_add_u32 s6, s6, 8
	s_addc_u32 s7, s7, 0
	s_mov_b32 s19, s8
	s_mov_b32 s9, s21
.LBB102_3:                              ; =>This Inner Loop Header: Depth=1
	s_load_dword s17, s[6:7], 0x0
	s_load_dword s20, s[6:7], 0x64
	s_mov_b32 s18, s19
	s_waitcnt lgkmcnt(0)
	v_cvt_f32_u32_e32 v1, s17
	s_sub_i32 s19, 0, s17
	v_rcp_iflag_f32_e32 v1, v1
	v_mul_f32_e32 v1, 0x4f7ffffe, v1
	v_cvt_u32_f32_e32 v1, v1
	v_readfirstlane_b32 s21, v1
	s_mul_i32 s19, s19, s21
	s_mul_hi_u32 s19, s21, s19
	s_add_i32 s21, s21, s19
	s_mul_hi_u32 s19, s18, s21
	s_mul_i32 s21, s19, s17
	s_sub_i32 s21, s18, s21
	s_add_i32 s22, s19, 1
	s_sub_i32 s23, s21, s17
	s_cmp_ge_u32 s21, s17
	s_cselect_b32 s19, s22, s19
	s_cselect_b32 s21, s23, s21
	s_add_i32 s22, s19, 1
	s_cmp_ge_u32 s21, s17
	s_cselect_b32 s19, s22, s19
	s_mul_i32 s17, s19, s17
	s_sub_i32 s17, s18, s17
	s_mul_i32 s17, s20, s17
	s_add_i32 s12, s12, -1
	s_add_i32 s9, s17, s9
	s_add_u32 s6, s6, -4
	s_addc_u32 s7, s7, -1
	s_cmp_gt_u32 s12, 2
	s_cbranch_scc1 .LBB102_3
.LBB102_4:
	s_load_dword s12, s[0:1], 0x0
	s_movk_i32 s0, 0x100
	v_cmp_gt_u32_e32 vcc, s0, v0
	v_lshlrev_b32_e32 v1, 2, v0
	s_and_saveexec_b64 s[0:1], vcc
	s_cbranch_execz .LBB102_6
; %bb.5:
	v_mov_b32_e32 v2, 0
	ds_write_b32 v1, v2
.LBB102_6:
	s_or_b64 exec, exec, s[0:1]
	s_load_dword s17, s[4:5], 0xd8
	s_mul_i32 s0, s8, s10
	s_sub_i32 s0, s16, s0
	s_add_i32 s1, s0, 1
	s_mul_i32 s0, s15, s0
	s_lshl_b32 s18, s0, 8
	s_waitcnt lgkmcnt(0)
	s_sub_i32 s0, s17, s18
	s_add_u32 s0, s0, 0xff
	s_addc_u32 s6, 0, 0
	v_mov_b32_e32 v2, s0
	v_alignbit_b32 v2, s6, v2, 8
	s_cmp_lt_u32 s1, s10
	v_readfirstlane_b32 s0, v2
	s_cselect_b32 s10, s15, s0
	s_cmp_lt_i32 s10, 1
	s_mov_b32 s7, 0
	s_barrier
	s_cbranch_scc1 .LBB102_28
; %bb.7:
	s_load_dword s6, s[4:5], 0x6c
	s_load_dwordx2 s[0:1], s[4:5], 0x0
	s_waitcnt lgkmcnt(0)
	s_mul_i32 s4, s6, s19
	s_add_i32 s6, s4, s9
	s_lshl_b64 s[4:5], s[6:7], 1
	s_add_u32 s6, s0, s4
	s_addc_u32 s8, s1, s5
	s_and_b32 s9, s14, 0xff
	s_cmp_lt_u32 s10, 4
	s_cbranch_scc1 .LBB102_22
; %bb.8:
	v_add_u32_e32 v2, s18, v0
	v_add_u32_e32 v3, 0x200, v2
	;; [unrolled: 1-line block ×3, first 2 shown]
	v_mul_lo_u32 v6, s13, v3
	v_add_u32_e32 v3, 0x100, v2
	s_and_b32 s7, s10, 0x7ffffffc
	v_mul_lo_u32 v5, s13, v4
	s_lshl_b32 s14, s13, 10
	v_mul_lo_u32 v7, s13, v3
	v_mul_lo_u32 v8, s13, v2
	s_mov_b32 s15, 0
	v_mov_b32_e32 v3, 0
	v_mov_b32_e32 v9, 1
	;; [unrolled: 1-line block ×4, first 2 shown]
	s_mov_b32 s19, 0
	s_branch .LBB102_10
.LBB102_9:                              ;   in Loop: Header=BB102_10 Depth=1
	s_or_b64 exec, exec, s[4:5]
	s_add_i32 s19, s19, 4
	s_add_i32 s15, s15, s14
	s_cmp_eq_u32 s7, s19
	v_add_u32_e32 v4, 0x400, v4
	s_cbranch_scc1 .LBB102_22
.LBB102_10:                             ; =>This Inner Loop Header: Depth=1
	v_add_u32_e32 v2, 0xfffffd00, v4
	v_cmp_gt_u32_e64 s[0:1], s17, v2
	s_and_saveexec_b64 s[4:5], s[0:1]
	s_cbranch_execz .LBB102_13
; %bb.11:                               ;   in Loop: Header=BB102_10 Depth=1
	v_add_u32_e32 v2, s15, v8
	v_lshlrev_b64 v[12:13], 1, v[2:3]
	v_mov_b32_e32 v2, s8
	v_add_co_u32_e64 v12, s[0:1], s6, v12
	v_addc_co_u32_e64 v13, s[0:1], v2, v13, s[0:1]
	global_load_ushort v2, v[12:13], off
	s_waitcnt vmcnt(0)
	v_cmp_lt_i16_e64 s[0:1], -1, v2
	v_cndmask_b32_e64 v12, v10, v11, s[0:1]
	v_xor_b32_sdwa v12, v12, v2 dst_sel:DWORD dst_unused:UNUSED_PAD src0_sel:DWORD src1_sel:WORD_0
	v_cmp_o_f16_e64 s[0:1], v2, v2
	v_cndmask_b32_e64 v2, v10, v12, s[0:1]
	v_xor_b32_e32 v12, s12, v2
	v_and_b32_e32 v12, s11, v12
	v_cmp_eq_u32_e64 s[0:1], 0, v12
	s_and_b64 exec, exec, s[0:1]
	s_cbranch_execz .LBB102_13
; %bb.12:                               ;   in Loop: Header=BB102_10 Depth=1
	v_bfe_u32 v2, v2, s9, 8
	v_lshlrev_b32_e32 v2, 2, v2
	ds_add_u32 v2, v9
.LBB102_13:                             ;   in Loop: Header=BB102_10 Depth=1
	s_or_b64 exec, exec, s[4:5]
	v_add_u32_e32 v2, 0xfffffe00, v4
	v_cmp_gt_u32_e64 s[0:1], s17, v2
	s_and_saveexec_b64 s[4:5], s[0:1]
	s_cbranch_execz .LBB102_16
; %bb.14:                               ;   in Loop: Header=BB102_10 Depth=1
	v_add_u32_e32 v2, s15, v7
	v_lshlrev_b64 v[12:13], 1, v[2:3]
	v_mov_b32_e32 v2, s8
	v_add_co_u32_e64 v12, s[0:1], s6, v12
	v_addc_co_u32_e64 v13, s[0:1], v2, v13, s[0:1]
	global_load_ushort v2, v[12:13], off
	s_waitcnt vmcnt(0)
	v_cmp_lt_i16_e64 s[0:1], -1, v2
	v_cndmask_b32_e64 v12, v10, v11, s[0:1]
	v_xor_b32_sdwa v12, v12, v2 dst_sel:DWORD dst_unused:UNUSED_PAD src0_sel:DWORD src1_sel:WORD_0
	v_cmp_o_f16_e64 s[0:1], v2, v2
	v_cndmask_b32_e64 v2, v10, v12, s[0:1]
	v_xor_b32_e32 v12, s12, v2
	v_and_b32_e32 v12, s11, v12
	v_cmp_eq_u32_e64 s[0:1], 0, v12
	s_and_b64 exec, exec, s[0:1]
	s_cbranch_execz .LBB102_16
; %bb.15:                               ;   in Loop: Header=BB102_10 Depth=1
	v_bfe_u32 v2, v2, s9, 8
	v_lshlrev_b32_e32 v2, 2, v2
	ds_add_u32 v2, v9
.LBB102_16:                             ;   in Loop: Header=BB102_10 Depth=1
	s_or_b64 exec, exec, s[4:5]
	;; [unrolled: 28-line block ×3, first 2 shown]
	v_cmp_gt_u32_e64 s[0:1], s17, v4
	s_and_saveexec_b64 s[4:5], s[0:1]
	s_cbranch_execz .LBB102_9
; %bb.20:                               ;   in Loop: Header=BB102_10 Depth=1
	v_add_u32_e32 v2, s15, v5
	v_lshlrev_b64 v[12:13], 1, v[2:3]
	v_mov_b32_e32 v2, s8
	v_add_co_u32_e64 v12, s[0:1], s6, v12
	v_addc_co_u32_e64 v13, s[0:1], v2, v13, s[0:1]
	global_load_ushort v2, v[12:13], off
	s_waitcnt vmcnt(0)
	v_cmp_lt_i16_e64 s[0:1], -1, v2
	v_cndmask_b32_e64 v12, v10, v11, s[0:1]
	v_xor_b32_sdwa v12, v12, v2 dst_sel:DWORD dst_unused:UNUSED_PAD src0_sel:DWORD src1_sel:WORD_0
	v_cmp_o_f16_e64 s[0:1], v2, v2
	v_cndmask_b32_e64 v2, v10, v12, s[0:1]
	v_xor_b32_e32 v12, s12, v2
	v_and_b32_e32 v12, s11, v12
	v_cmp_eq_u32_e64 s[0:1], 0, v12
	s_and_b64 exec, exec, s[0:1]
	s_cbranch_execz .LBB102_9
; %bb.21:                               ;   in Loop: Header=BB102_10 Depth=1
	v_bfe_u32 v2, v2, s9, 8
	v_lshlrev_b32_e32 v2, 2, v2
	ds_add_u32 v2, v9
	s_branch .LBB102_9
.LBB102_22:
	s_and_b32 s10, s10, 3
	s_cmp_eq_u32 s10, 0
	s_cbranch_scc1 .LBB102_28
; %bb.23:
	s_lshl_b32 s0, s7, 8
	s_add_i32 s0, s0, s18
	v_add_u32_e32 v4, s0, v0
	v_mul_lo_u32 v2, s13, v4
	s_lshl_b32 s7, s13, 8
	v_mov_b32_e32 v3, 0
	v_mov_b32_e32 v5, 1
	;; [unrolled: 1-line block ×4, first 2 shown]
	s_branch .LBB102_25
.LBB102_24:                             ;   in Loop: Header=BB102_25 Depth=1
	s_or_b64 exec, exec, s[4:5]
	s_add_i32 s10, s10, -1
	v_add_u32_e32 v2, s7, v2
	s_cmp_lg_u32 s10, 0
	v_add_u32_e32 v4, 0x100, v4
	s_cbranch_scc0 .LBB102_28
.LBB102_25:                             ; =>This Inner Loop Header: Depth=1
	v_cmp_gt_u32_e64 s[0:1], s17, v4
	s_and_saveexec_b64 s[4:5], s[0:1]
	s_cbranch_execz .LBB102_24
; %bb.26:                               ;   in Loop: Header=BB102_25 Depth=1
	v_lshlrev_b64 v[8:9], 1, v[2:3]
	v_mov_b32_e32 v10, s8
	v_add_co_u32_e64 v8, s[0:1], s6, v8
	v_addc_co_u32_e64 v9, s[0:1], v10, v9, s[0:1]
	global_load_ushort v8, v[8:9], off
	s_waitcnt vmcnt(0)
	v_cmp_lt_i16_e64 s[0:1], -1, v8
	v_cndmask_b32_e64 v9, v6, v7, s[0:1]
	v_xor_b32_sdwa v9, v9, v8 dst_sel:DWORD dst_unused:UNUSED_PAD src0_sel:DWORD src1_sel:WORD_0
	v_cmp_o_f16_e64 s[0:1], v8, v8
	v_cndmask_b32_e64 v8, v6, v9, s[0:1]
	v_xor_b32_e32 v9, s12, v8
	v_and_b32_e32 v9, s11, v9
	v_cmp_eq_u32_e64 s[0:1], 0, v9
	s_and_b64 exec, exec, s[0:1]
	s_cbranch_execz .LBB102_24
; %bb.27:                               ;   in Loop: Header=BB102_25 Depth=1
	v_bfe_u32 v8, v8, s9, 8
	v_lshlrev_b32_e32 v8, 2, v8
	ds_add_u32 v8, v5
	s_branch .LBB102_24
.LBB102_28:
	v_mov_b32_e32 v2, 0
	s_waitcnt lgkmcnt(0)
	s_barrier
	s_and_saveexec_b64 s[0:1], vcc
	s_cbranch_execz .LBB102_30
; %bb.29:
	ds_read_b32 v2, v1
.LBB102_30:
	s_or_b64 exec, exec, s[0:1]
	s_and_saveexec_b64 s[0:1], vcc
	s_cbranch_execz .LBB102_32
; %bb.31:
	v_lshl_or_b32 v0, s16, 8, v0
	v_mov_b32_e32 v1, 0
	v_lshlrev_b64 v[0:1], 1, v[0:1]
	v_mov_b32_e32 v3, s3
	v_add_co_u32_e32 v0, vcc, s2, v0
	v_addc_co_u32_e32 v1, vcc, v3, v1, vcc
	s_waitcnt lgkmcnt(0)
	global_store_short v[0:1], v2, off
.LBB102_32:
	s_endpgm
	.section	.rodata,"a",@progbits
	.p2align	6, 0x0
	.amdhsa_kernel _ZN2at6native6mbtopk23computeBlockDigitCountsIN3c104HalfEjjLin1EEEvNS_4cuda6detail10TensorInfoIKT_T0_EEjPjjSA_iijT1_PSD_Ps
		.amdhsa_group_segment_fixed_size 1024
		.amdhsa_private_segment_fixed_size 0
		.amdhsa_kernarg_size 528
		.amdhsa_user_sgpr_count 6
		.amdhsa_user_sgpr_private_segment_buffer 1
		.amdhsa_user_sgpr_dispatch_ptr 0
		.amdhsa_user_sgpr_queue_ptr 0
		.amdhsa_user_sgpr_kernarg_segment_ptr 1
		.amdhsa_user_sgpr_dispatch_id 0
		.amdhsa_user_sgpr_flat_scratch_init 0
		.amdhsa_user_sgpr_kernarg_preload_length 0
		.amdhsa_user_sgpr_kernarg_preload_offset 0
		.amdhsa_user_sgpr_private_segment_size 0
		.amdhsa_uses_dynamic_stack 0
		.amdhsa_system_sgpr_private_segment_wavefront_offset 0
		.amdhsa_system_sgpr_workgroup_id_x 1
		.amdhsa_system_sgpr_workgroup_id_y 1
		.amdhsa_system_sgpr_workgroup_id_z 1
		.amdhsa_system_sgpr_workgroup_info 0
		.amdhsa_system_vgpr_workitem_id 0
		.amdhsa_next_free_vgpr 14
		.amdhsa_next_free_sgpr 24
		.amdhsa_accum_offset 16
		.amdhsa_reserve_vcc 1
		.amdhsa_reserve_flat_scratch 0
		.amdhsa_float_round_mode_32 0
		.amdhsa_float_round_mode_16_64 0
		.amdhsa_float_denorm_mode_32 3
		.amdhsa_float_denorm_mode_16_64 3
		.amdhsa_dx10_clamp 1
		.amdhsa_ieee_mode 1
		.amdhsa_fp16_overflow 0
		.amdhsa_tg_split 0
		.amdhsa_exception_fp_ieee_invalid_op 0
		.amdhsa_exception_fp_denorm_src 0
		.amdhsa_exception_fp_ieee_div_zero 0
		.amdhsa_exception_fp_ieee_overflow 0
		.amdhsa_exception_fp_ieee_underflow 0
		.amdhsa_exception_fp_ieee_inexact 0
		.amdhsa_exception_int_div_zero 0
	.end_amdhsa_kernel
	.section	.text._ZN2at6native6mbtopk23computeBlockDigitCountsIN3c104HalfEjjLin1EEEvNS_4cuda6detail10TensorInfoIKT_T0_EEjPjjSA_iijT1_PSD_Ps,"axG",@progbits,_ZN2at6native6mbtopk23computeBlockDigitCountsIN3c104HalfEjjLin1EEEvNS_4cuda6detail10TensorInfoIKT_T0_EEjPjjSA_iijT1_PSD_Ps,comdat
.Lfunc_end102:
	.size	_ZN2at6native6mbtopk23computeBlockDigitCountsIN3c104HalfEjjLin1EEEvNS_4cuda6detail10TensorInfoIKT_T0_EEjPjjSA_iijT1_PSD_Ps, .Lfunc_end102-_ZN2at6native6mbtopk23computeBlockDigitCountsIN3c104HalfEjjLin1EEEvNS_4cuda6detail10TensorInfoIKT_T0_EEjPjjSA_iijT1_PSD_Ps
                                        ; -- End function
	.section	.AMDGPU.csdata,"",@progbits
; Kernel info:
; codeLenInByte = 1632
; NumSgprs: 28
; NumVgprs: 14
; NumAgprs: 0
; TotalNumVgprs: 14
; ScratchSize: 0
; MemoryBound: 0
; FloatMode: 240
; IeeeMode: 1
; LDSByteSize: 1024 bytes/workgroup (compile time only)
; SGPRBlocks: 3
; VGPRBlocks: 1
; NumSGPRsForWavesPerEU: 28
; NumVGPRsForWavesPerEU: 14
; AccumOffset: 16
; Occupancy: 8
; WaveLimiterHint : 1
; COMPUTE_PGM_RSRC2:SCRATCH_EN: 0
; COMPUTE_PGM_RSRC2:USER_SGPR: 6
; COMPUTE_PGM_RSRC2:TRAP_HANDLER: 0
; COMPUTE_PGM_RSRC2:TGID_X_EN: 1
; COMPUTE_PGM_RSRC2:TGID_Y_EN: 1
; COMPUTE_PGM_RSRC2:TGID_Z_EN: 1
; COMPUTE_PGM_RSRC2:TIDIG_COMP_CNT: 0
; COMPUTE_PGM_RSRC3_GFX90A:ACCUM_OFFSET: 3
; COMPUTE_PGM_RSRC3_GFX90A:TG_SPLIT: 0
	.section	.text._ZN2at6native6mbtopk10gatherTopKIN3c104HalfEjLin1EEEvNS_4cuda6detail10TensorInfoIKT_T0_EESA_SA_bjSA_NS7_IS8_SA_EESA_NS7_IlSA_EESA_jjPS8_PjSF_j,"axG",@progbits,_ZN2at6native6mbtopk10gatherTopKIN3c104HalfEjLin1EEEvNS_4cuda6detail10TensorInfoIKT_T0_EESA_SA_bjSA_NS7_IS8_SA_EESA_NS7_IlSA_EESA_jjPS8_PjSF_j,comdat
	.protected	_ZN2at6native6mbtopk10gatherTopKIN3c104HalfEjLin1EEEvNS_4cuda6detail10TensorInfoIKT_T0_EESA_SA_bjSA_NS7_IS8_SA_EESA_NS7_IlSA_EESA_jjPS8_PjSF_j ; -- Begin function _ZN2at6native6mbtopk10gatherTopKIN3c104HalfEjLin1EEEvNS_4cuda6detail10TensorInfoIKT_T0_EESA_SA_bjSA_NS7_IS8_SA_EESA_NS7_IlSA_EESA_jjPS8_PjSF_j
	.globl	_ZN2at6native6mbtopk10gatherTopKIN3c104HalfEjLin1EEEvNS_4cuda6detail10TensorInfoIKT_T0_EESA_SA_bjSA_NS7_IS8_SA_EESA_NS7_IlSA_EESA_jjPS8_PjSF_j
	.p2align	8
	.type	_ZN2at6native6mbtopk10gatherTopKIN3c104HalfEjLin1EEEvNS_4cuda6detail10TensorInfoIKT_T0_EESA_SA_bjSA_NS7_IS8_SA_EESA_NS7_IlSA_EESA_jjPS8_PjSF_j,@function
_ZN2at6native6mbtopk10gatherTopKIN3c104HalfEjLin1EEEvNS_4cuda6detail10TensorInfoIKT_T0_EESA_SA_bjSA_NS7_IS8_SA_EESA_NS7_IlSA_EESA_jjPS8_PjSF_j: ; @_ZN2at6native6mbtopk10gatherTopKIN3c104HalfEjLin1EEEvNS_4cuda6detail10TensorInfoIKT_T0_EESA_SA_bjSA_NS7_IS8_SA_EESA_NS7_IlSA_EESA_jjPS8_PjSF_j
; %bb.0:
	s_load_dwordx2 s[0:1], s[4:5], 0x2d8
	s_load_dword s2, s[4:5], 0x2d0
	s_waitcnt lgkmcnt(0)
	s_mul_i32 s1, s1, s8
	s_add_i32 s1, s1, s7
	s_mul_i32 s17, s1, s0
	s_add_i32 s17, s17, s6
	s_cmp_ge_u32 s17, s2
	s_cbranch_scc1 .LBB103_49
; %bb.1:
	s_load_dwordx4 s[8:11], s[4:5], 0x2a8
	s_load_dword s0, s[4:5], 0xd0
	s_mov_b32 s7, 0
	s_waitcnt lgkmcnt(0)
	v_cvt_f32_u32_e32 v1, s10
	s_sub_i32 s1, 0, s10
	v_rcp_iflag_f32_e32 v1, v1
	v_mul_f32_e32 v1, 0x4f7ffffe, v1
	v_cvt_u32_f32_e32 v1, v1
	v_readfirstlane_b32 s2, v1
	s_mul_i32 s1, s1, s2
	s_mul_hi_u32 s1, s2, s1
	s_add_i32 s2, s2, s1
	s_mul_hi_u32 s1, s17, s2
	s_mul_i32 s2, s1, s10
	s_sub_i32 s2, s17, s2
	s_add_i32 s3, s1, 1
	s_sub_i32 s6, s2, s10
	s_cmp_ge_u32 s2, s10
	s_cselect_b32 s1, s3, s1
	s_cselect_b32 s2, s6, s2
	s_add_i32 s3, s1, 1
	s_cmp_ge_u32 s2, s10
	s_cselect_b32 s20, s3, s1
	s_cmp_lt_i32 s0, 2
	s_mov_b32 s6, s20
	s_cbranch_scc1 .LBB103_4
; %bb.2:
	s_add_i32 s6, s0, -1
	s_add_i32 s2, s0, 1
	s_lshl_b64 s[0:1], s[6:7], 2
	s_add_u32 s0, s0, s4
	s_addc_u32 s1, s1, s5
	s_add_u32 s0, s0, 8
	s_addc_u32 s1, s1, 0
	s_mov_b32 s6, s20
.LBB103_3:                              ; =>This Inner Loop Header: Depth=1
	s_load_dword s3, s[0:1], 0x0
	s_load_dword s12, s[0:1], 0x64
	s_mov_b32 s11, s6
	s_waitcnt lgkmcnt(0)
	v_cvt_f32_u32_e32 v1, s3
	s_sub_i32 s6, 0, s3
	v_rcp_iflag_f32_e32 v1, v1
	v_mul_f32_e32 v1, 0x4f7ffffe, v1
	v_cvt_u32_f32_e32 v1, v1
	v_readfirstlane_b32 s13, v1
	s_mul_i32 s6, s6, s13
	s_mul_hi_u32 s6, s13, s6
	s_add_i32 s13, s13, s6
	s_mul_hi_u32 s6, s11, s13
	s_mul_i32 s13, s6, s3
	s_sub_i32 s13, s11, s13
	s_add_i32 s14, s6, 1
	s_sub_i32 s15, s13, s3
	s_cmp_ge_u32 s13, s3
	s_cselect_b32 s6, s14, s6
	s_cselect_b32 s13, s15, s13
	s_add_i32 s14, s6, 1
	s_cmp_ge_u32 s13, s3
	s_cselect_b32 s6, s14, s6
	s_mul_i32 s3, s6, s3
	s_sub_i32 s3, s11, s3
	s_mul_i32 s3, s12, s3
	s_add_i32 s2, s2, -1
	s_add_i32 s7, s3, s7
	s_add_u32 s0, s0, -4
	s_addc_u32 s1, s1, -1
	s_cmp_gt_u32 s2, 2
	s_cbranch_scc1 .LBB103_3
.LBB103_4:
	s_load_dword s2, s[4:5], 0x1c0
	s_add_u32 s0, s4, 0xf0
	s_addc_u32 s1, s5, 0
	s_mov_b32 s23, 0
	s_mov_b32 s22, s20
	s_waitcnt lgkmcnt(0)
	s_cmp_lt_i32 s2, 2
	s_cbranch_scc1 .LBB103_7
; %bb.5:
	s_add_i32 s22, s2, -1
	s_add_i32 s11, s2, 1
	s_lshl_b64 s[2:3], s[22:23], 2
	s_add_u32 s2, s2, s0
	s_addc_u32 s3, s3, s1
	s_add_u32 s2, s2, 8
	s_addc_u32 s3, s3, 0
	s_mov_b32 s22, s20
.LBB103_6:                              ; =>This Inner Loop Header: Depth=1
	s_load_dword s12, s[2:3], 0x0
	s_load_dword s14, s[2:3], 0x64
	s_mov_b32 s13, s22
	s_waitcnt lgkmcnt(0)
	v_cvt_f32_u32_e32 v1, s12
	s_sub_i32 s15, 0, s12
	v_rcp_iflag_f32_e32 v1, v1
	v_mul_f32_e32 v1, 0x4f7ffffe, v1
	v_cvt_u32_f32_e32 v1, v1
	v_readfirstlane_b32 s16, v1
	s_mul_i32 s15, s15, s16
	s_mul_hi_u32 s15, s16, s15
	s_add_i32 s16, s16, s15
	s_mul_hi_u32 s15, s22, s16
	s_mul_i32 s16, s15, s12
	s_sub_i32 s16, s22, s16
	s_add_i32 s18, s15, 1
	s_sub_i32 s19, s16, s12
	s_cmp_ge_u32 s16, s12
	s_cselect_b32 s15, s18, s15
	s_cselect_b32 s16, s19, s16
	s_add_i32 s18, s15, 1
	s_cmp_ge_u32 s16, s12
	s_cselect_b32 s22, s18, s15
	s_mul_i32 s12, s22, s12
	s_sub_i32 s12, s13, s12
	s_mul_i32 s12, s14, s12
	s_add_i32 s11, s11, -1
	s_add_i32 s23, s12, s23
	s_add_u32 s2, s2, -4
	s_addc_u32 s3, s3, -1
	s_cmp_gt_u32 s11, 2
	s_cbranch_scc1 .LBB103_6
.LBB103_7:
	s_load_dword s33, s[4:5], 0x6c
	s_load_dword s12, s[4:5], 0x2a0
	s_add_u32 s2, s4, 0x1d0
	s_addc_u32 s3, s5, 0
	s_mov_b32 s25, 0
	s_mov_b32 s24, s20
	s_waitcnt lgkmcnt(0)
	s_cmp_lt_i32 s12, 2
	s_cbranch_scc1 .LBB103_10
; %bb.8:
	s_add_i32 s24, s12, -1
	s_add_i32 s11, s12, 1
	s_lshl_b64 s[12:13], s[24:25], 2
	s_add_u32 s2, s12, s2
	s_addc_u32 s3, s13, s3
	s_add_u32 s2, s2, 8
	s_addc_u32 s3, s3, 0
	s_mov_b32 s24, s20
.LBB103_9:                              ; =>This Inner Loop Header: Depth=1
	s_load_dword s12, s[2:3], 0x0
	s_load_dword s14, s[2:3], 0x64
	s_mov_b32 s13, s24
	s_waitcnt lgkmcnt(0)
	v_cvt_f32_u32_e32 v1, s12
	s_sub_i32 s15, 0, s12
	v_rcp_iflag_f32_e32 v1, v1
	v_mul_f32_e32 v1, 0x4f7ffffe, v1
	v_cvt_u32_f32_e32 v1, v1
	v_readfirstlane_b32 s16, v1
	s_mul_i32 s15, s15, s16
	s_mul_hi_u32 s15, s16, s15
	s_add_i32 s16, s16, s15
	s_mul_hi_u32 s15, s24, s16
	s_mul_i32 s16, s15, s12
	s_sub_i32 s16, s24, s16
	s_add_i32 s18, s15, 1
	s_sub_i32 s19, s16, s12
	s_cmp_ge_u32 s16, s12
	s_cselect_b32 s15, s18, s15
	s_cselect_b32 s16, s19, s16
	s_add_i32 s18, s15, 1
	s_cmp_ge_u32 s16, s12
	s_cselect_b32 s24, s18, s15
	s_mul_i32 s12, s24, s12
	s_sub_i32 s12, s13, s12
	s_mul_i32 s12, s14, s12
	s_add_i32 s11, s11, -1
	s_add_i32 s25, s12, s25
	s_add_u32 s2, s2, -4
	s_addc_u32 s3, s3, -1
	s_cmp_gt_u32 s11, 2
	s_cbranch_scc1 .LBB103_9
.LBB103_10:
	s_load_dword s41, s[0:1], 0x6c
	s_load_dwordx4 s[12:15], s[4:5], 0x2b8
	s_mul_i32 s16, s20, s10
	s_mov_b32 s21, 0
	s_sub_i32 s11, s17, s16
	s_lshl_b64 s[0:1], s[20:21], 1
	s_waitcnt lgkmcnt(0)
	s_add_u32 s0, s12, s0
	s_addc_u32 s1, s13, s1
	v_mov_b32_e32 v1, 0
	global_load_ushort v1, v1, s[0:1]
	s_load_dwordx2 s[30:31], s[4:5], 0x0
	s_load_dwordx2 s[28:29], s[4:5], 0xf0
	;; [unrolled: 1-line block ×3, first 2 shown]
	v_cmp_ne_u32_e64 s[0:1], 0, v0
	v_cmp_eq_u32_e64 s[2:3], 0, v0
	s_waitcnt vmcnt(0)
	v_readfirstlane_b32 s40, v1
	s_and_saveexec_b64 s[12:13], s[2:3]
	s_cbranch_execz .LBB103_26
; %bb.11:
	s_load_dwordx2 s[34:35], s[4:5], 0x2c8
	s_mov_b32 s17, s21
	s_lshl_b64 s[36:37], s[16:17], 2
	s_add_u32 s16, s14, s36
	s_addc_u32 s17, s15, s37
	s_waitcnt lgkmcnt(0)
	s_add_u32 s18, s34, s36
	s_addc_u32 s19, s35, s37
	s_mov_b32 s20, 0
	s_mov_b32 s42, 0
	s_cmp_lt_u32 s10, 4
	s_cbranch_scc1 .LBB103_23
; %bb.12:
	s_mov_b32 s43, 0
.LBB103_13:                             ; =>This Inner Loop Header: Depth=1
	s_add_u32 s16, s14, s36
	s_addc_u32 s17, s15, s37
	s_load_dwordx4 s[16:19], s[16:17], 0x0
	s_add_u32 s38, s34, s36
	s_addc_u32 s39, s35, s37
	s_cmp_ge_u32 s43, s11
	s_cbranch_scc0 .LBB103_20
; %bb.14:                               ;   in Loop: Header=BB103_13 Depth=1
	s_add_i32 s44, s43, 1
	s_cmp_ge_u32 s44, s11
	s_cbranch_scc0 .LBB103_21
.LBB103_15:                             ;   in Loop: Header=BB103_13 Depth=1
	s_add_i32 s44, s44, 1
	s_cmp_ge_u32 s44, s11
	s_cbranch_scc0 .LBB103_22
.LBB103_16:                             ;   in Loop: Header=BB103_13 Depth=1
	s_add_i32 s44, s44, 1
	s_cmp_ge_u32 s44, s11
	s_cbranch_scc1 .LBB103_18
.LBB103_17:                             ;   in Loop: Header=BB103_13 Depth=1
	s_load_dword s38, s[38:39], 0xc
	s_waitcnt lgkmcnt(0)
	s_add_i32 s21, s21, s19
	s_add_i32 s20, s38, s20
.LBB103_18:                             ;   in Loop: Header=BB103_13 Depth=1
	s_waitcnt lgkmcnt(0)
	s_add_i32 s16, s16, s42
	s_add_i32 s16, s16, s17
	s_add_i32 s16, s16, s18
	s_add_i32 s42, s16, s19
	s_add_u32 s14, s14, 16
	s_addc_u32 s15, s15, 0
	s_add_u32 s34, s34, 16
	s_addc_u32 s35, s35, 0
	s_add_i32 s39, s44, 4
	s_add_u32 s18, s34, s36
	s_addc_u32 s19, s35, s37
	s_add_u32 s16, s14, s36
	s_addc_u32 s17, s15, s37
	s_add_i32 s38, s44, 1
	s_cmp_ge_u32 s39, s10
	s_cbranch_scc1 .LBB103_24
; %bb.19:                               ;   in Loop: Header=BB103_13 Depth=1
	s_mov_b32 s43, s38
	s_branch .LBB103_13
.LBB103_20:                             ;   in Loop: Header=BB103_13 Depth=1
	s_load_dword s44, s[38:39], 0x0
	s_waitcnt lgkmcnt(0)
	s_add_i32 s21, s16, s21
	s_add_i32 s20, s44, s20
	;; [unrolled: 1-line block ×3, first 2 shown]
	s_cmp_ge_u32 s44, s11
	s_cbranch_scc1 .LBB103_15
.LBB103_21:                             ;   in Loop: Header=BB103_13 Depth=1
	s_load_dword s45, s[38:39], 0x4
	s_waitcnt lgkmcnt(0)
	s_add_i32 s21, s21, s17
	s_add_i32 s20, s45, s20
	;; [unrolled: 1-line block ×3, first 2 shown]
	s_cmp_ge_u32 s44, s11
	s_cbranch_scc1 .LBB103_16
.LBB103_22:                             ;   in Loop: Header=BB103_13 Depth=1
	s_load_dword s45, s[38:39], 0x8
	s_waitcnt lgkmcnt(0)
	s_add_i32 s21, s21, s18
	s_add_i32 s20, s45, s20
	;; [unrolled: 1-line block ×3, first 2 shown]
	s_cmp_ge_u32 s44, s11
	s_cbranch_scc0 .LBB103_17
	s_branch .LBB103_18
.LBB103_23:
	s_mov_b32 s14, 0
	s_cmp_ge_u32 s14, s10
	s_cbranch_scc0 .LBB103_47
	s_branch .LBB103_25
.LBB103_24:
	s_add_i32 s14, s43, 4
	s_cmp_ge_u32 s14, s10
	s_cbranch_scc0 .LBB103_47
.LBB103_25:
	v_mov_b32_e32 v2, s20
	v_mov_b32_e32 v3, s42
	;; [unrolled: 1-line block ×4, first 2 shown]
	ds_write_b96 v1, v[2:4] offset:1056
.LBB103_26:
	s_or_b64 exec, exec, s[12:13]
	s_load_dword s16, s[4:5], 0x23c
	s_load_dwordx4 s[12:15], s[4:5], 0xd8
	s_mul_i32 s17, s9, s11
	s_lshl_b32 s34, s17, 8
	s_waitcnt lgkmcnt(0)
	s_add_i32 s15, s11, 1
	s_mov_b32 s11, 0
	s_sub_i32 s17, s12, s34
	s_add_u32 s17, s17, 0xff
	s_addc_u32 s18, 0, 0
	v_mov_b32_e32 v1, s17
	v_alignbit_b32 v1, s18, v1, 8
	s_cmp_lt_u32 s15, s10
	v_readfirstlane_b32 s10, v1
	s_cselect_b32 s9, s9, s10
	s_cmp_eq_u32 s9, 0
	s_barrier
	s_cbranch_scc1 .LBB103_49
; %bb.27:
	s_mul_i32 s10, s41, s22
	s_mul_i32 s6, s33, s6
	s_add_i32 s18, s10, s23
	s_add_i32 s10, s6, s7
	s_mul_i32 s6, s16, s24
	s_add_i32 s6, s6, s25
	s_lshl_b64 s[16:17], s[10:11], 1
	s_add_u32 s15, s30, s16
	s_mov_b32 s19, s11
	s_addc_u32 s16, s31, s17
	s_lshl_b64 s[18:19], s[18:19], 1
	s_add_u32 s17, s28, s18
	s_mov_b32 s7, s11
	v_mov_b32_e32 v1, 0
	s_addc_u32 s18, s29, s19
	s_lshl_b64 s[6:7], s[6:7], 3
	ds_read_b96 v[2:4], v1 offset:1056
	s_add_u32 s19, s26, s6
	s_addc_u32 s20, s27, s7
	s_and_b32 s10, 0xffff, s40
	s_sext_i32_i16 s6, s40
	s_cmp_gt_i32 s6, -1
	s_mov_b32 s6, 0x8000
	s_cselect_b32 s11, s6, 0xffff
	v_cmp_o_f16_e64 s[6:7], s40, s40
	s_xor_b32 s10, s11, s10
	s_waitcnt lgkmcnt(0)
	v_add_u32_e32 v5, v2, v3
	v_lshrrev_b32_e32 v2, 5, v0
	s_and_b64 s[6:7], s[6:7], exec
	v_add_lshl_u32 v6, v2, v0, 2
	v_lshlrev_b32_e32 v2, 2, v0
	v_lshrrev_b32_e32 v3, 3, v0
	s_cselect_b32 s21, s10, 0xffff
	s_bitcmp1_b32 s14, 0
	s_load_dword s10, s[4:5], 0xe8
	s_load_dword s14, s[4:5], 0x1c8
	v_add_lshl_u32 v7, v3, v2, 2
	v_add_u32_e32 v2, -1, v0
	v_lshrrev_b32_e32 v3, 5, v2
	v_add_lshl_u32 v8, v3, v2, 2
	v_mbcnt_lo_u32_b32 v3, -1, 0
	v_add_u32_e32 v2, s34, v0
	v_mbcnt_hi_u32_b32 v11, -1, v3
	s_cselect_b64 s[6:7], -1, 0
	v_cmp_gt_u32_e64 s[4:5], 64, v0
	s_waitcnt lgkmcnt(0)
	v_mul_lo_u32 v0, s10, v2
	s_lshl_b32 s22, s10, 8
	v_mov_b32_e32 v9, 0xffff
	v_mov_b32_e32 v10, 0x8000
	v_and_b32_e32 v12, 15, v11
	v_bfe_i32 v13, v11, 4, 1
	v_add_u32_e32 v14, -1, v11
	v_and_b32_e32 v15, 64, v11
                                        ; implicit-def: $vgpr16
	s_branch .LBB103_30
.LBB103_28:                             ;   in Loop: Header=BB103_30 Depth=1
	s_or_b64 exec, exec, s[10:11]
	v_add_u32_e32 v5, v19, v5
.LBB103_29:                             ;   in Loop: Header=BB103_30 Depth=1
	s_add_i32 s9, s9, -1
	v_add_u32_e32 v4, v18, v4
	v_add_u32_e32 v0, s22, v0
	s_cmp_lg_u32 s9, 0
	v_add_u32_e32 v2, 0x100, v2
	s_cbranch_scc0 .LBB103_49
.LBB103_30:                             ; =>This Inner Loop Header: Depth=1
	v_cmp_gt_u32_e32 vcc, s12, v2
	v_mov_b32_e32 v3, 0
	v_mov_b32_e32 v17, 0
	s_and_saveexec_b64 s[10:11], vcc
	s_cbranch_execz .LBB103_32
; %bb.31:                               ;   in Loop: Header=BB103_30 Depth=1
	v_lshlrev_b64 v[16:17], 1, v[0:1]
	v_mov_b32_e32 v3, s16
	v_add_co_u32_e32 v16, vcc, s15, v16
	v_addc_co_u32_e32 v17, vcc, v3, v17, vcc
	global_load_ushort v16, v[16:17], off
	s_waitcnt vmcnt(0)
	v_cmp_lt_i16_e32 vcc, -1, v16
	v_cndmask_b32_e32 v3, v9, v10, vcc
	v_xor_b32_sdwa v3, v3, v16 dst_sel:DWORD dst_unused:UNUSED_PAD src0_sel:DWORD src1_sel:WORD_0
	v_cmp_o_f16_e32 vcc, v16, v16
	v_cndmask_b32_e32 v17, v9, v3, vcc
	v_cmp_lt_u32_e32 vcc, s21, v17
	v_cndmask_b32_e64 v3, 0, 1, vcc
	v_cmp_gt_u32_e32 vcc, s21, v17
	v_cndmask_b32_e64 v18, 0, 1, vcc
	v_cndmask_b32_e64 v3, v18, v3, s[6:7]
	v_cmp_eq_u32_e32 vcc, s21, v17
	v_and_b32_e32 v3, 1, v3
	v_cndmask_b32_e64 v17, 0, 1, vcc
.LBB103_32:                             ;   in Loop: Header=BB103_30 Depth=1
	s_or_b64 exec, exec, s[10:11]
	ds_write_b32 v6, v3
	s_waitcnt lgkmcnt(0)
	s_barrier
	s_and_saveexec_b64 s[10:11], s[4:5]
	s_cbranch_execz .LBB103_34
; %bb.33:                               ;   in Loop: Header=BB103_30 Depth=1
	ds_read2_b32 v[18:19], v7 offset1:1
	ds_read2_b32 v[20:21], v7 offset0:2 offset1:3
	v_cmp_ne_u32_e32 vcc, 0, v12
	; wave barrier
	s_waitcnt lgkmcnt(1)
	v_add_u32_e32 v19, v19, v18
	s_waitcnt lgkmcnt(0)
	v_add3_u32 v19, v19, v20, v21
	s_nop 1
	v_mov_b32_dpp v20, v19 row_shr:1 row_mask:0xf bank_mask:0xf
	v_cndmask_b32_e32 v20, 0, v20, vcc
	v_add_u32_e32 v19, v20, v19
	v_cmp_lt_u32_e32 vcc, 1, v12
	s_nop 0
	v_mov_b32_dpp v20, v19 row_shr:2 row_mask:0xf bank_mask:0xf
	v_cndmask_b32_e32 v20, 0, v20, vcc
	v_add_u32_e32 v19, v19, v20
	v_cmp_lt_u32_e32 vcc, 3, v12
	;; [unrolled: 5-line block ×4, first 2 shown]
	s_nop 0
	v_mov_b32_dpp v20, v19 row_bcast:15 row_mask:0xf bank_mask:0xf
	v_and_b32_e32 v20, v13, v20
	v_add_u32_e32 v19, v19, v20
	s_nop 1
	v_mov_b32_dpp v20, v19 row_bcast:31 row_mask:0xf bank_mask:0xf
	v_cndmask_b32_e32 v20, 0, v20, vcc
	v_cmp_lt_i32_e32 vcc, v14, v15
	v_add_u32_e32 v19, v19, v20
	v_cndmask_b32_e32 v20, v14, v11, vcc
	v_lshlrev_b32_e32 v20, 2, v20
	ds_bpermute_b32 v19, v20, v19
	s_waitcnt lgkmcnt(0)
	v_add_u32_e32 v18, v19, v18
	v_cndmask_b32_e64 v20, v18, v3, s[2:3]
	ds_write_b32 v7, v20
	; wave barrier
	ds_read2_b32 v[18:19], v7 offset0:1 offset1:2
	ds_read_b32 v21, v7 offset:12
	s_waitcnt lgkmcnt(1)
	v_add_u32_e32 v18, v18, v20
	v_add_u32_e32 v19, v19, v18
	ds_write2_b32 v7, v18, v19 offset0:1 offset1:2
	s_waitcnt lgkmcnt(1)
	v_add_u32_e32 v18, v21, v19
	ds_write_b32 v7, v18 offset:12
.LBB103_34:                             ;   in Loop: Header=BB103_30 Depth=1
	s_or_b64 exec, exec, s[10:11]
	v_mov_b32_e32 v19, 0
	s_waitcnt lgkmcnt(0)
	s_barrier
	s_and_saveexec_b64 s[10:11], s[0:1]
	s_cbranch_execz .LBB103_36
; %bb.35:                               ;   in Loop: Header=BB103_30 Depth=1
	ds_read_b32 v19, v8
.LBB103_36:                             ;   in Loop: Header=BB103_30 Depth=1
	s_or_b64 exec, exec, s[10:11]
	ds_read_b32 v18, v1 offset:1048
	v_cmp_ne_u32_e32 vcc, 0, v3
	s_waitcnt lgkmcnt(0)
	s_barrier
	s_and_saveexec_b64 s[10:11], vcc
	s_cbranch_execz .LBB103_38
; %bb.37:                               ;   in Loop: Header=BB103_30 Depth=1
	v_add_u32_e32 v19, v19, v4
	v_mul_lo_u32 v20, v19, s14
	v_mov_b32_e32 v21, v1
	v_lshlrev_b64 v[20:21], 1, v[20:21]
	v_mov_b32_e32 v3, s18
	v_add_co_u32_e32 v20, vcc, s17, v20
	v_addc_co_u32_e32 v21, vcc, v3, v21, vcc
	global_store_short v[20:21], v16, off
	v_mul_lo_u32 v20, v19, s8
	v_mov_b32_e32 v21, v1
	v_lshlrev_b64 v[20:21], 3, v[20:21]
	v_mov_b32_e32 v19, s20
	v_add_co_u32_e32 v20, vcc, s19, v20
	v_mov_b32_e32 v3, v1
	v_addc_co_u32_e32 v21, vcc, v19, v21, vcc
	global_store_dwordx2 v[20:21], v[2:3], off
.LBB103_38:                             ;   in Loop: Header=BB103_30 Depth=1
	s_or_b64 exec, exec, s[10:11]
	v_cmp_le_u32_e32 vcc, s13, v5
	s_cbranch_vccnz .LBB103_29
; %bb.39:                               ;   in Loop: Header=BB103_30 Depth=1
	ds_write_b32 v6, v17
	s_waitcnt lgkmcnt(0)
	s_barrier
	s_and_saveexec_b64 s[10:11], s[4:5]
	s_cbranch_execz .LBB103_41
; %bb.40:                               ;   in Loop: Header=BB103_30 Depth=1
	ds_read2_b32 v[20:21], v7 offset1:1
	ds_read2_b32 v[22:23], v7 offset0:2 offset1:3
	v_cmp_ne_u32_e32 vcc, 0, v12
	; wave barrier
	s_waitcnt lgkmcnt(1)
	v_add_u32_e32 v3, v21, v20
	s_waitcnt lgkmcnt(0)
	v_add3_u32 v3, v3, v22, v23
	s_nop 1
	v_mov_b32_dpp v19, v3 row_shr:1 row_mask:0xf bank_mask:0xf
	v_cndmask_b32_e32 v19, 0, v19, vcc
	v_add_u32_e32 v3, v19, v3
	v_cmp_lt_u32_e32 vcc, 1, v12
	s_nop 0
	v_mov_b32_dpp v19, v3 row_shr:2 row_mask:0xf bank_mask:0xf
	v_cndmask_b32_e32 v19, 0, v19, vcc
	v_add_u32_e32 v3, v3, v19
	v_cmp_lt_u32_e32 vcc, 3, v12
	;; [unrolled: 5-line block ×4, first 2 shown]
	s_nop 0
	v_mov_b32_dpp v19, v3 row_bcast:15 row_mask:0xf bank_mask:0xf
	v_and_b32_e32 v19, v13, v19
	v_add_u32_e32 v3, v3, v19
	s_nop 1
	v_mov_b32_dpp v19, v3 row_bcast:31 row_mask:0xf bank_mask:0xf
	v_cndmask_b32_e32 v19, 0, v19, vcc
	v_cmp_lt_i32_e32 vcc, v14, v15
	v_add_u32_e32 v3, v3, v19
	v_cndmask_b32_e32 v19, v14, v11, vcc
	v_lshlrev_b32_e32 v19, 2, v19
	ds_bpermute_b32 v3, v19, v3
	s_waitcnt lgkmcnt(0)
	v_add_u32_e32 v3, v3, v20
	v_cndmask_b32_e64 v3, v3, v17, s[2:3]
	ds_write_b32 v7, v3
	; wave barrier
	ds_read2_b32 v[20:21], v7 offset0:1 offset1:2
	ds_read_b32 v19, v7 offset:12
	s_waitcnt lgkmcnt(1)
	v_add_u32_e32 v3, v20, v3
	v_add_u32_e32 v20, v21, v3
	ds_write2_b32 v7, v3, v20 offset0:1 offset1:2
	s_waitcnt lgkmcnt(1)
	v_add_u32_e32 v3, v19, v20
	ds_write_b32 v7, v3 offset:12
.LBB103_41:                             ;   in Loop: Header=BB103_30 Depth=1
	s_or_b64 exec, exec, s[10:11]
	v_mov_b32_e32 v3, 0
	s_waitcnt lgkmcnt(0)
	s_barrier
	s_and_saveexec_b64 s[10:11], s[0:1]
	s_cbranch_execz .LBB103_43
; %bb.42:                               ;   in Loop: Header=BB103_30 Depth=1
	ds_read_b32 v3, v8
.LBB103_43:                             ;   in Loop: Header=BB103_30 Depth=1
	s_or_b64 exec, exec, s[10:11]
	ds_read_b32 v19, v1 offset:1048
	v_cmp_ne_u32_e32 vcc, 0, v17
	s_waitcnt lgkmcnt(0)
	s_barrier
	s_and_saveexec_b64 s[10:11], vcc
	s_cbranch_execz .LBB103_28
; %bb.44:                               ;   in Loop: Header=BB103_30 Depth=1
	v_add_u32_e32 v17, v3, v5
	v_cmp_gt_u32_e32 vcc, s13, v17
	s_and_b64 exec, exec, vcc
	s_cbranch_execz .LBB103_28
; %bb.45:                               ;   in Loop: Header=BB103_30 Depth=1
	v_mul_lo_u32 v20, v17, s14
	v_mov_b32_e32 v21, v1
	v_lshlrev_b64 v[20:21], 1, v[20:21]
	v_mov_b32_e32 v3, s18
	v_add_co_u32_e32 v20, vcc, s17, v20
	v_addc_co_u32_e32 v21, vcc, v3, v21, vcc
	global_store_short v[20:21], v16, off
	v_mul_lo_u32 v20, v17, s8
	v_mov_b32_e32 v21, v1
	v_lshlrev_b64 v[20:21], 3, v[20:21]
	v_mov_b32_e32 v17, s20
	v_add_co_u32_e32 v20, vcc, s19, v20
	v_mov_b32_e32 v3, v1
	v_addc_co_u32_e32 v21, vcc, v17, v21, vcc
	global_store_dwordx2 v[20:21], v[2:3], off
	s_branch .LBB103_28
.LBB103_46:                             ;   in Loop: Header=BB103_47 Depth=1
	s_add_u32 s16, s16, 4
	s_addc_u32 s17, s17, 0
	s_waitcnt lgkmcnt(0)
	s_add_i32 s42, s15, s42
	s_add_u32 s18, s18, 4
	s_addc_u32 s19, s19, 0
	s_add_i32 s14, s14, 1
	s_cmp_lt_u32 s14, s10
	s_cbranch_scc0 .LBB103_25
.LBB103_47:                             ; =>This Inner Loop Header: Depth=1
	s_load_dword s15, s[16:17], 0x0
	s_cmp_ge_u32 s14, s11
	s_cbranch_scc1 .LBB103_46
; %bb.48:                               ;   in Loop: Header=BB103_47 Depth=1
	s_load_dword s34, s[18:19], 0x0
	s_waitcnt lgkmcnt(0)
	s_add_i32 s21, s15, s21
	s_add_i32 s20, s34, s20
	s_branch .LBB103_46
.LBB103_49:
	s_endpgm
	.section	.rodata,"a",@progbits
	.p2align	6, 0x0
	.amdhsa_kernel _ZN2at6native6mbtopk10gatherTopKIN3c104HalfEjLin1EEEvNS_4cuda6detail10TensorInfoIKT_T0_EESA_SA_bjSA_NS7_IS8_SA_EESA_NS7_IlSA_EESA_jjPS8_PjSF_j
		.amdhsa_group_segment_fixed_size 1068
		.amdhsa_private_segment_fixed_size 0
		.amdhsa_kernarg_size 984
		.amdhsa_user_sgpr_count 6
		.amdhsa_user_sgpr_private_segment_buffer 1
		.amdhsa_user_sgpr_dispatch_ptr 0
		.amdhsa_user_sgpr_queue_ptr 0
		.amdhsa_user_sgpr_kernarg_segment_ptr 1
		.amdhsa_user_sgpr_dispatch_id 0
		.amdhsa_user_sgpr_flat_scratch_init 0
		.amdhsa_user_sgpr_kernarg_preload_length 0
		.amdhsa_user_sgpr_kernarg_preload_offset 0
		.amdhsa_user_sgpr_private_segment_size 0
		.amdhsa_uses_dynamic_stack 0
		.amdhsa_system_sgpr_private_segment_wavefront_offset 0
		.amdhsa_system_sgpr_workgroup_id_x 1
		.amdhsa_system_sgpr_workgroup_id_y 1
		.amdhsa_system_sgpr_workgroup_id_z 1
		.amdhsa_system_sgpr_workgroup_info 0
		.amdhsa_system_vgpr_workitem_id 0
		.amdhsa_next_free_vgpr 24
		.amdhsa_next_free_sgpr 46
		.amdhsa_accum_offset 24
		.amdhsa_reserve_vcc 1
		.amdhsa_reserve_flat_scratch 0
		.amdhsa_float_round_mode_32 0
		.amdhsa_float_round_mode_16_64 0
		.amdhsa_float_denorm_mode_32 3
		.amdhsa_float_denorm_mode_16_64 3
		.amdhsa_dx10_clamp 1
		.amdhsa_ieee_mode 1
		.amdhsa_fp16_overflow 0
		.amdhsa_tg_split 0
		.amdhsa_exception_fp_ieee_invalid_op 0
		.amdhsa_exception_fp_denorm_src 0
		.amdhsa_exception_fp_ieee_div_zero 0
		.amdhsa_exception_fp_ieee_overflow 0
		.amdhsa_exception_fp_ieee_underflow 0
		.amdhsa_exception_fp_ieee_inexact 0
		.amdhsa_exception_int_div_zero 0
	.end_amdhsa_kernel
	.section	.text._ZN2at6native6mbtopk10gatherTopKIN3c104HalfEjLin1EEEvNS_4cuda6detail10TensorInfoIKT_T0_EESA_SA_bjSA_NS7_IS8_SA_EESA_NS7_IlSA_EESA_jjPS8_PjSF_j,"axG",@progbits,_ZN2at6native6mbtopk10gatherTopKIN3c104HalfEjLin1EEEvNS_4cuda6detail10TensorInfoIKT_T0_EESA_SA_bjSA_NS7_IS8_SA_EESA_NS7_IlSA_EESA_jjPS8_PjSF_j,comdat
.Lfunc_end103:
	.size	_ZN2at6native6mbtopk10gatherTopKIN3c104HalfEjLin1EEEvNS_4cuda6detail10TensorInfoIKT_T0_EESA_SA_bjSA_NS7_IS8_SA_EESA_NS7_IlSA_EESA_jjPS8_PjSF_j, .Lfunc_end103-_ZN2at6native6mbtopk10gatherTopKIN3c104HalfEjLin1EEEvNS_4cuda6detail10TensorInfoIKT_T0_EESA_SA_bjSA_NS7_IS8_SA_EESA_NS7_IlSA_EESA_jjPS8_PjSF_j
                                        ; -- End function
	.section	.AMDGPU.csdata,"",@progbits
; Kernel info:
; codeLenInByte = 2820
; NumSgprs: 50
; NumVgprs: 24
; NumAgprs: 0
; TotalNumVgprs: 24
; ScratchSize: 0
; MemoryBound: 0
; FloatMode: 240
; IeeeMode: 1
; LDSByteSize: 1068 bytes/workgroup (compile time only)
; SGPRBlocks: 6
; VGPRBlocks: 2
; NumSGPRsForWavesPerEU: 50
; NumVGPRsForWavesPerEU: 24
; AccumOffset: 24
; Occupancy: 8
; WaveLimiterHint : 1
; COMPUTE_PGM_RSRC2:SCRATCH_EN: 0
; COMPUTE_PGM_RSRC2:USER_SGPR: 6
; COMPUTE_PGM_RSRC2:TRAP_HANDLER: 0
; COMPUTE_PGM_RSRC2:TGID_X_EN: 1
; COMPUTE_PGM_RSRC2:TGID_Y_EN: 1
; COMPUTE_PGM_RSRC2:TGID_Z_EN: 1
; COMPUTE_PGM_RSRC2:TIDIG_COMP_CNT: 0
; COMPUTE_PGM_RSRC3_GFX90A:ACCUM_OFFSET: 5
; COMPUTE_PGM_RSRC3_GFX90A:TG_SPLIT: 0
	.section	.text._ZN2at6native6sbtopk10gatherTopKIN3c104HalfEjLin1ELb0EEEvNS_4cuda6detail10TensorInfoIKT_T0_EESA_SA_bSA_SA_NS7_IS8_SA_EESA_NS7_IlSA_EESA_PS8_,"axG",@progbits,_ZN2at6native6sbtopk10gatherTopKIN3c104HalfEjLin1ELb0EEEvNS_4cuda6detail10TensorInfoIKT_T0_EESA_SA_bSA_SA_NS7_IS8_SA_EESA_NS7_IlSA_EESA_PS8_,comdat
	.protected	_ZN2at6native6sbtopk10gatherTopKIN3c104HalfEjLin1ELb0EEEvNS_4cuda6detail10TensorInfoIKT_T0_EESA_SA_bSA_SA_NS7_IS8_SA_EESA_NS7_IlSA_EESA_PS8_ ; -- Begin function _ZN2at6native6sbtopk10gatherTopKIN3c104HalfEjLin1ELb0EEEvNS_4cuda6detail10TensorInfoIKT_T0_EESA_SA_bSA_SA_NS7_IS8_SA_EESA_NS7_IlSA_EESA_PS8_
	.globl	_ZN2at6native6sbtopk10gatherTopKIN3c104HalfEjLin1ELb0EEEvNS_4cuda6detail10TensorInfoIKT_T0_EESA_SA_bSA_SA_NS7_IS8_SA_EESA_NS7_IlSA_EESA_PS8_
	.p2align	8
	.type	_ZN2at6native6sbtopk10gatherTopKIN3c104HalfEjLin1ELb0EEEvNS_4cuda6detail10TensorInfoIKT_T0_EESA_SA_bSA_SA_NS7_IS8_SA_EESA_NS7_IlSA_EESA_PS8_,@function
_ZN2at6native6sbtopk10gatherTopKIN3c104HalfEjLin1ELb0EEEvNS_4cuda6detail10TensorInfoIKT_T0_EESA_SA_bSA_SA_NS7_IS8_SA_EESA_NS7_IlSA_EESA_PS8_: ; @_ZN2at6native6sbtopk10gatherTopKIN3c104HalfEjLin1ELb0EEEvNS_4cuda6detail10TensorInfoIKT_T0_EESA_SA_bSA_SA_NS7_IS8_SA_EESA_NS7_IlSA_EESA_PS8_
; %bb.0:
	s_load_dwordx2 s[10:11], s[4:5], 0x2b8
	s_load_dwordx4 s[60:63], s[4:5], 0xd8
	s_mov_b64 s[20:21], s[4:5]
	s_add_u32 s2, s20, 0x2b8
	s_addc_u32 s3, s21, 0
	s_waitcnt lgkmcnt(0)
	s_mul_i32 s0, s11, s8
	s_add_i32 s0, s0, s7
	s_mul_i32 s0, s0, s10
	s_add_i32 s77, s0, s6
	s_cmp_ge_u32 s77, s63
	s_cbranch_scc1 .LBB104_420
; %bb.1:
	s_load_dword s5, s[20:21], 0xd0
	s_load_dword s0, s[20:21], 0xe8
                                        ; implicit-def: $vgpr54 : SGPR spill to VGPR lane
	s_mov_b32 s1, 0
	s_waitcnt lgkmcnt(0)
	s_cmp_lt_i32 s5, 2
	v_writelane_b32 v54, s0, 0
	s_mov_b32 s0, s77
	s_cbranch_scc1 .LBB104_4
; %bb.2:
	s_add_i32 s0, s5, -1
	s_add_i32 s4, s5, 1
	s_lshl_b64 s[8:9], s[0:1], 2
	s_add_u32 s0, s8, s20
	s_addc_u32 s5, s9, s21
	s_add_u32 s8, s0, 8
	s_addc_u32 s9, s5, 0
	s_mov_b32 s0, s77
.LBB104_3:                              ; =>This Inner Loop Header: Depth=1
	s_load_dword s5, s[8:9], 0x0
	s_load_dword s11, s[8:9], 0x64
	s_mov_b32 s7, s0
	s_waitcnt lgkmcnt(0)
	v_cvt_f32_u32_e32 v1, s5
	s_sub_i32 s0, 0, s5
	v_rcp_iflag_f32_e32 v1, v1
	v_mul_f32_e32 v1, 0x4f7ffffe, v1
	v_cvt_u32_f32_e32 v1, v1
	v_readfirstlane_b32 s12, v1
	s_mul_i32 s0, s0, s12
	s_mul_hi_u32 s0, s12, s0
	s_add_i32 s12, s12, s0
	s_mul_hi_u32 s0, s7, s12
	s_mul_i32 s12, s0, s5
	s_sub_i32 s12, s7, s12
	s_add_i32 s13, s0, 1
	s_sub_i32 s14, s12, s5
	s_cmp_ge_u32 s12, s5
	s_cselect_b32 s0, s13, s0
	s_cselect_b32 s12, s14, s12
	s_add_i32 s13, s0, 1
	s_cmp_ge_u32 s12, s5
	s_cselect_b32 s0, s13, s0
	s_mul_i32 s5, s0, s5
	s_sub_i32 s5, s7, s5
	s_mul_i32 s5, s11, s5
	s_add_i32 s4, s4, -1
	s_add_i32 s1, s5, s1
	s_add_u32 s8, s8, -4
	s_addc_u32 s9, s9, -1
	s_cmp_gt_u32 s4, 2
	s_cbranch_scc1 .LBB104_3
.LBB104_4:
	s_load_dword s5, s[20:21], 0x1c0
	s_add_u32 s8, s20, 0xf0
	s_addc_u32 s9, s21, 0
	s_mov_b32 s65, 0
	s_mov_b32 s78, s77
	s_waitcnt lgkmcnt(0)
	s_cmp_lt_i32 s5, 2
	s_cbranch_scc1 .LBB104_7
; %bb.5:
	s_add_i32 s64, s5, -1
	s_add_i32 s4, s5, 1
	s_lshl_b64 s[12:13], s[64:65], 2
	s_add_u32 s5, s12, s8
	s_addc_u32 s7, s13, s9
	s_add_u32 s12, s5, 8
	s_addc_u32 s13, s7, 0
	s_mov_b32 s78, s77
.LBB104_6:                              ; =>This Inner Loop Header: Depth=1
	s_load_dword s5, s[12:13], 0x0
	s_load_dword s11, s[12:13], 0x64
	s_mov_b32 s7, s78
	s_waitcnt lgkmcnt(0)
	v_cvt_f32_u32_e32 v1, s5
	s_sub_i32 s14, 0, s5
	v_rcp_iflag_f32_e32 v1, v1
	v_mul_f32_e32 v1, 0x4f7ffffe, v1
	v_cvt_u32_f32_e32 v1, v1
	v_readfirstlane_b32 s15, v1
	s_mul_i32 s14, s14, s15
	s_mul_hi_u32 s14, s15, s14
	s_add_i32 s15, s15, s14
	s_mul_hi_u32 s14, s78, s15
	s_mul_i32 s15, s14, s5
	s_sub_i32 s15, s78, s15
	s_add_i32 s16, s14, 1
	s_sub_i32 s17, s15, s5
	s_cmp_ge_u32 s15, s5
	s_cselect_b32 s14, s16, s14
	s_cselect_b32 s15, s17, s15
	s_add_i32 s16, s14, 1
	s_cmp_ge_u32 s15, s5
	s_cselect_b32 s78, s16, s14
	s_mul_i32 s5, s78, s5
	s_sub_i32 s5, s7, s5
	s_mul_i32 s5, s11, s5
	s_add_i32 s4, s4, -1
	s_add_i32 s65, s5, s65
	s_add_u32 s12, s12, -4
	s_addc_u32 s13, s13, -1
	s_cmp_gt_u32 s4, 2
	s_cbranch_scc1 .LBB104_6
.LBB104_7:
	s_load_dword s4, s[20:21], 0x6c
	s_load_dword s12, s[20:21], 0x2a0
	s_add_u32 s7, s20, 0x1d0
	s_addc_u32 s11, s21, 0
	s_mov_b32 s67, 0
	s_waitcnt lgkmcnt(0)
	s_cmp_lt_i32 s12, 2
	s_cbranch_scc1 .LBB104_10
; %bb.8:
	s_add_i32 s66, s12, -1
	s_add_i32 s5, s12, 1
	s_lshl_b64 s[12:13], s[66:67], 2
	s_add_u32 s7, s12, s7
	s_addc_u32 s11, s13, s11
	s_add_u32 s12, s7, 8
	s_addc_u32 s13, s11, 0
.LBB104_9:                              ; =>This Inner Loop Header: Depth=1
	s_load_dword s7, s[12:13], 0x0
	s_load_dword s14, s[12:13], 0x64
	s_mov_b32 s11, s77
	s_waitcnt lgkmcnt(0)
	v_cvt_f32_u32_e32 v1, s7
	s_sub_i32 s15, 0, s7
	v_rcp_iflag_f32_e32 v1, v1
	v_mul_f32_e32 v1, 0x4f7ffffe, v1
	v_cvt_u32_f32_e32 v1, v1
	v_readfirstlane_b32 s16, v1
	s_mul_i32 s15, s15, s16
	s_mul_hi_u32 s15, s16, s15
	s_add_i32 s16, s16, s15
	s_mul_hi_u32 s15, s77, s16
	s_mul_i32 s16, s15, s7
	s_sub_i32 s16, s77, s16
	s_add_i32 s17, s15, 1
	s_sub_i32 s18, s16, s7
	s_cmp_ge_u32 s16, s7
	s_cselect_b32 s15, s17, s15
	s_cselect_b32 s16, s18, s16
	s_add_i32 s17, s15, 1
	s_cmp_ge_u32 s16, s7
	s_cselect_b32 s77, s17, s15
	s_mul_i32 s7, s77, s7
	s_sub_i32 s7, s11, s7
	s_mul_i32 s7, s14, s7
	s_add_i32 s5, s5, -1
	s_add_i32 s67, s7, s67
	s_add_u32 s12, s12, -4
	s_addc_u32 s13, s13, -1
	s_cmp_gt_u32 s5, 2
	s_cbranch_scc1 .LBB104_9
.LBB104_10:
	s_load_dword s5, s[8:9], 0x6c
	s_nop 0
	s_load_dwordx2 s[8:9], s[20:21], 0x0
	s_load_dwordx2 s[12:13], s[20:21], 0xf0
	s_mov_b32 s16, 0
	v_cmp_eq_u32_e64 s[14:15], 0, v0
	s_waitcnt lgkmcnt(0)
	v_writelane_b32 v54, s5, 1
	v_writelane_b32 v54, s12, 2
	;; [unrolled: 1-line block ×3, first 2 shown]
	s_load_dwordx2 s[12:13], s[20:21], 0x1d0
	s_waitcnt lgkmcnt(0)
	v_writelane_b32 v54, s12, 4
	v_writelane_b32 v54, s13, 5
	s_mov_b64 s[12:13], exec
	v_writelane_b32 v54, s14, 6
	v_writelane_b32 v54, s15, 7
	s_and_b64 s[14:15], s[12:13], s[14:15]
	s_mov_b64 exec, s[14:15]
	s_cbranch_execz .LBB104_12
; %bb.11:
	v_mov_b32_e32 v2, 0
	v_mov_b32_e32 v3, s60
	;; [unrolled: 1-line block ×3, first 2 shown]
	ds_write_b96 v2, v[2:4] offset:4096
.LBB104_12:
	s_or_b64 exec, exec, s[12:13]
	s_load_dword s5, s[20:21], 0x23c
	s_mul_i32 s0, s4, s0
	s_add_i32 s0, s0, s1
	s_mov_b32 s1, s16
	s_lshl_b64 s[0:1], s[0:1], 1
	s_add_u32 s64, s8, s0
	s_waitcnt lgkmcnt(0)
	v_writelane_b32 v54, s5, 8
	s_mov_b32 s4, 0
	s_barrier
	s_load_dword s0, s[2:3], 0xc
	s_addc_u32 s66, s9, s1
	v_writelane_b32 v54, s4, 9
	s_bitcmp1_b32 s62, 0
	v_writelane_b32 v54, s5, 10
	s_cselect_b64 s[4:5], -1, 0
	v_writelane_b32 v54, s4, 11
	v_mbcnt_lo_u32_b32 v1, -1, 0
	v_writelane_b32 v54, s5, 12
	s_xor_b64 s[4:5], s[4:5], -1
	v_mbcnt_hi_u32_b32 v1, -1, v1
	v_writelane_b32 v54, s4, 13
	s_waitcnt lgkmcnt(0)
	s_and_b32 s33, s0, 0xffff
	s_bfe_u32 s7, s0, 0xa0006
	v_cmp_gt_u32_e32 vcc, 64, v0
	v_cmp_gt_i32_e64 s[0:1], 4, v1
	v_writelane_b32 v54, s5, 14
	s_lshl_b32 s79, s33, 2
	s_and_b64 s[0:1], vcc, s[0:1]
	v_writelane_b32 v54, s0, 15
	s_cmpk_gt_u32 s60, 0x600
	v_writelane_b32 v54, s1, 16
	s_cselect_b64 s[0:1], -1, 0
	v_writelane_b32 v54, s0, 17
	s_cmp_gt_u32 s33, 63
	v_writelane_b32 v54, s1, 18
	s_cselect_b64 s[0:1], -1, 0
	v_writelane_b32 v54, s0, 19
	v_writelane_b32 v54, s1, 20
	s_add_i32 s0, s33, -1
	s_add_i32 s4, s0, s60
	s_cmp_lt_u32 s6, s10
	v_writelane_b32 v54, s0, 21
	s_cselect_b32 s0, 12, 18
	s_add_u32 s0, s2, s0
	s_addc_u32 s1, s3, 0
	v_writelane_b32 v54, s0, 22
	s_add_i32 s2, s7, -2
	v_writelane_b32 v54, s1, 23
	s_lshr_b32 s0, s2, 1
	s_add_i32 s3, s0, 1
	s_cmpk_gt_u32 s33, 0x7f
	s_cselect_b64 s[0:1], -1, 0
	v_writelane_b32 v54, s0, 24
	v_writelane_b32 v54, s1, 25
	;; [unrolled: 1-line block ×3, first 2 shown]
	s_load_dword s6, s[20:21], 0xe8
	v_mov_b32_e32 v11, 0
	v_mov_b32_e32 v13, v11
	v_writelane_b32 v54, s21, 27
	v_cmp_gt_u32_e64 s[8:9], s60, v0
	s_waitcnt lgkmcnt(0)
	v_mul_lo_u32 v12, v0, s6
	v_lshlrev_b64 v[2:3], 1, v[12:13]
	v_mov_b32_e32 v17, s66
	v_add_co_u32_e32 v8, vcc, s64, v2
	v_writelane_b32 v54, s8, 28
	v_lshrrev_b32_e32 v2, 4, v0
	v_addc_co_u32_e32 v9, vcc, v17, v3, vcc
	v_writelane_b32 v54, s9, 29
	v_and_b32_e32 v18, 60, v2
	v_cmp_gt_u32_e64 s[8:9], 2, v0
	v_lshlrev_b64 v[2:3], v1, -1
	v_writelane_b32 v54, s8, 30
	v_not_b32_e32 v6, v2
	v_cvt_f32_u32_e32 v2, s79
	v_writelane_b32 v54, s9, 31
	s_and_b32 s5, s7, 0x3fe
	s_and_b32 s8, s3, 7
	s_cmp_gt_u32 s2, 13
	s_cselect_b64 s[10:11], -1, 0
	v_writelane_b32 v54, s10, 32
	v_rcp_iflag_f32_e32 v2, v2
	v_writelane_b32 v54, s11, 33
	s_and_b32 s2, s3, -8
	v_writelane_b32 v54, s2, 34
	s_cmp_lg_u32 s8, 0
	v_writelane_b32 v54, s8, 35
	s_cselect_b64 s[2:3], -1, 0
	v_writelane_b32 v54, s2, 36
	v_mul_f32_e32 v2, 0x4f7ffffe, v2
	v_writelane_b32 v54, s3, 37
	v_cvt_u32_f32_e32 v2, v2
	v_writelane_b32 v54, s7, 38
	s_cmp_lg_u32 s5, s7
	v_writelane_b32 v54, s5, 39
	s_cselect_b64 s[2:3], -1, 0
	v_writelane_b32 v54, s2, 40
	v_writelane_b32 v54, s3, 41
	s_sub_i32 s2, 0, s79
	v_readfirstlane_b32 s3, v2
	s_mul_i32 s2, s2, s3
	s_mul_hi_u32 s2, s3, s2
	v_cvt_f32_u32_e32 v2, s33
	s_add_i32 s2, s3, s2
	v_writelane_b32 v54, s2, 42
	s_mul_hi_u32 s2, s60, s2
	s_mul_i32 s2, s2, s79
	s_sub_i32 s2, s60, s2
	v_rcp_iflag_f32_e32 v5, v2
	s_sub_i32 s3, s2, s79
	s_cmp_ge_u32 s2, s79
	s_cselect_b32 s2, s3, s2
	s_sub_i32 s3, s2, s79
	v_mul_f32_e32 v5, 0x4f7ffffe, v5
	s_cmp_ge_u32 s2, s79
	v_cvt_u32_f32_e32 v5, v5
	s_cselect_b32 s2, s3, s2
	v_lshlrev_b32_e32 v16, 2, v0
	s_sub_i32 s13, s60, s2
	v_cmp_gt_u32_e64 s[8:9], s13, v16
	v_writelane_b32 v54, s8, 43
	v_add_u32_e32 v21, s13, v0
	s_sub_i32 s3, 0, s33
	v_readfirstlane_b32 s5, v5
	v_writelane_b32 v54, s9, 44
	v_cmp_gt_u32_e64 s[8:9], s60, v21
	s_mul_i32 s3, s3, s5
	v_writelane_b32 v54, s8, 45
	s_mul_hi_u32 s3, s5, s3
	v_writelane_b32 v54, s9, 46
	s_add_i32 s3, s5, s3
	v_writelane_b32 v54, s3, 47
	s_mul_hi_u32 s3, s4, s3
	s_mul_i32 s3, s3, s33
	s_sub_i32 s3, s4, s3
	s_sub_i32 s5, s3, s33
	s_cmp_ge_u32 s3, s33
	v_mul_lo_u32 v10, v21, s6
	s_cselect_b32 s3, s5, s3
	v_not_b32_e32 v7, v3
	v_lshlrev_b64 v[2:3], 1, v[10:11]
	s_sub_i32 s5, s3, s33
	v_add_co_u32_e32 v14, vcc, s64, v2
	s_cmp_ge_u32 s3, s33
	v_mul_lo_u32 v2, s6, v16
	s_cselect_b32 s3, s5, s3
	v_add_u32_e32 v22, s6, v2
	v_or_b32_e32 v2, 2, v16
	s_sub_i32 s12, s4, s3
	v_mul_lo_u32 v23, s6, v2
	v_or_b32_e32 v2, 3, v16
	s_add_i32 s3, s33, s60
	v_mul_lo_u32 v24, s6, v2
	v_add_u32_e32 v2, s3, v0
	v_lshlrev_b32_e32 v19, 1, v0
	v_lshlrev_b32_e32 v4, 2, v1
	v_mov_b32_e32 v10, s66
	v_cmp_gt_u32_e64 s[4:5], s12, v0
	s_mul_i32 s76, s6, s33
	v_subrev_u32_e32 v2, s2, v2
	v_cmp_eq_u32_e64 s[0:1], 0, v1
	v_add_u32_e32 v20, 0xc00, v19
	v_and_b32_e32 v13, 0x100, v4
	v_addc_co_u32_e32 v15, vcc, v10, v3, vcc
	v_writelane_b32 v54, s4, 48
	s_lshl_b32 s72, s76, 2
	v_lshlrev_b32_e32 v25, 2, v12
	v_mul_lo_u32 v26, s6, v2
	v_lshlrev_b32_e32 v27, 3, v0
	s_lshl_b32 s73, s33, 3
	s_lshl_b32 s10, s33, 1
	v_or_b32_e32 v28, 0xc00, v4
	s_mov_b32 s62, 14
	s_mov_b64 s[90:91], 0
	v_mov_b32_e32 v37, s61
	v_mov_b32_e32 v29, 0xffff
	;; [unrolled: 1-line block ×3, first 2 shown]
	v_mov_b32_e32 v31, -1
	v_mov_b32_e32 v32, 0xc00
	v_mov_b32_e32 v33, 0x5040100
	;; [unrolled: 1-line block ×3, first 2 shown]
	s_mov_b32 s63, 0
	v_mov_b32_e32 v35, 0
	v_mov_b32_e32 v34, 0
	v_writelane_b32 v54, s5, 49
                                        ; implicit-def: $sgpr92_sgpr93
                                        ; implicit-def: $sgpr94_sgpr95
                                        ; implicit-def: $sgpr70_sgpr71
                                        ; implicit-def: $sgpr2_sgpr3
                                        ; implicit-def: $sgpr68_sgpr69
                                        ; implicit-def: $sgpr84_sgpr85
                                        ; implicit-def: $sgpr86_sgpr87
                                        ; implicit-def: $sgpr88_sgpr89
                                        ; implicit-def: $sgpr80_sgpr81
                                        ; implicit-def: $sgpr82_sgpr83
	s_branch .LBB104_15
.LBB104_13:                             ;   in Loop: Header=BB104_15 Depth=1
	s_or_b64 exec, exec, s[18:19]
	s_andn2_b64 s[4:5], s[82:83], exec
	s_and_b64 s[14:15], s[16:17], exec
	s_or_b64 s[82:83], s[4:5], s[14:15]
	s_andn2_b64 s[80:81], s[80:81], exec
	s_andn2_b64 s[88:89], s[88:89], exec
	;; [unrolled: 1-line block ×4, first 2 shown]
	s_orn2_b64 s[8:9], s[8:9], exec
	v_mov_b32_e32 v34, v3
	v_mov_b32_e32 v35, v2
	;; [unrolled: 1-line block ×4, first 2 shown]
.LBB104_14:                             ;   in Loop: Header=BB104_15 Depth=1
	s_or_b64 exec, exec, s[6:7]
	s_and_b64 s[4:5], exec, s[8:9]
	s_or_b64 s[90:91], s[4:5], s[90:91]
	s_andn2_b64 s[4:5], s[68:69], exec
	s_and_b64 s[6:7], s[82:83], exec
	s_or_b64 s[68:69], s[4:5], s[6:7]
	s_andn2_b64 s[2:3], s[2:3], exec
	s_and_b64 s[4:5], s[80:81], exec
	;; [unrolled: 3-line block ×5, first 2 shown]
	s_or_b64 s[92:93], s[4:5], s[6:7]
	s_andn2_b64 exec, exec, s[90:91]
	s_cbranch_execz .LBB104_416
.LBB104_15:                             ; =>This Loop Header: Depth=1
                                        ;     Child Loop BB104_20 Depth 2
                                        ;     Child Loop BB104_38 Depth 2
	;; [unrolled: 1-line block ×25, first 2 shown]
	ds_read_b64 v[2:3], v11 offset:4096
	s_waitcnt lgkmcnt(0)
	v_readfirstlane_b32 s4, v2
	s_cmp_lg_u32 s4, 0
	s_cbranch_scc1 .LBB104_45
; %bb.16:                               ;   in Loop: Header=BB104_15 Depth=1
	v_readlane_b32 s4, v54, 17
	v_readlane_b32 s5, v54, 18
	s_and_b64 vcc, exec, s[4:5]
	s_cbranch_vccz .LBB104_28
; %bb.17:                               ;   in Loop: Header=BB104_15 Depth=1
	s_movk_i32 s4, 0x601
	v_cmp_gt_u32_e32 vcc, s4, v3
	s_mov_b64 s[6:7], 0
	s_mov_b64 s[8:9], 0
	s_cbranch_vccz .LBB104_29
; %bb.18:                               ;   in Loop: Header=BB104_15 Depth=1
	v_readlane_b32 s4, v54, 22
	v_readlane_b32 s5, v54, 23
	s_nop 4
	global_load_ushort v2, v11, s[4:5]
	global_load_ushort v3, v[8:9], off
	v_readlane_b32 s4, v54, 26
	v_readlane_b32 s5, v54, 27
	s_load_dword s4, s[4:5], 0xe8
	s_waitcnt vmcnt(1)
	v_add_u32_e32 v5, v0, v2
	s_waitcnt lgkmcnt(0)
	v_mul_lo_u32 v4, s4, v2
	v_mul_lo_u32 v10, s4, v5
	v_mov_b32_e32 v5, v0
	s_branch .LBB104_20
.LBB104_19:                             ;   in Loop: Header=BB104_20 Depth=2
	s_or_b64 exec, exec, s[16:17]
	v_add_u32_e32 v10, v10, v4
	v_mov_b32_e32 v3, v38
	s_andn2_b64 exec, exec, s[8:9]
	s_cbranch_execz .LBB104_30
.LBB104_20:                             ;   Parent Loop BB104_15 Depth=1
                                        ; =>  This Inner Loop Header: Depth=2
	v_add_u32_e32 v5, v5, v2
	v_cmp_gt_u32_e64 s[18:19], s60, v5
	v_cmp_le_u32_e32 vcc, s60, v5
	s_waitcnt lgkmcnt(0)
	v_mov_b32_e32 v39, 0
	v_mov_b32_e32 v38, 0
	s_and_saveexec_b64 s[16:17], s[18:19]
	s_cbranch_execz .LBB104_22
; %bb.21:                               ;   in Loop: Header=BB104_20 Depth=2
	v_lshlrev_b64 v[40:41], 1, v[10:11]
	v_add_co_u32_e64 v40, s[18:19], s64, v40
	v_addc_co_u32_e64 v41, s[18:19], v17, v41, s[18:19]
	global_load_ushort v38, v[40:41], off
.LBB104_22:                             ;   in Loop: Header=BB104_20 Depth=2
	s_or_b64 exec, exec, s[16:17]
	s_waitcnt vmcnt(0)
	v_cmp_lt_i16_e64 s[18:19], -1, v3
	v_cndmask_b32_e64 v40, v29, v30, s[18:19]
	v_xor_b32_sdwa v40, v40, v3 dst_sel:DWORD dst_unused:UNUSED_PAD src0_sel:DWORD src1_sel:WORD_0
	v_cmp_o_f16_e64 s[18:19], v3, v3
	v_cndmask_b32_e64 v40, v29, v40, s[18:19]
	v_and_b32_e32 v40, v40, v34
	v_cmp_eq_u32_e64 s[18:19], v40, v35
	s_cmp_lg_u64 s[18:19], 0
	s_cselect_b64 s[4:5], -1, 0
	s_and_b64 s[4:5], s[0:1], s[4:5]
	s_and_saveexec_b64 s[16:17], s[4:5]
	s_cbranch_execz .LBB104_26
; %bb.23:                               ;   in Loop: Header=BB104_20 Depth=2
	s_mov_b64 s[24:25], exec
	v_mbcnt_lo_u32_b32 v39, s24, 0
	v_mbcnt_hi_u32_b32 v39, s25, v39
	s_bcnt1_i32_b64 s4, s[18:19]
	v_cmp_eq_u32_e64 s[20:21], 0, v39
                                        ; implicit-def: $vgpr40
	s_and_saveexec_b64 s[22:23], s[20:21]
	s_cbranch_execz .LBB104_25
; %bb.24:                               ;   in Loop: Header=BB104_20 Depth=2
	s_bcnt1_i32_b64 s5, s[24:25]
	s_mul_i32 s5, s4, s5
	v_mov_b32_e32 v40, s5
	ds_add_rtn_u32 v40, v11, v40 offset:4104
.LBB104_25:                             ;   in Loop: Header=BB104_20 Depth=2
	s_or_b64 exec, exec, s[22:23]
	s_waitcnt lgkmcnt(0)
	v_readfirstlane_b32 s5, v40
	v_mov_b32_e32 v40, s5
	v_mad_u32_u24 v39, s4, v39, v40
.LBB104_26:                             ;   in Loop: Header=BB104_20 Depth=2
	s_or_b64 exec, exec, s[16:17]
	ds_bpermute_b32 v39, v13, v39
	s_and_b64 s[4:5], exec, vcc
	s_or_b64 s[8:9], s[4:5], s[8:9]
	s_and_saveexec_b64 s[16:17], s[18:19]
	s_cbranch_execz .LBB104_19
; %bb.27:                               ;   in Loop: Header=BB104_20 Depth=2
	v_and_b32_e32 v41, s18, v6
	v_and_b32_e32 v40, s19, v7
	v_bcnt_u32_b32 v41, v41, 0
	v_bcnt_u32_b32 v40, v40, v41
	v_lshlrev_b32_e32 v40, 1, v40
	s_waitcnt lgkmcnt(0)
	v_lshl_add_u32 v39, v39, 1, v40
	ds_write_b16 v39, v3
	s_branch .LBB104_19
.LBB104_28:                             ;   in Loop: Header=BB104_15 Depth=1
	s_mov_b64 s[8:9], 0
                                        ; implicit-def: $sgpr4
	s_cbranch_execnz .LBB104_33
	s_branch .LBB104_43
.LBB104_29:                             ;   in Loop: Header=BB104_15 Depth=1
	s_mov_b32 s4, 0
	s_and_b64 vcc, exec, s[6:7]
	s_cbranch_vccnz .LBB104_33
	s_branch .LBB104_43
.LBB104_30:                             ;   in Loop: Header=BB104_15 Depth=1
	s_or_b64 exec, exec, s[8:9]
	s_waitcnt lgkmcnt(0)
	s_barrier
	s_mov_b64 s[8:9], exec
	v_readlane_b32 s4, v54, 6
	v_readlane_b32 s5, v54, 7
	s_and_b64 s[4:5], s[8:9], s[4:5]
	s_mov_b64 exec, s[4:5]
	s_cbranch_execz .LBB104_32
; %bb.31:                               ;   in Loop: Header=BB104_15 Depth=1
	ds_read_b32 v2, v11 offset:4104
	s_waitcnt lgkmcnt(0)
	ds_write_b32 v11, v2 offset:4096
.LBB104_32:                             ;   in Loop: Header=BB104_15 Depth=1
	s_or_b64 exec, exec, s[8:9]
	s_waitcnt lgkmcnt(0)
	s_barrier
	s_mov_b64 s[8:9], -1
	s_mov_b32 s4, 0
	s_and_b64 vcc, exec, s[6:7]
	s_cbranch_vccz .LBB104_43
.LBB104_33:                             ;   in Loop: Header=BB104_15 Depth=1
	v_mov_b32_e32 v2, 0
	s_mov_b64 s[6:7], exec
	v_readlane_b32 s4, v54, 28
	v_readlane_b32 s5, v54, 29
	s_and_b64 s[4:5], s[6:7], s[4:5]
	s_mov_b64 exec, s[4:5]
	s_cbranch_execz .LBB104_35
; %bb.34:                               ;   in Loop: Header=BB104_15 Depth=1
	global_load_ushort v2, v[8:9], off
.LBB104_35:                             ;   in Loop: Header=BB104_15 Depth=1
	s_or_b64 exec, exec, s[6:7]
	s_mov_b64 s[6:7], exec
	v_readlane_b32 s4, v54, 28
	v_readlane_b32 s5, v54, 29
	s_and_b64 s[4:5], s[6:7], s[4:5]
	s_mov_b64 exec, s[4:5]
	s_cbranch_execz .LBB104_40
; %bb.36:                               ;   in Loop: Header=BB104_15 Depth=1
	v_readlane_b32 s4, v54, 22
	v_readlane_b32 s5, v54, 23
	s_mov_b64 s[8:9], 0
	v_mov_b32_e32 v4, v19
	v_mov_b32_e32 v39, v0
	s_nop 1
	global_load_ushort v3, v11, s[4:5]
	v_readlane_b32 s4, v54, 26
	v_readlane_b32 s5, v54, 27
	s_load_dword s4, s[4:5], 0xe8
	s_waitcnt vmcnt(0)
	v_add_u32_e32 v10, v0, v3
	v_lshlrev_b32_e32 v5, 1, v3
	s_waitcnt lgkmcnt(0)
	v_mul_lo_u32 v38, s4, v3
	v_mul_lo_u32 v10, s4, v10
	s_branch .LBB104_38
.LBB104_37:                             ;   in Loop: Header=BB104_38 Depth=2
	s_or_b64 exec, exec, s[16:17]
	s_and_b64 s[4:5], exec, vcc
	s_or_b64 s[8:9], s[4:5], s[8:9]
	ds_write_b16 v4, v2
	v_add_u32_e32 v4, v4, v5
	v_add_u32_e32 v10, v10, v38
	s_waitcnt vmcnt(0)
	v_mov_b32_e32 v2, v40
	s_andn2_b64 exec, exec, s[8:9]
	s_cbranch_execz .LBB104_40
.LBB104_38:                             ;   Parent Loop BB104_15 Depth=1
                                        ; =>  This Inner Loop Header: Depth=2
	v_add_u32_e32 v39, v39, v3
	v_cmp_gt_u32_e64 s[18:19], s60, v39
	v_cmp_le_u32_e32 vcc, s60, v39
	v_mov_b32_e32 v40, 0
	s_and_saveexec_b64 s[16:17], s[18:19]
	s_cbranch_execz .LBB104_37
; %bb.39:                               ;   in Loop: Header=BB104_38 Depth=2
	v_lshlrev_b64 v[40:41], 1, v[10:11]
	v_mov_b32_e32 v42, s66
	v_add_co_u32_e64 v40, s[18:19], s64, v40
	v_addc_co_u32_e64 v41, s[18:19], v42, v41, s[18:19]
	global_load_ushort v40, v[40:41], off
	s_branch .LBB104_37
.LBB104_40:                             ;   in Loop: Header=BB104_15 Depth=1
	s_or_b64 exec, exec, s[6:7]
	s_waitcnt lgkmcnt(0)
	s_barrier
	s_mov_b64 s[6:7], exec
	v_readlane_b32 s4, v54, 6
	v_readlane_b32 s5, v54, 7
	s_and_b64 s[4:5], s[6:7], s[4:5]
	s_mov_b64 exec, s[4:5]
	s_cbranch_execz .LBB104_42
; %bb.41:                               ;   in Loop: Header=BB104_15 Depth=1
	s_waitcnt vmcnt(0)
	v_mov_b32_e32 v2, s60
	ds_write_b32 v11, v2 offset:4096
.LBB104_42:                             ;   in Loop: Header=BB104_15 Depth=1
	s_or_b64 exec, exec, s[6:7]
	s_mov_b64 s[8:9], -1
	s_waitcnt lgkmcnt(0)
	s_barrier
                                        ; implicit-def: $sgpr4
.LBB104_43:                             ;   in Loop: Header=BB104_15 Depth=1
	s_and_b64 vcc, exec, s[8:9]
	s_cbranch_vccz .LBB104_45
; %bb.44:                               ;   in Loop: Header=BB104_15 Depth=1
	s_waitcnt vmcnt(0)
	ds_read_b32 v2, v11 offset:4096
	s_waitcnt lgkmcnt(0)
	v_readfirstlane_b32 s4, v2
.LBB104_45:                             ;   in Loop: Header=BB104_15 Depth=1
	s_cmp_lt_i32 s4, 1
	s_cbranch_scc0 .LBB104_57
; %bb.46:                               ;   in Loop: Header=BB104_15 Depth=1
	s_waitcnt vmcnt(0)
	v_mov_b32_e32 v2, 0
	s_mov_b32 s5, 0
	v_mov_b32_e32 v3, 0
	v_mov_b32_e32 v4, v2
	;; [unrolled: 1-line block ×3, first 2 shown]
	s_mov_b64 s[16:17], exec
	v_readlane_b32 s6, v54, 43
	v_readlane_b32 s7, v54, 44
	s_and_b64 s[6:7], s[16:17], s[6:7]
	s_mov_b64 exec, s[6:7]
	s_cbranch_execz .LBB104_50
; %bb.47:                               ;   in Loop: Header=BB104_15 Depth=1
	s_and_b32 s6, s62, 0xfe
	s_mov_b64 s[48:49], 0
	s_mov_b32 s7, 0
	s_mov_b32 s8, 0
	;; [unrolled: 1-line block ×4, first 2 shown]
	v_mov_b32_e32 v38, v16
.LBB104_48:                             ;   Parent Loop BB104_15 Depth=1
                                        ; =>  This Inner Loop Header: Depth=2
	v_add_u32_e32 v10, s5, v25
	v_lshlrev_b64 v[2:3], 1, v[10:11]
	v_mov_b32_e32 v39, s66
	v_add_u32_e32 v10, s5, v22
	v_add_co_u32_e64 v2, s[18:19], s64, v2
	v_lshlrev_b64 v[4:5], 1, v[10:11]
	v_addc_co_u32_e64 v3, s[18:19], v39, v3, s[18:19]
	v_add_u32_e32 v10, s5, v23
	global_load_ushort v42, v[2:3], off
	v_add_co_u32_e64 v2, s[18:19], s64, v4
	v_lshlrev_b64 v[40:41], 1, v[10:11]
	v_add_u32_e32 v10, s5, v24
	v_addc_co_u32_e64 v3, s[18:19], v39, v5, s[18:19]
	v_lshlrev_b64 v[4:5], 1, v[10:11]
	global_load_ushort v10, v[2:3], off
	v_add_co_u32_e64 v2, s[18:19], s64, v40
	v_addc_co_u32_e64 v3, s[18:19], v39, v41, s[18:19]
	global_load_ushort v40, v[2:3], off
	v_add_co_u32_e64 v2, s[18:19], s64, v4
	v_addc_co_u32_e64 v3, s[18:19], v39, v5, s[18:19]
	global_load_ushort v2, v[2:3], off
	v_add_u32_e32 v38, s79, v38
	v_cmp_le_u32_e32 vcc, s13, v38
	s_add_i32 s5, s5, s72
	s_waitcnt vmcnt(3)
	v_cmp_lt_i16_e64 s[18:19], -1, v42
	v_cndmask_b32_e64 v3, v29, v30, s[18:19]
	v_xor_b32_sdwa v3, v3, v42 dst_sel:DWORD dst_unused:UNUSED_PAD src0_sel:DWORD src1_sel:WORD_0
	s_waitcnt vmcnt(2)
	v_cmp_lt_i16_e64 s[18:19], -1, v10
	v_cndmask_b32_e64 v4, v29, v30, s[18:19]
	v_cmp_o_f16_e64 s[18:19], v42, v42
	v_cndmask_b32_e64 v3, v29, v3, s[18:19]
	v_xor_b32_sdwa v4, v4, v10 dst_sel:DWORD dst_unused:UNUSED_PAD src0_sel:DWORD src1_sel:WORD_0
	s_waitcnt vmcnt(1)
	v_cmp_lt_i16_e64 s[18:19], -1, v40
	v_cndmask_b32_e64 v5, v29, v30, s[18:19]
	v_cmp_o_f16_e64 s[18:19], v10, v10
	v_cndmask_b32_e64 v4, v29, v4, s[18:19]
	v_xor_b32_sdwa v5, v5, v40 dst_sel:DWORD dst_unused:UNUSED_PAD src0_sel:DWORD src1_sel:WORD_0
	s_waitcnt vmcnt(0)
	v_cmp_lt_i16_e64 s[18:19], -1, v2
	v_cndmask_b32_e64 v10, v29, v30, s[18:19]
	v_and_b32_e32 v39, v3, v34
	v_bfe_u32 v3, v3, s6, 2
	v_cmp_o_f16_e64 s[18:19], v40, v40
	v_cndmask_b32_e64 v5, v29, v5, s[18:19]
	v_cmp_eq_u32_e64 s[18:19], v39, v35
	v_cmp_eq_u32_e64 s[20:21], 0, v3
	v_and_b32_e32 v39, v4, v34
	v_bfe_u32 v4, v4, s6, 2
	v_cmp_eq_u32_e64 s[22:23], 1, v3
	s_and_b64 s[20:21], s[18:19], s[20:21]
	v_xor_b32_sdwa v10, v10, v2 dst_sel:DWORD dst_unused:UNUSED_PAD src0_sel:DWORD src1_sel:WORD_0
	v_cmp_eq_u32_e64 s[24:25], 2, v3
	v_cmp_eq_u32_e64 s[26:27], 3, v3
	v_cmp_o_f16_e64 s[28:29], v2, v2
	v_cmp_eq_u32_e64 s[30:31], 0, v4
	v_cmp_eq_u32_e64 s[34:35], 1, v4
	;; [unrolled: 1-line block ×4, first 2 shown]
	v_cndmask_b32_e64 v4, 0, 1, s[20:21]
	s_and_b64 s[20:21], s[18:19], s[22:23]
	v_cndmask_b32_e64 v2, v29, v10, s[28:29]
	v_cmp_eq_u32_e64 s[28:29], v39, v35
	v_and_b32_e32 v3, v5, v34
	v_bfe_u32 v5, v5, s6, 2
	v_cndmask_b32_e64 v10, 0, 1, s[20:21]
	s_and_b64 s[20:21], s[18:19], s[24:25]
	s_and_b64 s[18:19], s[18:19], s[26:27]
	v_cndmask_b32_e64 v39, 0, 1, s[20:21]
	v_cndmask_b32_e64 v40, 0, 1, s[18:19]
	v_cmp_eq_u32_e64 s[18:19], v3, v35
	v_and_b32_e32 v3, v2, v34
	v_bfe_u32 v2, v2, s6, 2
	v_cmp_eq_u32_e64 s[20:21], 0, v5
	v_cmp_eq_u32_e64 s[22:23], 1, v5
	v_cmp_ne_u32_e64 s[40:41], 0, v4
	s_and_b64 s[30:31], s[28:29], s[30:31]
	s_and_b64 s[34:35], s[28:29], s[34:35]
	;; [unrolled: 1-line block ×4, first 2 shown]
	v_cmp_eq_u32_e64 s[24:25], 2, v5
	v_cmp_eq_u32_e64 s[26:27], 3, v5
	v_cndmask_b32_e64 v5, 0, 1, s[34:35]
	v_cmp_ne_u32_e64 s[34:35], 0, v39
	v_cndmask_b32_e64 v39, 0, 1, s[28:29]
	v_cmp_eq_u32_e64 s[28:29], v3, v35
	v_cmp_eq_u32_e64 s[38:39], 0, v2
	;; [unrolled: 1-line block ×3, first 2 shown]
	s_bcnt1_i32_b64 s11, s[40:41]
	s_and_b64 s[20:21], s[18:19], s[20:21]
	s_and_b64 s[22:23], s[18:19], s[22:23]
	v_cndmask_b32_e64 v4, 0, 1, s[30:31]
	v_cmp_ne_u32_e64 s[30:31], 0, v10
	v_cndmask_b32_e64 v10, 0, 1, s[36:37]
	v_cmp_eq_u32_e64 s[44:45], 2, v2
	v_cmp_eq_u32_e64 s[46:47], 3, v2
	v_cndmask_b32_e64 v2, 0, 1, s[20:21]
	v_cmp_ne_u32_e64 s[20:21], 0, v5
	v_cndmask_b32_e64 v3, 0, 1, s[22:23]
	s_and_b64 s[24:25], s[18:19], s[24:25]
	s_and_b64 s[18:19], s[18:19], s[26:27]
	;; [unrolled: 1-line block ×3, first 2 shown]
	s_add_i32 s11, s14, s11
	s_and_b64 s[14:15], s[28:29], s[42:43]
	v_cmp_ne_u32_e64 s[36:37], 0, v40
	v_cmp_ne_u32_e64 s[40:41], 0, v4
	s_bcnt1_i32_b64 s30, s[30:31]
	s_bcnt1_i32_b64 s31, s[34:35]
	v_cmp_ne_u32_e64 s[22:23], 0, v10
	v_cndmask_b32_e64 v4, 0, 1, s[24:25]
	v_cndmask_b32_e64 v5, 0, 1, s[18:19]
	v_cmp_ne_u32_e64 s[18:19], 0, v2
	v_cndmask_b32_e64 v2, 0, 1, s[26:27]
	s_bcnt1_i32_b64 s26, s[20:21]
	v_cmp_ne_u32_e64 s[20:21], 0, v3
	v_cndmask_b32_e64 v3, 0, 1, s[14:15]
	s_and_b64 s[14:15], s[28:29], s[44:45]
	s_bcnt1_i32_b64 s34, s[36:37]
	v_cmp_ne_u32_e64 s[24:25], 0, v39
	s_add_i32 s27, s9, s30
	s_bcnt1_i32_b64 s30, s[22:23]
	v_cmp_ne_u32_e64 s[22:23], 0, v4
	v_cndmask_b32_e64 v4, 0, 1, s[14:15]
	s_add_i32 s14, s8, s31
	s_and_b64 s[8:9], s[28:29], s[46:47]
	s_bcnt1_i32_b64 s35, s[40:41]
	s_bcnt1_i32_b64 s15, s[24:25]
	v_cmp_ne_u32_e64 s[24:25], 0, v5
	v_cndmask_b32_e64 v5, 0, 1, s[8:9]
	s_add_i32 s7, s7, s34
	s_bcnt1_i32_b64 s8, s[18:19]
	v_cmp_ne_u32_e64 s[18:19], 0, v2
	s_add_i32 s9, s11, s35
	s_bcnt1_i32_b64 s11, s[20:21]
	v_cmp_ne_u32_e64 s[20:21], 0, v3
	;; [unrolled: 3-line block ×4, first 2 shown]
	s_add_i32 s7, s7, s15
	s_bcnt1_i32_b64 s15, s[18:19]
	s_add_i32 s8, s9, s8
	s_bcnt1_i32_b64 s9, s[20:21]
	;; [unrolled: 2-line block ×4, first 2 shown]
	s_add_i32 s7, s7, s28
	s_add_i32 s14, s8, s15
	;; [unrolled: 1-line block ×5, first 2 shown]
	s_or_b64 s[48:49], vcc, s[48:49]
	v_mov_b32_e32 v2, s14
	v_mov_b32_e32 v3, s9
	;; [unrolled: 1-line block ×4, first 2 shown]
	s_andn2_b64 exec, exec, s[48:49]
	s_cbranch_execnz .LBB104_48
; %bb.49:                               ;   in Loop: Header=BB104_15 Depth=1
	s_or_b64 exec, exec, s[48:49]
.LBB104_50:                             ;   in Loop: Header=BB104_15 Depth=1
	s_or_b64 exec, exec, s[16:17]
	v_mov_b32_e32 v38, 0
	s_mov_b64 s[6:7], exec
	v_readlane_b32 s8, v54, 45
	v_readlane_b32 s9, v54, 46
	s_and_b64 s[8:9], s[6:7], s[8:9]
	s_mov_b64 exec, s[8:9]
	s_cbranch_execz .LBB104_52
; %bb.51:                               ;   in Loop: Header=BB104_15 Depth=1
	global_load_ushort v38, v[14:15], off
.LBB104_52:                             ;   in Loop: Header=BB104_15 Depth=1
	s_or_b64 exec, exec, s[6:7]
	s_mov_b64 s[6:7], 0
	s_mov_b64 s[16:17], 0
	s_mov_b64 s[8:9], exec
	v_readlane_b32 s14, v54, 45
	v_readlane_b32 s15, v54, 46
	s_and_b64 s[14:15], s[8:9], s[14:15]
	s_mov_b64 exec, s[14:15]
	s_cbranch_execz .LBB104_59
; %bb.53:                               ;   in Loop: Header=BB104_15 Depth=1
	s_and_b32 s5, s62, 0xfe
	v_mov_b32_e32 v10, v26
	v_mov_b32_e32 v39, v21
	s_branch .LBB104_55
.LBB104_54:                             ;   in Loop: Header=BB104_55 Depth=2
	s_or_b64 exec, exec, s[20:21]
	s_and_b64 s[14:15], exec, vcc
	s_waitcnt vmcnt(0)
	v_cmp_lt_i16_e32 vcc, -1, v38
	v_cndmask_b32_e32 v41, v29, v30, vcc
	v_xor_b32_sdwa v41, v41, v38 dst_sel:DWORD dst_unused:UNUSED_PAD src0_sel:DWORD src1_sel:WORD_0
	v_cmp_o_f16_e32 vcc, v38, v38
	v_cndmask_b32_e32 v38, v29, v41, vcc
	v_and_b32_e32 v41, v38, v34
	v_bfe_u32 v38, v38, s5, 2
	s_or_b64 s[16:17], s[14:15], s[16:17]
	v_cmp_eq_u32_e32 vcc, v41, v35
	v_cmp_eq_u32_e64 s[18:19], 0, v38
	s_and_b64 s[14:15], vcc, s[18:19]
	v_cndmask_b32_e64 v41, 0, 1, s[14:15]
	v_cmp_ne_u32_e64 s[18:19], 0, v41
	s_bcnt1_i32_b64 s11, s[18:19]
	v_cmp_eq_u32_e64 s[18:19], 1, v38
	s_and_b64 s[14:15], vcc, s[18:19]
	v_cndmask_b32_e64 v41, 0, 1, s[14:15]
	v_cmp_ne_u32_e64 s[18:19], 0, v41
	v_add_u32_e32 v2, s11, v2
	s_bcnt1_i32_b64 s11, s[18:19]
	v_cmp_eq_u32_e64 s[18:19], 2, v38
	s_and_b64 s[14:15], vcc, s[18:19]
	v_cndmask_b32_e64 v41, 0, 1, s[14:15]
	v_cmp_ne_u32_e64 s[18:19], 0, v41
	v_add_u32_e32 v3, s11, v3
	s_bcnt1_i32_b64 s11, s[18:19]
	v_cmp_eq_u32_e64 s[18:19], 3, v38
	s_and_b64 s[14:15], vcc, s[18:19]
	v_cndmask_b32_e64 v38, 0, 1, s[14:15]
	v_cmp_ne_u32_e32 vcc, 0, v38
	v_add_u32_e32 v4, s11, v4
	s_bcnt1_i32_b64 s11, vcc
	v_add_u32_e32 v5, s11, v5
	v_add_u32_e32 v10, s76, v10
	v_mov_b32_e32 v38, v40
	s_andn2_b64 exec, exec, s[16:17]
	s_cbranch_execz .LBB104_58
.LBB104_55:                             ;   Parent Loop BB104_15 Depth=1
                                        ; =>  This Inner Loop Header: Depth=2
	v_add_u32_e32 v39, s33, v39
	v_cmp_gt_u32_e64 s[18:19], s60, v39
	v_cmp_le_u32_e32 vcc, s60, v39
	v_mov_b32_e32 v40, 0
	s_and_saveexec_b64 s[20:21], s[18:19]
	s_cbranch_execz .LBB104_54
; %bb.56:                               ;   in Loop: Header=BB104_55 Depth=2
	v_lshlrev_b64 v[40:41], 1, v[10:11]
	v_mov_b32_e32 v42, s66
	v_add_co_u32_e64 v40, s[18:19], s64, v40
	v_addc_co_u32_e64 v41, s[18:19], v42, v41, s[18:19]
	global_load_ushort v40, v[40:41], off
	s_branch .LBB104_54
.LBB104_57:                             ;   in Loop: Header=BB104_15 Depth=1
	s_mov_b64 s[16:17], 0
                                        ; implicit-def: $vgpr5
	s_cbranch_execnz .LBB104_60
	s_branch .LBB104_69
.LBB104_58:                             ;   in Loop: Header=BB104_15 Depth=1
	s_or_b64 exec, exec, s[16:17]
	s_mov_b64 s[16:17], exec
.LBB104_59:                             ;   in Loop: Header=BB104_15 Depth=1
	s_or_b64 exec, exec, s[8:9]
	s_and_b64 vcc, exec, s[6:7]
	s_cbranch_vccz .LBB104_69
.LBB104_60:                             ;   in Loop: Header=BB104_15 Depth=1
	v_readlane_b32 s5, v54, 42
	s_mul_hi_u32 s5, s4, s5
	s_mul_i32 s5, s5, s79
	s_sub_i32 s5, s4, s5
	s_sub_i32 s6, s5, s79
	s_cmp_ge_u32 s5, s79
	s_cselect_b32 s5, s6, s5
	s_sub_i32 s6, s5, s79
	s_cmp_ge_u32 s5, s79
	s_cselect_b32 s5, s6, s5
	s_sub_i32 s5, s4, s5
	v_cmp_gt_u32_e32 vcc, s5, v16
	s_mov_b32 s15, 0
	s_waitcnt vmcnt(0)
	v_mov_b32_e32 v2, 0
	v_mov_b32_e32 v3, 0
	;; [unrolled: 1-line block ×4, first 2 shown]
	s_and_saveexec_b64 s[6:7], vcc
	s_cbranch_execz .LBB104_64
; %bb.61:                               ;   in Loop: Header=BB104_15 Depth=1
	s_and_b32 s14, s62, 0xfe
	s_mov_b64 s[8:9], 0
	v_mov_b32_e32 v10, v27
	s_mov_b32 s74, 0
	s_mov_b32 s75, 0
	;; [unrolled: 1-line block ×3, first 2 shown]
	v_mov_b32_e32 v38, v16
.LBB104_62:                             ;   Parent Loop BB104_15 Depth=1
                                        ; =>  This Inner Loop Header: Depth=2
	ds_read_b64 v[2:3], v10
	v_add_u32_e32 v38, s79, v38
	v_cmp_le_u32_e32 vcc, s5, v38
	v_add_u32_e32 v10, s73, v10
	s_waitcnt lgkmcnt(0)
	v_cmp_lt_i16_e64 s[18:19], -1, v2
	v_cndmask_b32_e64 v4, v29, v30, s[18:19]
	v_cmp_gt_i16_sdwa s[18:19], v2, v31 src0_sel:WORD_1 src1_sel:DWORD
	v_cndmask_b32_e64 v5, v29, v30, s[18:19]
	v_cmp_lt_i16_e64 s[18:19], -1, v3
	v_cndmask_b32_e64 v39, v29, v30, s[18:19]
	v_cmp_gt_i16_sdwa s[18:19], v3, v31 src0_sel:WORD_1 src1_sel:DWORD
	v_cndmask_b32_e64 v40, v29, v30, s[18:19]
	v_xor_b32_sdwa v39, v39, v3 dst_sel:DWORD dst_unused:UNUSED_PAD src0_sel:DWORD src1_sel:WORD_0
	v_cmp_o_f16_e64 s[20:21], v3, v3
	v_xor_b32_sdwa v40, v40, v3 dst_sel:DWORD dst_unused:UNUSED_PAD src0_sel:DWORD src1_sel:WORD_1
	v_cmp_o_f16_sdwa s[22:23], v3, v3 src0_sel:WORD_1 src1_sel:WORD_1
	v_xor_b32_sdwa v3, v4, v2 dst_sel:DWORD dst_unused:UNUSED_PAD src0_sel:DWORD src1_sel:WORD_0
	v_cmp_o_f16_e64 s[24:25], v2, v2
	v_xor_b32_sdwa v5, v5, v2 dst_sel:DWORD dst_unused:UNUSED_PAD src0_sel:DWORD src1_sel:WORD_1
	v_cmp_o_f16_sdwa s[18:19], v2, v2 src0_sel:WORD_1 src1_sel:WORD_1
	v_cndmask_b32_e64 v2, v29, v3, s[24:25]
	v_cndmask_b32_e64 v3, v29, v5, s[18:19]
	;; [unrolled: 1-line block ×3, first 2 shown]
	v_and_b32_e32 v39, v2, v34
	v_bfe_u32 v2, v2, s14, 2
	v_cndmask_b32_e64 v5, v29, v40, s[22:23]
	v_and_b32_e32 v40, v3, v34
	v_bfe_u32 v3, v3, s14, 2
	v_cmp_eq_u32_e64 s[18:19], v39, v35
	v_cmp_eq_u32_e64 s[26:27], 0, v2
	v_and_b32_e32 v41, v4, v34
	v_bfe_u32 v4, v4, s14, 2
	v_cmp_eq_u32_e64 s[20:21], v40, v35
	v_cmp_eq_u32_e64 s[28:29], 0, v3
	s_and_b64 s[26:27], s[18:19], s[26:27]
	v_and_b32_e32 v42, v5, v34
	v_bfe_u32 v5, v5, s14, 2
	v_cmp_eq_u32_e64 s[22:23], v41, v35
	v_cmp_eq_u32_e64 s[30:31], 0, v4
	;; [unrolled: 1-line block ×5, first 2 shown]
	v_cndmask_b32_e64 v2, 0, 1, s[26:27]
	s_and_b64 s[26:27], s[20:21], s[28:29]
	v_cmp_eq_u32_e64 s[24:25], v42, v35
	v_cmp_eq_u32_e64 s[34:35], 0, v5
	;; [unrolled: 1-line block ×5, first 2 shown]
	v_cndmask_b32_e64 v3, 0, 1, s[26:27]
	s_and_b64 s[26:27], s[22:23], s[30:31]
	v_cmp_eq_u32_e64 s[40:41], 1, v4
	v_cmp_eq_u32_e64 s[48:49], 2, v4
	;; [unrolled: 1-line block ×3, first 2 shown]
	v_cndmask_b32_e64 v4, 0, 1, s[26:27]
	s_and_b64 s[26:27], s[24:25], s[34:35]
	v_cmp_eq_u32_e64 s[42:43], 1, v5
	v_cmp_eq_u32_e64 s[50:51], 2, v5
	;; [unrolled: 1-line block ×3, first 2 shown]
	v_cndmask_b32_e64 v5, 0, 1, s[26:27]
	s_and_b64 s[26:27], s[18:19], s[36:37]
	v_cndmask_b32_e64 v39, 0, 1, s[26:27]
	s_and_b64 s[26:27], s[20:21], s[38:39]
	v_cndmask_b32_e64 v40, 0, 1, s[26:27]
	s_and_b64 s[26:27], s[22:23], s[40:41]
	v_cndmask_b32_e64 v41, 0, 1, s[26:27]
	s_and_b64 s[26:27], s[24:25], s[42:43]
	v_cndmask_b32_e64 v42, 0, 1, s[26:27]
	s_and_b64 s[26:27], s[18:19], s[44:45]
	s_and_b64 s[18:19], s[18:19], s[52:53]
	v_cndmask_b32_e64 v43, 0, 1, s[26:27]
	s_and_b64 s[26:27], s[20:21], s[46:47]
	v_cndmask_b32_e64 v47, 0, 1, s[18:19]
	;; [unrolled: 2-line block ×7, first 2 shown]
	v_cndmask_b32_e64 v50, 0, 1, s[18:19]
	v_cmp_ne_u32_e64 s[18:19], 0, v2
	v_cmp_ne_u32_e64 s[20:21], 0, v3
	;; [unrolled: 1-line block ×11, first 2 shown]
	s_bcnt1_i32_b64 s18, s[18:19]
	s_bcnt1_i32_b64 s19, s[20:21]
	;; [unrolled: 1-line block ×8, first 2 shown]
	v_cmp_ne_u32_e64 s[34:35], 0, v42
	v_cmp_ne_u32_e64 s[40:41], 0, v45
	;; [unrolled: 1-line block ×3, first 2 shown]
	s_bcnt1_i32_b64 s23, s[28:29]
	s_bcnt1_i32_b64 s27, s[38:39]
	;; [unrolled: 1-line block ×3, first 2 shown]
	s_add_i32 s11, s11, s18
	s_add_i32 s18, s75, s22
	;; [unrolled: 1-line block ×4, first 2 shown]
	v_cmp_ne_u32_e64 s[42:43], 0, v46
	v_cmp_ne_u32_e64 s[50:51], 0, v50
	s_bcnt1_i32_b64 s25, s[34:35]
	s_bcnt1_i32_b64 s28, s[40:41]
	;; [unrolled: 1-line block ×3, first 2 shown]
	s_add_i32 s11, s11, s19
	s_add_i32 s18, s18, s23
	;; [unrolled: 1-line block ×4, first 2 shown]
	s_bcnt1_i32_b64 s29, s[42:43]
	s_bcnt1_i32_b64 s35, s[50:51]
	s_add_i32 s11, s11, s20
	s_add_i32 s18, s18, s24
	;; [unrolled: 1-line block ×8, first 2 shown]
	s_or_b64 s[8:9], vcc, s[8:9]
	v_mov_b32_e32 v2, s11
	v_mov_b32_e32 v3, s75
	;; [unrolled: 1-line block ×4, first 2 shown]
	s_andn2_b64 exec, exec, s[8:9]
	s_cbranch_execnz .LBB104_62
; %bb.63:                               ;   in Loop: Header=BB104_15 Depth=1
	s_or_b64 exec, exec, s[8:9]
.LBB104_64:                             ;   in Loop: Header=BB104_15 Depth=1
	s_or_b64 exec, exec, s[6:7]
	v_add_u32_e32 v10, s5, v0
	v_cmp_gt_u32_e32 vcc, s4, v10
	s_and_saveexec_b64 s[6:7], vcc
	s_cbranch_execz .LBB104_68
; %bb.65:                               ;   in Loop: Header=BB104_15 Depth=1
	s_and_b32 s5, s62, 0xfe
	v_lshlrev_b32_e32 v38, 1, v10
	s_mov_b64 s[8:9], 0
.LBB104_66:                             ;   Parent Loop BB104_15 Depth=1
                                        ; =>  This Inner Loop Header: Depth=2
	ds_read_u16 v39, v38
	v_add_u32_e32 v10, s33, v10
	v_cmp_le_u32_e32 vcc, s4, v10
	v_add_u32_e32 v38, s10, v38
	s_waitcnt lgkmcnt(0)
	v_cmp_lt_i16_e64 s[18:19], -1, v39
	v_cndmask_b32_e64 v40, v29, v30, s[18:19]
	v_xor_b32_sdwa v40, v40, v39 dst_sel:DWORD dst_unused:UNUSED_PAD src0_sel:DWORD src1_sel:WORD_0
	v_cmp_o_f16_e64 s[18:19], v39, v39
	v_cndmask_b32_e64 v39, v29, v40, s[18:19]
	v_and_b32_e32 v40, v39, v34
	v_bfe_u32 v39, v39, s5, 2
	v_cmp_eq_u32_e64 s[18:19], v40, v35
	v_cmp_eq_u32_e64 s[20:21], 0, v39
	;; [unrolled: 1-line block ×3, first 2 shown]
	s_and_b64 s[14:15], s[18:19], s[20:21]
	v_cmp_eq_u32_e64 s[24:25], 2, v39
	v_cmp_eq_u32_e64 s[26:27], 3, v39
	v_cndmask_b32_e64 v39, 0, 1, s[14:15]
	s_and_b64 s[14:15], s[18:19], s[22:23]
	v_cndmask_b32_e64 v40, 0, 1, s[14:15]
	s_and_b64 s[14:15], s[18:19], s[24:25]
	;; [unrolled: 2-line block ×3, first 2 shown]
	v_cndmask_b32_e64 v42, 0, 1, s[14:15]
	v_cmp_ne_u32_e64 s[18:19], 0, v39
	v_cmp_ne_u32_e64 s[20:21], 0, v40
	;; [unrolled: 1-line block ×4, first 2 shown]
	s_bcnt1_i32_b64 s11, s[18:19]
	s_bcnt1_i32_b64 s14, s[20:21]
	;; [unrolled: 1-line block ×4, first 2 shown]
	v_add_u32_e32 v2, s11, v2
	v_add_u32_e32 v3, s14, v3
	;; [unrolled: 1-line block ×3, first 2 shown]
	s_or_b64 s[8:9], vcc, s[8:9]
	v_add_u32_e32 v5, s18, v5
	s_andn2_b64 exec, exec, s[8:9]
	s_cbranch_execnz .LBB104_66
; %bb.67:                               ;   in Loop: Header=BB104_15 Depth=1
	s_or_b64 exec, exec, s[8:9]
	s_or_b64 s[16:17], s[16:17], exec
.LBB104_68:                             ;   in Loop: Header=BB104_15 Depth=1
	s_or_b64 exec, exec, s[6:7]
.LBB104_69:                             ;   in Loop: Header=BB104_15 Depth=1
	s_and_saveexec_b64 s[6:7], s[16:17]
	s_or_b64 exec, exec, s[6:7]
	s_lshl_b32 s4, s63, 6
	s_and_saveexec_b64 s[6:7], s[0:1]
	s_cbranch_execz .LBB104_71
; %bb.70:                               ;   in Loop: Header=BB104_15 Depth=1
	v_or_b32_e32 v10, s4, v18
	v_lshlrev_b32_e32 v10, 2, v10
	s_waitcnt vmcnt(0)
	ds_write_b128 v10, v[2:5] offset:3072
.LBB104_71:                             ;   in Loop: Header=BB104_15 Depth=1
	s_or_b64 exec, exec, s[6:7]
	s_waitcnt lgkmcnt(0)
	s_barrier
	s_mov_b64 s[6:7], exec
	v_readlane_b32 s8, v54, 15
	v_readlane_b32 s9, v54, 16
	s_and_b64 s[8:9], s[6:7], s[8:9]
	s_mov_b64 exec, s[8:9]
	s_cbranch_execz .LBB104_85
; %bb.72:                               ;   in Loop: Header=BB104_15 Depth=1
	v_readlane_b32 s8, v54, 19
	v_readlane_b32 s9, v54, 20
	v_add_u32_e32 v4, s4, v1
	s_andn2_b64 vcc, exec, s[8:9]
	s_waitcnt vmcnt(0)
	v_mov_b32_e32 v2, 0
	s_cbranch_vccnz .LBB104_84
; %bb.73:                               ;   in Loop: Header=BB104_15 Depth=1
	v_readlane_b32 s8, v54, 24
	v_readlane_b32 s9, v54, 25
	s_mov_b32 s5, 0
	s_and_b64 vcc, exec, s[8:9]
	v_mov_b32_e32 v2, 0
	s_cbranch_vccz .LBB104_77
; %bb.74:                               ;   in Loop: Header=BB104_15 Depth=1
	v_readlane_b32 s14, v54, 32
	v_readlane_b32 s8, v54, 9
	;; [unrolled: 1-line block ×3, first 2 shown]
	v_lshl_add_u32 v5, v4, 2, v32
	v_readlane_b32 s9, v54, 10
	s_andn2_b64 vcc, exec, s[14:15]
	s_cbranch_vccnz .LBB104_78
; %bb.75:                               ;   in Loop: Header=BB104_15 Depth=1
	v_writelane_b32 v54, s8, 9
	v_writelane_b32 v54, s9, 10
	s_mov_b32 s9, 1
	s_mov_b32 s8, 0
	v_mov_b32_e32 v2, 0
	v_readlane_b32 s5, v54, 34
	v_mov_b32_e32 v3, 0
.LBB104_76:                             ;   Parent Loop BB104_15 Depth=1
                                        ; =>  This Inner Loop Header: Depth=2
	v_lshl_add_u32 v10, s8, 4, v5
	v_lshl_add_u32 v52, s9, 4, v5
	ds_read2_b32 v[38:39], v10 offset1:8
	ds_read2_b32 v[40:41], v52 offset1:8
	ds_read2_b32 v[42:43], v10 offset0:16 offset1:24
	ds_read2_b32 v[44:45], v52 offset0:16 offset1:24
	;; [unrolled: 1-line block ×6, first 2 shown]
	s_waitcnt lgkmcnt(7)
	v_add3_u32 v2, v38, v2, v39
	s_waitcnt lgkmcnt(6)
	v_add3_u32 v3, v40, v3, v41
	;; [unrolled: 2-line block ×3, first 2 shown]
	v_add3_u32 v2, v42, v2, v43
	s_add_i32 s9, s9, 16
	s_add_i32 s8, s8, 16
	s_add_i32 s5, s5, -8
	s_waitcnt lgkmcnt(3)
	v_add3_u32 v2, v46, v2, v47
	s_waitcnt lgkmcnt(2)
	v_add3_u32 v3, v48, v3, v49
	s_cmp_lg_u32 s5, 0
	s_waitcnt lgkmcnt(0)
	v_add3_u32 v3, v52, v3, v53
	v_add3_u32 v2, v50, v2, v51
	s_cbranch_scc1 .LBB104_76
	s_branch .LBB104_79
.LBB104_77:                             ;   in Loop: Header=BB104_15 Depth=1
	s_cbranch_execnz .LBB104_82
	s_branch .LBB104_84
.LBB104_78:                             ;   in Loop: Header=BB104_15 Depth=1
	s_mov_b32 s14, s8
	s_mov_b32 s9, s8
	v_writelane_b32 v54, s14, 9
	v_pk_mov_b32 v[2:3], s[8:9], s[8:9] op_sel:[0,1]
	s_mov_b32 s9, 1
	v_writelane_b32 v54, s15, 10
.LBB104_79:                             ;   in Loop: Header=BB104_15 Depth=1
	v_readlane_b32 s14, v54, 36
	v_readlane_b32 s15, v54, 37
	s_andn2_b64 vcc, exec, s[14:15]
	v_readlane_b32 s5, v54, 35
	s_cbranch_vccnz .LBB104_81
.LBB104_80:                             ;   Parent Loop BB104_15 Depth=1
                                        ; =>  This Inner Loop Header: Depth=2
	v_lshl_add_u32 v10, s8, 4, v5
	v_lshl_add_u32 v38, s9, 4, v5
	ds_read_b32 v38, v38
	ds_read_b32 v10, v10
	s_add_i32 s9, s9, 2
	s_add_i32 s8, s8, 2
	s_add_i32 s5, s5, -1
	s_cmp_lg_u32 s5, 0
	s_waitcnt lgkmcnt(1)
	v_add_u32_e32 v3, v38, v3
	s_waitcnt lgkmcnt(0)
	v_add_u32_e32 v2, v10, v2
	s_cbranch_scc1 .LBB104_80
.LBB104_81:                             ;   in Loop: Header=BB104_15 Depth=1
	v_readlane_b32 s8, v54, 40
	v_add_u32_e32 v2, v2, v3
	v_readlane_b32 s5, v54, 39
	v_readlane_b32 s9, v54, 41
	s_and_b64 vcc, exec, s[8:9]
	s_cbranch_vccz .LBB104_84
.LBB104_82:                             ;   in Loop: Header=BB104_15 Depth=1
	s_lshl_b32 s8, s63, 8
	s_lshl_b32 s9, s5, 4
	s_add_i32 s8, s8, s9
	v_add_u32_e32 v3, s8, v28
	v_readlane_b32 s8, v54, 38
	s_sub_i32 s5, s8, s5
.LBB104_83:                             ;   Parent Loop BB104_15 Depth=1
                                        ; =>  This Inner Loop Header: Depth=2
	ds_read_b32 v5, v3
	s_add_i32 s5, s5, -1
	v_add_u32_e32 v3, 16, v3
	s_cmp_eq_u32 s5, 0
	s_waitcnt lgkmcnt(0)
	v_add_u32_e32 v2, v5, v2
	s_cbranch_scc0 .LBB104_83
.LBB104_84:                             ;   in Loop: Header=BB104_15 Depth=1
	v_lshlrev_b32_e32 v3, 2, v4
	ds_write_b32 v3, v2 offset:3072
.LBB104_85:                             ;   in Loop: Header=BB104_15 Depth=1
	s_or_b64 exec, exec, s[6:7]
	s_lshl_b32 s4, s4, 2
	s_waitcnt vmcnt(0)
	v_mov_b32_e32 v2, s4
	s_waitcnt lgkmcnt(0)
	s_barrier
	ds_read_b128 v[2:5], v2 offset:3072
	s_and_b32 s74, s62, 0xfe
	v_readlane_b32 s6, v54, 13
	s_lshl_b32 s53, 3, s74
	v_readlane_b32 s7, v54, 14
	s_waitcnt lgkmcnt(0)
	v_readfirstlane_b32 s52, v2
	v_readfirstlane_b32 s5, v3
	v_readfirstlane_b32 s75, v4
	v_readfirstlane_b32 s14, v5
	s_not_b32 s4, s53
	s_andn2_b64 vcc, exec, s[6:7]
	v_cmp_eq_u32_e64 s[18:19], 1, v37
	s_cbranch_vccnz .LBB104_98
; %bb.86:                               ;   in Loop: Header=BB104_15 Depth=1
	s_cmp_eq_u32 s52, 1
	s_cselect_b64 s[6:7], -1, 0
	s_and_b64 s[6:7], s[6:7], s[18:19]
	s_mov_b64 s[16:17], -1
	v_mov_b32_e32 v2, v35
	v_mov_b32_e32 v3, v34
	;; [unrolled: 1-line block ×3, first 2 shown]
                                        ; implicit-def: $sgpr22_sgpr23
                                        ; implicit-def: $sgpr28_sgpr29
                                        ; implicit-def: $sgpr26_sgpr27
	s_and_saveexec_b64 s[8:9], s[6:7]
	s_cbranch_execz .LBB104_114
; %bb.87:                               ;   in Loop: Header=BB104_15 Depth=1
	ds_read_b32 v2, v11 offset:4096
	s_waitcnt lgkmcnt(0)
	s_barrier
	v_readfirstlane_b32 s11, v2
	s_mov_b64 s[16:17], exec
	v_readlane_b32 s20, v54, 30
	v_readlane_b32 s21, v54, 31
	s_and_b64 s[20:21], s[16:17], s[20:21]
	s_mov_b64 exec, s[20:21]
	s_cbranch_execz .LBB104_89
; %bb.88:                               ;   in Loop: Header=BB104_15 Depth=1
	ds_write_b16 v20, v11
.LBB104_89:                             ;   in Loop: Header=BB104_15 Depth=1
	s_or_b64 exec, exec, s[16:17]
	v_and_b32_e32 v2, s4, v35
	v_or_b32_e32 v3, s53, v34
	s_cmp_eq_u32 s11, 0
	s_waitcnt lgkmcnt(0)
	s_barrier
	s_cbranch_scc1 .LBB104_100
; %bb.90:                               ;   in Loop: Header=BB104_15 Depth=1
	v_readlane_b32 s15, v54, 21
	s_add_i32 s15, s11, s15
	v_readlane_b32 s16, v54, 47
	s_mul_hi_u32 s16, s15, s16
	s_mul_i32 s16, s16, s33
	s_sub_i32 s16, s15, s16
	s_sub_i32 s17, s16, s33
	s_cmp_ge_u32 s16, s33
	s_cselect_b32 s16, s17, s16
	s_sub_i32 s17, s16, s33
	s_cmp_ge_u32 s16, s33
	s_cselect_b32 s16, s17, s16
	s_sub_i32 s15, s15, s16
	v_cmp_gt_u32_e32 vcc, s15, v0
	s_mov_b64 s[20:21], 0
                                        ; implicit-def: $vgpr4
	s_and_saveexec_b64 s[16:17], vcc
	s_cbranch_execz .LBB104_102
; %bb.91:                               ;   in Loop: Header=BB104_15 Depth=1
	s_mov_b64 s[22:23], 0
	v_mov_b32_e32 v4, v19
	v_mov_b32_e32 v5, v0
                                        ; implicit-def: $sgpr24_sgpr25
	s_branch .LBB104_93
.LBB104_92:                             ;   in Loop: Header=BB104_93 Depth=2
	s_or_b64 exec, exec, s[20:21]
	s_waitcnt lgkmcnt(0)
	s_barrier
	ds_read_b32 v10, v11 offset:3072
	v_add_u32_e32 v5, s33, v5
	v_cmp_le_u32_e64 s[20:21], s15, v5
	v_add_u32_e32 v4, s10, v4
	s_waitcnt lgkmcnt(0)
	v_cmp_neq_f16_e32 vcc, 0, v10
	s_or_b64 s[20:21], s[20:21], vcc
	s_and_b64 s[20:21], exec, s[20:21]
	s_or_b64 s[22:23], s[20:21], s[22:23]
	s_andn2_b64 s[20:21], s[24:25], exec
	s_and_b64 s[24:25], vcc, exec
	s_or_b64 s[24:25], s[20:21], s[24:25]
	s_barrier
	s_andn2_b64 exec, exec, s[22:23]
	s_cbranch_execz .LBB104_101
.LBB104_93:                             ;   Parent Loop BB104_15 Depth=1
                                        ; =>  This Inner Loop Header: Depth=2
	v_cmp_gt_u32_e32 vcc, s11, v5
	v_mov_b32_e32 v10, 0
	s_and_saveexec_b64 s[20:21], vcc
	s_cbranch_execz .LBB104_95
; %bb.94:                               ;   in Loop: Header=BB104_93 Depth=2
	ds_read_u16 v10, v4
.LBB104_95:                             ;   in Loop: Header=BB104_93 Depth=2
	s_or_b64 exec, exec, s[20:21]
	s_and_saveexec_b64 s[20:21], vcc
	s_cbranch_execz .LBB104_92
; %bb.96:                               ;   in Loop: Header=BB104_93 Depth=2
	s_waitcnt lgkmcnt(0)
	v_cmp_lt_i16_e32 vcc, -1, v10
	v_cndmask_b32_e32 v38, v29, v30, vcc
	v_xor_b32_sdwa v38, v38, v10 dst_sel:DWORD dst_unused:UNUSED_PAD src0_sel:DWORD src1_sel:WORD_0
	v_cmp_o_f16_e32 vcc, v10, v10
	v_cndmask_b32_e32 v38, v29, v38, vcc
	v_and_b32_e32 v38, v38, v3
	v_cmp_eq_u32_e32 vcc, v38, v2
	s_and_b64 exec, exec, vcc
	s_cbranch_execz .LBB104_92
; %bb.97:                               ;   in Loop: Header=BB104_93 Depth=2
	s_movk_i32 s26, 0x3c00
	v_perm_b32 v10, v10, s26, v33
	ds_write_b32 v11, v10 offset:3072
	s_branch .LBB104_92
.LBB104_98:                             ;   in Loop: Header=BB104_15 Depth=1
	s_mov_b64 s[24:25], 0
	s_mov_b64 s[20:21], 0
                                        ; implicit-def: $sgpr26_sgpr27
                                        ; implicit-def: $sgpr28_sgpr29
                                        ; implicit-def: $sgpr22_sgpr23
                                        ; implicit-def: $vgpr10
                                        ; implicit-def: $vgpr5
                                        ; implicit-def: $vgpr2
                                        ; implicit-def: $vgpr3
                                        ; implicit-def: $vgpr4
	s_cbranch_execnz .LBB104_250
.LBB104_99:                             ;   in Loop: Header=BB104_15 Depth=1
	s_mov_b64 s[30:31], s[22:23]
	s_mov_b64 s[34:35], s[22:23]
	s_and_saveexec_b64 s[6:7], s[24:25]
	s_cbranch_execnz .LBB104_412
	s_branch .LBB104_413
.LBB104_100:                            ;   in Loop: Header=BB104_15 Depth=1
	s_mov_b64 s[22:23], -1
	s_mov_b64 s[20:21], 0
                                        ; implicit-def: $sgpr26_sgpr27
                                        ; implicit-def: $vgpr4
	s_mov_b64 s[28:29], s[22:23]
	s_cbranch_execnz .LBB104_103
	s_branch .LBB104_113
.LBB104_101:                            ;   in Loop: Header=BB104_15 Depth=1
	s_or_b64 exec, exec, s[22:23]
	v_lshrrev_b32_e32 v4, 16, v10
	s_and_b64 s[20:21], s[24:25], exec
.LBB104_102:                            ;   in Loop: Header=BB104_15 Depth=1
	s_or_b64 exec, exec, s[16:17]
	s_mov_b64 s[26:27], -1
	s_mov_b64 s[22:23], 0
	s_mov_b64 s[28:29], s[22:23]
	s_branch .LBB104_113
.LBB104_103:                            ;   in Loop: Header=BB104_15 Depth=1
	s_mov_b64 s[20:21], 0
                                        ; implicit-def: $vgpr4
	s_mov_b64 s[16:17], exec
	v_readlane_b32 s22, v54, 48
	v_readlane_b32 s23, v54, 49
	s_and_b64 s[22:23], s[16:17], s[22:23]
	s_mov_b64 exec, s[22:23]
	s_cbranch_execz .LBB104_112
; %bb.104:                              ;   in Loop: Header=BB104_15 Depth=1
	s_mov_b64 s[22:23], 0
	v_mov_b32_e32 v10, v12
	v_mov_b32_e32 v4, v0
                                        ; implicit-def: $sgpr24_sgpr25
	s_branch .LBB104_106
.LBB104_105:                            ;   in Loop: Header=BB104_106 Depth=2
	s_or_b64 exec, exec, s[20:21]
	s_waitcnt lgkmcnt(0)
	s_barrier
	s_waitcnt vmcnt(0)
	ds_read_b32 v5, v11 offset:3072
	v_add_u32_e32 v4, s33, v4
	v_cmp_le_u32_e64 s[20:21], s12, v4
	v_add_u32_e32 v10, s76, v10
	s_waitcnt lgkmcnt(0)
	v_cmp_neq_f16_e32 vcc, 0, v5
	s_or_b64 s[20:21], s[20:21], vcc
	s_and_b64 s[20:21], exec, s[20:21]
	s_or_b64 s[22:23], s[20:21], s[22:23]
	s_andn2_b64 s[20:21], s[24:25], exec
	s_and_b64 s[24:25], vcc, exec
	s_or_b64 s[24:25], s[20:21], s[24:25]
	s_barrier
	s_andn2_b64 exec, exec, s[22:23]
	s_cbranch_execz .LBB104_111
.LBB104_106:                            ;   Parent Loop BB104_15 Depth=1
                                        ; =>  This Inner Loop Header: Depth=2
	v_cmp_gt_u32_e32 vcc, s60, v4
	v_mov_b32_e32 v5, 0
	s_and_saveexec_b64 s[26:27], vcc
	s_cbranch_execz .LBB104_108
; %bb.107:                              ;   in Loop: Header=BB104_106 Depth=2
	v_lshlrev_b64 v[38:39], 1, v[10:11]
	v_mov_b32_e32 v5, s66
	v_add_co_u32_e64 v38, s[20:21], s64, v38
	v_addc_co_u32_e64 v39, s[20:21], v5, v39, s[20:21]
	global_load_ushort v5, v[38:39], off
.LBB104_108:                            ;   in Loop: Header=BB104_106 Depth=2
	s_or_b64 exec, exec, s[26:27]
	s_and_saveexec_b64 s[20:21], vcc
	s_cbranch_execz .LBB104_105
; %bb.109:                              ;   in Loop: Header=BB104_106 Depth=2
	s_waitcnt vmcnt(0)
	v_cmp_lt_i16_e32 vcc, -1, v5
	v_cndmask_b32_e32 v38, v29, v30, vcc
	v_xor_b32_sdwa v38, v38, v5 dst_sel:DWORD dst_unused:UNUSED_PAD src0_sel:DWORD src1_sel:WORD_0
	v_cmp_o_f16_e32 vcc, v5, v5
	v_cndmask_b32_e32 v38, v29, v38, vcc
	v_and_b32_e32 v38, v38, v3
	v_cmp_eq_u32_e32 vcc, v38, v2
	s_and_b64 exec, exec, vcc
	s_cbranch_execz .LBB104_105
; %bb.110:                              ;   in Loop: Header=BB104_106 Depth=2
	s_movk_i32 s11, 0x3c00
	v_perm_b32 v5, v5, s11, v33
	ds_write_b32 v11, v5 offset:3072
	s_branch .LBB104_105
.LBB104_111:                            ;   in Loop: Header=BB104_15 Depth=1
	s_or_b64 exec, exec, s[22:23]
	v_lshrrev_b32_e32 v4, 16, v5
	s_and_b64 s[20:21], s[24:25], exec
.LBB104_112:                            ;   in Loop: Header=BB104_15 Depth=1
	s_or_b64 exec, exec, s[16:17]
	s_mov_b64 s[28:29], -1
	s_mov_b64 s[22:23], 0
	s_mov_b64 s[26:27], 0
.LBB104_113:                            ;   in Loop: Header=BB104_15 Depth=1
	s_orn2_b64 s[16:17], s[20:21], exec
.LBB104_114:                            ;   in Loop: Header=BB104_15 Depth=1
	s_or_b64 exec, exec, s[8:9]
	s_mov_b64 s[30:31], 0
	s_mov_b64 s[24:25], 0
	;; [unrolled: 1-line block ×3, first 2 shown]
                                        ; implicit-def: $vgpr10
                                        ; implicit-def: $vgpr5
	s_and_saveexec_b64 s[34:35], s[16:17]
	s_cbranch_execz .LBB104_249
; %bb.115:                              ;   in Loop: Header=BB104_15 Depth=1
	s_xor_b64 s[8:9], s[6:7], -1
	v_mov_b32_e32 v5, 1
	v_mov_b32_e32 v10, 1
	s_and_saveexec_b64 s[6:7], s[8:9]
	s_cbranch_execz .LBB104_125
; %bb.116:                              ;   in Loop: Header=BB104_15 Depth=1
	v_cmp_ge_u32_e32 vcc, s52, v37
                                        ; implicit-def: $sgpr11
                                        ; implicit-def: $sgpr8_sgpr9
	s_and_saveexec_b64 s[16:17], vcc
	s_xor_b64 s[16:17], exec, s[16:17]
	s_cbranch_execz .LBB104_122
; %bb.117:                              ;   in Loop: Header=BB104_15 Depth=1
	ds_read_b32 v5, v11 offset:4096
	s_waitcnt lgkmcnt(0)
	v_cmp_ne_u32_e32 vcc, 0, v5
	s_cbranch_vccnz .LBB104_121
; %bb.118:                              ;   in Loop: Header=BB104_15 Depth=1
	s_mov_b64 s[8:9], exec
	v_readlane_b32 s20, v54, 6
	v_readlane_b32 s21, v54, 7
	s_and_b64 s[20:21], s[8:9], s[20:21]
	s_mov_b64 exec, s[20:21]
	s_cbranch_execz .LBB104_120
; %bb.119:                              ;   in Loop: Header=BB104_15 Depth=1
	v_mov_b32_e32 v5, s52
	ds_write_b32 v11, v5 offset:4100
.LBB104_120:                            ;   in Loop: Header=BB104_15 Depth=1
	s_or_b64 exec, exec, s[8:9]
	s_waitcnt lgkmcnt(0)
	s_barrier
.LBB104_121:                            ;   in Loop: Header=BB104_15 Depth=1
	v_and_b32_e32 v2, s4, v2
	v_or_b32_e32 v3, s53, v3
	s_mov_b64 s[8:9], 0
	s_mov_b32 s11, 8
.LBB104_122:                            ;   in Loop: Header=BB104_15 Depth=1
	s_or_saveexec_b64 s[16:17], s[16:17]
	v_mov_b32_e32 v10, s11
	v_mov_b32_e32 v5, v37
	s_xor_b64 exec, exec, s[16:17]
; %bb.123:                              ;   in Loop: Header=BB104_15 Depth=1
	v_subrev_u32_e32 v5, s52, v37
	v_mov_b32_e32 v10, 0
	s_or_b64 s[8:9], s[8:9], exec
; %bb.124:                              ;   in Loop: Header=BB104_15 Depth=1
	s_or_b64 exec, exec, s[16:17]
	s_and_b64 s[20:21], s[8:9], exec
.LBB104_125:                            ;   in Loop: Header=BB104_15 Depth=1
	s_or_b64 exec, exec, s[6:7]
	s_mov_b64 s[36:37], -1
                                        ; implicit-def: $sgpr6_sgpr7
                                        ; implicit-def: $sgpr8_sgpr9
                                        ; implicit-def: $sgpr16_sgpr17
	s_and_saveexec_b64 s[24:25], s[20:21]
	s_xor_b64 s[24:25], exec, s[24:25]
	s_cbranch_execz .LBB104_246
; %bb.126:                              ;   in Loop: Header=BB104_15 Depth=1
	s_cmp_eq_u32 s5, 1
	s_cselect_b64 s[6:7], -1, 0
	v_cmp_eq_u32_e32 vcc, 1, v5
	s_and_b64 s[6:7], s[6:7], vcc
	s_mov_b64 s[16:17], -1
                                        ; implicit-def: $sgpr36_sgpr37
                                        ; implicit-def: $sgpr40_sgpr41
                                        ; implicit-def: $sgpr38_sgpr39
	s_and_saveexec_b64 s[8:9], s[6:7]
	s_cbranch_execz .LBB104_152
; %bb.127:                              ;   in Loop: Header=BB104_15 Depth=1
	ds_read_b32 v4, v11 offset:4096
	s_waitcnt lgkmcnt(0)
	s_barrier
	v_readfirstlane_b32 s11, v4
	s_mov_b64 s[16:17], exec
	v_readlane_b32 s20, v54, 30
	v_readlane_b32 s21, v54, 31
	s_and_b64 s[20:21], s[16:17], s[20:21]
	s_mov_b64 exec, s[20:21]
	s_cbranch_execz .LBB104_129
; %bb.128:                              ;   in Loop: Header=BB104_15 Depth=1
	ds_write_b16 v20, v11
.LBB104_129:                            ;   in Loop: Header=BB104_15 Depth=1
	s_or_b64 exec, exec, s[16:17]
	v_and_b32_e32 v2, s4, v2
	v_lshl_or_b32 v2, 1, s74, v2
	v_or_b32_e32 v3, s53, v3
	s_cmp_eq_u32 s11, 0
	s_waitcnt lgkmcnt(0)
	s_barrier
	s_cbranch_scc1 .LBB104_138
; %bb.130:                              ;   in Loop: Header=BB104_15 Depth=1
	v_readlane_b32 s15, v54, 21
	s_add_i32 s15, s11, s15
	v_readlane_b32 s16, v54, 47
	s_mul_hi_u32 s16, s15, s16
	s_mul_i32 s16, s16, s33
	s_sub_i32 s16, s15, s16
	s_sub_i32 s17, s16, s33
	s_cmp_ge_u32 s16, s33
	s_cselect_b32 s16, s17, s16
	s_sub_i32 s17, s16, s33
	s_cmp_ge_u32 s16, s33
	s_cselect_b32 s16, s17, s16
	s_sub_i32 s15, s15, s16
	v_cmp_gt_u32_e32 vcc, s15, v0
	s_mov_b64 s[20:21], 0
                                        ; implicit-def: $vgpr4
	s_and_saveexec_b64 s[16:17], vcc
	s_cbranch_execz .LBB104_140
; %bb.131:                              ;   in Loop: Header=BB104_15 Depth=1
	s_mov_b64 s[36:37], 0
	v_mov_b32_e32 v4, v19
	v_mov_b32_e32 v10, v0
                                        ; implicit-def: $sgpr38_sgpr39
	s_branch .LBB104_133
.LBB104_132:                            ;   in Loop: Header=BB104_133 Depth=2
	s_or_b64 exec, exec, s[20:21]
	s_waitcnt lgkmcnt(0)
	s_barrier
	ds_read_b32 v38, v11 offset:3072
	v_add_u32_e32 v10, s33, v10
	v_cmp_le_u32_e64 s[20:21], s15, v10
	v_add_u32_e32 v4, s10, v4
	s_waitcnt lgkmcnt(0)
	v_cmp_neq_f16_e32 vcc, 0, v38
	s_or_b64 s[20:21], s[20:21], vcc
	s_and_b64 s[20:21], exec, s[20:21]
	s_or_b64 s[36:37], s[20:21], s[36:37]
	s_andn2_b64 s[20:21], s[38:39], exec
	s_and_b64 s[38:39], vcc, exec
	s_or_b64 s[38:39], s[20:21], s[38:39]
	s_barrier
	s_andn2_b64 exec, exec, s[36:37]
	s_cbranch_execz .LBB104_139
.LBB104_133:                            ;   Parent Loop BB104_15 Depth=1
                                        ; =>  This Inner Loop Header: Depth=2
	v_cmp_gt_u32_e32 vcc, s11, v10
	v_mov_b32_e32 v38, 0
	s_and_saveexec_b64 s[20:21], vcc
	s_cbranch_execz .LBB104_135
; %bb.134:                              ;   in Loop: Header=BB104_133 Depth=2
	ds_read_u16 v38, v4
.LBB104_135:                            ;   in Loop: Header=BB104_133 Depth=2
	s_or_b64 exec, exec, s[20:21]
	s_and_saveexec_b64 s[20:21], vcc
	s_cbranch_execz .LBB104_132
; %bb.136:                              ;   in Loop: Header=BB104_133 Depth=2
	s_waitcnt lgkmcnt(0)
	v_cmp_lt_i16_e32 vcc, -1, v38
	v_cndmask_b32_e32 v39, v29, v30, vcc
	v_xor_b32_sdwa v39, v39, v38 dst_sel:DWORD dst_unused:UNUSED_PAD src0_sel:DWORD src1_sel:WORD_0
	v_cmp_o_f16_e32 vcc, v38, v38
	v_cndmask_b32_e32 v39, v29, v39, vcc
	v_and_b32_e32 v39, v39, v3
	v_cmp_eq_u32_e32 vcc, v39, v2
	s_and_b64 exec, exec, vcc
	s_cbranch_execz .LBB104_132
; %bb.137:                              ;   in Loop: Header=BB104_133 Depth=2
	s_movk_i32 s40, 0x3c00
	v_perm_b32 v38, v38, s40, v33
	ds_write_b32 v11, v38 offset:3072
	s_branch .LBB104_132
.LBB104_138:                            ;   in Loop: Header=BB104_15 Depth=1
	s_mov_b64 s[36:37], -1
	s_mov_b64 s[20:21], 0
                                        ; implicit-def: $sgpr38_sgpr39
                                        ; implicit-def: $vgpr4
	s_mov_b64 s[40:41], s[36:37]
	s_cbranch_execnz .LBB104_141
	s_branch .LBB104_151
.LBB104_139:                            ;   in Loop: Header=BB104_15 Depth=1
	s_or_b64 exec, exec, s[36:37]
	v_lshrrev_b32_e32 v4, 16, v38
	s_and_b64 s[20:21], s[38:39], exec
.LBB104_140:                            ;   in Loop: Header=BB104_15 Depth=1
	s_or_b64 exec, exec, s[16:17]
	s_mov_b64 s[38:39], -1
	s_mov_b64 s[36:37], 0
	s_mov_b64 s[40:41], s[36:37]
	s_branch .LBB104_151
.LBB104_141:                            ;   in Loop: Header=BB104_15 Depth=1
	s_mov_b64 s[20:21], 0
                                        ; implicit-def: $vgpr4
	s_mov_b64 s[16:17], exec
	v_readlane_b32 s36, v54, 48
	v_readlane_b32 s37, v54, 49
	s_and_b64 s[36:37], s[16:17], s[36:37]
	s_mov_b64 exec, s[36:37]
	s_cbranch_execz .LBB104_150
; %bb.142:                              ;   in Loop: Header=BB104_15 Depth=1
	s_mov_b64 s[36:37], 0
	v_mov_b32_e32 v10, v12
	v_mov_b32_e32 v4, v0
                                        ; implicit-def: $sgpr38_sgpr39
	s_branch .LBB104_144
.LBB104_143:                            ;   in Loop: Header=BB104_144 Depth=2
	s_or_b64 exec, exec, s[20:21]
	s_waitcnt lgkmcnt(0)
	s_barrier
	s_waitcnt vmcnt(0)
	ds_read_b32 v38, v11 offset:3072
	v_add_u32_e32 v4, s33, v4
	v_cmp_le_u32_e64 s[20:21], s12, v4
	v_add_u32_e32 v10, s76, v10
	s_waitcnt lgkmcnt(0)
	v_cmp_neq_f16_e32 vcc, 0, v38
	s_or_b64 s[20:21], s[20:21], vcc
	s_and_b64 s[20:21], exec, s[20:21]
	s_or_b64 s[36:37], s[20:21], s[36:37]
	s_andn2_b64 s[20:21], s[38:39], exec
	s_and_b64 s[38:39], vcc, exec
	s_or_b64 s[38:39], s[20:21], s[38:39]
	s_barrier
	s_andn2_b64 exec, exec, s[36:37]
	s_cbranch_execz .LBB104_149
.LBB104_144:                            ;   Parent Loop BB104_15 Depth=1
                                        ; =>  This Inner Loop Header: Depth=2
	v_cmp_gt_u32_e32 vcc, s60, v4
	v_mov_b32_e32 v38, 0
	s_and_saveexec_b64 s[40:41], vcc
	s_cbranch_execz .LBB104_146
; %bb.145:                              ;   in Loop: Header=BB104_144 Depth=2
	v_lshlrev_b64 v[38:39], 1, v[10:11]
	v_mov_b32_e32 v40, s66
	v_add_co_u32_e64 v38, s[20:21], s64, v38
	v_addc_co_u32_e64 v39, s[20:21], v40, v39, s[20:21]
	global_load_ushort v38, v[38:39], off
.LBB104_146:                            ;   in Loop: Header=BB104_144 Depth=2
	s_or_b64 exec, exec, s[40:41]
	s_and_saveexec_b64 s[20:21], vcc
	s_cbranch_execz .LBB104_143
; %bb.147:                              ;   in Loop: Header=BB104_144 Depth=2
	s_waitcnt vmcnt(0)
	v_cmp_lt_i16_e32 vcc, -1, v38
	v_cndmask_b32_e32 v39, v29, v30, vcc
	v_xor_b32_sdwa v39, v39, v38 dst_sel:DWORD dst_unused:UNUSED_PAD src0_sel:DWORD src1_sel:WORD_0
	v_cmp_o_f16_e32 vcc, v38, v38
	v_cndmask_b32_e32 v39, v29, v39, vcc
	v_and_b32_e32 v39, v39, v3
	v_cmp_eq_u32_e32 vcc, v39, v2
	s_and_b64 exec, exec, vcc
	s_cbranch_execz .LBB104_143
; %bb.148:                              ;   in Loop: Header=BB104_144 Depth=2
	s_movk_i32 s11, 0x3c00
	v_perm_b32 v38, v38, s11, v33
	ds_write_b32 v11, v38 offset:3072
	s_branch .LBB104_143
.LBB104_149:                            ;   in Loop: Header=BB104_15 Depth=1
	s_or_b64 exec, exec, s[36:37]
	v_lshrrev_b32_e32 v4, 16, v38
	s_and_b64 s[20:21], s[38:39], exec
.LBB104_150:                            ;   in Loop: Header=BB104_15 Depth=1
	s_or_b64 exec, exec, s[16:17]
	s_mov_b64 s[40:41], -1
	s_mov_b64 s[36:37], 0
	s_mov_b64 s[38:39], 0
.LBB104_151:                            ;   in Loop: Header=BB104_15 Depth=1
	s_orn2_b64 s[16:17], s[20:21], exec
.LBB104_152:                            ;   in Loop: Header=BB104_15 Depth=1
	s_or_b64 exec, exec, s[8:9]
	s_mov_b64 s[20:21], 0
                                        ; implicit-def: $vgpr10
	s_and_saveexec_b64 s[42:43], s[16:17]
	s_cbranch_execz .LBB104_245
; %bb.153:                              ;   in Loop: Header=BB104_15 Depth=1
	s_xor_b64 s[8:9], s[6:7], -1
	s_mov_b64 s[16:17], 0
	v_mov_b32_e32 v38, 1
	v_mov_b32_e32 v10, 1
	s_and_saveexec_b64 s[6:7], s[8:9]
	s_cbranch_execz .LBB104_163
; %bb.154:                              ;   in Loop: Header=BB104_15 Depth=1
	v_cmp_ge_u32_e32 vcc, s5, v5
                                        ; implicit-def: $sgpr11
                                        ; implicit-def: $sgpr8_sgpr9
	s_and_saveexec_b64 s[16:17], vcc
	s_xor_b64 s[16:17], exec, s[16:17]
	s_cbranch_execz .LBB104_160
; %bb.155:                              ;   in Loop: Header=BB104_15 Depth=1
	ds_read_b32 v10, v11 offset:4096
	s_waitcnt lgkmcnt(0)
	v_cmp_ne_u32_e32 vcc, 0, v10
	s_cbranch_vccnz .LBB104_159
; %bb.156:                              ;   in Loop: Header=BB104_15 Depth=1
	s_mov_b64 s[8:9], exec
	v_readlane_b32 s20, v54, 6
	v_readlane_b32 s21, v54, 7
	s_and_b64 s[20:21], s[8:9], s[20:21]
	s_mov_b64 exec, s[20:21]
	s_cbranch_execz .LBB104_158
; %bb.157:                              ;   in Loop: Header=BB104_15 Depth=1
	v_mov_b32_e32 v10, s5
	ds_write_b32 v11, v10 offset:4100
.LBB104_158:                            ;   in Loop: Header=BB104_15 Depth=1
	s_or_b64 exec, exec, s[8:9]
	s_waitcnt lgkmcnt(0)
	s_barrier
.LBB104_159:                            ;   in Loop: Header=BB104_15 Depth=1
	v_and_b32_e32 v2, s4, v2
	v_lshl_or_b32 v2, 1, s74, v2
	v_or_b32_e32 v3, s53, v3
	s_mov_b64 s[8:9], 0
	s_mov_b32 s11, 8
.LBB104_160:                            ;   in Loop: Header=BB104_15 Depth=1
	s_or_saveexec_b64 s[16:17], s[16:17]
	v_mov_b32_e32 v10, s11
	s_xor_b64 exec, exec, s[16:17]
; %bb.161:                              ;   in Loop: Header=BB104_15 Depth=1
	v_subrev_u32_e32 v5, s5, v5
	v_mov_b32_e32 v10, 0
	s_or_b64 s[8:9], s[8:9], exec
; %bb.162:                              ;   in Loop: Header=BB104_15 Depth=1
	s_or_b64 exec, exec, s[16:17]
	s_and_b64 s[16:17], s[8:9], exec
	v_mov_b32_e32 v38, v5
.LBB104_163:                            ;   in Loop: Header=BB104_15 Depth=1
	s_or_b64 exec, exec, s[6:7]
	s_mov_b64 s[6:7], -1
                                        ; implicit-def: $sgpr8_sgpr9
                                        ; implicit-def: $sgpr20_sgpr21
                                        ; implicit-def: $sgpr46_sgpr47
	s_and_saveexec_b64 s[44:45], s[16:17]
	s_cbranch_execz .LBB104_244
; %bb.164:                              ;   in Loop: Header=BB104_15 Depth=1
	s_cmp_eq_u32 s75, 1
	s_cselect_b64 s[6:7], -1, 0
	v_cmp_eq_u32_e32 vcc, 1, v38
	s_and_b64 s[6:7], s[6:7], vcc
	s_mov_b64 s[20:21], -1
                                        ; implicit-def: $sgpr46_sgpr47
                                        ; implicit-def: $sgpr50_sgpr51
                                        ; implicit-def: $sgpr8_sgpr9
                                        ; kill: killed $sgpr8_sgpr9
	s_and_saveexec_b64 s[8:9], s[6:7]
	s_cbranch_execz .LBB104_190
; %bb.165:                              ;   in Loop: Header=BB104_15 Depth=1
	ds_read_b32 v4, v11 offset:4096
	s_waitcnt lgkmcnt(0)
	s_barrier
	v_readfirstlane_b32 s11, v4
	s_mov_b64 s[16:17], exec
	v_readlane_b32 s20, v54, 30
	v_readlane_b32 s21, v54, 31
	s_and_b64 s[20:21], s[16:17], s[20:21]
	s_mov_b64 exec, s[20:21]
	s_cbranch_execz .LBB104_167
; %bb.166:                              ;   in Loop: Header=BB104_15 Depth=1
	ds_write_b16 v20, v11
.LBB104_167:                            ;   in Loop: Header=BB104_15 Depth=1
	s_or_b64 exec, exec, s[16:17]
	v_and_b32_e32 v2, s4, v2
	v_lshl_or_b32 v2, 2, s74, v2
	v_or_b32_e32 v3, s53, v3
	s_cmp_eq_u32 s11, 0
	s_waitcnt lgkmcnt(0)
	s_barrier
	s_cbranch_scc1 .LBB104_176
; %bb.168:                              ;   in Loop: Header=BB104_15 Depth=1
	v_readlane_b32 s15, v54, 21
	s_add_i32 s15, s11, s15
	v_readlane_b32 s16, v54, 47
	s_mul_hi_u32 s16, s15, s16
	s_mul_i32 s16, s16, s33
	s_sub_i32 s16, s15, s16
	s_sub_i32 s17, s16, s33
	s_cmp_ge_u32 s16, s33
	s_cselect_b32 s16, s17, s16
	s_sub_i32 s17, s16, s33
	s_cmp_ge_u32 s16, s33
	s_cselect_b32 s16, s17, s16
	s_sub_i32 s15, s15, s16
	v_cmp_gt_u32_e32 vcc, s15, v0
	s_mov_b64 s[20:21], 0
                                        ; implicit-def: $vgpr4
	s_and_saveexec_b64 s[16:17], vcc
	s_cbranch_execz .LBB104_178
; %bb.169:                              ;   in Loop: Header=BB104_15 Depth=1
	s_mov_b64 s[46:47], 0
	v_mov_b32_e32 v4, v19
	v_mov_b32_e32 v5, v0
                                        ; implicit-def: $sgpr48_sgpr49
	s_branch .LBB104_171
.LBB104_170:                            ;   in Loop: Header=BB104_171 Depth=2
	s_or_b64 exec, exec, s[20:21]
	s_waitcnt lgkmcnt(0)
	s_barrier
	ds_read_b32 v10, v11 offset:3072
	v_add_u32_e32 v5, s33, v5
	v_cmp_le_u32_e64 s[20:21], s15, v5
	v_add_u32_e32 v4, s10, v4
	s_waitcnt lgkmcnt(0)
	v_cmp_neq_f16_e32 vcc, 0, v10
	s_or_b64 s[20:21], s[20:21], vcc
	s_and_b64 s[20:21], exec, s[20:21]
	s_or_b64 s[46:47], s[20:21], s[46:47]
	s_andn2_b64 s[20:21], s[48:49], exec
	s_and_b64 s[48:49], vcc, exec
	s_or_b64 s[48:49], s[20:21], s[48:49]
	s_barrier
	s_andn2_b64 exec, exec, s[46:47]
	s_cbranch_execz .LBB104_177
.LBB104_171:                            ;   Parent Loop BB104_15 Depth=1
                                        ; =>  This Inner Loop Header: Depth=2
	v_cmp_gt_u32_e32 vcc, s11, v5
	v_mov_b32_e32 v10, 0
	s_and_saveexec_b64 s[20:21], vcc
	s_cbranch_execz .LBB104_173
; %bb.172:                              ;   in Loop: Header=BB104_171 Depth=2
	ds_read_u16 v10, v4
.LBB104_173:                            ;   in Loop: Header=BB104_171 Depth=2
	s_or_b64 exec, exec, s[20:21]
	s_and_saveexec_b64 s[20:21], vcc
	s_cbranch_execz .LBB104_170
; %bb.174:                              ;   in Loop: Header=BB104_171 Depth=2
	s_waitcnt lgkmcnt(0)
	v_cmp_lt_i16_e32 vcc, -1, v10
	v_cndmask_b32_e32 v39, v29, v30, vcc
	v_xor_b32_sdwa v39, v39, v10 dst_sel:DWORD dst_unused:UNUSED_PAD src0_sel:DWORD src1_sel:WORD_0
	v_cmp_o_f16_e32 vcc, v10, v10
	v_cndmask_b32_e32 v39, v29, v39, vcc
	v_and_b32_e32 v39, v39, v3
	v_cmp_eq_u32_e32 vcc, v39, v2
	s_and_b64 exec, exec, vcc
	s_cbranch_execz .LBB104_170
; %bb.175:                              ;   in Loop: Header=BB104_171 Depth=2
	s_movk_i32 s50, 0x3c00
	v_perm_b32 v10, v10, s50, v33
	ds_write_b32 v11, v10 offset:3072
	s_branch .LBB104_170
.LBB104_176:                            ;   in Loop: Header=BB104_15 Depth=1
	s_mov_b64 s[46:47], -1
	s_mov_b64 s[20:21], 0
                                        ; implicit-def: $sgpr16_sgpr17
                                        ; implicit-def: $vgpr4
	s_mov_b64 s[50:51], s[46:47]
	s_cbranch_execnz .LBB104_179
	s_branch .LBB104_189
.LBB104_177:                            ;   in Loop: Header=BB104_15 Depth=1
	s_or_b64 exec, exec, s[46:47]
	v_lshrrev_b32_e32 v4, 16, v10
	s_and_b64 s[20:21], s[48:49], exec
.LBB104_178:                            ;   in Loop: Header=BB104_15 Depth=1
	s_or_b64 exec, exec, s[16:17]
	s_mov_b64 s[16:17], -1
	s_mov_b64 s[46:47], 0
	s_mov_b64 s[50:51], s[46:47]
	s_branch .LBB104_189
.LBB104_179:                            ;   in Loop: Header=BB104_15 Depth=1
	s_mov_b64 s[20:21], 0
                                        ; implicit-def: $vgpr4
	s_mov_b64 s[16:17], exec
	v_readlane_b32 s46, v54, 48
	v_readlane_b32 s47, v54, 49
	s_and_b64 s[46:47], s[16:17], s[46:47]
	s_mov_b64 exec, s[46:47]
	s_cbranch_execz .LBB104_188
; %bb.180:                              ;   in Loop: Header=BB104_15 Depth=1
	s_mov_b64 s[46:47], 0
	v_mov_b32_e32 v10, v12
	v_mov_b32_e32 v4, v0
                                        ; implicit-def: $sgpr48_sgpr49
	s_branch .LBB104_182
.LBB104_181:                            ;   in Loop: Header=BB104_182 Depth=2
	s_or_b64 exec, exec, s[20:21]
	s_waitcnt lgkmcnt(0)
	s_barrier
	s_waitcnt vmcnt(0)
	ds_read_b32 v5, v11 offset:3072
	v_add_u32_e32 v4, s33, v4
	v_cmp_le_u32_e64 s[20:21], s12, v4
	v_add_u32_e32 v10, s76, v10
	s_waitcnt lgkmcnt(0)
	v_cmp_neq_f16_e32 vcc, 0, v5
	s_or_b64 s[20:21], s[20:21], vcc
	s_and_b64 s[20:21], exec, s[20:21]
	s_or_b64 s[46:47], s[20:21], s[46:47]
	s_andn2_b64 s[20:21], s[48:49], exec
	s_and_b64 s[48:49], vcc, exec
	s_or_b64 s[48:49], s[20:21], s[48:49]
	s_barrier
	s_andn2_b64 exec, exec, s[46:47]
	s_cbranch_execz .LBB104_187
.LBB104_182:                            ;   Parent Loop BB104_15 Depth=1
                                        ; =>  This Inner Loop Header: Depth=2
	v_cmp_gt_u32_e32 vcc, s60, v4
	v_mov_b32_e32 v5, 0
	s_and_saveexec_b64 s[50:51], vcc
	s_cbranch_execz .LBB104_184
; %bb.183:                              ;   in Loop: Header=BB104_182 Depth=2
	v_lshlrev_b64 v[40:41], 1, v[10:11]
	v_mov_b32_e32 v5, s66
	v_add_co_u32_e64 v40, s[20:21], s64, v40
	v_addc_co_u32_e64 v41, s[20:21], v5, v41, s[20:21]
	global_load_ushort v5, v[40:41], off
.LBB104_184:                            ;   in Loop: Header=BB104_182 Depth=2
	s_or_b64 exec, exec, s[50:51]
	s_and_saveexec_b64 s[20:21], vcc
	s_cbranch_execz .LBB104_181
; %bb.185:                              ;   in Loop: Header=BB104_182 Depth=2
	s_waitcnt vmcnt(0)
	v_cmp_lt_i16_e32 vcc, -1, v5
	v_cndmask_b32_e32 v39, v29, v30, vcc
	v_xor_b32_sdwa v39, v39, v5 dst_sel:DWORD dst_unused:UNUSED_PAD src0_sel:DWORD src1_sel:WORD_0
	v_cmp_o_f16_e32 vcc, v5, v5
	v_cndmask_b32_e32 v39, v29, v39, vcc
	v_and_b32_e32 v39, v39, v3
	v_cmp_eq_u32_e32 vcc, v39, v2
	s_and_b64 exec, exec, vcc
	s_cbranch_execz .LBB104_181
; %bb.186:                              ;   in Loop: Header=BB104_182 Depth=2
	s_movk_i32 s11, 0x3c00
	v_perm_b32 v5, v5, s11, v33
	ds_write_b32 v11, v5 offset:3072
	s_branch .LBB104_181
.LBB104_187:                            ;   in Loop: Header=BB104_15 Depth=1
	s_or_b64 exec, exec, s[46:47]
	v_lshrrev_b32_e32 v4, 16, v5
	s_and_b64 s[20:21], s[48:49], exec
.LBB104_188:                            ;   in Loop: Header=BB104_15 Depth=1
	s_or_b64 exec, exec, s[16:17]
	s_mov_b64 s[50:51], -1
	s_mov_b64 s[46:47], 0
	s_mov_b64 s[16:17], 0
.LBB104_189:                            ;   in Loop: Header=BB104_15 Depth=1
	v_writelane_b32 v54, s16, 52
	s_orn2_b64 s[20:21], s[20:21], exec
	v_writelane_b32 v54, s17, 53
.LBB104_190:                            ;   in Loop: Header=BB104_15 Depth=1
	s_or_b64 exec, exec, s[8:9]
	s_mov_b64 s[16:17], 0
                                        ; implicit-def: $vgpr10
	s_and_saveexec_b64 s[48:49], s[20:21]
	s_cbranch_execz .LBB104_243
; %bb.191:                              ;   in Loop: Header=BB104_15 Depth=1
	s_xor_b64 s[16:17], s[6:7], -1
	s_mov_b64 s[8:9], 0
	v_mov_b32_e32 v5, 1
	v_mov_b32_e32 v10, 1
	s_and_saveexec_b64 s[6:7], s[16:17]
	s_cbranch_execz .LBB104_201
; %bb.192:                              ;   in Loop: Header=BB104_15 Depth=1
	v_cmp_ge_u32_e32 vcc, s75, v38
                                        ; implicit-def: $sgpr11
                                        ; implicit-def: $sgpr8_sgpr9
	s_and_saveexec_b64 s[16:17], vcc
	s_xor_b64 s[16:17], exec, s[16:17]
	s_cbranch_execz .LBB104_198
; %bb.193:                              ;   in Loop: Header=BB104_15 Depth=1
	ds_read_b32 v5, v11 offset:4096
	s_waitcnt lgkmcnt(0)
	v_cmp_ne_u32_e32 vcc, 0, v5
	s_cbranch_vccnz .LBB104_197
; %bb.194:                              ;   in Loop: Header=BB104_15 Depth=1
	s_mov_b64 s[8:9], exec
	v_readlane_b32 s20, v54, 6
	v_readlane_b32 s21, v54, 7
	s_and_b64 s[20:21], s[8:9], s[20:21]
	s_mov_b64 exec, s[20:21]
	s_cbranch_execz .LBB104_196
; %bb.195:                              ;   in Loop: Header=BB104_15 Depth=1
	v_mov_b32_e32 v5, s75
	ds_write_b32 v11, v5 offset:4100
.LBB104_196:                            ;   in Loop: Header=BB104_15 Depth=1
	s_or_b64 exec, exec, s[8:9]
	s_waitcnt lgkmcnt(0)
	s_barrier
.LBB104_197:                            ;   in Loop: Header=BB104_15 Depth=1
	v_and_b32_e32 v2, s4, v2
	v_lshl_or_b32 v2, 2, s74, v2
	v_or_b32_e32 v3, s53, v3
	s_mov_b64 s[8:9], 0
	s_mov_b32 s11, 8
.LBB104_198:                            ;   in Loop: Header=BB104_15 Depth=1
	s_or_saveexec_b64 s[16:17], s[16:17]
	v_mov_b32_e32 v10, s11
	s_xor_b64 exec, exec, s[16:17]
; %bb.199:                              ;   in Loop: Header=BB104_15 Depth=1
	v_subrev_u32_e32 v38, s75, v38
	v_mov_b32_e32 v10, 0
	s_or_b64 s[8:9], s[8:9], exec
; %bb.200:                              ;   in Loop: Header=BB104_15 Depth=1
	s_or_b64 exec, exec, s[16:17]
	s_and_b64 s[8:9], s[8:9], exec
	v_mov_b32_e32 v5, v38
.LBB104_201:                            ;   in Loop: Header=BB104_15 Depth=1
	s_or_b64 exec, exec, s[6:7]
	s_mov_b64 s[6:7], -1
                                        ; implicit-def: $sgpr20_sgpr21
                                        ; implicit-def: $sgpr56_sgpr57
                                        ; implicit-def: $sgpr54_sgpr55
	s_and_saveexec_b64 s[16:17], s[8:9]
	s_cbranch_execz .LBB104_242
; %bb.202:                              ;   in Loop: Header=BB104_15 Depth=1
	s_cmp_eq_u32 s14, 1
	s_cselect_b64 s[6:7], -1, 0
	v_cmp_eq_u32_e32 vcc, 1, v5
	s_and_b64 s[6:7], s[6:7], vcc
	s_mov_b64 s[58:59], -1
	v_writelane_b32 v54, s6, 54
                                        ; implicit-def: $sgpr20_sgpr21
                                        ; implicit-def: $sgpr56_sgpr57
                                        ; implicit-def: $sgpr54_sgpr55
	v_writelane_b32 v54, s7, 55
	s_and_saveexec_b64 s[8:9], s[6:7]
	s_cbranch_execz .LBB104_229
; %bb.203:                              ;   in Loop: Header=BB104_15 Depth=1
	ds_read_b32 v4, v11 offset:4096
	v_readlane_b32 s6, v54, 30
	v_readlane_b32 s7, v54, 31
	s_waitcnt lgkmcnt(0)
	s_barrier
	v_readfirstlane_b32 s11, v4
	s_and_saveexec_b64 s[20:21], s[6:7]
	s_cbranch_execz .LBB104_205
; %bb.204:                              ;   in Loop: Header=BB104_15 Depth=1
	ds_write_b16 v20, v11
.LBB104_205:                            ;   in Loop: Header=BB104_15 Depth=1
	s_or_b64 exec, exec, s[20:21]
	v_or_b32_e32 v2, s53, v2
	v_or_b32_e32 v3, s53, v3
	s_cmp_eq_u32 s11, 0
	s_waitcnt lgkmcnt(0)
	s_barrier
	s_cbranch_scc1 .LBB104_214
; %bb.206:                              ;   in Loop: Header=BB104_15 Depth=1
	v_readlane_b32 s6, v54, 21
	s_add_i32 s6, s11, s6
	v_readlane_b32 s7, v54, 47
	s_mul_hi_u32 s7, s6, s7
	s_mul_i32 s7, s7, s33
	s_sub_i32 s7, s6, s7
	s_sub_i32 s15, s7, s33
	s_cmp_ge_u32 s7, s33
	s_cselect_b32 s7, s15, s7
	s_sub_i32 s15, s7, s33
	s_cmp_ge_u32 s7, s33
	s_cselect_b32 s7, s15, s7
	s_sub_i32 s15, s6, s7
	v_cmp_gt_u32_e32 vcc, s15, v0
	s_mov_b64 s[58:59], 0
                                        ; implicit-def: $vgpr4
	s_and_saveexec_b64 s[54:55], vcc
	s_cbranch_execz .LBB104_216
; %bb.207:                              ;   in Loop: Header=BB104_15 Depth=1
	s_mov_b64 s[56:57], 0
	v_mov_b32_e32 v4, v19
	v_mov_b32_e32 v10, v0
                                        ; implicit-def: $sgpr58_sgpr59
	s_branch .LBB104_209
.LBB104_208:                            ;   in Loop: Header=BB104_209 Depth=2
	s_or_b64 exec, exec, s[20:21]
	s_waitcnt lgkmcnt(0)
	s_barrier
	ds_read_b32 v38, v11 offset:3072
	v_add_u32_e32 v10, s33, v10
	v_cmp_le_u32_e64 s[20:21], s15, v10
	v_add_u32_e32 v4, s10, v4
	s_waitcnt lgkmcnt(0)
	v_cmp_neq_f16_e32 vcc, 0, v38
	s_or_b64 s[6:7], s[20:21], vcc
	s_and_b64 s[6:7], exec, s[6:7]
	s_or_b64 s[56:57], s[6:7], s[56:57]
	s_andn2_b64 s[6:7], s[58:59], exec
	s_and_b64 s[20:21], vcc, exec
	s_or_b64 s[58:59], s[6:7], s[20:21]
	s_barrier
	s_andn2_b64 exec, exec, s[56:57]
	s_cbranch_execz .LBB104_215
.LBB104_209:                            ;   Parent Loop BB104_15 Depth=1
                                        ; =>  This Inner Loop Header: Depth=2
	v_cmp_gt_u32_e32 vcc, s11, v10
	v_mov_b32_e32 v38, 0
	s_and_saveexec_b64 s[20:21], vcc
	s_cbranch_execz .LBB104_211
; %bb.210:                              ;   in Loop: Header=BB104_209 Depth=2
	ds_read_u16 v38, v4
.LBB104_211:                            ;   in Loop: Header=BB104_209 Depth=2
	s_or_b64 exec, exec, s[20:21]
	s_and_saveexec_b64 s[20:21], vcc
	s_cbranch_execz .LBB104_208
; %bb.212:                              ;   in Loop: Header=BB104_209 Depth=2
	s_waitcnt lgkmcnt(0)
	v_cmp_lt_i16_e32 vcc, -1, v38
	v_cndmask_b32_e32 v39, v29, v30, vcc
	v_xor_b32_sdwa v39, v39, v38 dst_sel:DWORD dst_unused:UNUSED_PAD src0_sel:DWORD src1_sel:WORD_0
	v_cmp_o_f16_e32 vcc, v38, v38
	v_cndmask_b32_e32 v39, v29, v39, vcc
	v_and_b32_e32 v39, v39, v3
	v_cmp_eq_u32_e32 vcc, v39, v2
	s_and_b64 exec, exec, vcc
	s_cbranch_execz .LBB104_208
; %bb.213:                              ;   in Loop: Header=BB104_209 Depth=2
	s_movk_i32 s6, 0x3c00
	v_perm_b32 v38, v38, s6, v33
	ds_write_b32 v11, v38 offset:3072
	s_branch .LBB104_208
.LBB104_214:                            ;   in Loop: Header=BB104_15 Depth=1
	s_mov_b64 s[20:21], -1
	s_mov_b64 s[58:59], 0
                                        ; implicit-def: $sgpr54_sgpr55
                                        ; implicit-def: $vgpr4
	s_branch .LBB104_217
.LBB104_215:                            ;   in Loop: Header=BB104_15 Depth=1
	s_or_b64 exec, exec, s[56:57]
	v_lshrrev_b32_e32 v4, 16, v38
	s_and_b64 s[58:59], s[58:59], exec
.LBB104_216:                            ;   in Loop: Header=BB104_15 Depth=1
	s_or_b64 exec, exec, s[54:55]
	s_mov_b64 s[54:55], -1
	s_mov_b64 s[20:21], 0
.LBB104_217:                            ;   in Loop: Header=BB104_15 Depth=1
	s_and_b64 vcc, exec, s[20:21]
	s_mov_b64 s[56:57], s[20:21]
	s_cbranch_vccz .LBB104_228
; %bb.218:                              ;   in Loop: Header=BB104_15 Depth=1
	s_mov_b64 s[58:59], 0
                                        ; implicit-def: $vgpr4
	s_mov_b64 s[20:21], exec
	v_readlane_b32 s6, v54, 48
	v_readlane_b32 s7, v54, 49
	v_writelane_b32 v54, s20, 56
	s_and_b64 s[6:7], s[20:21], s[6:7]
	v_writelane_b32 v54, s21, 57
	s_mov_b64 exec, s[6:7]
	s_cbranch_execz .LBB104_227
; %bb.219:                              ;   in Loop: Header=BB104_15 Depth=1
	s_mov_b64 s[56:57], 0
	v_mov_b32_e32 v10, v12
	v_mov_b32_e32 v4, v0
                                        ; implicit-def: $sgpr58_sgpr59
	s_branch .LBB104_221
.LBB104_220:                            ;   in Loop: Header=BB104_221 Depth=2
	s_or_b64 exec, exec, s[20:21]
	s_waitcnt lgkmcnt(0)
	s_barrier
	s_waitcnt vmcnt(0)
	ds_read_b32 v38, v11 offset:3072
	v_add_u32_e32 v4, s33, v4
	v_cmp_le_u32_e64 s[20:21], s12, v4
	v_add_u32_e32 v10, s76, v10
	s_waitcnt lgkmcnt(0)
	v_cmp_neq_f16_e32 vcc, 0, v38
	s_or_b64 s[6:7], s[20:21], vcc
	s_and_b64 s[6:7], exec, s[6:7]
	s_or_b64 s[56:57], s[6:7], s[56:57]
	s_andn2_b64 s[6:7], s[58:59], exec
	s_and_b64 s[20:21], vcc, exec
	s_or_b64 s[58:59], s[6:7], s[20:21]
	s_barrier
	s_andn2_b64 exec, exec, s[56:57]
	s_cbranch_execz .LBB104_226
.LBB104_221:                            ;   Parent Loop BB104_15 Depth=1
                                        ; =>  This Inner Loop Header: Depth=2
	v_cmp_gt_u32_e32 vcc, s60, v4
	v_mov_b32_e32 v38, 0
	s_and_saveexec_b64 s[54:55], vcc
	s_cbranch_execz .LBB104_223
; %bb.222:                              ;   in Loop: Header=BB104_221 Depth=2
	v_lshlrev_b64 v[38:39], 1, v[10:11]
	v_mov_b32_e32 v40, s66
	v_add_co_u32_e64 v38, s[20:21], s64, v38
	v_addc_co_u32_e64 v39, s[20:21], v40, v39, s[20:21]
	global_load_ushort v38, v[38:39], off
.LBB104_223:                            ;   in Loop: Header=BB104_221 Depth=2
	s_or_b64 exec, exec, s[54:55]
	s_and_saveexec_b64 s[20:21], vcc
	s_cbranch_execz .LBB104_220
; %bb.224:                              ;   in Loop: Header=BB104_221 Depth=2
	s_waitcnt vmcnt(0)
	v_cmp_lt_i16_e32 vcc, -1, v38
	v_cndmask_b32_e32 v39, v29, v30, vcc
	v_xor_b32_sdwa v39, v39, v38 dst_sel:DWORD dst_unused:UNUSED_PAD src0_sel:DWORD src1_sel:WORD_0
	v_cmp_o_f16_e32 vcc, v38, v38
	v_cndmask_b32_e32 v39, v29, v39, vcc
	v_and_b32_e32 v39, v39, v3
	v_cmp_eq_u32_e32 vcc, v39, v2
	s_and_b64 exec, exec, vcc
	s_cbranch_execz .LBB104_220
; %bb.225:                              ;   in Loop: Header=BB104_221 Depth=2
	s_movk_i32 s6, 0x3c00
	v_perm_b32 v38, v38, s6, v33
	ds_write_b32 v11, v38 offset:3072
	s_branch .LBB104_220
.LBB104_226:                            ;   in Loop: Header=BB104_15 Depth=1
	s_or_b64 exec, exec, s[56:57]
	v_lshrrev_b32_e32 v4, 16, v38
	s_and_b64 s[58:59], s[58:59], exec
.LBB104_227:                            ;   in Loop: Header=BB104_15 Depth=1
	v_readlane_b32 s6, v54, 56
	v_readlane_b32 s7, v54, 57
	s_or_b64 exec, exec, s[6:7]
	s_mov_b64 s[56:57], -1
	s_mov_b64 s[20:21], 0
	s_mov_b64 s[54:55], 0
.LBB104_228:                            ;   in Loop: Header=BB104_15 Depth=1
	s_orn2_b64 s[58:59], s[58:59], exec
.LBB104_229:                            ;   in Loop: Header=BB104_15 Depth=1
	s_or_b64 exec, exec, s[8:9]
	s_mov_b64 vcc, 0
                                        ; implicit-def: $vgpr10
                                        ; implicit-def: $vgpr38
	s_and_saveexec_b64 s[8:9], s[58:59]
	s_cbranch_execz .LBB104_241
; %bb.230:                              ;   in Loop: Header=BB104_15 Depth=1
	v_readlane_b32 s6, v54, 54
	v_readlane_b32 s7, v54, 55
	s_xor_b64 s[58:59], s[6:7], -1
	v_mov_b32_e32 v10, 1
	v_mov_b32_e32 v38, 1
	s_and_saveexec_b64 s[6:7], s[58:59]
	s_cbranch_execz .LBB104_240
; %bb.231:                              ;   in Loop: Header=BB104_15 Depth=1
	v_cmp_ge_u32_e32 vcc, s14, v5
                                        ; implicit-def: $sgpr11
	s_and_saveexec_b64 s[58:59], vcc
	s_xor_b64 s[58:59], exec, s[58:59]
	s_cbranch_execz .LBB104_237
; %bb.232:                              ;   in Loop: Header=BB104_15 Depth=1
	ds_read_b32 v10, v11 offset:4096
	s_waitcnt lgkmcnt(0)
	v_cmp_ne_u32_e32 vcc, 0, v10
	s_cbranch_vccnz .LBB104_236
; %bb.233:                              ;   in Loop: Header=BB104_15 Depth=1
	v_writelane_b32 v54, s58, 58
	v_writelane_b32 v54, s59, 59
	s_mov_b64 s[58:59], exec
	v_writelane_b32 v54, s58, 60
	v_writelane_b32 v54, s59, 61
	v_readlane_b32 vcc_lo, v54, 6
	v_readlane_b32 s58, v54, 60
	v_readlane_b32 vcc_hi, v54, 7
	v_readlane_b32 s59, v54, 61
	s_and_b64 vcc, s[58:59], vcc
	s_mov_b64 exec, vcc
	s_cbranch_execz .LBB104_235
; %bb.234:                              ;   in Loop: Header=BB104_15 Depth=1
	v_mov_b32_e32 v10, s14
	ds_write_b32 v11, v10 offset:4100
.LBB104_235:                            ;   in Loop: Header=BB104_15 Depth=1
	v_readlane_b32 vcc_lo, v54, 60
	v_readlane_b32 vcc_hi, v54, 61
	s_or_b64 exec, exec, vcc
	v_readlane_b32 s58, v54, 58
	v_readlane_b32 s59, v54, 59
	s_waitcnt lgkmcnt(0)
	s_barrier
.LBB104_236:                            ;   in Loop: Header=BB104_15 Depth=1
	v_or_b32_e32 v2, s53, v2
	v_or_b32_e32 v3, s53, v3
	s_mov_b32 s11, 8
.LBB104_237:                            ;   in Loop: Header=BB104_15 Depth=1
	s_or_saveexec_b64 s[58:59], s[58:59]
	v_mov_b32_e32 v10, s11
	s_xor_b64 exec, exec, s[58:59]
; %bb.238:                              ;   in Loop: Header=BB104_15 Depth=1
	v_subrev_u32_e32 v5, s14, v5
	v_mov_b32_e32 v10, 8
; %bb.239:                              ;   in Loop: Header=BB104_15 Depth=1
	s_or_b64 exec, exec, s[58:59]
	v_mov_b32_e32 v38, v5
.LBB104_240:                            ;   in Loop: Header=BB104_15 Depth=1
	s_or_b64 exec, exec, s[6:7]
	s_mov_b64 vcc, exec
.LBB104_241:                            ;   in Loop: Header=BB104_15 Depth=1
	s_or_b64 exec, exec, s[8:9]
	s_orn2_b64 s[6:7], vcc, exec
	v_mov_b32_e32 v5, v38
.LBB104_242:                            ;   in Loop: Header=BB104_15 Depth=1
	s_or_b64 exec, exec, s[16:17]
	s_andn2_b64 s[8:9], s[46:47], exec
	s_and_b64 s[16:17], s[20:21], exec
	s_or_b64 s[46:47], s[8:9], s[16:17]
	s_andn2_b64 s[8:9], s[50:51], exec
	s_and_b64 s[16:17], s[56:57], exec
	s_or_b64 s[50:51], s[8:9], s[16:17]
	v_readlane_b32 s8, v54, 52
	v_readlane_b32 s9, v54, 53
	s_andn2_b64 s[8:9], s[8:9], exec
	s_and_b64 s[16:17], s[54:55], exec
	s_or_b64 s[8:9], s[8:9], s[16:17]
	v_writelane_b32 v54, s8, 52
	s_and_b64 s[16:17], s[6:7], exec
	v_mov_b32_e32 v38, v5
	v_writelane_b32 v54, s9, 53
.LBB104_243:                            ;   in Loop: Header=BB104_15 Depth=1
	s_or_b64 exec, exec, s[48:49]
	v_readlane_b32 s6, v54, 52
	v_readlane_b32 s7, v54, 53
	s_and_b64 s[46:47], s[46:47], exec
	s_and_b64 s[20:21], s[50:51], exec
	;; [unrolled: 1-line block ×3, first 2 shown]
	s_orn2_b64 s[6:7], s[16:17], exec
.LBB104_244:                            ;   in Loop: Header=BB104_15 Depth=1
	s_or_b64 exec, exec, s[44:45]
	s_andn2_b64 s[16:17], s[36:37], exec
	s_and_b64 s[36:37], s[46:47], exec
	s_or_b64 s[36:37], s[16:17], s[36:37]
	s_andn2_b64 s[16:17], s[40:41], exec
	s_and_b64 s[20:21], s[20:21], exec
	s_or_b64 s[40:41], s[16:17], s[20:21]
	;; [unrolled: 3-line block ×3, first 2 shown]
	s_and_b64 s[20:21], s[6:7], exec
	v_mov_b32_e32 v5, v38
.LBB104_245:                            ;   in Loop: Header=BB104_15 Depth=1
	s_or_b64 exec, exec, s[42:43]
	s_and_b64 s[16:17], s[36:37], exec
	s_and_b64 s[8:9], s[40:41], exec
	;; [unrolled: 1-line block ×3, first 2 shown]
	s_orn2_b64 s[36:37], s[20:21], exec
.LBB104_246:                            ;   in Loop: Header=BB104_15 Depth=1
	s_or_b64 exec, exec, s[24:25]
	s_mov_b64 s[24:25], 0
	s_mov_b64 s[20:21], 0
	s_and_saveexec_b64 s[38:39], s[36:37]
	s_xor_b64 s[36:37], exec, s[38:39]
; %bb.247:                              ;   in Loop: Header=BB104_15 Depth=1
	v_cmp_eq_u32_e32 vcc, 8, v10
	v_cmp_ne_u32_e64 s[20:21], 8, v10
	s_andn2_b64 s[16:17], s[16:17], exec
	s_andn2_b64 s[8:9], s[8:9], exec
	;; [unrolled: 1-line block ×3, first 2 shown]
	s_and_b64 s[20:21], s[20:21], exec
	s_and_b64 s[24:25], vcc, exec
; %bb.248:                              ;   in Loop: Header=BB104_15 Depth=1
	s_or_b64 exec, exec, s[36:37]
	s_andn2_b64 s[22:23], s[22:23], exec
	s_and_b64 s[16:17], s[16:17], exec
	s_or_b64 s[22:23], s[22:23], s[16:17]
	s_andn2_b64 s[16:17], s[28:29], exec
	s_and_b64 s[8:9], s[8:9], exec
	s_or_b64 s[28:29], s[16:17], s[8:9]
	;; [unrolled: 3-line block ×3, first 2 shown]
	s_and_b64 s[20:21], s[20:21], exec
	s_and_b64 s[24:25], s[24:25], exec
.LBB104_249:                            ;   in Loop: Header=BB104_15 Depth=1
	s_or_b64 exec, exec, s[34:35]
	s_and_b64 vcc, exec, s[30:31]
	s_cbranch_vccz .LBB104_99
.LBB104_250:                            ;   in Loop: Header=BB104_15 Depth=1
	s_cmp_eq_u32 s14, 1
	s_cselect_b64 s[6:7], -1, 0
	s_and_b64 s[6:7], s[6:7], s[18:19]
	s_mov_b64 s[16:17], -1
                                        ; implicit-def: $sgpr30_sgpr31
                                        ; implicit-def: $sgpr34_sgpr35
                                        ; implicit-def: $sgpr22_sgpr23
	s_and_saveexec_b64 s[8:9], s[6:7]
	s_cbranch_execz .LBB104_276
; %bb.251:                              ;   in Loop: Header=BB104_15 Depth=1
	ds_read_b32 v2, v11 offset:4096
	s_waitcnt lgkmcnt(0)
	s_barrier
	v_readfirstlane_b32 s11, v2
	s_mov_b64 s[16:17], exec
	v_readlane_b32 s18, v54, 30
	v_readlane_b32 s19, v54, 31
	s_and_b64 s[18:19], s[16:17], s[18:19]
	s_mov_b64 exec, s[18:19]
	s_cbranch_execz .LBB104_253
; %bb.252:                              ;   in Loop: Header=BB104_15 Depth=1
	ds_write_b16 v20, v11
.LBB104_253:                            ;   in Loop: Header=BB104_15 Depth=1
	s_or_b64 exec, exec, s[16:17]
	v_or_b32_e32 v35, s53, v35
	v_or_b32_e32 v34, s53, v34
	s_cmp_eq_u32 s11, 0
	s_waitcnt lgkmcnt(0)
	s_barrier
	s_cbranch_scc1 .LBB104_262
; %bb.254:                              ;   in Loop: Header=BB104_15 Depth=1
	v_readlane_b32 s15, v54, 21
	s_add_i32 s15, s11, s15
	v_readlane_b32 s16, v54, 47
	s_mul_hi_u32 s16, s15, s16
	s_mul_i32 s16, s16, s33
	s_sub_i32 s16, s15, s16
	s_sub_i32 s17, s16, s33
	s_cmp_ge_u32 s16, s33
	s_cselect_b32 s16, s17, s16
	s_sub_i32 s17, s16, s33
	s_cmp_ge_u32 s16, s33
	s_cselect_b32 s16, s17, s16
	s_sub_i32 s15, s15, s16
	v_cmp_gt_u32_e32 vcc, s15, v0
	s_mov_b64 s[18:19], 0
                                        ; implicit-def: $vgpr36
	s_and_saveexec_b64 s[16:17], vcc
	s_cbranch_execz .LBB104_264
; %bb.255:                              ;   in Loop: Header=BB104_15 Depth=1
	s_mov_b64 s[22:23], 0
	v_mov_b32_e32 v2, v19
	v_mov_b32_e32 v3, v0
                                        ; implicit-def: $sgpr26_sgpr27
	s_branch .LBB104_257
.LBB104_256:                            ;   in Loop: Header=BB104_257 Depth=2
	s_or_b64 exec, exec, s[18:19]
	s_waitcnt lgkmcnt(0)
	s_barrier
	ds_read_b32 v4, v11 offset:3072
	v_add_u32_e32 v3, s33, v3
	v_cmp_le_u32_e64 s[18:19], s15, v3
	v_add_u32_e32 v2, s10, v2
	s_waitcnt lgkmcnt(0)
	v_cmp_neq_f16_e32 vcc, 0, v4
	s_or_b64 s[18:19], s[18:19], vcc
	s_and_b64 s[18:19], exec, s[18:19]
	s_or_b64 s[22:23], s[18:19], s[22:23]
	s_andn2_b64 s[18:19], s[26:27], exec
	s_and_b64 s[26:27], vcc, exec
	s_or_b64 s[26:27], s[18:19], s[26:27]
	s_barrier
	s_andn2_b64 exec, exec, s[22:23]
	s_cbranch_execz .LBB104_263
.LBB104_257:                            ;   Parent Loop BB104_15 Depth=1
                                        ; =>  This Inner Loop Header: Depth=2
	v_cmp_gt_u32_e32 vcc, s11, v3
	v_mov_b32_e32 v4, 0
	s_and_saveexec_b64 s[18:19], vcc
	s_cbranch_execz .LBB104_259
; %bb.258:                              ;   in Loop: Header=BB104_257 Depth=2
	ds_read_u16 v4, v2
.LBB104_259:                            ;   in Loop: Header=BB104_257 Depth=2
	s_or_b64 exec, exec, s[18:19]
	s_and_saveexec_b64 s[18:19], vcc
	s_cbranch_execz .LBB104_256
; %bb.260:                              ;   in Loop: Header=BB104_257 Depth=2
	s_waitcnt lgkmcnt(0)
	v_cmp_lt_i16_e32 vcc, -1, v4
	v_cndmask_b32_e32 v5, v29, v30, vcc
	v_xor_b32_sdwa v5, v5, v4 dst_sel:DWORD dst_unused:UNUSED_PAD src0_sel:DWORD src1_sel:WORD_0
	v_cmp_o_f16_e32 vcc, v4, v4
	v_cndmask_b32_e32 v5, v29, v5, vcc
	v_and_b32_e32 v5, v5, v34
	v_cmp_eq_u32_e32 vcc, v5, v35
	s_and_b64 exec, exec, vcc
	s_cbranch_execz .LBB104_256
; %bb.261:                              ;   in Loop: Header=BB104_257 Depth=2
	s_movk_i32 s28, 0x3c00
	v_perm_b32 v4, v4, s28, v33
	ds_write_b32 v11, v4 offset:3072
	s_branch .LBB104_256
.LBB104_262:                            ;   in Loop: Header=BB104_15 Depth=1
	s_mov_b64 s[30:31], -1
	s_mov_b64 s[18:19], 0
                                        ; implicit-def: $sgpr34_sgpr35
                                        ; implicit-def: $vgpr36
	s_mov_b64 s[22:23], s[30:31]
	s_cbranch_execnz .LBB104_265
	s_branch .LBB104_275
.LBB104_263:                            ;   in Loop: Header=BB104_15 Depth=1
	s_or_b64 exec, exec, s[22:23]
	v_lshrrev_b32_e32 v36, 16, v4
	s_and_b64 s[18:19], s[26:27], exec
.LBB104_264:                            ;   in Loop: Header=BB104_15 Depth=1
	s_or_b64 exec, exec, s[16:17]
	s_mov_b64 s[30:31], 0
	s_mov_b64 s[34:35], -1
	s_mov_b64 s[22:23], s[30:31]
	s_branch .LBB104_275
.LBB104_265:                            ;   in Loop: Header=BB104_15 Depth=1
	s_mov_b64 s[18:19], 0
                                        ; implicit-def: $vgpr36
	s_mov_b64 s[16:17], exec
	v_readlane_b32 s22, v54, 48
	v_readlane_b32 s23, v54, 49
	s_and_b64 s[22:23], s[16:17], s[22:23]
	s_mov_b64 exec, s[22:23]
	s_cbranch_execz .LBB104_274
; %bb.266:                              ;   in Loop: Header=BB104_15 Depth=1
	s_mov_b64 s[22:23], 0
	v_mov_b32_e32 v10, v12
	v_mov_b32_e32 v2, v0
                                        ; implicit-def: $sgpr26_sgpr27
	s_branch .LBB104_268
.LBB104_267:                            ;   in Loop: Header=BB104_268 Depth=2
	s_or_b64 exec, exec, s[18:19]
	s_waitcnt lgkmcnt(0)
	s_barrier
	s_waitcnt vmcnt(0)
	ds_read_b32 v3, v11 offset:3072
	v_add_u32_e32 v2, s33, v2
	v_cmp_le_u32_e64 s[18:19], s12, v2
	v_add_u32_e32 v10, s76, v10
	s_waitcnt lgkmcnt(0)
	v_cmp_neq_f16_e32 vcc, 0, v3
	s_or_b64 s[18:19], s[18:19], vcc
	s_and_b64 s[18:19], exec, s[18:19]
	s_or_b64 s[22:23], s[18:19], s[22:23]
	s_andn2_b64 s[18:19], s[26:27], exec
	s_and_b64 s[26:27], vcc, exec
	s_or_b64 s[26:27], s[18:19], s[26:27]
	s_barrier
	s_andn2_b64 exec, exec, s[22:23]
	s_cbranch_execz .LBB104_273
.LBB104_268:                            ;   Parent Loop BB104_15 Depth=1
                                        ; =>  This Inner Loop Header: Depth=2
	v_cmp_gt_u32_e32 vcc, s60, v2
	v_mov_b32_e32 v3, 0
	s_and_saveexec_b64 s[28:29], vcc
	s_cbranch_execz .LBB104_270
; %bb.269:                              ;   in Loop: Header=BB104_268 Depth=2
	v_lshlrev_b64 v[4:5], 1, v[10:11]
	v_mov_b32_e32 v3, s66
	v_add_co_u32_e64 v4, s[18:19], s64, v4
	v_addc_co_u32_e64 v5, s[18:19], v3, v5, s[18:19]
	global_load_ushort v3, v[4:5], off
.LBB104_270:                            ;   in Loop: Header=BB104_268 Depth=2
	s_or_b64 exec, exec, s[28:29]
	s_and_saveexec_b64 s[18:19], vcc
	s_cbranch_execz .LBB104_267
; %bb.271:                              ;   in Loop: Header=BB104_268 Depth=2
	s_waitcnt vmcnt(0)
	v_cmp_lt_i16_e32 vcc, -1, v3
	v_cndmask_b32_e32 v4, v29, v30, vcc
	v_xor_b32_sdwa v4, v4, v3 dst_sel:DWORD dst_unused:UNUSED_PAD src0_sel:DWORD src1_sel:WORD_0
	v_cmp_o_f16_e32 vcc, v3, v3
	v_cndmask_b32_e32 v4, v29, v4, vcc
	v_and_b32_e32 v4, v4, v34
	v_cmp_eq_u32_e32 vcc, v4, v35
	s_and_b64 exec, exec, vcc
	s_cbranch_execz .LBB104_267
; %bb.272:                              ;   in Loop: Header=BB104_268 Depth=2
	s_movk_i32 s11, 0x3c00
	v_perm_b32 v3, v3, s11, v33
	ds_write_b32 v11, v3 offset:3072
	s_branch .LBB104_267
.LBB104_273:                            ;   in Loop: Header=BB104_15 Depth=1
	s_or_b64 exec, exec, s[22:23]
	v_lshrrev_b32_e32 v36, 16, v3
	s_and_b64 s[18:19], s[26:27], exec
.LBB104_274:                            ;   in Loop: Header=BB104_15 Depth=1
	s_or_b64 exec, exec, s[16:17]
	s_mov_b64 s[34:35], 0
	s_mov_b64 s[30:31], -1
	s_mov_b64 s[22:23], 0
.LBB104_275:                            ;   in Loop: Header=BB104_15 Depth=1
	s_orn2_b64 s[16:17], s[18:19], exec
.LBB104_276:                            ;   in Loop: Header=BB104_15 Depth=1
	s_or_b64 exec, exec, s[8:9]
                                        ; implicit-def: $vgpr10
                                        ; implicit-def: $vgpr5
                                        ; implicit-def: $vgpr2
                                        ; implicit-def: $vgpr3
                                        ; implicit-def: $vgpr4
	s_and_saveexec_b64 s[26:27], s[16:17]
	s_cbranch_execz .LBB104_411
; %bb.277:                              ;   in Loop: Header=BB104_15 Depth=1
	s_xor_b64 s[8:9], s[6:7], -1
	s_mov_b64 s[18:19], 0
	v_mov_b32_e32 v5, 1
	v_mov_b32_e32 v10, 1
	s_and_saveexec_b64 s[6:7], s[8:9]
	s_cbranch_execz .LBB104_287
; %bb.278:                              ;   in Loop: Header=BB104_15 Depth=1
	v_cmp_ge_u32_e32 vcc, s14, v37
                                        ; implicit-def: $sgpr11
                                        ; implicit-def: $sgpr8_sgpr9
	s_and_saveexec_b64 s[16:17], vcc
	s_xor_b64 s[16:17], exec, s[16:17]
	s_cbranch_execz .LBB104_284
; %bb.279:                              ;   in Loop: Header=BB104_15 Depth=1
	ds_read_b32 v2, v11 offset:4096
	s_waitcnt lgkmcnt(0)
	v_cmp_ne_u32_e32 vcc, 0, v2
	s_cbranch_vccnz .LBB104_283
; %bb.280:                              ;   in Loop: Header=BB104_15 Depth=1
	s_mov_b64 s[8:9], exec
	v_readlane_b32 s18, v54, 6
	v_readlane_b32 s19, v54, 7
	s_and_b64 s[18:19], s[8:9], s[18:19]
	s_mov_b64 exec, s[18:19]
	s_cbranch_execz .LBB104_282
; %bb.281:                              ;   in Loop: Header=BB104_15 Depth=1
	v_mov_b32_e32 v2, s14
	ds_write_b32 v11, v2 offset:4100
.LBB104_282:                            ;   in Loop: Header=BB104_15 Depth=1
	s_or_b64 exec, exec, s[8:9]
	s_waitcnt lgkmcnt(0)
	s_barrier
.LBB104_283:                            ;   in Loop: Header=BB104_15 Depth=1
	v_or_b32_e32 v35, s53, v35
	v_or_b32_e32 v34, s53, v34
	s_mov_b64 s[8:9], 0
	s_mov_b32 s11, 5
.LBB104_284:                            ;   in Loop: Header=BB104_15 Depth=1
	s_or_saveexec_b64 s[16:17], s[16:17]
	v_mov_b32_e32 v10, s11
	s_xor_b64 exec, exec, s[16:17]
; %bb.285:                              ;   in Loop: Header=BB104_15 Depth=1
	v_subrev_u32_e32 v37, s14, v37
	v_mov_b32_e32 v10, 0
	s_or_b64 s[8:9], s[8:9], exec
; %bb.286:                              ;   in Loop: Header=BB104_15 Depth=1
	s_or_b64 exec, exec, s[16:17]
	s_and_b64 s[18:19], s[8:9], exec
	v_mov_b32_e32 v5, v37
.LBB104_287:                            ;   in Loop: Header=BB104_15 Depth=1
	s_or_b64 exec, exec, s[6:7]
	s_mov_b64 s[36:37], -1
                                        ; implicit-def: $sgpr6_sgpr7
                                        ; implicit-def: $sgpr8_sgpr9
                                        ; implicit-def: $sgpr16_sgpr17
	s_and_saveexec_b64 s[14:15], s[18:19]
	s_xor_b64 s[28:29], exec, s[14:15]
	s_cbranch_execz .LBB104_408
; %bb.288:                              ;   in Loop: Header=BB104_15 Depth=1
	s_cmp_eq_u32 s75, 1
	s_cselect_b64 s[6:7], -1, 0
	v_cmp_eq_u32_e32 vcc, 1, v5
	s_and_b64 s[6:7], s[6:7], vcc
	s_mov_b64 s[16:17], -1
                                        ; implicit-def: $sgpr36_sgpr37
                                        ; implicit-def: $sgpr38_sgpr39
                                        ; implicit-def: $sgpr40_sgpr41
	s_and_saveexec_b64 s[8:9], s[6:7]
	s_cbranch_execz .LBB104_314
; %bb.289:                              ;   in Loop: Header=BB104_15 Depth=1
	ds_read_b32 v2, v11 offset:4096
	s_waitcnt lgkmcnt(0)
	s_barrier
	v_readfirstlane_b32 s11, v2
	s_mov_b64 s[16:17], exec
	v_readlane_b32 s14, v54, 30
	v_readlane_b32 s15, v54, 31
	s_and_b64 s[14:15], s[16:17], s[14:15]
	s_mov_b64 exec, s[14:15]
	s_cbranch_execz .LBB104_291
; %bb.290:                              ;   in Loop: Header=BB104_15 Depth=1
	ds_write_b16 v20, v11
.LBB104_291:                            ;   in Loop: Header=BB104_15 Depth=1
	s_or_b64 exec, exec, s[16:17]
	v_and_b32_e32 v2, s4, v35
	v_lshl_or_b32 v35, 2, s74, v2
	v_or_b32_e32 v34, s53, v34
	s_cmp_eq_u32 s11, 0
	s_waitcnt lgkmcnt(0)
	s_barrier
	s_cbranch_scc1 .LBB104_300
; %bb.292:                              ;   in Loop: Header=BB104_15 Depth=1
	v_readlane_b32 s14, v54, 21
	s_add_i32 s14, s11, s14
	v_readlane_b32 s15, v54, 47
	s_mul_hi_u32 s15, s14, s15
	s_mul_i32 s15, s15, s33
	s_sub_i32 s15, s14, s15
	s_sub_i32 s16, s15, s33
	s_cmp_ge_u32 s15, s33
	s_cselect_b32 s15, s16, s15
	s_sub_i32 s16, s15, s33
	s_cmp_ge_u32 s15, s33
	s_cselect_b32 s15, s16, s15
	s_sub_i32 s14, s14, s15
	v_cmp_gt_u32_e32 vcc, s14, v0
	s_mov_b64 s[18:19], 0
                                        ; implicit-def: $vgpr36
	s_and_saveexec_b64 s[16:17], vcc
	s_cbranch_execz .LBB104_302
; %bb.293:                              ;   in Loop: Header=BB104_15 Depth=1
	s_mov_b64 s[36:37], 0
	v_mov_b32_e32 v2, v19
	v_mov_b32_e32 v3, v0
                                        ; implicit-def: $sgpr38_sgpr39
	s_branch .LBB104_295
.LBB104_294:                            ;   in Loop: Header=BB104_295 Depth=2
	s_or_b64 exec, exec, s[18:19]
	s_waitcnt lgkmcnt(0)
	s_barrier
	ds_read_b32 v4, v11 offset:3072
	v_add_u32_e32 v3, s33, v3
	v_cmp_le_u32_e64 s[18:19], s14, v3
	v_add_u32_e32 v2, s10, v2
	s_waitcnt lgkmcnt(0)
	v_cmp_neq_f16_e32 vcc, 0, v4
	s_or_b64 s[18:19], s[18:19], vcc
	s_and_b64 s[18:19], exec, s[18:19]
	s_or_b64 s[36:37], s[18:19], s[36:37]
	s_andn2_b64 s[18:19], s[38:39], exec
	s_and_b64 s[38:39], vcc, exec
	s_or_b64 s[38:39], s[18:19], s[38:39]
	s_barrier
	s_andn2_b64 exec, exec, s[36:37]
	s_cbranch_execz .LBB104_301
.LBB104_295:                            ;   Parent Loop BB104_15 Depth=1
                                        ; =>  This Inner Loop Header: Depth=2
	v_cmp_gt_u32_e32 vcc, s11, v3
	v_mov_b32_e32 v4, 0
	s_and_saveexec_b64 s[18:19], vcc
	s_cbranch_execz .LBB104_297
; %bb.296:                              ;   in Loop: Header=BB104_295 Depth=2
	ds_read_u16 v4, v2
.LBB104_297:                            ;   in Loop: Header=BB104_295 Depth=2
	s_or_b64 exec, exec, s[18:19]
	s_and_saveexec_b64 s[18:19], vcc
	s_cbranch_execz .LBB104_294
; %bb.298:                              ;   in Loop: Header=BB104_295 Depth=2
	s_waitcnt lgkmcnt(0)
	v_cmp_lt_i16_e32 vcc, -1, v4
	v_cndmask_b32_e32 v10, v29, v30, vcc
	v_xor_b32_sdwa v10, v10, v4 dst_sel:DWORD dst_unused:UNUSED_PAD src0_sel:DWORD src1_sel:WORD_0
	v_cmp_o_f16_e32 vcc, v4, v4
	v_cndmask_b32_e32 v10, v29, v10, vcc
	v_and_b32_e32 v10, v10, v34
	v_cmp_eq_u32_e32 vcc, v10, v35
	s_and_b64 exec, exec, vcc
	s_cbranch_execz .LBB104_294
; %bb.299:                              ;   in Loop: Header=BB104_295 Depth=2
	s_movk_i32 s15, 0x3c00
	v_perm_b32 v4, v4, s15, v33
	ds_write_b32 v11, v4 offset:3072
	s_branch .LBB104_294
.LBB104_300:                            ;   in Loop: Header=BB104_15 Depth=1
	s_mov_b64 s[36:37], -1
	s_mov_b64 s[18:19], 0
                                        ; implicit-def: $sgpr38_sgpr39
                                        ; implicit-def: $vgpr36
	s_mov_b64 s[40:41], s[36:37]
	s_cbranch_execnz .LBB104_303
	s_branch .LBB104_313
.LBB104_301:                            ;   in Loop: Header=BB104_15 Depth=1
	s_or_b64 exec, exec, s[36:37]
	v_lshrrev_b32_e32 v36, 16, v4
	s_and_b64 s[18:19], s[38:39], exec
.LBB104_302:                            ;   in Loop: Header=BB104_15 Depth=1
	s_or_b64 exec, exec, s[16:17]
	s_mov_b64 s[36:37], 0
	s_mov_b64 s[38:39], -1
	s_mov_b64 s[40:41], s[36:37]
	s_branch .LBB104_313
.LBB104_303:                            ;   in Loop: Header=BB104_15 Depth=1
	s_mov_b64 s[18:19], 0
                                        ; implicit-def: $vgpr36
	s_mov_b64 s[16:17], exec
	v_readlane_b32 s14, v54, 48
	v_readlane_b32 s15, v54, 49
	s_and_b64 s[14:15], s[16:17], s[14:15]
	s_mov_b64 exec, s[14:15]
	s_cbranch_execz .LBB104_312
; %bb.304:                              ;   in Loop: Header=BB104_15 Depth=1
	s_mov_b64 s[36:37], 0
	v_mov_b32_e32 v10, v12
	v_mov_b32_e32 v2, v0
                                        ; implicit-def: $sgpr38_sgpr39
	s_branch .LBB104_306
.LBB104_305:                            ;   in Loop: Header=BB104_306 Depth=2
	s_or_b64 exec, exec, s[18:19]
	s_waitcnt lgkmcnt(0)
	s_barrier
	s_waitcnt vmcnt(0)
	ds_read_b32 v3, v11 offset:3072
	v_add_u32_e32 v2, s33, v2
	v_cmp_le_u32_e64 s[18:19], s12, v2
	v_add_u32_e32 v10, s76, v10
	s_waitcnt lgkmcnt(0)
	v_cmp_neq_f16_e32 vcc, 0, v3
	s_or_b64 s[14:15], s[18:19], vcc
	s_and_b64 s[14:15], exec, s[14:15]
	s_or_b64 s[36:37], s[14:15], s[36:37]
	s_andn2_b64 s[14:15], s[38:39], exec
	s_and_b64 s[18:19], vcc, exec
	s_or_b64 s[38:39], s[14:15], s[18:19]
	s_barrier
	s_andn2_b64 exec, exec, s[36:37]
	s_cbranch_execz .LBB104_311
.LBB104_306:                            ;   Parent Loop BB104_15 Depth=1
                                        ; =>  This Inner Loop Header: Depth=2
	v_cmp_gt_u32_e32 vcc, s60, v2
	v_mov_b32_e32 v3, 0
	s_and_saveexec_b64 s[40:41], vcc
	s_cbranch_execz .LBB104_308
; %bb.307:                              ;   in Loop: Header=BB104_306 Depth=2
	v_lshlrev_b64 v[36:37], 1, v[10:11]
	v_mov_b32_e32 v3, s66
	v_add_co_u32_e64 v36, s[18:19], s64, v36
	v_addc_co_u32_e64 v37, s[18:19], v3, v37, s[18:19]
	global_load_ushort v3, v[36:37], off
.LBB104_308:                            ;   in Loop: Header=BB104_306 Depth=2
	s_or_b64 exec, exec, s[40:41]
	s_and_saveexec_b64 s[18:19], vcc
	s_cbranch_execz .LBB104_305
; %bb.309:                              ;   in Loop: Header=BB104_306 Depth=2
	s_waitcnt vmcnt(0)
	v_cmp_lt_i16_e32 vcc, -1, v3
	v_cndmask_b32_e32 v4, v29, v30, vcc
	v_xor_b32_sdwa v4, v4, v3 dst_sel:DWORD dst_unused:UNUSED_PAD src0_sel:DWORD src1_sel:WORD_0
	v_cmp_o_f16_e32 vcc, v3, v3
	v_cndmask_b32_e32 v4, v29, v4, vcc
	v_and_b32_e32 v4, v4, v34
	v_cmp_eq_u32_e32 vcc, v4, v35
	s_and_b64 exec, exec, vcc
	s_cbranch_execz .LBB104_305
; %bb.310:                              ;   in Loop: Header=BB104_306 Depth=2
	s_movk_i32 s11, 0x3c00
	v_perm_b32 v3, v3, s11, v33
	ds_write_b32 v11, v3 offset:3072
	s_branch .LBB104_305
.LBB104_311:                            ;   in Loop: Header=BB104_15 Depth=1
	s_or_b64 exec, exec, s[36:37]
	v_lshrrev_b32_e32 v36, 16, v3
	s_and_b64 s[18:19], s[38:39], exec
.LBB104_312:                            ;   in Loop: Header=BB104_15 Depth=1
	s_or_b64 exec, exec, s[16:17]
	s_mov_b64 s[38:39], 0
	s_mov_b64 s[36:37], -1
	s_mov_b64 s[40:41], 0
.LBB104_313:                            ;   in Loop: Header=BB104_15 Depth=1
	s_orn2_b64 s[16:17], s[18:19], exec
.LBB104_314:                            ;   in Loop: Header=BB104_15 Depth=1
	s_or_b64 exec, exec, s[8:9]
	s_mov_b64 s[18:19], 0
                                        ; implicit-def: $vgpr10
	s_and_saveexec_b64 s[42:43], s[16:17]
	s_cbranch_execz .LBB104_407
; %bb.315:                              ;   in Loop: Header=BB104_15 Depth=1
	s_xor_b64 s[8:9], s[6:7], -1
	s_mov_b64 s[16:17], 0
	v_mov_b32_e32 v2, 1
	v_mov_b32_e32 v10, 1
	s_and_saveexec_b64 s[6:7], s[8:9]
	s_cbranch_execz .LBB104_325
; %bb.316:                              ;   in Loop: Header=BB104_15 Depth=1
	v_cmp_ge_u32_e32 vcc, s75, v5
                                        ; implicit-def: $sgpr11
                                        ; implicit-def: $sgpr8_sgpr9
	s_and_saveexec_b64 s[14:15], vcc
	s_xor_b64 s[16:17], exec, s[14:15]
	s_cbranch_execz .LBB104_322
; %bb.317:                              ;   in Loop: Header=BB104_15 Depth=1
	ds_read_b32 v2, v11 offset:4096
	s_waitcnt lgkmcnt(0)
	v_cmp_ne_u32_e32 vcc, 0, v2
	s_cbranch_vccnz .LBB104_321
; %bb.318:                              ;   in Loop: Header=BB104_15 Depth=1
	s_mov_b64 s[8:9], exec
	v_readlane_b32 s14, v54, 6
	v_readlane_b32 s15, v54, 7
	s_and_b64 s[14:15], s[8:9], s[14:15]
	s_mov_b64 exec, s[14:15]
	s_cbranch_execz .LBB104_320
; %bb.319:                              ;   in Loop: Header=BB104_15 Depth=1
	v_mov_b32_e32 v2, s75
	ds_write_b32 v11, v2 offset:4100
.LBB104_320:                            ;   in Loop: Header=BB104_15 Depth=1
	s_or_b64 exec, exec, s[8:9]
	s_waitcnt lgkmcnt(0)
	s_barrier
.LBB104_321:                            ;   in Loop: Header=BB104_15 Depth=1
	v_and_b32_e32 v2, s4, v35
	v_lshl_or_b32 v35, 2, s74, v2
	v_or_b32_e32 v34, s53, v34
	s_mov_b64 s[8:9], 0
	s_mov_b32 s11, 5
.LBB104_322:                            ;   in Loop: Header=BB104_15 Depth=1
	s_or_saveexec_b64 s[16:17], s[16:17]
	v_mov_b32_e32 v10, s11
	s_xor_b64 exec, exec, s[16:17]
; %bb.323:                              ;   in Loop: Header=BB104_15 Depth=1
	v_subrev_u32_e32 v5, s75, v5
	v_mov_b32_e32 v10, 0
	s_or_b64 s[8:9], s[8:9], exec
; %bb.324:                              ;   in Loop: Header=BB104_15 Depth=1
	s_or_b64 exec, exec, s[16:17]
	s_and_b64 s[16:17], s[8:9], exec
	v_mov_b32_e32 v2, v5
.LBB104_325:                            ;   in Loop: Header=BB104_15 Depth=1
	s_or_b64 exec, exec, s[6:7]
	s_mov_b64 s[6:7], -1
                                        ; implicit-def: $sgpr8_sgpr9
                                        ; implicit-def: $sgpr18_sgpr19
                                        ; implicit-def: $sgpr46_sgpr47
	s_and_saveexec_b64 s[44:45], s[16:17]
	s_cbranch_execz .LBB104_406
; %bb.326:                              ;   in Loop: Header=BB104_15 Depth=1
	s_cmp_eq_u32 s5, 1
	s_cselect_b64 s[6:7], -1, 0
	v_cmp_eq_u32_e32 vcc, 1, v2
	s_and_b64 s[6:7], s[6:7], vcc
	s_mov_b64 s[18:19], -1
                                        ; implicit-def: $sgpr46_sgpr47
                                        ; implicit-def: $sgpr8_sgpr9
                                        ; kill: killed $sgpr8_sgpr9
                                        ; implicit-def: $sgpr50_sgpr51
	s_and_saveexec_b64 s[8:9], s[6:7]
	s_cbranch_execz .LBB104_352
; %bb.327:                              ;   in Loop: Header=BB104_15 Depth=1
	ds_read_b32 v3, v11 offset:4096
	s_waitcnt lgkmcnt(0)
	s_barrier
	v_readfirstlane_b32 s11, v3
	s_mov_b64 s[16:17], exec
	v_readlane_b32 s14, v54, 30
	v_readlane_b32 s15, v54, 31
	s_and_b64 s[14:15], s[16:17], s[14:15]
	s_mov_b64 exec, s[14:15]
	s_cbranch_execz .LBB104_329
; %bb.328:                              ;   in Loop: Header=BB104_15 Depth=1
	ds_write_b16 v20, v11
.LBB104_329:                            ;   in Loop: Header=BB104_15 Depth=1
	s_or_b64 exec, exec, s[16:17]
	v_and_b32_e32 v3, s4, v35
	v_lshl_or_b32 v35, 1, s74, v3
	v_or_b32_e32 v34, s53, v34
	s_cmp_eq_u32 s11, 0
	s_waitcnt lgkmcnt(0)
	s_barrier
	s_cbranch_scc1 .LBB104_338
; %bb.330:                              ;   in Loop: Header=BB104_15 Depth=1
	v_readlane_b32 s14, v54, 21
	s_add_i32 s14, s11, s14
	v_readlane_b32 s15, v54, 47
	s_mul_hi_u32 s15, s14, s15
	s_mul_i32 s15, s15, s33
	s_sub_i32 s15, s14, s15
	s_sub_i32 s16, s15, s33
	s_cmp_ge_u32 s15, s33
	s_cselect_b32 s15, s16, s15
	s_sub_i32 s16, s15, s33
	s_cmp_ge_u32 s15, s33
	s_cselect_b32 s15, s16, s15
	s_sub_i32 s14, s14, s15
	v_cmp_gt_u32_e32 vcc, s14, v0
	s_mov_b64 s[18:19], 0
                                        ; implicit-def: $vgpr36
	s_and_saveexec_b64 s[16:17], vcc
	s_cbranch_execz .LBB104_340
; %bb.331:                              ;   in Loop: Header=BB104_15 Depth=1
	s_mov_b64 s[46:47], 0
	v_mov_b32_e32 v3, v19
	v_mov_b32_e32 v4, v0
                                        ; implicit-def: $sgpr48_sgpr49
	s_branch .LBB104_333
.LBB104_332:                            ;   in Loop: Header=BB104_333 Depth=2
	s_or_b64 exec, exec, s[18:19]
	s_waitcnt lgkmcnt(0)
	s_barrier
	ds_read_b32 v5, v11 offset:3072
	v_add_u32_e32 v4, s33, v4
	v_cmp_le_u32_e64 s[18:19], s14, v4
	v_add_u32_e32 v3, s10, v3
	s_waitcnt lgkmcnt(0)
	v_cmp_neq_f16_e32 vcc, 0, v5
	s_or_b64 s[18:19], s[18:19], vcc
	s_and_b64 s[18:19], exec, s[18:19]
	s_or_b64 s[46:47], s[18:19], s[46:47]
	s_andn2_b64 s[18:19], s[48:49], exec
	s_and_b64 s[48:49], vcc, exec
	s_or_b64 s[48:49], s[18:19], s[48:49]
	s_barrier
	s_andn2_b64 exec, exec, s[46:47]
	s_cbranch_execz .LBB104_339
.LBB104_333:                            ;   Parent Loop BB104_15 Depth=1
                                        ; =>  This Inner Loop Header: Depth=2
	v_cmp_gt_u32_e32 vcc, s11, v4
	v_mov_b32_e32 v5, 0
	s_and_saveexec_b64 s[18:19], vcc
	s_cbranch_execz .LBB104_335
; %bb.334:                              ;   in Loop: Header=BB104_333 Depth=2
	ds_read_u16 v5, v3
.LBB104_335:                            ;   in Loop: Header=BB104_333 Depth=2
	s_or_b64 exec, exec, s[18:19]
	s_and_saveexec_b64 s[18:19], vcc
	s_cbranch_execz .LBB104_332
; %bb.336:                              ;   in Loop: Header=BB104_333 Depth=2
	s_waitcnt lgkmcnt(0)
	v_cmp_lt_i16_e32 vcc, -1, v5
	v_cndmask_b32_e32 v10, v29, v30, vcc
	v_xor_b32_sdwa v10, v10, v5 dst_sel:DWORD dst_unused:UNUSED_PAD src0_sel:DWORD src1_sel:WORD_0
	v_cmp_o_f16_e32 vcc, v5, v5
	v_cndmask_b32_e32 v10, v29, v10, vcc
	v_and_b32_e32 v10, v10, v34
	v_cmp_eq_u32_e32 vcc, v10, v35
	s_and_b64 exec, exec, vcc
	s_cbranch_execz .LBB104_332
; %bb.337:                              ;   in Loop: Header=BB104_333 Depth=2
	s_movk_i32 s15, 0x3c00
	v_perm_b32 v5, v5, s15, v33
	ds_write_b32 v11, v5 offset:3072
	s_branch .LBB104_332
.LBB104_338:                            ;   in Loop: Header=BB104_15 Depth=1
	s_mov_b64 s[46:47], -1
	s_mov_b64 s[18:19], 0
                                        ; implicit-def: $sgpr14_sgpr15
                                        ; kill: killed $sgpr14_sgpr15
                                        ; implicit-def: $vgpr36
	s_mov_b64 s[50:51], s[46:47]
	s_cbranch_execnz .LBB104_341
	s_branch .LBB104_351
.LBB104_339:                            ;   in Loop: Header=BB104_15 Depth=1
	s_or_b64 exec, exec, s[46:47]
	v_lshrrev_b32_e32 v36, 16, v5
	s_and_b64 s[18:19], s[48:49], exec
.LBB104_340:                            ;   in Loop: Header=BB104_15 Depth=1
	s_or_b64 exec, exec, s[16:17]
	s_mov_b64 s[14:15], -1
	s_mov_b64 s[46:47], 0
	v_writelane_b32 v54, s14, 50
	v_writelane_b32 v54, s15, 51
	s_mov_b64 s[50:51], s[46:47]
	s_branch .LBB104_351
.LBB104_341:                            ;   in Loop: Header=BB104_15 Depth=1
	s_mov_b64 s[18:19], 0
                                        ; implicit-def: $vgpr36
	s_mov_b64 s[16:17], exec
	v_readlane_b32 s14, v54, 48
	v_readlane_b32 s15, v54, 49
	s_and_b64 s[14:15], s[16:17], s[14:15]
	s_mov_b64 exec, s[14:15]
	s_cbranch_execz .LBB104_350
; %bb.342:                              ;   in Loop: Header=BB104_15 Depth=1
	s_mov_b64 s[46:47], 0
	v_mov_b32_e32 v10, v12
	v_mov_b32_e32 v3, v0
                                        ; implicit-def: $sgpr48_sgpr49
	s_branch .LBB104_344
.LBB104_343:                            ;   in Loop: Header=BB104_344 Depth=2
	s_or_b64 exec, exec, s[18:19]
	s_waitcnt lgkmcnt(0)
	s_barrier
	s_waitcnt vmcnt(0)
	ds_read_b32 v4, v11 offset:3072
	v_add_u32_e32 v3, s33, v3
	v_cmp_le_u32_e64 s[18:19], s12, v3
	v_add_u32_e32 v10, s76, v10
	s_waitcnt lgkmcnt(0)
	v_cmp_neq_f16_e32 vcc, 0, v4
	s_or_b64 s[14:15], s[18:19], vcc
	s_and_b64 s[14:15], exec, s[14:15]
	s_or_b64 s[46:47], s[14:15], s[46:47]
	s_andn2_b64 s[14:15], s[48:49], exec
	s_and_b64 s[18:19], vcc, exec
	s_or_b64 s[48:49], s[14:15], s[18:19]
	s_barrier
	s_andn2_b64 exec, exec, s[46:47]
	s_cbranch_execz .LBB104_349
.LBB104_344:                            ;   Parent Loop BB104_15 Depth=1
                                        ; =>  This Inner Loop Header: Depth=2
	v_cmp_gt_u32_e32 vcc, s60, v3
	v_mov_b32_e32 v4, 0
	s_and_saveexec_b64 s[50:51], vcc
	s_cbranch_execz .LBB104_346
; %bb.345:                              ;   in Loop: Header=BB104_344 Depth=2
	v_lshlrev_b64 v[4:5], 1, v[10:11]
	v_mov_b32_e32 v36, s66
	v_add_co_u32_e64 v4, s[18:19], s64, v4
	v_addc_co_u32_e64 v5, s[18:19], v36, v5, s[18:19]
	global_load_ushort v4, v[4:5], off
.LBB104_346:                            ;   in Loop: Header=BB104_344 Depth=2
	s_or_b64 exec, exec, s[50:51]
	s_and_saveexec_b64 s[18:19], vcc
	s_cbranch_execz .LBB104_343
; %bb.347:                              ;   in Loop: Header=BB104_344 Depth=2
	s_waitcnt vmcnt(0)
	v_cmp_lt_i16_e32 vcc, -1, v4
	v_cndmask_b32_e32 v5, v29, v30, vcc
	v_xor_b32_sdwa v5, v5, v4 dst_sel:DWORD dst_unused:UNUSED_PAD src0_sel:DWORD src1_sel:WORD_0
	v_cmp_o_f16_e32 vcc, v4, v4
	v_cndmask_b32_e32 v5, v29, v5, vcc
	v_and_b32_e32 v5, v5, v34
	v_cmp_eq_u32_e32 vcc, v5, v35
	s_and_b64 exec, exec, vcc
	s_cbranch_execz .LBB104_343
; %bb.348:                              ;   in Loop: Header=BB104_344 Depth=2
	s_movk_i32 s11, 0x3c00
	v_perm_b32 v4, v4, s11, v33
	ds_write_b32 v11, v4 offset:3072
	s_branch .LBB104_343
.LBB104_349:                            ;   in Loop: Header=BB104_15 Depth=1
	s_or_b64 exec, exec, s[46:47]
	v_lshrrev_b32_e32 v36, 16, v4
	s_and_b64 s[18:19], s[48:49], exec
.LBB104_350:                            ;   in Loop: Header=BB104_15 Depth=1
	s_or_b64 exec, exec, s[16:17]
	s_mov_b64 s[14:15], 0
	v_writelane_b32 v54, s14, 50
	s_mov_b64 s[46:47], -1
	s_mov_b64 s[50:51], 0
	v_writelane_b32 v54, s15, 51
.LBB104_351:                            ;   in Loop: Header=BB104_15 Depth=1
	s_orn2_b64 s[18:19], s[18:19], exec
.LBB104_352:                            ;   in Loop: Header=BB104_15 Depth=1
	s_or_b64 exec, exec, s[8:9]
	s_mov_b64 s[16:17], 0
                                        ; implicit-def: $vgpr10
	s_and_saveexec_b64 s[48:49], s[18:19]
	s_cbranch_execz .LBB104_405
; %bb.353:                              ;   in Loop: Header=BB104_15 Depth=1
	s_xor_b64 s[14:15], s[6:7], -1
	s_mov_b64 s[8:9], 0
	v_mov_b32_e32 v3, 1
	v_mov_b32_e32 v10, 1
	s_and_saveexec_b64 s[6:7], s[14:15]
	s_cbranch_execz .LBB104_363
; %bb.354:                              ;   in Loop: Header=BB104_15 Depth=1
	v_cmp_ge_u32_e32 vcc, s5, v2
                                        ; implicit-def: $sgpr11
                                        ; implicit-def: $sgpr8_sgpr9
	s_and_saveexec_b64 s[14:15], vcc
	s_xor_b64 s[16:17], exec, s[14:15]
	s_cbranch_execz .LBB104_360
; %bb.355:                              ;   in Loop: Header=BB104_15 Depth=1
	ds_read_b32 v3, v11 offset:4096
	s_waitcnt lgkmcnt(0)
	v_cmp_ne_u32_e32 vcc, 0, v3
	s_cbranch_vccnz .LBB104_359
; %bb.356:                              ;   in Loop: Header=BB104_15 Depth=1
	s_mov_b64 s[8:9], exec
	v_readlane_b32 s14, v54, 6
	v_readlane_b32 s15, v54, 7
	s_and_b64 s[14:15], s[8:9], s[14:15]
	s_mov_b64 exec, s[14:15]
	s_cbranch_execz .LBB104_358
; %bb.357:                              ;   in Loop: Header=BB104_15 Depth=1
	v_mov_b32_e32 v3, s5
	ds_write_b32 v11, v3 offset:4100
.LBB104_358:                            ;   in Loop: Header=BB104_15 Depth=1
	s_or_b64 exec, exec, s[8:9]
	s_waitcnt lgkmcnt(0)
	s_barrier
.LBB104_359:                            ;   in Loop: Header=BB104_15 Depth=1
	v_and_b32_e32 v3, s4, v35
	v_lshl_or_b32 v35, 1, s74, v3
	v_or_b32_e32 v34, s53, v34
	s_mov_b64 s[8:9], 0
	s_mov_b32 s11, 5
.LBB104_360:                            ;   in Loop: Header=BB104_15 Depth=1
	s_or_saveexec_b64 s[16:17], s[16:17]
	v_mov_b32_e32 v10, s11
	s_xor_b64 exec, exec, s[16:17]
; %bb.361:                              ;   in Loop: Header=BB104_15 Depth=1
	v_subrev_u32_e32 v2, s5, v2
	v_mov_b32_e32 v10, 0
	s_or_b64 s[8:9], s[8:9], exec
; %bb.362:                              ;   in Loop: Header=BB104_15 Depth=1
	s_or_b64 exec, exec, s[16:17]
	s_and_b64 s[8:9], s[8:9], exec
	v_mov_b32_e32 v3, v2
.LBB104_363:                            ;   in Loop: Header=BB104_15 Depth=1
	s_or_b64 exec, exec, s[6:7]
	s_mov_b64 s[6:7], -1
                                        ; implicit-def: $sgpr18_sgpr19
                                        ; implicit-def: $sgpr54_sgpr55
                                        ; implicit-def: $sgpr56_sgpr57
	s_and_saveexec_b64 s[16:17], s[8:9]
	s_cbranch_execz .LBB104_404
; %bb.364:                              ;   in Loop: Header=BB104_15 Depth=1
	s_cmp_eq_u32 s52, 1
	s_cselect_b64 s[6:7], -1, 0
	v_cmp_eq_u32_e32 vcc, 1, v3
	s_and_b64 s[6:7], s[6:7], vcc
	s_mov_b64 s[58:59], -1
                                        ; implicit-def: $sgpr18_sgpr19
                                        ; implicit-def: $sgpr54_sgpr55
                                        ; implicit-def: $sgpr56_sgpr57
	s_and_saveexec_b64 s[8:9], s[6:7]
	s_cbranch_execz .LBB104_391
; %bb.365:                              ;   in Loop: Header=BB104_15 Depth=1
	ds_read_b32 v2, v11 offset:4096
	s_waitcnt lgkmcnt(0)
	s_barrier
	v_readfirstlane_b32 s5, v2
	s_mov_b64 s[18:19], exec
	v_readlane_b32 s14, v54, 30
	v_readlane_b32 s15, v54, 31
	s_and_b64 s[14:15], s[18:19], s[14:15]
	s_mov_b64 exec, s[14:15]
	s_cbranch_execz .LBB104_367
; %bb.366:                              ;   in Loop: Header=BB104_15 Depth=1
	ds_write_b16 v20, v11
.LBB104_367:                            ;   in Loop: Header=BB104_15 Depth=1
	s_or_b64 exec, exec, s[18:19]
	v_and_b32_e32 v35, s4, v35
	v_or_b32_e32 v34, s53, v34
	s_cmp_eq_u32 s5, 0
	s_waitcnt lgkmcnt(0)
	s_barrier
	s_cbranch_scc1 .LBB104_376
; %bb.368:                              ;   in Loop: Header=BB104_15 Depth=1
	v_readlane_b32 s11, v54, 21
	s_add_i32 s11, s5, s11
	v_readlane_b32 s14, v54, 47
	s_mul_hi_u32 s14, s11, s14
	s_mul_i32 s14, s14, s33
	s_sub_i32 s14, s11, s14
	s_sub_i32 s15, s14, s33
	s_cmp_ge_u32 s14, s33
	s_cselect_b32 s14, s15, s14
	s_sub_i32 s15, s14, s33
	s_cmp_ge_u32 s14, s33
	s_cselect_b32 s14, s15, s14
	s_sub_i32 s11, s11, s14
	v_cmp_gt_u32_e32 vcc, s11, v0
	s_mov_b64 s[58:59], 0
                                        ; implicit-def: $vgpr36
	s_and_saveexec_b64 s[54:55], vcc
	s_cbranch_execz .LBB104_378
; %bb.369:                              ;   in Loop: Header=BB104_15 Depth=1
	s_mov_b64 s[56:57], 0
	v_mov_b32_e32 v2, v19
	v_mov_b32_e32 v4, v0
                                        ; implicit-def: $sgpr58_sgpr59
	s_branch .LBB104_371
.LBB104_370:                            ;   in Loop: Header=BB104_371 Depth=2
	s_or_b64 exec, exec, s[18:19]
	s_waitcnt lgkmcnt(0)
	s_barrier
	ds_read_b32 v5, v11 offset:3072
	v_add_u32_e32 v4, s33, v4
	v_cmp_le_u32_e64 s[18:19], s11, v4
	v_add_u32_e32 v2, s10, v2
	s_waitcnt lgkmcnt(0)
	v_cmp_neq_f16_e32 vcc, 0, v5
	s_or_b64 s[14:15], s[18:19], vcc
	s_and_b64 s[14:15], exec, s[14:15]
	s_or_b64 s[56:57], s[14:15], s[56:57]
	s_andn2_b64 s[14:15], s[58:59], exec
	s_and_b64 s[18:19], vcc, exec
	s_or_b64 s[58:59], s[14:15], s[18:19]
	s_barrier
	s_andn2_b64 exec, exec, s[56:57]
	s_cbranch_execz .LBB104_377
.LBB104_371:                            ;   Parent Loop BB104_15 Depth=1
                                        ; =>  This Inner Loop Header: Depth=2
	v_cmp_gt_u32_e32 vcc, s5, v4
	v_mov_b32_e32 v5, 0
	s_and_saveexec_b64 s[18:19], vcc
	s_cbranch_execz .LBB104_373
; %bb.372:                              ;   in Loop: Header=BB104_371 Depth=2
	ds_read_u16 v5, v2
.LBB104_373:                            ;   in Loop: Header=BB104_371 Depth=2
	s_or_b64 exec, exec, s[18:19]
	s_and_saveexec_b64 s[18:19], vcc
	s_cbranch_execz .LBB104_370
; %bb.374:                              ;   in Loop: Header=BB104_371 Depth=2
	s_waitcnt lgkmcnt(0)
	v_cmp_lt_i16_e32 vcc, -1, v5
	v_cndmask_b32_e32 v10, v29, v30, vcc
	v_xor_b32_sdwa v10, v10, v5 dst_sel:DWORD dst_unused:UNUSED_PAD src0_sel:DWORD src1_sel:WORD_0
	v_cmp_o_f16_e32 vcc, v5, v5
	v_cndmask_b32_e32 v10, v29, v10, vcc
	v_and_b32_e32 v10, v10, v34
	v_cmp_eq_u32_e32 vcc, v10, v35
	s_and_b64 exec, exec, vcc
	s_cbranch_execz .LBB104_370
; %bb.375:                              ;   in Loop: Header=BB104_371 Depth=2
	s_movk_i32 s14, 0x3c00
	v_perm_b32 v5, v5, s14, v33
	ds_write_b32 v11, v5 offset:3072
	s_branch .LBB104_370
.LBB104_376:                            ;   in Loop: Header=BB104_15 Depth=1
	s_mov_b64 s[18:19], -1
	s_mov_b64 s[58:59], 0
                                        ; implicit-def: $sgpr54_sgpr55
                                        ; implicit-def: $vgpr36
	s_branch .LBB104_379
.LBB104_377:                            ;   in Loop: Header=BB104_15 Depth=1
	s_or_b64 exec, exec, s[56:57]
	v_lshrrev_b32_e32 v36, 16, v5
	s_and_b64 s[58:59], s[58:59], exec
.LBB104_378:                            ;   in Loop: Header=BB104_15 Depth=1
	s_or_b64 exec, exec, s[54:55]
	s_mov_b64 s[18:19], 0
	s_mov_b64 s[54:55], -1
.LBB104_379:                            ;   in Loop: Header=BB104_15 Depth=1
	s_and_b64 vcc, exec, s[18:19]
	s_mov_b64 s[56:57], s[18:19]
	s_cbranch_vccz .LBB104_390
; %bb.380:                              ;   in Loop: Header=BB104_15 Depth=1
	s_mov_b64 s[58:59], 0
                                        ; implicit-def: $vgpr36
	s_mov_b64 s[74:75], exec
	v_readlane_b32 s14, v54, 48
	v_readlane_b32 s15, v54, 49
	s_and_b64 s[14:15], s[74:75], s[14:15]
	s_mov_b64 exec, s[14:15]
	s_cbranch_execz .LBB104_389
; %bb.381:                              ;   in Loop: Header=BB104_15 Depth=1
	s_mov_b64 s[56:57], 0
	v_mov_b32_e32 v10, v12
	v_mov_b32_e32 v2, v0
                                        ; implicit-def: $sgpr58_sgpr59
	s_branch .LBB104_383
.LBB104_382:                            ;   in Loop: Header=BB104_383 Depth=2
	s_or_b64 exec, exec, s[18:19]
	s_waitcnt lgkmcnt(0)
	s_barrier
	s_waitcnt vmcnt(0)
	ds_read_b32 v4, v11 offset:3072
	v_add_u32_e32 v2, s33, v2
	v_cmp_le_u32_e64 s[18:19], s12, v2
	v_add_u32_e32 v10, s76, v10
	s_waitcnt lgkmcnt(0)
	v_cmp_neq_f16_e32 vcc, 0, v4
	s_or_b64 s[14:15], s[18:19], vcc
	s_and_b64 s[14:15], exec, s[14:15]
	s_or_b64 s[56:57], s[14:15], s[56:57]
	s_andn2_b64 s[14:15], s[58:59], exec
	s_and_b64 s[18:19], vcc, exec
	s_or_b64 s[58:59], s[14:15], s[18:19]
	s_barrier
	s_andn2_b64 exec, exec, s[56:57]
	s_cbranch_execz .LBB104_388
.LBB104_383:                            ;   Parent Loop BB104_15 Depth=1
                                        ; =>  This Inner Loop Header: Depth=2
	v_cmp_gt_u32_e32 vcc, s60, v2
	v_mov_b32_e32 v4, 0
	s_and_saveexec_b64 s[54:55], vcc
	s_cbranch_execz .LBB104_385
; %bb.384:                              ;   in Loop: Header=BB104_383 Depth=2
	v_lshlrev_b64 v[4:5], 1, v[10:11]
	v_mov_b32_e32 v36, s66
	v_add_co_u32_e64 v4, s[18:19], s64, v4
	v_addc_co_u32_e64 v5, s[18:19], v36, v5, s[18:19]
	global_load_ushort v4, v[4:5], off
.LBB104_385:                            ;   in Loop: Header=BB104_383 Depth=2
	s_or_b64 exec, exec, s[54:55]
	s_and_saveexec_b64 s[18:19], vcc
	s_cbranch_execz .LBB104_382
; %bb.386:                              ;   in Loop: Header=BB104_383 Depth=2
	s_waitcnt vmcnt(0)
	v_cmp_lt_i16_e32 vcc, -1, v4
	v_cndmask_b32_e32 v5, v29, v30, vcc
	v_xor_b32_sdwa v5, v5, v4 dst_sel:DWORD dst_unused:UNUSED_PAD src0_sel:DWORD src1_sel:WORD_0
	v_cmp_o_f16_e32 vcc, v4, v4
	v_cndmask_b32_e32 v5, v29, v5, vcc
	v_and_b32_e32 v5, v5, v34
	v_cmp_eq_u32_e32 vcc, v5, v35
	s_and_b64 exec, exec, vcc
	s_cbranch_execz .LBB104_382
; %bb.387:                              ;   in Loop: Header=BB104_383 Depth=2
	s_movk_i32 s5, 0x3c00
	v_perm_b32 v4, v4, s5, v33
	ds_write_b32 v11, v4 offset:3072
	s_branch .LBB104_382
.LBB104_388:                            ;   in Loop: Header=BB104_15 Depth=1
	s_or_b64 exec, exec, s[56:57]
	v_lshrrev_b32_e32 v36, 16, v4
	s_and_b64 s[58:59], s[58:59], exec
.LBB104_389:                            ;   in Loop: Header=BB104_15 Depth=1
	s_or_b64 exec, exec, s[74:75]
	s_mov_b64 s[54:55], 0
	s_mov_b64 s[18:19], -1
	s_mov_b64 s[56:57], 0
.LBB104_390:                            ;   in Loop: Header=BB104_15 Depth=1
	s_orn2_b64 s[58:59], s[58:59], exec
.LBB104_391:                            ;   in Loop: Header=BB104_15 Depth=1
	s_or_b64 exec, exec, s[8:9]
	s_mov_b64 vcc, 0
                                        ; implicit-def: $vgpr10
                                        ; implicit-def: $vgpr2
	s_and_saveexec_b64 s[8:9], s[58:59]
	s_cbranch_execz .LBB104_403
; %bb.392:                              ;   in Loop: Header=BB104_15 Depth=1
	s_xor_b64 s[14:15], s[6:7], -1
	v_mov_b32_e32 v10, 1
	v_mov_b32_e32 v2, 1
	s_and_saveexec_b64 s[6:7], s[14:15]
	s_cbranch_execz .LBB104_402
; %bb.393:                              ;   in Loop: Header=BB104_15 Depth=1
	v_cmp_ge_u32_e32 vcc, s52, v3
                                        ; implicit-def: $sgpr5
	s_and_saveexec_b64 s[14:15], vcc
	s_xor_b64 s[58:59], exec, s[14:15]
	s_cbranch_execz .LBB104_399
; %bb.394:                              ;   in Loop: Header=BB104_15 Depth=1
	ds_read_b32 v2, v11 offset:4096
	s_waitcnt lgkmcnt(0)
	v_cmp_ne_u32_e32 vcc, 0, v2
	s_cbranch_vccnz .LBB104_398
; %bb.395:                              ;   in Loop: Header=BB104_15 Depth=1
	s_mov_b64 vcc, exec
	v_readlane_b32 s14, v54, 6
	v_readlane_b32 s15, v54, 7
	s_and_b64 s[14:15], vcc, s[14:15]
	s_mov_b64 exec, s[14:15]
	s_cbranch_execz .LBB104_397
; %bb.396:                              ;   in Loop: Header=BB104_15 Depth=1
	v_mov_b32_e32 v2, s52
	ds_write_b32 v11, v2 offset:4100
.LBB104_397:                            ;   in Loop: Header=BB104_15 Depth=1
	s_or_b64 exec, exec, vcc
	s_waitcnt lgkmcnt(0)
	s_barrier
.LBB104_398:                            ;   in Loop: Header=BB104_15 Depth=1
	v_and_b32_e32 v35, s4, v35
	v_or_b32_e32 v34, s53, v34
	s_mov_b32 s5, 5
.LBB104_399:                            ;   in Loop: Header=BB104_15 Depth=1
	s_or_saveexec_b64 s[58:59], s[58:59]
	v_mov_b32_e32 v10, s5
	s_xor_b64 exec, exec, s[58:59]
; %bb.400:                              ;   in Loop: Header=BB104_15 Depth=1
	v_subrev_u32_e32 v3, s52, v3
	v_mov_b32_e32 v10, 5
; %bb.401:                              ;   in Loop: Header=BB104_15 Depth=1
	s_or_b64 exec, exec, s[58:59]
	v_mov_b32_e32 v2, v3
.LBB104_402:                            ;   in Loop: Header=BB104_15 Depth=1
	s_or_b64 exec, exec, s[6:7]
	s_mov_b64 vcc, exec
.LBB104_403:                            ;   in Loop: Header=BB104_15 Depth=1
	s_or_b64 exec, exec, s[8:9]
	s_orn2_b64 s[6:7], vcc, exec
	v_mov_b32_e32 v3, v2
.LBB104_404:                            ;   in Loop: Header=BB104_15 Depth=1
	s_or_b64 exec, exec, s[16:17]
	s_andn2_b64 s[4:5], s[46:47], exec
	s_and_b64 s[8:9], s[18:19], exec
	s_or_b64 s[46:47], s[4:5], s[8:9]
	v_readlane_b32 s4, v54, 50
	v_readlane_b32 s5, v54, 51
	s_andn2_b64 s[4:5], s[4:5], exec
	s_and_b64 s[8:9], s[54:55], exec
	s_or_b64 s[4:5], s[4:5], s[8:9]
	v_writelane_b32 v54, s4, 50
	v_writelane_b32 v54, s5, 51
	s_andn2_b64 s[4:5], s[50:51], exec
	s_and_b64 s[8:9], s[56:57], exec
	s_or_b64 s[50:51], s[4:5], s[8:9]
	s_and_b64 s[16:17], s[6:7], exec
	v_mov_b32_e32 v2, v3
.LBB104_405:                            ;   in Loop: Header=BB104_15 Depth=1
	s_or_b64 exec, exec, s[48:49]
	v_readlane_b32 s4, v54, 50
	v_readlane_b32 s5, v54, 51
	s_and_b64 s[46:47], s[46:47], exec
	s_and_b64 s[18:19], s[4:5], exec
	;; [unrolled: 1-line block ×3, first 2 shown]
	s_orn2_b64 s[6:7], s[16:17], exec
.LBB104_406:                            ;   in Loop: Header=BB104_15 Depth=1
	s_or_b64 exec, exec, s[44:45]
	s_andn2_b64 s[4:5], s[36:37], exec
	s_and_b64 s[14:15], s[46:47], exec
	s_or_b64 s[36:37], s[4:5], s[14:15]
	s_andn2_b64 s[4:5], s[38:39], exec
	s_and_b64 s[14:15], s[18:19], exec
	s_or_b64 s[38:39], s[4:5], s[14:15]
	;; [unrolled: 3-line block ×3, first 2 shown]
	s_and_b64 s[18:19], s[6:7], exec
	v_mov_b32_e32 v5, v2
.LBB104_407:                            ;   in Loop: Header=BB104_15 Depth=1
	s_or_b64 exec, exec, s[42:43]
	s_and_b64 s[16:17], s[36:37], exec
	s_and_b64 s[8:9], s[38:39], exec
	;; [unrolled: 1-line block ×3, first 2 shown]
	s_orn2_b64 s[36:37], s[18:19], exec
.LBB104_408:                            ;   in Loop: Header=BB104_15 Depth=1
	s_or_b64 exec, exec, s[28:29]
	s_mov_b64 s[18:19], s[24:25]
	s_mov_b64 s[28:29], s[20:21]
	s_and_saveexec_b64 s[38:39], s[36:37]
; %bb.409:                              ;   in Loop: Header=BB104_15 Depth=1
	v_cmp_ne_u32_e64 s[18:19], 5, v10
	v_cmp_eq_u32_e32 vcc, 5, v10
	s_andn2_b64 s[4:5], s[20:21], exec
	s_and_b64 s[14:15], s[18:19], exec
	s_or_b64 s[28:29], s[4:5], s[14:15]
	s_andn2_b64 s[4:5], s[24:25], exec
	s_and_b64 s[14:15], vcc, exec
	s_andn2_b64 s[16:17], s[16:17], exec
	s_andn2_b64 s[8:9], s[8:9], exec
	;; [unrolled: 1-line block ×3, first 2 shown]
	s_or_b64 s[18:19], s[4:5], s[14:15]
; %bb.410:                              ;   in Loop: Header=BB104_15 Depth=1
	s_or_b64 exec, exec, s[38:39]
	s_andn2_b64 s[4:5], s[30:31], exec
	s_and_b64 s[14:15], s[16:17], exec
	s_or_b64 s[30:31], s[4:5], s[14:15]
	s_andn2_b64 s[4:5], s[34:35], exec
	s_and_b64 s[8:9], s[8:9], exec
	s_or_b64 s[34:35], s[4:5], s[8:9]
	s_andn2_b64 s[4:5], s[22:23], exec
	s_and_b64 s[6:7], s[6:7], exec
	s_or_b64 s[22:23], s[4:5], s[6:7]
	s_andn2_b64 s[4:5], s[20:21], exec
	s_and_b64 s[6:7], s[28:29], exec
	s_or_b64 s[20:21], s[4:5], s[6:7]
	s_andn2_b64 s[4:5], s[24:25], exec
	s_and_b64 s[6:7], s[18:19], exec
	s_or_b64 s[24:25], s[4:5], s[6:7]
	v_mov_b32_e32 v2, v35
	v_mov_b32_e32 v3, v34
	;; [unrolled: 1-line block ×3, first 2 shown]
.LBB104_411:                            ;   in Loop: Header=BB104_15 Depth=1
	s_or_b64 exec, exec, s[26:27]
	s_mov_b64 s[28:29], s[22:23]
	s_mov_b64 s[26:27], s[22:23]
	s_and_saveexec_b64 s[6:7], s[24:25]
.LBB104_412:                            ;   in Loop: Header=BB104_15 Depth=1
	v_mov_b32_e32 v10, 0
	s_andn2_b64 s[22:23], s[22:23], exec
	s_andn2_b64 s[30:31], s[30:31], exec
	;; [unrolled: 1-line block ×5, first 2 shown]
	s_or_b64 s[20:21], s[20:21], exec
.LBB104_413:                            ;   in Loop: Header=BB104_15 Depth=1
	s_or_b64 exec, exec, s[6:7]
	s_andn2_b64 s[4:5], s[82:83], exec
	s_and_b64 s[6:7], s[22:23], exec
	s_or_b64 s[82:83], s[4:5], s[6:7]
	s_andn2_b64 s[4:5], s[80:81], exec
	s_and_b64 s[6:7], s[30:31], exec
	s_or_b64 s[80:81], s[4:5], s[6:7]
	;; [unrolled: 3-line block ×4, first 2 shown]
	s_andn2_b64 s[4:5], s[84:85], exec
	s_and_b64 s[6:7], s[26:27], exec
	s_mov_b64 s[8:9], -1
	s_or_b64 s[84:85], s[4:5], s[6:7]
                                        ; implicit-def: $vgpr34
                                        ; implicit-def: $vgpr35
                                        ; implicit-def: $vgpr37
                                        ; implicit-def: $vgpr36
	s_and_saveexec_b64 s[4:5], s[20:21]
	s_xor_b64 s[6:7], exec, s[4:5]
	s_cbranch_execz .LBB104_14
; %bb.414:                              ;   in Loop: Header=BB104_15 Depth=1
	v_cmp_eq_u32_e32 vcc, 0, v10
	s_mov_b64 s[16:17], -1
	s_and_saveexec_b64 s[18:19], vcc
	s_cbranch_execz .LBB104_13
; %bb.415:                              ;   in Loop: Header=BB104_15 Depth=1
	s_xor_b32 s63, s63, 1
	s_add_i32 s11, s62, -2
	s_cmp_eq_u32 s62, 0
	s_cselect_b64 s[4:5], -1, 0
	s_xor_b64 s[16:17], exec, -1
	s_orn2_b64 s[8:9], s[4:5], exec
	s_mov_b32 s62, s11
	s_branch .LBB104_13
.LBB104_416:
	s_or_b64 exec, exec, s[90:91]
	s_xor_b64 s[6:7], s[2:3], -1
	s_xor_b64 s[14:15], s[70:71], -1
	;; [unrolled: 1-line block ×5, first 2 shown]
	s_mov_b64 s[8:9], 0
	s_and_saveexec_b64 s[10:11], s[4:5]
	s_xor_b64 s[10:11], exec, s[10:11]
	s_cbranch_execnz .LBB104_421
; %bb.417:
	s_andn2_saveexec_b64 s[0:1], s[10:11]
	s_cbranch_execnz .LBB104_440
.LBB104_418:
	s_or_b64 exec, exec, s[0:1]
	s_and_saveexec_b64 s[0:1], s[8:9]
.LBB104_419:
	; divergent unreachable
.LBB104_420:
	s_endpgm
.LBB104_421:
	s_and_saveexec_b64 s[4:5], s[12:13]
	s_xor_b64 s[12:13], exec, s[4:5]
	s_cbranch_execz .LBB104_438
; %bb.422:
	s_and_saveexec_b64 s[4:5], s[14:15]
	s_xor_b64 s[14:15], exec, s[4:5]
	s_cbranch_execz .LBB104_436
; %bb.423:
	;; [unrolled: 4-line block ×3, first 2 shown]
	s_and_saveexec_b64 s[4:5], s[2:3]
	s_xor_b64 s[2:3], exec, s[4:5]
; %bb.425:
	v_and_b32_e32 v1, 0x8000, v2
	v_mov_b32_e32 v3, 0x8000
	v_mov_b32_e32 v4, 0xffff
	v_cmp_eq_u32_e32 vcc, 0, v1
	v_cndmask_b32_e32 v1, v3, v4, vcc
	v_xor_b32_e32 v4, v1, v2
; %bb.426:
	s_or_b64 exec, exec, s[2:3]
	s_mov_b64 s[2:3], exec
	v_readlane_b32 s4, v54, 6
	v_readlane_b32 s5, v54, 7
	;; [unrolled: 1-line block ×4, first 2 shown]
	s_and_b64 s[4:5], s[2:3], s[4:5]
	v_readlane_b32 s9, v54, 27
	v_readlane_b32 s41, v54, 12
	s_mov_b64 exec, s[4:5]
	s_cbranch_execz .LBB104_428
; %bb.427:
	v_mov_b32_e32 v1, 0
	ds_write_b32 v1, v1 offset:4108
.LBB104_428:
	s_or_b64 exec, exec, s[2:3]
	v_mov_b32_e32 v5, 0
	s_waitcnt lgkmcnt(0)
	s_barrier
	s_mov_b64 s[2:3], exec
	v_readlane_b32 s4, v54, 28
	v_readlane_b32 s5, v54, 29
	s_and_b64 s[4:5], s[2:3], s[4:5]
	s_mov_b64 exec, s[4:5]
	s_cbranch_execz .LBB104_430
; %bb.429:
	global_load_ushort v5, v[8:9], off
.LBB104_430:
	s_or_b64 exec, exec, s[2:3]
	v_readlane_b32 s2, v54, 1
	v_readlane_b32 s3, v54, 8
	s_mul_i32 s2, s2, s78
	s_mul_i32 s3, s3, s77
	s_add_i32 s30, s60, 63
	s_add_i32 s2, s2, s65
	;; [unrolled: 1-line block ×3, first 2 shown]
	s_mov_b32 s3, 0
	s_andn2_b32 s30, s30, 63
	s_lshl_b64 s[6:7], s[2:3], 1
	v_readlane_b32 s18, v54, 2
	s_load_dword s37, s[8:9], 0x1c8
	s_load_dword s38, s[8:9], 0x2a8
	v_mov_b32_e32 v1, 0xffff
	v_mov_b32_e32 v11, 0x8000
	v_cmp_lt_i16_e32 vcc, -1, v4
	v_readlane_b32 s19, v54, 3
	s_add_u32 s31, s18, s6
	s_mov_b32 s5, s3
	v_cndmask_b32_e32 v2, v1, v11, vcc
	s_addc_u32 s34, s19, s7
	s_lshl_b64 s[2:3], s[4:5], 3
	v_readlane_b32 s4, v54, 4
	v_xor_b32_sdwa v2, v2, v4 dst_sel:DWORD dst_unused:UNUSED_PAD src0_sel:DWORD src1_sel:WORD_0
	v_cmp_o_f16_e32 vcc, v4, v4
	v_readlane_b32 s5, v54, 5
	s_add_u32 s35, s4, s2
	v_cndmask_b32_e32 v10, v1, v2, vcc
	s_addc_u32 s36, s5, s3
	v_cmp_gt_u32_e32 vcc, s30, v0
	s_mov_b64 s[8:9], -1
	s_mov_b64 s[2:3], 0
	s_mov_b64 s[4:5], 0
	s_and_saveexec_b64 s[6:7], vcc
	s_cbranch_execnz .LBB104_441
; %bb.431:
	s_or_b64 exec, exec, s[6:7]
	s_and_saveexec_b64 s[6:7], s[8:9]
	s_cbranch_execnz .LBB104_458
.LBB104_432:
	s_or_b64 exec, exec, s[6:7]
	s_and_saveexec_b64 s[0:1], s[4:5]
	s_xor_b64 s[0:1], exec, s[0:1]
	s_cbranch_execnz .LBB104_481
.LBB104_433:
	s_or_b64 exec, exec, s[0:1]
	s_and_b64 s[8:9], s[2:3], exec
.LBB104_434:
	s_andn2_saveexec_b64 s[0:1], s[16:17]
	s_cbranch_execnz .LBB104_483
.LBB104_435:
	s_or_b64 exec, exec, s[0:1]
	s_and_b64 s[8:9], s[8:9], exec
.LBB104_436:
	s_andn2_saveexec_b64 s[0:1], s[14:15]
	s_cbranch_execnz .LBB104_482
.LBB104_437:
	s_or_b64 exec, exec, s[0:1]
	s_and_b64 s[8:9], s[8:9], exec
.LBB104_438:
	s_andn2_saveexec_b64 s[0:1], s[12:13]
	s_cbranch_execnz .LBB104_477
.LBB104_439:
	s_or_b64 exec, exec, s[0:1]
	s_and_b64 s[8:9], s[8:9], exec
	s_andn2_saveexec_b64 s[0:1], s[10:11]
	s_cbranch_execz .LBB104_418
.LBB104_440:
	s_or_b64 s[8:9], s[8:9], exec
	s_trap 2
	s_or_b64 exec, exec, s[0:1]
	s_and_saveexec_b64 s[0:1], s[8:9]
	s_cbranch_execnz .LBB104_419
	s_branch .LBB104_420
.LBB104_441:
	v_add_u32_e32 v2, s33, v0
	v_readlane_b32 s4, v54, 0
	v_mul_lo_u32 v2, s4, v2
	s_mov_b64 s[18:19], 0
	v_mov_b32_e32 v3, 0
	v_mov_b32_e32 v4, v0
                                        ; implicit-def: $sgpr20_sgpr21
                                        ; implicit-def: $vgpr14
	s_branch .LBB104_443
.LBB104_442:                            ;   in Loop: Header=BB104_443 Depth=1
	s_or_b64 exec, exec, s[22:23]
	s_xor_b64 s[4:5], s[26:27], -1
	s_and_b64 s[8:9], exec, s[8:9]
	s_or_b64 s[18:19], s[8:9], s[18:19]
	s_andn2_b64 s[8:9], s[20:21], exec
	s_and_b64 s[4:5], s[4:5], exec
	s_or_b64 s[20:21], s[8:9], s[4:5]
	v_mov_b32_e32 v4, v12
	s_waitcnt vmcnt(0)
	v_mov_b32_e32 v5, v15
	s_andn2_b64 exec, exec, s[18:19]
	s_cbranch_execz .LBB104_457
.LBB104_443:                            ; =>This Inner Loop Header: Depth=1
	v_add_u32_e32 v12, s33, v4
	v_cmp_gt_u32_e64 s[4:5], s60, v12
	v_mov_b32_e32 v15, 0
	s_and_saveexec_b64 s[8:9], s[4:5]
	s_cbranch_execz .LBB104_445
; %bb.444:                              ;   in Loop: Header=BB104_443 Depth=1
	v_lshlrev_b64 v[16:17], 1, v[2:3]
	v_mov_b32_e32 v15, s66
	v_add_co_u32_e64 v16, s[4:5], s64, v16
	v_addc_co_u32_e64 v17, s[4:5], v15, v17, s[4:5]
	global_load_ushort v15, v[16:17], off
.LBB104_445:                            ;   in Loop: Header=BB104_443 Depth=1
	s_or_b64 exec, exec, s[8:9]
	v_cmp_gt_u32_e64 s[4:5], s60, v4
	s_mov_b64 s[22:23], 0
	s_and_saveexec_b64 s[8:9], s[4:5]
	s_cbranch_execz .LBB104_447
; %bb.446:                              ;   in Loop: Header=BB104_443 Depth=1
	s_waitcnt vmcnt(0)
	v_cmp_lt_i16_e64 s[4:5], -1, v5
	v_cndmask_b32_e64 v16, v1, v11, s[4:5]
	v_xor_b32_sdwa v16, v16, v5 dst_sel:DWORD dst_unused:UNUSED_PAD src0_sel:DWORD src1_sel:WORD_0
	v_cmp_o_f16_e64 s[4:5], v5, v5
	v_cndmask_b32_e64 v16, v1, v16, s[4:5]
	v_cmp_gt_u32_e64 s[4:5], v16, v10
	v_cndmask_b32_e64 v17, 0, 1, s[4:5]
	v_cmp_lt_u32_e64 s[4:5], v16, v10
	v_cndmask_b32_e64 v16, 0, 1, s[4:5]
	v_cndmask_b32_e64 v16, v16, v17, s[40:41]
	v_and_b32_e32 v16, 1, v16
	v_cmp_eq_u32_e64 s[4:5], 1, v16
	s_and_b64 s[22:23], s[4:5], exec
.LBB104_447:                            ;   in Loop: Header=BB104_443 Depth=1
	s_or_b64 exec, exec, s[8:9]
	v_cndmask_b32_e64 v16, 0, 1, s[22:23]
	v_cmp_ne_u32_e64 s[4:5], 0, v16
	s_cmp_lg_u64 s[4:5], 0
	s_cselect_b64 s[8:9], -1, 0
	s_and_b64 s[8:9], s[0:1], s[8:9]
	s_and_saveexec_b64 s[24:25], s[8:9]
	s_cbranch_execz .LBB104_451
; %bb.448:                              ;   in Loop: Header=BB104_443 Depth=1
	s_mov_b64 s[28:29], exec
	s_waitcnt lgkmcnt(0)
	v_mbcnt_lo_u32_b32 v14, s28, 0
	v_mbcnt_hi_u32_b32 v14, s29, v14
	s_bcnt1_i32_b64 s39, s[4:5]
	v_cmp_eq_u32_e64 s[8:9], 0, v14
                                        ; implicit-def: $vgpr16
	s_and_saveexec_b64 s[26:27], s[8:9]
	s_cbranch_execz .LBB104_450
; %bb.449:                              ;   in Loop: Header=BB104_443 Depth=1
	s_bcnt1_i32_b64 s8, s[28:29]
	s_mul_i32 s8, s39, s8
	v_mov_b32_e32 v16, s8
	ds_add_rtn_u32 v16, v3, v16 offset:4108
.LBB104_450:                            ;   in Loop: Header=BB104_443 Depth=1
	s_or_b64 exec, exec, s[26:27]
	s_waitcnt lgkmcnt(0)
	v_readfirstlane_b32 s8, v16
	v_mov_b32_e32 v16, s8
	v_mad_u32_u24 v14, s39, v14, v16
.LBB104_451:                            ;   in Loop: Header=BB104_443 Depth=1
	s_or_b64 exec, exec, s[24:25]
	s_waitcnt lgkmcnt(0)
	ds_bpermute_b32 v14, v13, v14
	s_mov_b64 s[8:9], -1
	s_mov_b64 s[28:29], -1
                                        ; implicit-def: $sgpr26_sgpr27
	s_and_saveexec_b64 s[24:25], s[22:23]
	s_cbranch_execz .LBB104_455
; %bb.452:                              ;   in Loop: Header=BB104_443 Depth=1
	v_and_b32_e32 v17, s4, v6
	v_and_b32_e32 v16, s5, v7
	v_bcnt_u32_b32 v17, v17, 0
	v_bcnt_u32_b32 v16, v16, v17
	s_waitcnt lgkmcnt(0)
	v_add_u32_e32 v16, v14, v16
	v_cmp_gt_u32_e64 s[4:5], s61, v16
	s_mov_b64 s[22:23], 0
	s_and_saveexec_b64 s[26:27], s[4:5]
	s_cbranch_execz .LBB104_454
; %bb.453:                              ;   in Loop: Header=BB104_443 Depth=1
	v_mul_lo_u32 v18, v16, s37
	v_mov_b32_e32 v19, v3
	v_lshlrev_b64 v[18:19], 1, v[18:19]
	v_mov_b32_e32 v17, s34
	v_add_co_u32_e64 v18, s[4:5], s31, v18
	v_mul_lo_u32 v16, v16, s38
	v_addc_co_u32_e64 v19, s[4:5], v17, v19, s[4:5]
	v_mov_b32_e32 v17, v3
	v_lshlrev_b64 v[16:17], 3, v[16:17]
	s_waitcnt vmcnt(0)
	global_store_short v[18:19], v5, off
	v_mov_b32_e32 v18, s36
	v_add_co_u32_e64 v16, s[4:5], s35, v16
	s_mov_b64 s[22:23], exec
	v_mov_b32_e32 v5, v3
	v_addc_co_u32_e64 v17, s[4:5], v18, v17, s[4:5]
	global_store_dwordx2 v[16:17], v[4:5], off
.LBB104_454:                            ;   in Loop: Header=BB104_443 Depth=1
	s_or_b64 exec, exec, s[26:27]
	s_mov_b64 s[26:27], -1
	s_orn2_b64 s[28:29], s[22:23], exec
.LBB104_455:                            ;   in Loop: Header=BB104_443 Depth=1
	s_or_b64 exec, exec, s[24:25]
	s_and_saveexec_b64 s[22:23], s[28:29]
	s_cbranch_execz .LBB104_442
; %bb.456:                              ;   in Loop: Header=BB104_443 Depth=1
	v_cmp_le_u32_e64 s[4:5], s30, v12
	v_add_u32_e32 v2, s76, v2
	s_andn2_b64 s[26:27], s[26:27], exec
	s_orn2_b64 s[8:9], s[4:5], exec
	s_branch .LBB104_442
.LBB104_457:
	s_or_b64 exec, exec, s[18:19]
	s_mov_b64 s[4:5], exec
	s_orn2_b64 s[8:9], s[20:21], exec
	s_or_b64 exec, exec, s[6:7]
	s_and_saveexec_b64 s[6:7], s[8:9]
	s_cbranch_execz .LBB104_432
.LBB104_458:
	v_mov_b32_e32 v1, 0
	s_waitcnt lgkmcnt(0)
	s_barrier
	s_mov_b64 s[2:3], exec
	v_readlane_b32 s8, v54, 28
	v_readlane_b32 s9, v54, 29
	s_and_b64 s[8:9], s[2:3], s[8:9]
	s_mov_b64 exec, s[8:9]
	s_cbranch_execz .LBB104_460
; %bb.459:
	global_load_ushort v1, v[8:9], off
.LBB104_460:
	s_or_b64 exec, exec, s[2:3]
	s_mov_b64 s[2:3], 0
	s_and_saveexec_b64 s[8:9], vcc
	s_cbranch_execz .LBB104_480
; %bb.461:
	v_add_u32_e32 v2, s33, v0
	v_readlane_b32 s2, v54, 0
	v_mul_lo_u32 v2, s2, v2
	s_mov_b64 s[18:19], 0
	v_mov_b32_e32 v3, 0
	v_mov_b32_e32 v4, 0xffff
	s_waitcnt vmcnt(0)
	v_mov_b32_e32 v5, 0x8000
                                        ; implicit-def: $sgpr20_sgpr21
                                        ; implicit-def: $vgpr8
	s_branch .LBB104_464
.LBB104_462:                            ;   in Loop: Header=BB104_464 Depth=1
	s_or_b64 exec, exec, s[24:25]
	s_orn2_b64 s[26:27], s[26:27], exec
	s_orn2_b64 s[24:25], s[22:23], exec
	s_waitcnt vmcnt(0)
	v_mov_b32_e32 v1, v11
	v_mov_b32_e32 v0, v9
.LBB104_463:                            ;   in Loop: Header=BB104_464 Depth=1
	s_or_b64 exec, exec, s[2:3]
	s_xor_b64 s[2:3], s[26:27], -1
	s_and_b64 s[22:23], exec, s[24:25]
	s_or_b64 s[18:19], s[22:23], s[18:19]
	s_andn2_b64 s[20:21], s[20:21], exec
	s_and_b64 s[2:3], s[2:3], exec
	s_or_b64 s[20:21], s[20:21], s[2:3]
	s_andn2_b64 exec, exec, s[18:19]
	s_cbranch_execz .LBB104_478
.LBB104_464:                            ; =>This Inner Loop Header: Depth=1
	v_add_u32_e32 v9, s33, v0
	v_cmp_gt_u32_e32 vcc, s60, v9
	s_waitcnt vmcnt(0)
	v_mov_b32_e32 v11, 0
	s_and_saveexec_b64 s[2:3], vcc
	s_cbranch_execz .LBB104_466
; %bb.465:                              ;   in Loop: Header=BB104_464 Depth=1
	v_lshlrev_b64 v[14:15], 1, v[2:3]
	v_mov_b32_e32 v11, s66
	v_add_co_u32_e32 v14, vcc, s64, v14
	v_addc_co_u32_e32 v15, vcc, v11, v15, vcc
	global_load_ushort v11, v[14:15], off
.LBB104_466:                            ;   in Loop: Header=BB104_464 Depth=1
	s_or_b64 exec, exec, s[2:3]
	v_cmp_lt_i16_e64 s[2:3], -1, v1
	v_cndmask_b32_e64 v12, v4, v5, s[2:3]
	v_xor_b32_sdwa v12, v12, v1 dst_sel:DWORD dst_unused:UNUSED_PAD src0_sel:DWORD src1_sel:WORD_0
	v_cmp_o_f16_e64 s[2:3], v1, v1
	v_cndmask_b32_e64 v12, v4, v12, s[2:3]
	v_cmp_gt_u32_e32 vcc, s60, v0
	v_cmp_eq_u32_e64 s[2:3], v12, v10
	s_and_b64 s[22:23], vcc, s[2:3]
	v_cndmask_b32_e64 v12, 0, 1, s[22:23]
	v_cmp_ne_u32_e32 vcc, 0, v12
	s_cmp_lg_u64 vcc, 0
	s_cselect_b64 s[2:3], -1, 0
	s_and_b64 s[2:3], s[0:1], s[2:3]
	s_and_saveexec_b64 s[24:25], s[2:3]
	s_cbranch_execz .LBB104_470
; %bb.467:                              ;   in Loop: Header=BB104_464 Depth=1
	s_mov_b64 s[28:29], exec
	v_mbcnt_lo_u32_b32 v8, s28, 0
	v_mbcnt_hi_u32_b32 v8, s29, v8
	s_bcnt1_i32_b64 s39, vcc
	v_cmp_eq_u32_e64 s[2:3], 0, v8
                                        ; implicit-def: $vgpr12
	s_and_saveexec_b64 s[26:27], s[2:3]
	s_cbranch_execz .LBB104_469
; %bb.468:                              ;   in Loop: Header=BB104_464 Depth=1
	s_bcnt1_i32_b64 s2, s[28:29]
	s_mul_i32 s2, s39, s2
	v_mov_b32_e32 v12, s2
	ds_add_rtn_u32 v12, v3, v12 offset:4108
.LBB104_469:                            ;   in Loop: Header=BB104_464 Depth=1
	s_or_b64 exec, exec, s[26:27]
	s_waitcnt lgkmcnt(0)
	v_readfirstlane_b32 s2, v12
	v_mov_b32_e32 v12, s2
	v_mad_u32_u24 v8, s39, v8, v12
.LBB104_470:                            ;   in Loop: Header=BB104_464 Depth=1
	s_or_b64 exec, exec, s[24:25]
	ds_bpermute_b32 v8, v13, v8
	s_cmp_eq_u64 vcc, 0
	s_cselect_b64 s[26:27], -1, 0
	s_mov_b64 s[24:25], -1
	s_waitcnt lgkmcnt(0)
	v_cmp_gt_u32_e64 s[2:3], s61, v8
	s_or_b64 s[28:29], s[26:27], s[2:3]
	s_mov_b64 s[26:27], -1
	s_and_saveexec_b64 s[2:3], s[28:29]
	s_cbranch_execz .LBB104_463
; %bb.471:                              ;   in Loop: Header=BB104_464 Depth=1
	v_and_b32_e32 v14, vcc_lo, v6
	v_and_b32_e32 v12, vcc_hi, v7
	v_bcnt_u32_b32 v14, v14, 0
	v_bcnt_u32_b32 v12, v12, v14
	v_sub_u32_e32 v14, s61, v8
	v_cmp_gt_u32_e32 vcc, v14, v12
	s_and_b64 s[40:41], s[22:23], vcc
	s_mov_b64 s[22:23], -1
	s_mov_b64 s[28:29], -1
	s_and_saveexec_b64 s[24:25], s[40:41]
	s_cbranch_execz .LBB104_475
; %bb.472:                              ;   in Loop: Header=BB104_464 Depth=1
	v_add_u32_e32 v12, v8, v12
	v_cmp_gt_u32_e32 vcc, s61, v12
	s_mov_b64 s[28:29], 0
	s_and_saveexec_b64 s[26:27], vcc
	s_cbranch_execz .LBB104_474
; %bb.473:                              ;   in Loop: Header=BB104_464 Depth=1
	v_mul_lo_u32 v14, v12, s37
	v_mov_b32_e32 v15, v3
	v_lshlrev_b64 v[14:15], 1, v[14:15]
	v_mul_lo_u32 v16, v12, s38
	v_mov_b32_e32 v12, s34
	v_add_co_u32_e32 v14, vcc, s31, v14
	v_addc_co_u32_e32 v15, vcc, v12, v15, vcc
	v_mov_b32_e32 v17, v3
	global_store_short v[14:15], v1, off
	v_lshlrev_b64 v[14:15], 3, v[16:17]
	v_mov_b32_e32 v12, s36
	v_add_co_u32_e32 v14, vcc, s35, v14
	s_mov_b64 s[28:29], exec
	v_mov_b32_e32 v1, v3
	v_addc_co_u32_e32 v15, vcc, v12, v15, vcc
	global_store_dwordx2 v[14:15], v[0:1], off
.LBB104_474:                            ;   in Loop: Header=BB104_464 Depth=1
	s_or_b64 exec, exec, s[26:27]
	s_xor_b64 s[26:27], exec, -1
	s_orn2_b64 s[28:29], s[28:29], exec
.LBB104_475:                            ;   in Loop: Header=BB104_464 Depth=1
	s_or_b64 exec, exec, s[24:25]
	s_and_saveexec_b64 s[24:25], s[28:29]
	s_cbranch_execz .LBB104_462
; %bb.476:                              ;   in Loop: Header=BB104_464 Depth=1
	v_cmp_le_u32_e32 vcc, s30, v9
	v_add_u32_e32 v2, s76, v2
	s_or_b64 s[26:27], s[26:27], exec
	s_orn2_b64 s[22:23], vcc, exec
	s_branch .LBB104_462
.LBB104_477:
	s_or_b64 s[8:9], s[8:9], exec
	s_trap 2
	s_branch .LBB104_439
.LBB104_478:
	s_or_b64 exec, exec, s[18:19]
	s_mov_b64 s[0:1], 0
	s_and_saveexec_b64 s[2:3], s[20:21]
	s_xor_b64 s[2:3], exec, s[2:3]
	s_cbranch_execnz .LBB104_484
.LBB104_479:
	s_or_b64 exec, exec, s[2:3]
	s_and_b64 s[2:3], s[0:1], exec
.LBB104_480:
	s_or_b64 exec, exec, s[8:9]
	s_and_b64 s[2:3], s[2:3], exec
	s_andn2_b64 s[4:5], s[4:5], exec
	s_or_b64 exec, exec, s[6:7]
	s_and_saveexec_b64 s[0:1], s[4:5]
	s_xor_b64 s[0:1], exec, s[0:1]
	s_cbranch_execz .LBB104_433
.LBB104_481:
	s_trap 2
	s_or_b64 s[2:3], s[2:3], exec
	s_branch .LBB104_433
.LBB104_482:
	s_or_b64 s[8:9], s[8:9], exec
	s_trap 2
	s_branch .LBB104_437
.LBB104_483:
	s_trap 2
	s_or_b64 s[8:9], s[8:9], exec
	s_branch .LBB104_435
.LBB104_484:
	s_mov_b64 s[0:1], exec
	s_trap 2
	s_branch .LBB104_479
	.section	.rodata,"a",@progbits
	.p2align	6, 0x0
	.amdhsa_kernel _ZN2at6native6sbtopk10gatherTopKIN3c104HalfEjLin1ELb0EEEvNS_4cuda6detail10TensorInfoIKT_T0_EESA_SA_bSA_SA_NS7_IS8_SA_EESA_NS7_IlSA_EESA_PS8_
		.amdhsa_group_segment_fixed_size 4112
		.amdhsa_private_segment_fixed_size 0
		.amdhsa_kernarg_size 952
		.amdhsa_user_sgpr_count 6
		.amdhsa_user_sgpr_private_segment_buffer 1
		.amdhsa_user_sgpr_dispatch_ptr 0
		.amdhsa_user_sgpr_queue_ptr 0
		.amdhsa_user_sgpr_kernarg_segment_ptr 1
		.amdhsa_user_sgpr_dispatch_id 0
		.amdhsa_user_sgpr_flat_scratch_init 0
		.amdhsa_user_sgpr_kernarg_preload_length 0
		.amdhsa_user_sgpr_kernarg_preload_offset 0
		.amdhsa_user_sgpr_private_segment_size 0
		.amdhsa_uses_dynamic_stack 0
		.amdhsa_system_sgpr_private_segment_wavefront_offset 0
		.amdhsa_system_sgpr_workgroup_id_x 1
		.amdhsa_system_sgpr_workgroup_id_y 1
		.amdhsa_system_sgpr_workgroup_id_z 1
		.amdhsa_system_sgpr_workgroup_info 0
		.amdhsa_system_vgpr_workitem_id 0
		.amdhsa_next_free_vgpr 55
		.amdhsa_next_free_sgpr 96
		.amdhsa_accum_offset 56
		.amdhsa_reserve_vcc 1
		.amdhsa_reserve_flat_scratch 0
		.amdhsa_float_round_mode_32 0
		.amdhsa_float_round_mode_16_64 0
		.amdhsa_float_denorm_mode_32 3
		.amdhsa_float_denorm_mode_16_64 3
		.amdhsa_dx10_clamp 1
		.amdhsa_ieee_mode 1
		.amdhsa_fp16_overflow 0
		.amdhsa_tg_split 0
		.amdhsa_exception_fp_ieee_invalid_op 0
		.amdhsa_exception_fp_denorm_src 0
		.amdhsa_exception_fp_ieee_div_zero 0
		.amdhsa_exception_fp_ieee_overflow 0
		.amdhsa_exception_fp_ieee_underflow 0
		.amdhsa_exception_fp_ieee_inexact 0
		.amdhsa_exception_int_div_zero 0
	.end_amdhsa_kernel
	.section	.text._ZN2at6native6sbtopk10gatherTopKIN3c104HalfEjLin1ELb0EEEvNS_4cuda6detail10TensorInfoIKT_T0_EESA_SA_bSA_SA_NS7_IS8_SA_EESA_NS7_IlSA_EESA_PS8_,"axG",@progbits,_ZN2at6native6sbtopk10gatherTopKIN3c104HalfEjLin1ELb0EEEvNS_4cuda6detail10TensorInfoIKT_T0_EESA_SA_bSA_SA_NS7_IS8_SA_EESA_NS7_IlSA_EESA_PS8_,comdat
.Lfunc_end104:
	.size	_ZN2at6native6sbtopk10gatherTopKIN3c104HalfEjLin1ELb0EEEvNS_4cuda6detail10TensorInfoIKT_T0_EESA_SA_bSA_SA_NS7_IS8_SA_EESA_NS7_IlSA_EESA_PS8_, .Lfunc_end104-_ZN2at6native6sbtopk10gatherTopKIN3c104HalfEjLin1ELb0EEEvNS_4cuda6detail10TensorInfoIKT_T0_EESA_SA_bSA_SA_NS7_IS8_SA_EESA_NS7_IlSA_EESA_PS8_
                                        ; -- End function
	.section	.AMDGPU.csdata,"",@progbits
; Kernel info:
; codeLenInByte = 17288
; NumSgprs: 100
; NumVgprs: 55
; NumAgprs: 0
; TotalNumVgprs: 55
; ScratchSize: 0
; MemoryBound: 0
; FloatMode: 240
; IeeeMode: 1
; LDSByteSize: 4112 bytes/workgroup (compile time only)
; SGPRBlocks: 12
; VGPRBlocks: 6
; NumSGPRsForWavesPerEU: 100
; NumVGPRsForWavesPerEU: 55
; AccumOffset: 56
; Occupancy: 8
; WaveLimiterHint : 1
; COMPUTE_PGM_RSRC2:SCRATCH_EN: 0
; COMPUTE_PGM_RSRC2:USER_SGPR: 6
; COMPUTE_PGM_RSRC2:TRAP_HANDLER: 0
; COMPUTE_PGM_RSRC2:TGID_X_EN: 1
; COMPUTE_PGM_RSRC2:TGID_Y_EN: 1
; COMPUTE_PGM_RSRC2:TGID_Z_EN: 1
; COMPUTE_PGM_RSRC2:TIDIG_COMP_CNT: 0
; COMPUTE_PGM_RSRC3_GFX90A:ACCUM_OFFSET: 13
; COMPUTE_PGM_RSRC3_GFX90A:TG_SPLIT: 0
	.section	.text._ZN2at6native6mbtopk23computeBlockDigitCountsIN3c108BFloat16EjjLi1EEEvNS_4cuda6detail10TensorInfoIKT_T0_EEjPjjSA_iijT1_PSD_Ps,"axG",@progbits,_ZN2at6native6mbtopk23computeBlockDigitCountsIN3c108BFloat16EjjLi1EEEvNS_4cuda6detail10TensorInfoIKT_T0_EEjPjjSA_iijT1_PSD_Ps,comdat
	.protected	_ZN2at6native6mbtopk23computeBlockDigitCountsIN3c108BFloat16EjjLi1EEEvNS_4cuda6detail10TensorInfoIKT_T0_EEjPjjSA_iijT1_PSD_Ps ; -- Begin function _ZN2at6native6mbtopk23computeBlockDigitCountsIN3c108BFloat16EjjLi1EEEvNS_4cuda6detail10TensorInfoIKT_T0_EEjPjjSA_iijT1_PSD_Ps
	.globl	_ZN2at6native6mbtopk23computeBlockDigitCountsIN3c108BFloat16EjjLi1EEEvNS_4cuda6detail10TensorInfoIKT_T0_EEjPjjSA_iijT1_PSD_Ps
	.p2align	8
	.type	_ZN2at6native6mbtopk23computeBlockDigitCountsIN3c108BFloat16EjjLi1EEEvNS_4cuda6detail10TensorInfoIKT_T0_EEjPjjSA_iijT1_PSD_Ps,@function
_ZN2at6native6mbtopk23computeBlockDigitCountsIN3c108BFloat16EjjLi1EEEvNS_4cuda6detail10TensorInfoIKT_T0_EEjPjjSA_iijT1_PSD_Ps: ; @_ZN2at6native6mbtopk23computeBlockDigitCountsIN3c108BFloat16EjjLi1EEEvNS_4cuda6detail10TensorInfoIKT_T0_EEjPjjSA_iijT1_PSD_Ps
; %bb.0:
	s_load_dwordx2 s[10:11], s[4:5], 0xf8
	s_load_dwordx4 s[12:15], s[4:5], 0xe8
	s_load_dwordx2 s[0:1], s[4:5], 0x110
	s_waitcnt lgkmcnt(0)
	v_cvt_f32_u32_e32 v1, s10
	s_sub_i32 s2, 0, s10
	s_mul_i32 s1, s1, s8
	s_add_i32 s1, s1, s7
	v_rcp_iflag_f32_e32 v1, v1
	s_mul_i32 s16, s1, s0
	s_add_i32 s16, s16, s6
	s_mov_b32 s7, 0
	v_mul_f32_e32 v1, 0x4f7ffffe, v1
	v_cvt_u32_f32_e32 v1, v1
	v_readfirstlane_b32 s0, v1
	s_mul_i32 s2, s2, s0
	s_mul_hi_u32 s1, s0, s2
	s_add_i32 s0, s0, s1
	s_mul_hi_u32 s0, s16, s0
	s_mul_i32 s1, s0, s10
	s_sub_i32 s1, s16, s1
	s_add_i32 s2, s0, 1
	s_sub_i32 s3, s1, s10
	s_cmp_ge_u32 s1, s10
	s_cselect_b32 s0, s2, s0
	s_cselect_b32 s1, s3, s1
	s_add_i32 s2, s0, 1
	s_cmp_ge_u32 s1, s10
	s_cselect_b32 s6, s2, s0
	s_cmp_ge_u32 s6, s12
	s_cbranch_scc1 .LBB105_29
; %bb.1:
	s_load_dwordx4 s[0:3], s[4:5], 0x100
	s_lshl_b64 s[8:9], s[6:7], 2
	s_movk_i32 s7, 0x100
	v_cmp_gt_u32_e32 vcc, s7, v0
	v_lshlrev_b32_e32 v1, 2, v0
	s_waitcnt lgkmcnt(0)
	s_add_u32 s0, s0, s8
	s_addc_u32 s1, s1, s9
	s_and_saveexec_b64 s[8:9], vcc
	s_cbranch_execz .LBB105_3
; %bb.2:
	v_mov_b32_e32 v2, 0
	ds_write_b32 v1, v2
.LBB105_3:
	s_or_b64 exec, exec, s[8:9]
	s_load_dword s8, s[4:5], 0xd8
	s_mul_i32 s7, s6, s10
	s_sub_i32 s7, s16, s7
	s_add_i32 s9, s7, 1
	s_mul_i32 s7, s15, s7
	s_lshl_b32 s17, s7, 8
	s_waitcnt lgkmcnt(0)
	s_sub_i32 s7, s8, s17
	s_add_u32 s7, s7, 0xff
	s_addc_u32 s12, 0, 0
	v_mov_b32_e32 v2, s7
	v_alignbit_b32 v2, s12, v2, 8
	s_cmp_lt_u32 s9, s10
	v_readfirstlane_b32 s7, v2
	s_cselect_b32 s15, s15, s7
	s_cmp_lt_i32 s15, 1
	s_mov_b32 s7, 0
	s_barrier
	s_cbranch_scc1 .LBB105_25
; %bb.4:
	s_load_dword s10, s[4:5], 0x6c
	s_load_dwordx2 s[18:19], s[4:5], 0x0
	s_load_dword s9, s[0:1], 0x0
	s_waitcnt lgkmcnt(0)
	s_mul_i32 s6, s10, s6
	s_lshl_b64 s[0:1], s[6:7], 1
	s_add_u32 s6, s18, s0
	s_addc_u32 s10, s19, s1
	s_and_b32 s12, s14, 0xff
	s_cmp_lt_u32 s15, 4
	s_cbranch_scc1 .LBB105_19
; %bb.5:
	v_add_u32_e32 v2, s17, v0
	v_add_u32_e32 v3, 0x200, v2
	;; [unrolled: 1-line block ×3, first 2 shown]
	v_mul_lo_u32 v6, s13, v3
	v_add_u32_e32 v3, 0x100, v2
	s_and_b32 s7, s15, 0x7ffffffc
	v_mul_lo_u32 v5, s13, v4
	s_lshl_b32 s14, s13, 10
	v_mul_lo_u32 v7, s13, v3
	v_mul_lo_u32 v8, s13, v2
	s_mov_b32 s18, 0
	v_mov_b32_e32 v3, 0
	v_mov_b32_e32 v9, 1
	;; [unrolled: 1-line block ×4, first 2 shown]
	s_mov_b32 s19, 0
	s_branch .LBB105_7
.LBB105_6:                              ;   in Loop: Header=BB105_7 Depth=1
	s_or_b64 exec, exec, s[4:5]
	s_add_i32 s19, s19, 4
	s_add_i32 s18, s18, s14
	s_cmp_eq_u32 s7, s19
	v_add_u32_e32 v4, 0x400, v4
	s_cbranch_scc1 .LBB105_19
.LBB105_7:                              ; =>This Inner Loop Header: Depth=1
	v_add_u32_e32 v2, 0xfffffd00, v4
	v_cmp_gt_u32_e64 s[0:1], s8, v2
	s_and_saveexec_b64 s[4:5], s[0:1]
	s_cbranch_execz .LBB105_10
; %bb.8:                                ;   in Loop: Header=BB105_7 Depth=1
	v_add_u32_e32 v2, s18, v8
	v_lshlrev_b64 v[12:13], 1, v[2:3]
	v_mov_b32_e32 v2, s10
	v_add_co_u32_e64 v12, s[0:1], s6, v12
	v_addc_co_u32_e64 v13, s[0:1], v2, v13, s[0:1]
	global_load_ushort v2, v[12:13], off
	s_waitcnt vmcnt(0)
	v_cmp_lt_i16_e64 s[0:1], -1, v2
	v_cndmask_b32_e64 v12, v10, v11, s[0:1]
	v_lshlrev_b32_e32 v13, 16, v2
	v_xor_b32_sdwa v2, v12, v2 dst_sel:DWORD dst_unused:UNUSED_PAD src0_sel:DWORD src1_sel:WORD_0
	v_cmp_o_f32_e64 s[0:1], v13, v13
	v_cndmask_b32_e64 v2, v10, v2, s[0:1]
	v_xor_b32_e32 v12, s9, v2
	v_and_b32_e32 v12, s11, v12
	v_cmp_eq_u32_e64 s[0:1], 0, v12
	s_and_b64 exec, exec, s[0:1]
	s_cbranch_execz .LBB105_10
; %bb.9:                                ;   in Loop: Header=BB105_7 Depth=1
	v_bfe_u32 v2, v2, s12, 8
	v_lshlrev_b32_e32 v2, 2, v2
	ds_add_u32 v2, v9
.LBB105_10:                             ;   in Loop: Header=BB105_7 Depth=1
	s_or_b64 exec, exec, s[4:5]
	v_add_u32_e32 v2, 0xfffffe00, v4
	v_cmp_gt_u32_e64 s[0:1], s8, v2
	s_and_saveexec_b64 s[4:5], s[0:1]
	s_cbranch_execz .LBB105_13
; %bb.11:                               ;   in Loop: Header=BB105_7 Depth=1
	v_add_u32_e32 v2, s18, v7
	v_lshlrev_b64 v[12:13], 1, v[2:3]
	v_mov_b32_e32 v2, s10
	v_add_co_u32_e64 v12, s[0:1], s6, v12
	v_addc_co_u32_e64 v13, s[0:1], v2, v13, s[0:1]
	global_load_ushort v2, v[12:13], off
	s_waitcnt vmcnt(0)
	v_cmp_lt_i16_e64 s[0:1], -1, v2
	v_cndmask_b32_e64 v12, v10, v11, s[0:1]
	v_lshlrev_b32_e32 v13, 16, v2
	v_xor_b32_sdwa v2, v12, v2 dst_sel:DWORD dst_unused:UNUSED_PAD src0_sel:DWORD src1_sel:WORD_0
	v_cmp_o_f32_e64 s[0:1], v13, v13
	v_cndmask_b32_e64 v2, v10, v2, s[0:1]
	v_xor_b32_e32 v12, s9, v2
	v_and_b32_e32 v12, s11, v12
	v_cmp_eq_u32_e64 s[0:1], 0, v12
	s_and_b64 exec, exec, s[0:1]
	s_cbranch_execz .LBB105_13
; %bb.12:                               ;   in Loop: Header=BB105_7 Depth=1
	v_bfe_u32 v2, v2, s12, 8
	v_lshlrev_b32_e32 v2, 2, v2
	ds_add_u32 v2, v9
.LBB105_13:                             ;   in Loop: Header=BB105_7 Depth=1
	s_or_b64 exec, exec, s[4:5]
	v_add_u32_e32 v2, 0xffffff00, v4
	v_cmp_gt_u32_e64 s[0:1], s8, v2
	s_and_saveexec_b64 s[4:5], s[0:1]
	s_cbranch_execz .LBB105_16
; %bb.14:                               ;   in Loop: Header=BB105_7 Depth=1
	v_add_u32_e32 v2, s18, v6
	v_lshlrev_b64 v[12:13], 1, v[2:3]
	v_mov_b32_e32 v2, s10
	v_add_co_u32_e64 v12, s[0:1], s6, v12
	v_addc_co_u32_e64 v13, s[0:1], v2, v13, s[0:1]
	global_load_ushort v2, v[12:13], off
	s_waitcnt vmcnt(0)
	v_cmp_lt_i16_e64 s[0:1], -1, v2
	v_cndmask_b32_e64 v12, v10, v11, s[0:1]
	v_lshlrev_b32_e32 v13, 16, v2
	v_xor_b32_sdwa v2, v12, v2 dst_sel:DWORD dst_unused:UNUSED_PAD src0_sel:DWORD src1_sel:WORD_0
	v_cmp_o_f32_e64 s[0:1], v13, v13
	v_cndmask_b32_e64 v2, v10, v2, s[0:1]
	v_xor_b32_e32 v12, s9, v2
	v_and_b32_e32 v12, s11, v12
	v_cmp_eq_u32_e64 s[0:1], 0, v12
	s_and_b64 exec, exec, s[0:1]
	s_cbranch_execz .LBB105_16
; %bb.15:                               ;   in Loop: Header=BB105_7 Depth=1
	v_bfe_u32 v2, v2, s12, 8
	v_lshlrev_b32_e32 v2, 2, v2
	ds_add_u32 v2, v9
.LBB105_16:                             ;   in Loop: Header=BB105_7 Depth=1
	s_or_b64 exec, exec, s[4:5]
	v_cmp_gt_u32_e64 s[0:1], s8, v4
	s_and_saveexec_b64 s[4:5], s[0:1]
	s_cbranch_execz .LBB105_6
; %bb.17:                               ;   in Loop: Header=BB105_7 Depth=1
	v_add_u32_e32 v2, s18, v5
	v_lshlrev_b64 v[12:13], 1, v[2:3]
	v_mov_b32_e32 v2, s10
	v_add_co_u32_e64 v12, s[0:1], s6, v12
	v_addc_co_u32_e64 v13, s[0:1], v2, v13, s[0:1]
	global_load_ushort v2, v[12:13], off
	s_waitcnt vmcnt(0)
	v_cmp_lt_i16_e64 s[0:1], -1, v2
	v_cndmask_b32_e64 v12, v10, v11, s[0:1]
	v_lshlrev_b32_e32 v13, 16, v2
	v_xor_b32_sdwa v2, v12, v2 dst_sel:DWORD dst_unused:UNUSED_PAD src0_sel:DWORD src1_sel:WORD_0
	v_cmp_o_f32_e64 s[0:1], v13, v13
	v_cndmask_b32_e64 v2, v10, v2, s[0:1]
	v_xor_b32_e32 v12, s9, v2
	v_and_b32_e32 v12, s11, v12
	v_cmp_eq_u32_e64 s[0:1], 0, v12
	s_and_b64 exec, exec, s[0:1]
	s_cbranch_execz .LBB105_6
; %bb.18:                               ;   in Loop: Header=BB105_7 Depth=1
	v_bfe_u32 v2, v2, s12, 8
	v_lshlrev_b32_e32 v2, 2, v2
	ds_add_u32 v2, v9
	s_branch .LBB105_6
.LBB105_19:
	s_and_b32 s14, s15, 3
	s_cmp_eq_u32 s14, 0
	s_cbranch_scc1 .LBB105_25
; %bb.20:
	s_lshl_b32 s0, s7, 8
	s_add_i32 s0, s0, s17
	v_add_u32_e32 v4, s0, v0
	v_mul_lo_u32 v2, s13, v4
	s_lshl_b32 s7, s13, 8
	v_mov_b32_e32 v3, 0
	v_mov_b32_e32 v5, 1
	v_mov_b32_e32 v6, 0xffff
	v_mov_b32_e32 v7, 0x8000
	s_branch .LBB105_22
.LBB105_21:                             ;   in Loop: Header=BB105_22 Depth=1
	s_or_b64 exec, exec, s[4:5]
	s_add_i32 s14, s14, -1
	v_add_u32_e32 v2, s7, v2
	s_cmp_lg_u32 s14, 0
	v_add_u32_e32 v4, 0x100, v4
	s_cbranch_scc0 .LBB105_25
.LBB105_22:                             ; =>This Inner Loop Header: Depth=1
	v_cmp_gt_u32_e64 s[0:1], s8, v4
	s_and_saveexec_b64 s[4:5], s[0:1]
	s_cbranch_execz .LBB105_21
; %bb.23:                               ;   in Loop: Header=BB105_22 Depth=1
	v_lshlrev_b64 v[8:9], 1, v[2:3]
	v_mov_b32_e32 v10, s10
	v_add_co_u32_e64 v8, s[0:1], s6, v8
	v_addc_co_u32_e64 v9, s[0:1], v10, v9, s[0:1]
	global_load_ushort v8, v[8:9], off
	s_waitcnt vmcnt(0)
	v_cmp_lt_i16_e64 s[0:1], -1, v8
	v_cndmask_b32_e64 v9, v6, v7, s[0:1]
	v_lshlrev_b32_e32 v10, 16, v8
	v_xor_b32_sdwa v8, v9, v8 dst_sel:DWORD dst_unused:UNUSED_PAD src0_sel:DWORD src1_sel:WORD_0
	v_cmp_o_f32_e64 s[0:1], v10, v10
	v_cndmask_b32_e64 v8, v6, v8, s[0:1]
	v_xor_b32_e32 v9, s9, v8
	v_and_b32_e32 v9, s11, v9
	v_cmp_eq_u32_e64 s[0:1], 0, v9
	s_and_b64 exec, exec, s[0:1]
	s_cbranch_execz .LBB105_21
; %bb.24:                               ;   in Loop: Header=BB105_22 Depth=1
	v_bfe_u32 v8, v8, s12, 8
	v_lshlrev_b32_e32 v8, 2, v8
	ds_add_u32 v8, v5
	s_branch .LBB105_21
.LBB105_25:
	v_mov_b32_e32 v2, 0
	s_waitcnt lgkmcnt(0)
	s_barrier
	s_and_saveexec_b64 s[0:1], vcc
	s_cbranch_execz .LBB105_27
; %bb.26:
	ds_read_b32 v2, v1
.LBB105_27:
	s_or_b64 exec, exec, s[0:1]
	s_and_saveexec_b64 s[0:1], vcc
	s_cbranch_execz .LBB105_29
; %bb.28:
	v_lshl_or_b32 v0, s16, 8, v0
	v_mov_b32_e32 v1, 0
	v_lshlrev_b64 v[0:1], 1, v[0:1]
	v_mov_b32_e32 v3, s3
	v_add_co_u32_e32 v0, vcc, s2, v0
	v_addc_co_u32_e32 v1, vcc, v3, v1, vcc
	s_waitcnt lgkmcnt(0)
	global_store_short v[0:1], v2, off
.LBB105_29:
	s_endpgm
	.section	.rodata,"a",@progbits
	.p2align	6, 0x0
	.amdhsa_kernel _ZN2at6native6mbtopk23computeBlockDigitCountsIN3c108BFloat16EjjLi1EEEvNS_4cuda6detail10TensorInfoIKT_T0_EEjPjjSA_iijT1_PSD_Ps
		.amdhsa_group_segment_fixed_size 1024
		.amdhsa_private_segment_fixed_size 0
		.amdhsa_kernarg_size 528
		.amdhsa_user_sgpr_count 6
		.amdhsa_user_sgpr_private_segment_buffer 1
		.amdhsa_user_sgpr_dispatch_ptr 0
		.amdhsa_user_sgpr_queue_ptr 0
		.amdhsa_user_sgpr_kernarg_segment_ptr 1
		.amdhsa_user_sgpr_dispatch_id 0
		.amdhsa_user_sgpr_flat_scratch_init 0
		.amdhsa_user_sgpr_kernarg_preload_length 0
		.amdhsa_user_sgpr_kernarg_preload_offset 0
		.amdhsa_user_sgpr_private_segment_size 0
		.amdhsa_uses_dynamic_stack 0
		.amdhsa_system_sgpr_private_segment_wavefront_offset 0
		.amdhsa_system_sgpr_workgroup_id_x 1
		.amdhsa_system_sgpr_workgroup_id_y 1
		.amdhsa_system_sgpr_workgroup_id_z 1
		.amdhsa_system_sgpr_workgroup_info 0
		.amdhsa_system_vgpr_workitem_id 0
		.amdhsa_next_free_vgpr 14
		.amdhsa_next_free_sgpr 20
		.amdhsa_accum_offset 16
		.amdhsa_reserve_vcc 1
		.amdhsa_reserve_flat_scratch 0
		.amdhsa_float_round_mode_32 0
		.amdhsa_float_round_mode_16_64 0
		.amdhsa_float_denorm_mode_32 3
		.amdhsa_float_denorm_mode_16_64 3
		.amdhsa_dx10_clamp 1
		.amdhsa_ieee_mode 1
		.amdhsa_fp16_overflow 0
		.amdhsa_tg_split 0
		.amdhsa_exception_fp_ieee_invalid_op 0
		.amdhsa_exception_fp_denorm_src 0
		.amdhsa_exception_fp_ieee_div_zero 0
		.amdhsa_exception_fp_ieee_overflow 0
		.amdhsa_exception_fp_ieee_underflow 0
		.amdhsa_exception_fp_ieee_inexact 0
		.amdhsa_exception_int_div_zero 0
	.end_amdhsa_kernel
	.section	.text._ZN2at6native6mbtopk23computeBlockDigitCountsIN3c108BFloat16EjjLi1EEEvNS_4cuda6detail10TensorInfoIKT_T0_EEjPjjSA_iijT1_PSD_Ps,"axG",@progbits,_ZN2at6native6mbtopk23computeBlockDigitCountsIN3c108BFloat16EjjLi1EEEvNS_4cuda6detail10TensorInfoIKT_T0_EEjPjjSA_iijT1_PSD_Ps,comdat
.Lfunc_end105:
	.size	_ZN2at6native6mbtopk23computeBlockDigitCountsIN3c108BFloat16EjjLi1EEEvNS_4cuda6detail10TensorInfoIKT_T0_EEjPjjSA_iijT1_PSD_Ps, .Lfunc_end105-_ZN2at6native6mbtopk23computeBlockDigitCountsIN3c108BFloat16EjjLi1EEEvNS_4cuda6detail10TensorInfoIKT_T0_EEjPjjSA_iijT1_PSD_Ps
                                        ; -- End function
	.section	.AMDGPU.csdata,"",@progbits
; Kernel info:
; codeLenInByte = 1444
; NumSgprs: 24
; NumVgprs: 14
; NumAgprs: 0
; TotalNumVgprs: 14
; ScratchSize: 0
; MemoryBound: 0
; FloatMode: 240
; IeeeMode: 1
; LDSByteSize: 1024 bytes/workgroup (compile time only)
; SGPRBlocks: 2
; VGPRBlocks: 1
; NumSGPRsForWavesPerEU: 24
; NumVGPRsForWavesPerEU: 14
; AccumOffset: 16
; Occupancy: 8
; WaveLimiterHint : 1
; COMPUTE_PGM_RSRC2:SCRATCH_EN: 0
; COMPUTE_PGM_RSRC2:USER_SGPR: 6
; COMPUTE_PGM_RSRC2:TRAP_HANDLER: 0
; COMPUTE_PGM_RSRC2:TGID_X_EN: 1
; COMPUTE_PGM_RSRC2:TGID_Y_EN: 1
; COMPUTE_PGM_RSRC2:TGID_Z_EN: 1
; COMPUTE_PGM_RSRC2:TIDIG_COMP_CNT: 0
; COMPUTE_PGM_RSRC3_GFX90A:ACCUM_OFFSET: 3
; COMPUTE_PGM_RSRC3_GFX90A:TG_SPLIT: 0
	.section	.text._ZN2at6native6mbtopk29computeBlockwiseWithinKCountsIjN3c108BFloat16EEEvPT_PsPjjibS8_PT0_S8_S6_S8_j,"axG",@progbits,_ZN2at6native6mbtopk29computeBlockwiseWithinKCountsIjN3c108BFloat16EEEvPT_PsPjjibS8_PT0_S8_S6_S8_j,comdat
	.protected	_ZN2at6native6mbtopk29computeBlockwiseWithinKCountsIjN3c108BFloat16EEEvPT_PsPjjibS8_PT0_S8_S6_S8_j ; -- Begin function _ZN2at6native6mbtopk29computeBlockwiseWithinKCountsIjN3c108BFloat16EEEvPT_PsPjjibS8_PT0_S8_S6_S8_j
	.globl	_ZN2at6native6mbtopk29computeBlockwiseWithinKCountsIjN3c108BFloat16EEEvPT_PsPjjibS8_PT0_S8_S6_S8_j
	.p2align	8
	.type	_ZN2at6native6mbtopk29computeBlockwiseWithinKCountsIjN3c108BFloat16EEEvPT_PsPjjibS8_PT0_S8_S6_S8_j,@function
_ZN2at6native6mbtopk29computeBlockwiseWithinKCountsIjN3c108BFloat16EEEvPT_PsPjjibS8_PT0_S8_S6_S8_j: ; @_ZN2at6native6mbtopk29computeBlockwiseWithinKCountsIjN3c108BFloat16EEEvPT_PsPjjibS8_PT0_S8_S6_S8_j
; %bb.0:
	s_load_dwordx4 s[16:19], s[4:5], 0x18
	s_load_dword s2, s[4:5], 0x50
	s_load_dwordx2 s[0:1], s[4:5], 0x58
	s_waitcnt lgkmcnt(0)
	v_cvt_f32_u32_e32 v1, s16
	s_mul_i32 s1, s1, s8
	s_add_i32 s1, s1, s7
	v_rcp_iflag_f32_e32 v1, v1
	s_mul_i32 s0, s1, s0
	s_add_i32 s6, s0, s6
	s_cmp_ge_u32 s6, s2
	v_mul_f32_e32 v1, 0x4f7ffffe, v1
	v_cvt_u32_f32_e32 v1, v1
	v_readfirstlane_b32 s0, v1
	s_cbranch_scc1 .LBB106_49
; %bb.1:
	s_sub_i32 s1, 0, s16
	s_mul_i32 s1, s1, s0
	s_mul_hi_u32 s1, s0, s1
	s_add_i32 s0, s0, s1
	s_mul_hi_u32 s2, s6, s0
	s_mul_i32 s3, s2, s16
	s_sub_i32 s3, s6, s3
	s_add_i32 s8, s2, 1
	s_sub_i32 s9, s3, s16
	s_cmp_ge_u32 s3, s16
	s_load_dwordx4 s[20:23], s[4:5], 0x0
	s_load_dwordx2 s[0:1], s[4:5], 0x10
	s_cselect_b32 s2, s8, s2
	s_cselect_b32 s3, s9, s3
	s_add_i32 s8, s2, 1
	s_mov_b32 s7, 0
	s_cmp_ge_u32 s3, s16
	s_cselect_b32 s26, s8, s2
	s_mov_b32 s27, s7
	s_lshl_b64 s[24:25], s[26:27], 2
	s_waitcnt lgkmcnt(0)
	s_add_u32 s0, s0, s24
	s_addc_u32 s1, s1, s25
	s_load_dword s19, s[0:1], 0x0
	s_movk_i32 s0, 0x100
	v_cmp_gt_u32_e64 s[0:1], s0, v0
	s_and_saveexec_b64 s[2:3], s[0:1]
	s_cbranch_execz .LBB106_17
; %bb.2:
	s_mul_i32 s8, s26, s16
	s_lshl_b32 s8, s8, 8
	s_mov_b32 s9, s7
	s_lshl_b64 s[12:13], s[8:9], 1
	s_add_u32 s8, s22, s12
	s_addc_u32 s9, s23, s13
	v_lshlrev_b32_e32 v4, 1, v0
	v_mov_b32_e32 v3, s9
	v_add_co_u32_e32 v2, vcc, s8, v4
	v_mov_b32_e32 v1, 0
	s_cmp_lt_u32 s16, 4
	v_addc_co_u32_e32 v3, vcc, 0, v3, vcc
	s_cbranch_scc1 .LBB106_7
; %bb.3:
	s_add_i32 s8, s16, -4
	s_mov_b32 s14, 0
	s_cmp_gt_u32 s8, 3
	v_mov_b32_e32 v1, 0
	s_cbranch_scc0 .LBB106_8
; %bb.4:
	s_lshr_b32 s8, s8, 2
	s_add_i32 s8, s8, 1
	s_and_b32 s10, s8, 0x7ffffffe
	s_add_u32 s12, s22, s12
	s_addc_u32 s13, s23, s13
	v_mov_b32_e32 v5, s13
	v_add_co_u32_e32 v4, vcc, s12, v4
	s_mov_b32 s9, 0
	v_addc_co_u32_e32 v5, vcc, 0, v5, vcc
	s_mov_b32 s11, s9
	v_add_co_u32_e32 v4, vcc, 0xe00, v4
	v_mov_b32_e32 v1, 0
	v_addc_co_u32_e32 v5, vcc, 0, v5, vcc
	s_mov_b64 s[12:13], s[10:11]
	v_mov_b32_e32 v6, 0
.LBB106_5:                              ; =>This Inner Loop Header: Depth=1
	global_load_sshort v7, v[4:5], off offset:-3584
	global_load_sshort v8, v[4:5], off offset:-3072
	;; [unrolled: 1-line block ×6, first 2 shown]
	global_load_sshort v13, v[4:5], off
	global_load_sshort v14, v[4:5], off offset:-2048
	s_add_u32 s12, s12, -2
	v_add_co_u32_e32 v4, vcc, 0x1000, v4
	s_addc_u32 s13, s13, -1
	v_addc_co_u32_e32 v5, vcc, 0, v5, vcc
	s_cmp_lg_u64 s[12:13], 0
	s_waitcnt vmcnt(6)
	v_add3_u32 v1, v1, v7, v8
	s_waitcnt vmcnt(3)
	v_add3_u32 v6, v6, v10, v11
	s_waitcnt vmcnt(1)
	v_add3_u32 v6, v6, v12, v13
	s_waitcnt vmcnt(0)
	v_add3_u32 v1, v1, v9, v14
	s_cbranch_scc1 .LBB106_5
; %bb.6:
	s_lshl_b64 s[12:13], s[10:11], 11
	s_lshl_b32 s14, s10, 2
	v_mov_b32_e32 v4, s13
	v_add_co_u32_e32 v2, vcc, s12, v2
	s_cmp_lg_u64 s[10:11], s[8:9]
	v_addc_co_u32_e32 v3, vcc, v3, v4, vcc
	v_add_u32_e32 v1, v1, v6
	s_cselect_b64 s[8:9], -1, 0
	s_and_b64 vcc, exec, s[8:9]
	s_cbranch_vccnz .LBB106_9
	s_branch .LBB106_10
.LBB106_7:
	s_mov_b32 s14, s7
	s_branch .LBB106_10
.LBB106_8:
	s_cbranch_execz .LBB106_10
.LBB106_9:                              ; =>This Inner Loop Header: Depth=1
	global_load_sshort v4, v[2:3], off
	global_load_sshort v5, v[2:3], off offset:512
	global_load_sshort v6, v[2:3], off offset:1024
	;; [unrolled: 1-line block ×3, first 2 shown]
	s_mov_b32 s8, s14
	v_add_co_u32_e32 v2, vcc, 0x800, v2
	s_add_i32 s14, s14, 4
	s_add_i32 s8, s8, 7
	v_addc_co_u32_e32 v3, vcc, 0, v3, vcc
	s_cmp_ge_u32 s8, s16
	s_waitcnt vmcnt(2)
	v_add3_u32 v1, v1, v4, v5
	s_waitcnt vmcnt(0)
	v_add3_u32 v1, v1, v6, v7
	s_cbranch_scc0 .LBB106_9
.LBB106_10:
	s_cmp_ge_u32 s14, s16
	s_cbranch_scc1 .LBB106_16
; %bb.11:
	s_not_b32 s8, s14
	s_add_i32 s8, s8, s16
	s_cmp_lg_u32 s8, 0
	s_cbranch_scc0 .LBB106_50
; %bb.12:
	s_add_u32 s8, s8, 1
	s_addc_u32 s9, 0, 0
	s_and_b32 s10, s8, -2
	s_mov_b32 s11, s9
	v_add_co_u32_e32 v4, vcc, 0x200, v2
	v_addc_co_u32_e32 v5, vcc, 0, v3, vcc
	v_mov_b32_e32 v6, 0
	s_mov_b64 s[12:13], s[10:11]
.LBB106_13:                             ; =>This Inner Loop Header: Depth=1
	global_load_sshort v7, v[4:5], off
	global_load_sshort v8, v[4:5], off offset:-512
	s_add_u32 s12, s12, -2
	v_add_co_u32_e32 v4, vcc, 0x400, v4
	s_addc_u32 s13, s13, -1
	v_addc_co_u32_e32 v5, vcc, 0, v5, vcc
	s_cmp_lg_u64 s[12:13], 0
	s_waitcnt vmcnt(1)
	v_add_u32_e32 v6, v6, v7
	s_waitcnt vmcnt(0)
	v_add_u32_e32 v1, v1, v8
	s_cbranch_scc1 .LBB106_13
; %bb.14:
	s_lshl_b64 s[12:13], s[10:11], 9
	s_add_i32 s14, s14, s10
	v_mov_b32_e32 v4, s13
	v_add_co_u32_e32 v2, vcc, s12, v2
	s_cmp_lg_u64 s[8:9], s[10:11]
	v_addc_co_u32_e32 v3, vcc, v3, v4, vcc
	v_add_u32_e32 v1, v1, v6
	s_cselect_b64 s[8:9], -1, 0
	s_and_b64 vcc, exec, s[8:9]
	s_cbranch_vccz .LBB106_16
.LBB106_15:                             ; =>This Inner Loop Header: Depth=1
	global_load_sshort v4, v[2:3], off
	v_add_co_u32_e32 v2, vcc, 0x200, v2
	s_add_i32 s14, s14, 1
	v_addc_co_u32_e32 v3, vcc, 0, v3, vcc
	s_cmp_lt_u32 s14, s16
	s_waitcnt vmcnt(0)
	v_add_u32_e32 v1, v1, v4
	s_cbranch_scc1 .LBB106_15
.LBB106_16:
	v_lshlrev_b32_e32 v2, 2, v0
	ds_write_b32 v2, v1 offset:1056
.LBB106_17:
	s_or_b64 exec, exec, s[2:3]
	v_mov_b32_e32 v3, 0
	s_waitcnt lgkmcnt(0)
	s_barrier
	s_and_saveexec_b64 s[2:3], s[0:1]
	s_cbranch_execz .LBB106_19
; %bb.18:
	v_lshlrev_b32_e32 v1, 2, v0
	ds_read_b32 v3, v1 offset:1056
.LBB106_19:
	s_or_b64 exec, exec, s[2:3]
	v_lshrrev_b32_e32 v1, 5, v0
	v_add_lshl_u32 v2, v1, v0, 2
	v_cmp_gt_u32_e64 s[2:3], 64, v0
	v_mbcnt_lo_u32_b32 v1, -1, 0
	s_waitcnt lgkmcnt(0)
	ds_write_b32 v2, v3
	s_waitcnt lgkmcnt(0)
	s_barrier
	s_and_saveexec_b64 s[8:9], s[2:3]
	s_cbranch_execz .LBB106_21
; %bb.20:
	v_lshlrev_b32_e32 v4, 2, v0
	v_lshrrev_b32_e32 v5, 3, v0
	v_add_lshl_u32 v8, v5, v4, 2
	ds_read2_b32 v[4:5], v8 offset1:1
	ds_read2_b32 v[6:7], v8 offset0:2 offset1:3
	v_mbcnt_hi_u32_b32 v9, -1, v1
	v_and_b32_e32 v10, 15, v9
	v_cmp_ne_u32_e32 vcc, 0, v10
	s_waitcnt lgkmcnt(1)
	v_add_u32_e32 v5, v5, v4
	s_waitcnt lgkmcnt(0)
	v_add3_u32 v5, v5, v6, v7
	v_bfe_i32 v7, v9, 4, 1
	s_nop 0
	v_mov_b32_dpp v6, v5 row_shr:1 row_mask:0xf bank_mask:0xf
	v_cndmask_b32_e32 v6, 0, v6, vcc
	v_add_u32_e32 v5, v6, v5
	v_cmp_lt_u32_e32 vcc, 1, v10
	; wave barrier
	s_nop 0
	v_mov_b32_dpp v6, v5 row_shr:2 row_mask:0xf bank_mask:0xf
	v_cndmask_b32_e32 v6, 0, v6, vcc
	v_add_u32_e32 v5, v5, v6
	v_cmp_lt_u32_e32 vcc, 3, v10
	s_nop 0
	v_mov_b32_dpp v6, v5 row_shr:4 row_mask:0xf bank_mask:0xf
	v_cndmask_b32_e32 v6, 0, v6, vcc
	v_add_u32_e32 v5, v5, v6
	v_cmp_lt_u32_e32 vcc, 7, v10
	;; [unrolled: 5-line block ×3, first 2 shown]
	s_nop 0
	v_mov_b32_dpp v6, v5 row_bcast:15 row_mask:0xf bank_mask:0xf
	v_and_b32_e32 v6, v7, v6
	v_add_u32_e32 v5, v5, v6
	v_and_b32_e32 v7, 64, v9
	s_nop 0
	v_mov_b32_dpp v6, v5 row_bcast:31 row_mask:0xf bank_mask:0xf
	v_cndmask_b32_e32 v6, 0, v6, vcc
	v_add_u32_e32 v5, v5, v6
	v_add_u32_e32 v6, -1, v9
	v_cmp_lt_i32_e32 vcc, v6, v7
	v_cndmask_b32_e32 v6, v6, v9, vcc
	v_lshlrev_b32_e32 v6, 2, v6
	ds_bpermute_b32 v5, v6, v5
	v_cmp_eq_u32_e32 vcc, 0, v0
	s_waitcnt lgkmcnt(0)
	v_add_u32_e32 v4, v5, v4
	v_cndmask_b32_e32 v3, v4, v3, vcc
	ds_write_b32 v8, v3
	; wave barrier
	ds_read2_b32 v[4:5], v8 offset0:1 offset1:2
	ds_read_b32 v6, v8 offset:12
	s_waitcnt lgkmcnt(1)
	v_add_u32_e32 v3, v4, v3
	v_add_u32_e32 v4, v5, v3
	ds_write2_b32 v8, v3, v4 offset0:1 offset1:2
	s_waitcnt lgkmcnt(1)
	v_add_u32_e32 v3, v6, v4
	ds_write_b32 v8, v3 offset:12
.LBB106_21:
	s_or_b64 exec, exec, s[8:9]
	s_waitcnt lgkmcnt(0)
	s_barrier
	ds_read_b32 v3, v2
	s_waitcnt lgkmcnt(0)
	s_barrier
	s_and_saveexec_b64 s[8:9], s[0:1]
	s_cbranch_execz .LBB106_23
; %bb.22:
	v_lshlrev_b32_e32 v2, 2, v0
	ds_write_b32 v2, v3 offset:1056
.LBB106_23:
	s_or_b64 exec, exec, s[8:9]
	s_load_dwordx8 s[8:15], s[4:5], 0x28
	s_load_dwordx2 s[28:29], s[4:5], 0x48
	s_waitcnt lgkmcnt(0)
	s_barrier
	s_and_saveexec_b64 s[4:5], s[0:1]
	s_cbranch_execz .LBB106_32
; %bb.24:
	v_cmp_ne_u32_e32 vcc, 0, v0
	v_mov_b32_e32 v2, 0
	s_and_saveexec_b64 s[0:1], vcc
	s_cbranch_execz .LBB106_26
; %bb.25:
	v_lshlrev_b32_e32 v2, 2, v0
	ds_read_b32 v2, v2 offset:1052
.LBB106_26:
	s_or_b64 exec, exec, s[0:1]
	s_waitcnt lgkmcnt(0)
	v_cmp_gt_u32_e32 vcc, s19, v2
	v_cmp_le_u32_e64 s[0:1], s19, v3
	s_and_b64 s[0:1], vcc, s[0:1]
	s_and_b64 exec, exec, s[0:1]
	s_cbranch_execz .LBB106_32
; %bb.27:
	s_add_u32 s0, s20, s24
	s_addc_u32 s1, s21, s25
	v_mov_b32_e32 v4, 0
	global_load_dword v3, v4, s[0:1]
	s_lshl_b32 s1, 0xff, s17
	v_not_b32_e32 v6, s1
	v_lshlrev_b32_e32 v5, s17, v0
	s_mul_i32 s0, s26, s16
	s_cmp_lg_u32 s6, s0
	s_waitcnt vmcnt(0)
	v_and_b32_e32 v3, v3, v6
	v_or_b32_e32 v3, v3, v5
	ds_write_b32 v4, v3 offset:2096
	s_cbranch_scc1 .LBB106_32
; %bb.28:
	s_add_u32 s0, s14, s24
	s_addc_u32 s1, s15, s25
	global_store_dword v4, v3, s[0:1]
	s_cmp_lt_i32 s17, 1
	s_mov_b64 s[0:1], -1
	s_cbranch_scc0 .LBB106_30
; %bb.29:
	v_and_b32_e32 v4, 0x8000, v3
	v_mov_b32_e32 v5, 0x8000
	v_mov_b32_e32 v6, 0xffff
	v_cmp_eq_u32_e32 vcc, 0, v4
	s_lshl_b64 s[0:1], s[26:27], 1
	v_cndmask_b32_e32 v4, v5, v6, vcc
	s_add_u32 s0, s10, s0
	v_xor_b32_e32 v3, v4, v3
	s_addc_u32 s1, s11, s1
	v_mov_b32_e32 v4, 0
	global_store_short v4, v3, s[0:1]
	s_mov_b64 s[0:1], 0
.LBB106_30:
	s_andn2_b64 vcc, exec, s[0:1]
	s_cbranch_vccnz .LBB106_32
; %bb.31:
	s_add_u32 s0, s12, s24
	v_sub_u32_e32 v2, s19, v2
	s_addc_u32 s1, s13, s25
	v_mov_b32_e32 v3, 0
	global_store_dword v3, v2, s[0:1]
.LBB106_32:
	s_or_b64 exec, exec, s[4:5]
	v_mov_b32_e32 v2, 0
	s_waitcnt lgkmcnt(0)
	s_barrier
	ds_read_b32 v2, v2 offset:2096
	s_bitcmp0_b32 s18, 0
	s_waitcnt lgkmcnt(0)
	v_lshrrev_b32_e32 v2, s17, v2
	s_cbranch_scc0 .LBB106_34
; %bb.33:
	v_and_b32_e32 v3, 0xc0, v0
	v_cmp_lt_u32_sdwa s[4:5], v3, v2 src0_sel:DWORD src1_sel:BYTE_0
	v_cmp_lt_u32_sdwa s[12:13], v0, v2 src0_sel:DWORD src1_sel:BYTE_0
	s_and_b64 s[10:11], s[4:5], exec
	s_and_b64 s[4:5], s[12:13], exec
	s_cbranch_execz .LBB106_35
	s_branch .LBB106_36
.LBB106_34:
                                        ; implicit-def: $sgpr4_sgpr5
                                        ; implicit-def: $sgpr10_sgpr11
.LBB106_35:
	v_or_b32_e32 v3, 63, v0
	v_cmp_gt_u32_sdwa s[0:1], v3, v2 src0_sel:DWORD src1_sel:BYTE_0
	v_cmp_gt_u32_sdwa s[12:13], v0, v2 src0_sel:DWORD src1_sel:BYTE_0
	s_andn2_b64 s[4:5], s[4:5], exec
	s_and_b64 s[12:13], s[12:13], exec
	s_andn2_b64 s[10:11], s[10:11], exec
	s_and_b64 s[0:1], s[0:1], exec
	s_or_b64 s[4:5], s[4:5], s[12:13]
	s_or_b64 s[10:11], s[10:11], s[0:1]
.LBB106_36:
	v_mov_b32_e32 v2, 0
	s_and_saveexec_b64 s[0:1], s[10:11]
	s_cbranch_execz .LBB106_40
; %bb.37:
	v_mov_b32_e32 v2, 0
	s_and_saveexec_b64 s[10:11], s[4:5]
	s_cbranch_execz .LBB106_39
; %bb.38:
	s_lshl_b32 s4, s6, 8
	s_mov_b32 s5, 0
	s_lshl_b64 s[4:5], s[4:5], 1
	s_add_u32 s4, s22, s4
	s_addc_u32 s5, s23, s5
	v_lshlrev_b32_e32 v2, 1, v0
	global_load_sshort v2, v2, s[4:5]
.LBB106_39:
	s_or_b64 exec, exec, s[10:11]
	v_mbcnt_hi_u32_b32 v3, -1, v1
	v_and_b32_e32 v4, 63, v3
	v_cmp_gt_u32_e32 vcc, 32, v4
	v_cndmask_b32_e64 v5, 0, 1, vcc
	v_lshlrev_b32_e32 v5, 5, v5
	v_add_lshl_u32 v5, v5, v3, 2
	s_waitcnt vmcnt(0)
	ds_bpermute_b32 v5, v5, v2
	v_cmp_gt_u32_e32 vcc, 48, v4
	v_cndmask_b32_e64 v6, 0, 1, vcc
	v_lshlrev_b32_e32 v6, 4, v6
	v_cmp_gt_u32_e32 vcc, 56, v4
	s_waitcnt lgkmcnt(0)
	v_add_u32_e32 v2, v5, v2
	v_add_lshl_u32 v5, v6, v3, 2
	ds_bpermute_b32 v5, v5, v2
	v_cndmask_b32_e64 v6, 0, 1, vcc
	v_lshlrev_b32_e32 v6, 3, v6
	v_cmp_gt_u32_e32 vcc, 60, v4
	s_waitcnt lgkmcnt(0)
	v_add_u32_e32 v2, v5, v2
	v_add_lshl_u32 v5, v6, v3, 2
	ds_bpermute_b32 v5, v5, v2
	;; [unrolled: 7-line block ×3, first 2 shown]
	v_cndmask_b32_e64 v6, 0, 1, vcc
	v_lshlrev_b32_e32 v6, 1, v6
	v_cmp_ne_u32_e32 vcc, 63, v4
	s_waitcnt lgkmcnt(0)
	v_add_u32_e32 v2, v5, v2
	v_add_lshl_u32 v5, v6, v3, 2
	ds_bpermute_b32 v5, v5, v2
	v_addc_co_u32_e32 v3, vcc, 0, v3, vcc
	v_lshlrev_b32_e32 v3, 2, v3
	s_waitcnt lgkmcnt(0)
	v_add_u32_e32 v2, v5, v2
	ds_bpermute_b32 v3, v3, v2
	s_waitcnt lgkmcnt(0)
	v_add_u32_e32 v2, v3, v2
.LBB106_40:
	s_or_b64 exec, exec, s[0:1]
	v_and_b32_e32 v3, 63, v0
	v_cmp_eq_u32_e32 vcc, 0, v3
	s_and_saveexec_b64 s[0:1], vcc
	s_cbranch_execz .LBB106_42
; %bb.41:
	v_lshrrev_b32_e32 v3, 4, v0
	v_and_b32_e32 v3, 12, v3
	ds_write_b32 v3, v2 offset:2080
.LBB106_42:
	s_or_b64 exec, exec, s[0:1]
	s_waitcnt lgkmcnt(0)
	s_barrier
	s_and_saveexec_b64 s[0:1], s[2:3]
	s_cbranch_execz .LBB106_49
; %bb.43:
	v_cmp_gt_u32_e32 vcc, 4, v0
	v_mov_b32_e32 v2, 0
	s_and_saveexec_b64 s[0:1], vcc
	s_cbranch_execz .LBB106_45
; %bb.44:
	v_lshlrev_b32_e32 v2, 2, v0
	ds_read_b32 v2, v2 offset:2080
.LBB106_45:
	s_or_b64 exec, exec, s[0:1]
	v_mbcnt_hi_u32_b32 v1, -1, v1
	v_and_b32_e32 v3, 63, v1
	v_cmp_gt_u32_e32 vcc, 62, v3
	v_cndmask_b32_e64 v4, 0, 1, vcc
	v_lshlrev_b32_e32 v4, 1, v4
	v_add_lshl_u32 v4, v4, v1, 2
	s_waitcnt lgkmcnt(0)
	ds_bpermute_b32 v4, v4, v2
	v_cmp_ne_u32_e32 vcc, 63, v3
	v_addc_co_u32_e32 v3, vcc, 0, v1, vcc
	v_cmp_eq_u32_e32 vcc, 0, v0
	s_waitcnt lgkmcnt(0)
	v_add_u32_e32 v1, v4, v2
	v_lshlrev_b32_e32 v2, 2, v3
	ds_bpermute_b32 v2, v2, v1
	s_and_saveexec_b64 s[0:1], vcc
	s_cbranch_execz .LBB106_47
; %bb.46:
	s_lshl_b64 s[2:3], s[6:7], 2
	s_add_u32 s2, s8, s2
	s_addc_u32 s3, s9, s3
	v_mov_b32_e32 v3, 0
	global_load_dword v4, v3, s[2:3]
	s_waitcnt vmcnt(0) lgkmcnt(0)
	v_add3_u32 v1, v2, v1, v4
	global_store_dword v3, v1, s[2:3]
.LBB106_47:
	s_or_b64 exec, exec, s[0:1]
	v_or_b32_e32 v0, s17, v0
	v_cmp_eq_u32_e32 vcc, 0, v0
	s_and_b64 exec, exec, vcc
	s_cbranch_execz .LBB106_49
; %bb.48:
	v_mov_b32_e32 v0, 0
	ds_read_b32 v1, v0 offset:2096
	s_lshl_b32 s0, s6, 8
	s_mov_b32 s1, 0
	s_lshl_b64 s[0:1], s[0:1], 1
	s_add_u32 s0, s22, s0
	s_waitcnt lgkmcnt(1)
	v_mov_b32_e32 v2, 1
	s_addc_u32 s1, s23, s1
	s_waitcnt lgkmcnt(0)
	v_lshlrev_b32_sdwa v1, v2, v1 dst_sel:DWORD dst_unused:UNUSED_PAD src0_sel:DWORD src1_sel:BYTE_0
	global_load_sshort v1, v1, s[0:1]
	s_lshl_b64 s[0:1], s[6:7], 2
	s_add_u32 s0, s28, s0
	s_addc_u32 s1, s29, s1
	s_waitcnt vmcnt(0)
	global_store_dword v0, v1, s[0:1]
.LBB106_49:
	s_endpgm
.LBB106_50:
	s_cbranch_execnz .LBB106_15
	s_branch .LBB106_16
	.section	.rodata,"a",@progbits
	.p2align	6, 0x0
	.amdhsa_kernel _ZN2at6native6mbtopk29computeBlockwiseWithinKCountsIjN3c108BFloat16EEEvPT_PsPjjibS8_PT0_S8_S6_S8_j
		.amdhsa_group_segment_fixed_size 2100
		.amdhsa_private_segment_fixed_size 0
		.amdhsa_kernarg_size 344
		.amdhsa_user_sgpr_count 6
		.amdhsa_user_sgpr_private_segment_buffer 1
		.amdhsa_user_sgpr_dispatch_ptr 0
		.amdhsa_user_sgpr_queue_ptr 0
		.amdhsa_user_sgpr_kernarg_segment_ptr 1
		.amdhsa_user_sgpr_dispatch_id 0
		.amdhsa_user_sgpr_flat_scratch_init 0
		.amdhsa_user_sgpr_kernarg_preload_length 0
		.amdhsa_user_sgpr_kernarg_preload_offset 0
		.amdhsa_user_sgpr_private_segment_size 0
		.amdhsa_uses_dynamic_stack 0
		.amdhsa_system_sgpr_private_segment_wavefront_offset 0
		.amdhsa_system_sgpr_workgroup_id_x 1
		.amdhsa_system_sgpr_workgroup_id_y 1
		.amdhsa_system_sgpr_workgroup_id_z 1
		.amdhsa_system_sgpr_workgroup_info 0
		.amdhsa_system_vgpr_workitem_id 0
		.amdhsa_next_free_vgpr 15
		.amdhsa_next_free_sgpr 30
		.amdhsa_accum_offset 16
		.amdhsa_reserve_vcc 1
		.amdhsa_reserve_flat_scratch 0
		.amdhsa_float_round_mode_32 0
		.amdhsa_float_round_mode_16_64 0
		.amdhsa_float_denorm_mode_32 3
		.amdhsa_float_denorm_mode_16_64 3
		.amdhsa_dx10_clamp 1
		.amdhsa_ieee_mode 1
		.amdhsa_fp16_overflow 0
		.amdhsa_tg_split 0
		.amdhsa_exception_fp_ieee_invalid_op 0
		.amdhsa_exception_fp_denorm_src 0
		.amdhsa_exception_fp_ieee_div_zero 0
		.amdhsa_exception_fp_ieee_overflow 0
		.amdhsa_exception_fp_ieee_underflow 0
		.amdhsa_exception_fp_ieee_inexact 0
		.amdhsa_exception_int_div_zero 0
	.end_amdhsa_kernel
	.section	.text._ZN2at6native6mbtopk29computeBlockwiseWithinKCountsIjN3c108BFloat16EEEvPT_PsPjjibS8_PT0_S8_S6_S8_j,"axG",@progbits,_ZN2at6native6mbtopk29computeBlockwiseWithinKCountsIjN3c108BFloat16EEEvPT_PsPjjibS8_PT0_S8_S6_S8_j,comdat
.Lfunc_end106:
	.size	_ZN2at6native6mbtopk29computeBlockwiseWithinKCountsIjN3c108BFloat16EEEvPT_PsPjjibS8_PT0_S8_S6_S8_j, .Lfunc_end106-_ZN2at6native6mbtopk29computeBlockwiseWithinKCountsIjN3c108BFloat16EEEvPT_PsPjjibS8_PT0_S8_S6_S8_j
                                        ; -- End function
	.section	.AMDGPU.csdata,"",@progbits
; Kernel info:
; codeLenInByte = 2352
; NumSgprs: 34
; NumVgprs: 15
; NumAgprs: 0
; TotalNumVgprs: 15
; ScratchSize: 0
; MemoryBound: 0
; FloatMode: 240
; IeeeMode: 1
; LDSByteSize: 2100 bytes/workgroup (compile time only)
; SGPRBlocks: 4
; VGPRBlocks: 1
; NumSGPRsForWavesPerEU: 34
; NumVGPRsForWavesPerEU: 15
; AccumOffset: 16
; Occupancy: 8
; WaveLimiterHint : 1
; COMPUTE_PGM_RSRC2:SCRATCH_EN: 0
; COMPUTE_PGM_RSRC2:USER_SGPR: 6
; COMPUTE_PGM_RSRC2:TRAP_HANDLER: 0
; COMPUTE_PGM_RSRC2:TGID_X_EN: 1
; COMPUTE_PGM_RSRC2:TGID_Y_EN: 1
; COMPUTE_PGM_RSRC2:TGID_Z_EN: 1
; COMPUTE_PGM_RSRC2:TIDIG_COMP_CNT: 0
; COMPUTE_PGM_RSRC3_GFX90A:ACCUM_OFFSET: 3
; COMPUTE_PGM_RSRC3_GFX90A:TG_SPLIT: 0
	.section	.text._ZN2at6native6mbtopk10gatherTopKIN3c108BFloat16EjLi1EEEvNS_4cuda6detail10TensorInfoIKT_T0_EESA_SA_bjSA_NS7_IS8_SA_EESA_NS7_IlSA_EESA_jjPS8_PjSF_j,"axG",@progbits,_ZN2at6native6mbtopk10gatherTopKIN3c108BFloat16EjLi1EEEvNS_4cuda6detail10TensorInfoIKT_T0_EESA_SA_bjSA_NS7_IS8_SA_EESA_NS7_IlSA_EESA_jjPS8_PjSF_j,comdat
	.protected	_ZN2at6native6mbtopk10gatherTopKIN3c108BFloat16EjLi1EEEvNS_4cuda6detail10TensorInfoIKT_T0_EESA_SA_bjSA_NS7_IS8_SA_EESA_NS7_IlSA_EESA_jjPS8_PjSF_j ; -- Begin function _ZN2at6native6mbtopk10gatherTopKIN3c108BFloat16EjLi1EEEvNS_4cuda6detail10TensorInfoIKT_T0_EESA_SA_bjSA_NS7_IS8_SA_EESA_NS7_IlSA_EESA_jjPS8_PjSF_j
	.globl	_ZN2at6native6mbtopk10gatherTopKIN3c108BFloat16EjLi1EEEvNS_4cuda6detail10TensorInfoIKT_T0_EESA_SA_bjSA_NS7_IS8_SA_EESA_NS7_IlSA_EESA_jjPS8_PjSF_j
	.p2align	8
	.type	_ZN2at6native6mbtopk10gatherTopKIN3c108BFloat16EjLi1EEEvNS_4cuda6detail10TensorInfoIKT_T0_EESA_SA_bjSA_NS7_IS8_SA_EESA_NS7_IlSA_EESA_jjPS8_PjSF_j,@function
_ZN2at6native6mbtopk10gatherTopKIN3c108BFloat16EjLi1EEEvNS_4cuda6detail10TensorInfoIKT_T0_EESA_SA_bjSA_NS7_IS8_SA_EESA_NS7_IlSA_EESA_jjPS8_PjSF_j: ; @_ZN2at6native6mbtopk10gatherTopKIN3c108BFloat16EjLi1EEEvNS_4cuda6detail10TensorInfoIKT_T0_EESA_SA_bjSA_NS7_IS8_SA_EESA_NS7_IlSA_EESA_jjPS8_PjSF_j
; %bb.0:
	s_load_dwordx2 s[0:1], s[4:5], 0x2d8
	s_load_dword s2, s[4:5], 0x2d0
	s_waitcnt lgkmcnt(0)
	s_mul_i32 s1, s1, s8
	s_add_i32 s1, s1, s7
	s_mul_i32 s0, s1, s0
	s_add_i32 s0, s0, s6
	s_cmp_ge_u32 s0, s2
	s_cbranch_scc1 .LBB107_40
; %bb.1:
	s_load_dwordx8 s[8:15], s[4:5], 0x2a8
	s_mov_b32 s7, 0
	v_mov_b32_e32 v2, 0
	s_waitcnt lgkmcnt(0)
	v_cvt_f32_u32_e32 v1, s10
	s_sub_i32 s1, 0, s10
	v_rcp_iflag_f32_e32 v1, v1
	v_mul_f32_e32 v1, 0x4f7ffffe, v1
	v_cvt_u32_f32_e32 v1, v1
	v_readfirstlane_b32 s2, v1
	s_mul_i32 s1, s1, s2
	s_mul_hi_u32 s1, s2, s1
	s_add_i32 s2, s2, s1
	s_mul_hi_u32 s1, s0, s2
	s_mul_i32 s2, s1, s10
	s_sub_i32 s2, s0, s2
	s_add_i32 s3, s1, 1
	s_sub_i32 s6, s2, s10
	s_cmp_ge_u32 s2, s10
	s_cselect_b32 s1, s3, s1
	s_cselect_b32 s2, s6, s2
	s_add_i32 s3, s1, 1
	s_cmp_ge_u32 s2, s10
	s_cselect_b32 s6, s3, s1
	s_mul_i32 s16, s6, s10
	s_lshl_b64 s[2:3], s[6:7], 1
	s_sub_i32 s11, s0, s16
	s_add_u32 s0, s12, s2
	s_addc_u32 s1, s13, s3
	global_load_ushort v1, v2, s[0:1]
	s_load_dwordx2 s[20:21], s[4:5], 0x1d0
	s_load_dwordx2 s[22:23], s[4:5], 0xf0
	;; [unrolled: 1-line block ×3, first 2 shown]
	v_cmp_ne_u32_e64 s[0:1], 0, v0
	v_cmp_eq_u32_e64 s[2:3], 0, v0
	s_waitcnt vmcnt(0)
	v_readfirstlane_b32 s33, v1
	s_and_saveexec_b64 s[12:13], s[2:3]
	s_cbranch_execz .LBB107_17
; %bb.2:
	s_load_dwordx2 s[26:27], s[4:5], 0x2c8
	s_mov_b32 s17, s7
	s_lshl_b64 s[28:29], s[16:17], 2
	s_add_u32 s16, s14, s28
	s_addc_u32 s17, s15, s29
	s_waitcnt lgkmcnt(0)
	s_add_u32 s18, s26, s28
	s_addc_u32 s19, s27, s29
	s_cmp_lt_u32 s10, 4
	s_cbranch_scc1 .LBB107_14
; %bb.3:
	s_mov_b32 s34, s7
	s_mov_b32 s35, s7
	;; [unrolled: 1-line block ×3, first 2 shown]
.LBB107_4:                              ; =>This Inner Loop Header: Depth=1
	s_add_u32 s16, s14, s28
	s_addc_u32 s17, s15, s29
	s_load_dwordx4 s[16:19], s[16:17], 0x0
	s_add_u32 s30, s26, s28
	s_addc_u32 s31, s27, s29
	s_cmp_ge_u32 s36, s11
	s_cbranch_scc0 .LBB107_11
; %bb.5:                                ;   in Loop: Header=BB107_4 Depth=1
	s_add_i32 s37, s36, 1
	s_cmp_ge_u32 s37, s11
	s_cbranch_scc0 .LBB107_12
.LBB107_6:                              ;   in Loop: Header=BB107_4 Depth=1
	s_add_i32 s37, s37, 1
	s_cmp_ge_u32 s37, s11
	s_cbranch_scc0 .LBB107_13
.LBB107_7:                              ;   in Loop: Header=BB107_4 Depth=1
	s_add_i32 s37, s37, 1
	s_cmp_ge_u32 s37, s11
	s_cbranch_scc1 .LBB107_9
.LBB107_8:                              ;   in Loop: Header=BB107_4 Depth=1
	s_load_dword s30, s[30:31], 0xc
	s_waitcnt lgkmcnt(0)
	s_add_i32 s7, s7, s19
	s_add_i32 s34, s30, s34
.LBB107_9:                              ;   in Loop: Header=BB107_4 Depth=1
	s_waitcnt lgkmcnt(0)
	s_add_i32 s16, s16, s35
	s_add_i32 s16, s16, s17
	;; [unrolled: 1-line block ×4, first 2 shown]
	s_add_u32 s14, s14, 16
	s_addc_u32 s15, s15, 0
	s_add_u32 s26, s26, 16
	s_addc_u32 s27, s27, 0
	s_add_i32 s31, s37, 4
	s_add_u32 s18, s26, s28
	s_addc_u32 s19, s27, s29
	s_add_u32 s16, s14, s28
	s_addc_u32 s17, s15, s29
	s_add_i32 s30, s37, 1
	s_cmp_ge_u32 s31, s10
	s_cbranch_scc1 .LBB107_15
; %bb.10:                               ;   in Loop: Header=BB107_4 Depth=1
	s_mov_b32 s36, s30
	s_branch .LBB107_4
.LBB107_11:                             ;   in Loop: Header=BB107_4 Depth=1
	s_load_dword s37, s[30:31], 0x0
	s_waitcnt lgkmcnt(0)
	s_add_i32 s7, s16, s7
	s_add_i32 s34, s37, s34
	;; [unrolled: 1-line block ×3, first 2 shown]
	s_cmp_ge_u32 s37, s11
	s_cbranch_scc1 .LBB107_6
.LBB107_12:                             ;   in Loop: Header=BB107_4 Depth=1
	s_load_dword s38, s[30:31], 0x4
	s_waitcnt lgkmcnt(0)
	s_add_i32 s7, s7, s17
	s_add_i32 s34, s38, s34
	;; [unrolled: 1-line block ×3, first 2 shown]
	s_cmp_ge_u32 s37, s11
	s_cbranch_scc1 .LBB107_7
.LBB107_13:                             ;   in Loop: Header=BB107_4 Depth=1
	s_load_dword s38, s[30:31], 0x8
	s_waitcnt lgkmcnt(0)
	s_add_i32 s7, s7, s18
	s_add_i32 s34, s38, s34
	;; [unrolled: 1-line block ×3, first 2 shown]
	s_cmp_ge_u32 s37, s11
	s_cbranch_scc0 .LBB107_8
	s_branch .LBB107_9
.LBB107_14:
	s_mov_b32 s34, 0
	s_mov_b32 s35, 0
	;; [unrolled: 1-line block ×3, first 2 shown]
	s_cmp_ge_u32 s14, s10
	s_cbranch_scc0 .LBB107_38
	s_branch .LBB107_16
.LBB107_15:
	s_add_i32 s14, s36, 4
	s_cmp_ge_u32 s14, s10
	s_cbranch_scc0 .LBB107_38
.LBB107_16:
	v_mov_b32_e32 v2, s34
	v_mov_b32_e32 v3, s35
	;; [unrolled: 1-line block ×4, first 2 shown]
	ds_write_b96 v1, v[2:4] offset:1056
.LBB107_17:
	s_or_b64 exec, exec, s[12:13]
	s_load_dword s7, s[4:5], 0x23c
	s_load_dword s16, s[4:5], 0x15c
	;; [unrolled: 1-line block ×3, first 2 shown]
	s_load_dwordx4 s[12:15], s[4:5], 0xd8
	s_mul_i32 s18, s9, s11
	s_lshl_b32 s26, s18, 8
	s_waitcnt lgkmcnt(0)
	s_add_i32 s15, s11, 1
	s_mov_b32 s11, 0
	s_sub_i32 s18, s12, s26
	s_add_u32 s18, s18, 0xff
	s_addc_u32 s19, 0, 0
	v_mov_b32_e32 v1, s18
	v_alignbit_b32 v1, s19, v1, 8
	s_cmp_lt_u32 s15, s10
	v_readfirstlane_b32 s10, v1
	s_cselect_b32 s9, s9, s10
	s_cmp_eq_u32 s9, 0
	s_barrier
	s_cbranch_scc1 .LBB107_40
; %bb.18:
	s_mul_i32 s10, s6, s17
	s_mul_i32 s18, s6, s16
	s_lshl_b64 s[16:17], s[10:11], 1
	s_add_u32 s15, s24, s16
	s_mov_b32 s19, s11
	s_addc_u32 s16, s25, s17
	s_lshl_b64 s[18:19], s[18:19], 1
	s_mul_i32 s6, s6, s7
	s_add_u32 s17, s22, s18
	s_mov_b32 s7, s11
	v_mov_b32_e32 v1, 0
	s_addc_u32 s18, s23, s19
	s_lshl_b64 s[6:7], s[6:7], 3
	ds_read_b96 v[2:4], v1 offset:1056
	s_add_u32 s19, s20, s6
	s_addc_u32 s20, s21, s7
	s_and_b32 s10, 0xffff, s33
	s_sext_i32_i16 s6, s33
	s_cmp_gt_i32 s6, -1
	s_mov_b32 s6, 0x8000
	s_cselect_b32 s11, s6, 0xffff
	s_lshl_b32 s6, s33, 16
	v_cmp_o_f32_e64 s[6:7], s6, s6
	s_xor_b32 s10, s11, s10
	s_waitcnt lgkmcnt(0)
	v_add_u32_e32 v5, v2, v3
	v_lshrrev_b32_e32 v2, 5, v0
	s_and_b64 s[6:7], s[6:7], exec
	v_add_lshl_u32 v6, v2, v0, 2
	v_lshlrev_b32_e32 v2, 2, v0
	v_lshrrev_b32_e32 v3, 3, v0
	s_cselect_b32 s21, s10, 0xffff
	s_bitcmp1_b32 s14, 0
	s_load_dword s10, s[4:5], 0xe8
	s_load_dword s14, s[4:5], 0x1c8
	v_add_lshl_u32 v7, v3, v2, 2
	v_add_u32_e32 v2, -1, v0
	v_lshrrev_b32_e32 v3, 5, v2
	v_add_lshl_u32 v8, v3, v2, 2
	v_mbcnt_lo_u32_b32 v3, -1, 0
	v_add_u32_e32 v2, s26, v0
	v_mbcnt_hi_u32_b32 v11, -1, v3
	s_cselect_b64 s[6:7], -1, 0
	v_cmp_gt_u32_e64 s[4:5], 64, v0
	s_waitcnt lgkmcnt(0)
	v_mul_lo_u32 v0, s10, v2
	s_lshl_b32 s22, s10, 8
	v_mov_b32_e32 v9, 0xffff
	v_mov_b32_e32 v10, 0x8000
	v_and_b32_e32 v12, 15, v11
	v_bfe_i32 v13, v11, 4, 1
	v_add_u32_e32 v14, -1, v11
	v_and_b32_e32 v15, 64, v11
                                        ; implicit-def: $vgpr16
	s_branch .LBB107_21
.LBB107_19:                             ;   in Loop: Header=BB107_21 Depth=1
	s_or_b64 exec, exec, s[10:11]
	v_add_u32_e32 v5, v19, v5
.LBB107_20:                             ;   in Loop: Header=BB107_21 Depth=1
	s_add_i32 s9, s9, -1
	v_add_u32_e32 v4, v18, v4
	v_add_u32_e32 v0, s22, v0
	s_cmp_lg_u32 s9, 0
	v_add_u32_e32 v2, 0x100, v2
	s_cbranch_scc0 .LBB107_40
.LBB107_21:                             ; =>This Inner Loop Header: Depth=1
	v_cmp_gt_u32_e32 vcc, s12, v2
	v_mov_b32_e32 v3, 0
	v_mov_b32_e32 v17, 0
	s_and_saveexec_b64 s[10:11], vcc
	s_cbranch_execz .LBB107_23
; %bb.22:                               ;   in Loop: Header=BB107_21 Depth=1
	v_lshlrev_b64 v[16:17], 1, v[0:1]
	v_mov_b32_e32 v3, s16
	v_add_co_u32_e32 v16, vcc, s15, v16
	v_addc_co_u32_e32 v17, vcc, v3, v17, vcc
	global_load_ushort v16, v[16:17], off
	s_waitcnt vmcnt(0)
	v_cmp_lt_i16_e32 vcc, -1, v16
	v_cndmask_b32_e32 v3, v9, v10, vcc
	v_lshlrev_b32_e32 v17, 16, v16
	v_xor_b32_sdwa v3, v3, v16 dst_sel:DWORD dst_unused:UNUSED_PAD src0_sel:DWORD src1_sel:WORD_0
	v_cmp_o_f32_e32 vcc, v17, v17
	v_cndmask_b32_e32 v17, v9, v3, vcc
	v_cmp_lt_u32_e32 vcc, s21, v17
	v_cndmask_b32_e64 v3, 0, 1, vcc
	v_cmp_gt_u32_e32 vcc, s21, v17
	v_cndmask_b32_e64 v18, 0, 1, vcc
	v_cndmask_b32_e64 v3, v18, v3, s[6:7]
	v_cmp_eq_u32_e32 vcc, s21, v17
	v_and_b32_e32 v3, 1, v3
	v_cndmask_b32_e64 v17, 0, 1, vcc
.LBB107_23:                             ;   in Loop: Header=BB107_21 Depth=1
	s_or_b64 exec, exec, s[10:11]
	ds_write_b32 v6, v3
	s_waitcnt lgkmcnt(0)
	s_barrier
	s_and_saveexec_b64 s[10:11], s[4:5]
	s_cbranch_execz .LBB107_25
; %bb.24:                               ;   in Loop: Header=BB107_21 Depth=1
	ds_read2_b32 v[18:19], v7 offset1:1
	ds_read2_b32 v[20:21], v7 offset0:2 offset1:3
	v_cmp_ne_u32_e32 vcc, 0, v12
	; wave barrier
	s_waitcnt lgkmcnt(1)
	v_add_u32_e32 v19, v19, v18
	s_waitcnt lgkmcnt(0)
	v_add3_u32 v19, v19, v20, v21
	s_nop 1
	v_mov_b32_dpp v20, v19 row_shr:1 row_mask:0xf bank_mask:0xf
	v_cndmask_b32_e32 v20, 0, v20, vcc
	v_add_u32_e32 v19, v20, v19
	v_cmp_lt_u32_e32 vcc, 1, v12
	s_nop 0
	v_mov_b32_dpp v20, v19 row_shr:2 row_mask:0xf bank_mask:0xf
	v_cndmask_b32_e32 v20, 0, v20, vcc
	v_add_u32_e32 v19, v19, v20
	v_cmp_lt_u32_e32 vcc, 3, v12
	;; [unrolled: 5-line block ×4, first 2 shown]
	s_nop 0
	v_mov_b32_dpp v20, v19 row_bcast:15 row_mask:0xf bank_mask:0xf
	v_and_b32_e32 v20, v13, v20
	v_add_u32_e32 v19, v19, v20
	s_nop 1
	v_mov_b32_dpp v20, v19 row_bcast:31 row_mask:0xf bank_mask:0xf
	v_cndmask_b32_e32 v20, 0, v20, vcc
	v_cmp_lt_i32_e32 vcc, v14, v15
	v_add_u32_e32 v19, v19, v20
	v_cndmask_b32_e32 v20, v14, v11, vcc
	v_lshlrev_b32_e32 v20, 2, v20
	ds_bpermute_b32 v19, v20, v19
	s_waitcnt lgkmcnt(0)
	v_add_u32_e32 v18, v19, v18
	v_cndmask_b32_e64 v20, v18, v3, s[2:3]
	ds_write_b32 v7, v20
	; wave barrier
	ds_read2_b32 v[18:19], v7 offset0:1 offset1:2
	ds_read_b32 v21, v7 offset:12
	s_waitcnt lgkmcnt(1)
	v_add_u32_e32 v18, v18, v20
	v_add_u32_e32 v19, v19, v18
	ds_write2_b32 v7, v18, v19 offset0:1 offset1:2
	s_waitcnt lgkmcnt(1)
	v_add_u32_e32 v18, v21, v19
	ds_write_b32 v7, v18 offset:12
.LBB107_25:                             ;   in Loop: Header=BB107_21 Depth=1
	s_or_b64 exec, exec, s[10:11]
	v_mov_b32_e32 v19, 0
	s_waitcnt lgkmcnt(0)
	s_barrier
	s_and_saveexec_b64 s[10:11], s[0:1]
	s_cbranch_execz .LBB107_27
; %bb.26:                               ;   in Loop: Header=BB107_21 Depth=1
	ds_read_b32 v19, v8
.LBB107_27:                             ;   in Loop: Header=BB107_21 Depth=1
	s_or_b64 exec, exec, s[10:11]
	ds_read_b32 v18, v1 offset:1048
	v_cmp_ne_u32_e32 vcc, 0, v3
	s_waitcnt lgkmcnt(0)
	s_barrier
	s_and_saveexec_b64 s[10:11], vcc
	s_cbranch_execz .LBB107_29
; %bb.28:                               ;   in Loop: Header=BB107_21 Depth=1
	v_add_u32_e32 v19, v19, v4
	v_mul_lo_u32 v20, v19, s14
	v_mov_b32_e32 v21, v1
	v_lshlrev_b64 v[20:21], 1, v[20:21]
	v_mov_b32_e32 v3, s18
	v_add_co_u32_e32 v20, vcc, s17, v20
	v_addc_co_u32_e32 v21, vcc, v3, v21, vcc
	global_store_short v[20:21], v16, off
	v_mul_lo_u32 v20, v19, s8
	v_mov_b32_e32 v21, v1
	v_lshlrev_b64 v[20:21], 3, v[20:21]
	v_mov_b32_e32 v19, s20
	v_add_co_u32_e32 v20, vcc, s19, v20
	v_mov_b32_e32 v3, v1
	v_addc_co_u32_e32 v21, vcc, v19, v21, vcc
	global_store_dwordx2 v[20:21], v[2:3], off
.LBB107_29:                             ;   in Loop: Header=BB107_21 Depth=1
	s_or_b64 exec, exec, s[10:11]
	v_cmp_le_u32_e32 vcc, s13, v5
	s_cbranch_vccnz .LBB107_20
; %bb.30:                               ;   in Loop: Header=BB107_21 Depth=1
	ds_write_b32 v6, v17
	s_waitcnt lgkmcnt(0)
	s_barrier
	s_and_saveexec_b64 s[10:11], s[4:5]
	s_cbranch_execz .LBB107_32
; %bb.31:                               ;   in Loop: Header=BB107_21 Depth=1
	ds_read2_b32 v[20:21], v7 offset1:1
	ds_read2_b32 v[22:23], v7 offset0:2 offset1:3
	v_cmp_ne_u32_e32 vcc, 0, v12
	; wave barrier
	s_waitcnt lgkmcnt(1)
	v_add_u32_e32 v3, v21, v20
	s_waitcnt lgkmcnt(0)
	v_add3_u32 v3, v3, v22, v23
	s_nop 1
	v_mov_b32_dpp v19, v3 row_shr:1 row_mask:0xf bank_mask:0xf
	v_cndmask_b32_e32 v19, 0, v19, vcc
	v_add_u32_e32 v3, v19, v3
	v_cmp_lt_u32_e32 vcc, 1, v12
	s_nop 0
	v_mov_b32_dpp v19, v3 row_shr:2 row_mask:0xf bank_mask:0xf
	v_cndmask_b32_e32 v19, 0, v19, vcc
	v_add_u32_e32 v3, v3, v19
	v_cmp_lt_u32_e32 vcc, 3, v12
	;; [unrolled: 5-line block ×4, first 2 shown]
	s_nop 0
	v_mov_b32_dpp v19, v3 row_bcast:15 row_mask:0xf bank_mask:0xf
	v_and_b32_e32 v19, v13, v19
	v_add_u32_e32 v3, v3, v19
	s_nop 1
	v_mov_b32_dpp v19, v3 row_bcast:31 row_mask:0xf bank_mask:0xf
	v_cndmask_b32_e32 v19, 0, v19, vcc
	v_cmp_lt_i32_e32 vcc, v14, v15
	v_add_u32_e32 v3, v3, v19
	v_cndmask_b32_e32 v19, v14, v11, vcc
	v_lshlrev_b32_e32 v19, 2, v19
	ds_bpermute_b32 v3, v19, v3
	s_waitcnt lgkmcnt(0)
	v_add_u32_e32 v3, v3, v20
	v_cndmask_b32_e64 v3, v3, v17, s[2:3]
	ds_write_b32 v7, v3
	; wave barrier
	ds_read2_b32 v[20:21], v7 offset0:1 offset1:2
	ds_read_b32 v19, v7 offset:12
	s_waitcnt lgkmcnt(1)
	v_add_u32_e32 v3, v20, v3
	v_add_u32_e32 v20, v21, v3
	ds_write2_b32 v7, v3, v20 offset0:1 offset1:2
	s_waitcnt lgkmcnt(1)
	v_add_u32_e32 v3, v19, v20
	ds_write_b32 v7, v3 offset:12
.LBB107_32:                             ;   in Loop: Header=BB107_21 Depth=1
	s_or_b64 exec, exec, s[10:11]
	v_mov_b32_e32 v3, 0
	s_waitcnt lgkmcnt(0)
	s_barrier
	s_and_saveexec_b64 s[10:11], s[0:1]
	s_cbranch_execz .LBB107_34
; %bb.33:                               ;   in Loop: Header=BB107_21 Depth=1
	ds_read_b32 v3, v8
.LBB107_34:                             ;   in Loop: Header=BB107_21 Depth=1
	s_or_b64 exec, exec, s[10:11]
	ds_read_b32 v19, v1 offset:1048
	v_cmp_ne_u32_e32 vcc, 0, v17
	s_waitcnt lgkmcnt(0)
	s_barrier
	s_and_saveexec_b64 s[10:11], vcc
	s_cbranch_execz .LBB107_19
; %bb.35:                               ;   in Loop: Header=BB107_21 Depth=1
	v_add_u32_e32 v17, v3, v5
	v_cmp_gt_u32_e32 vcc, s13, v17
	s_and_b64 exec, exec, vcc
	s_cbranch_execz .LBB107_19
; %bb.36:                               ;   in Loop: Header=BB107_21 Depth=1
	v_mul_lo_u32 v20, v17, s14
	v_mov_b32_e32 v21, v1
	v_lshlrev_b64 v[20:21], 1, v[20:21]
	v_mov_b32_e32 v3, s18
	v_add_co_u32_e32 v20, vcc, s17, v20
	v_addc_co_u32_e32 v21, vcc, v3, v21, vcc
	global_store_short v[20:21], v16, off
	v_mul_lo_u32 v20, v17, s8
	v_mov_b32_e32 v21, v1
	v_lshlrev_b64 v[20:21], 3, v[20:21]
	v_mov_b32_e32 v17, s20
	v_add_co_u32_e32 v20, vcc, s19, v20
	v_mov_b32_e32 v3, v1
	v_addc_co_u32_e32 v21, vcc, v17, v21, vcc
	global_store_dwordx2 v[20:21], v[2:3], off
	s_branch .LBB107_19
.LBB107_37:                             ;   in Loop: Header=BB107_38 Depth=1
	s_add_u32 s16, s16, 4
	s_addc_u32 s17, s17, 0
	s_waitcnt lgkmcnt(0)
	s_add_i32 s35, s15, s35
	s_add_u32 s18, s18, 4
	s_addc_u32 s19, s19, 0
	s_add_i32 s14, s14, 1
	s_cmp_lt_u32 s14, s10
	s_cbranch_scc0 .LBB107_16
.LBB107_38:                             ; =>This Inner Loop Header: Depth=1
	s_load_dword s15, s[16:17], 0x0
	s_cmp_ge_u32 s14, s11
	s_cbranch_scc1 .LBB107_37
; %bb.39:                               ;   in Loop: Header=BB107_38 Depth=1
	s_load_dword s26, s[18:19], 0x0
	s_waitcnt lgkmcnt(0)
	s_add_i32 s7, s15, s7
	s_add_i32 s34, s26, s34
	s_branch .LBB107_37
.LBB107_40:
	s_endpgm
	.section	.rodata,"a",@progbits
	.p2align	6, 0x0
	.amdhsa_kernel _ZN2at6native6mbtopk10gatherTopKIN3c108BFloat16EjLi1EEEvNS_4cuda6detail10TensorInfoIKT_T0_EESA_SA_bjSA_NS7_IS8_SA_EESA_NS7_IlSA_EESA_jjPS8_PjSF_j
		.amdhsa_group_segment_fixed_size 1068
		.amdhsa_private_segment_fixed_size 0
		.amdhsa_kernarg_size 984
		.amdhsa_user_sgpr_count 6
		.amdhsa_user_sgpr_private_segment_buffer 1
		.amdhsa_user_sgpr_dispatch_ptr 0
		.amdhsa_user_sgpr_queue_ptr 0
		.amdhsa_user_sgpr_kernarg_segment_ptr 1
		.amdhsa_user_sgpr_dispatch_id 0
		.amdhsa_user_sgpr_flat_scratch_init 0
		.amdhsa_user_sgpr_kernarg_preload_length 0
		.amdhsa_user_sgpr_kernarg_preload_offset 0
		.amdhsa_user_sgpr_private_segment_size 0
		.amdhsa_uses_dynamic_stack 0
		.amdhsa_system_sgpr_private_segment_wavefront_offset 0
		.amdhsa_system_sgpr_workgroup_id_x 1
		.amdhsa_system_sgpr_workgroup_id_y 1
		.amdhsa_system_sgpr_workgroup_id_z 1
		.amdhsa_system_sgpr_workgroup_info 0
		.amdhsa_system_vgpr_workitem_id 0
		.amdhsa_next_free_vgpr 24
		.amdhsa_next_free_sgpr 39
		.amdhsa_accum_offset 24
		.amdhsa_reserve_vcc 1
		.amdhsa_reserve_flat_scratch 0
		.amdhsa_float_round_mode_32 0
		.amdhsa_float_round_mode_16_64 0
		.amdhsa_float_denorm_mode_32 3
		.amdhsa_float_denorm_mode_16_64 3
		.amdhsa_dx10_clamp 1
		.amdhsa_ieee_mode 1
		.amdhsa_fp16_overflow 0
		.amdhsa_tg_split 0
		.amdhsa_exception_fp_ieee_invalid_op 0
		.amdhsa_exception_fp_denorm_src 0
		.amdhsa_exception_fp_ieee_div_zero 0
		.amdhsa_exception_fp_ieee_overflow 0
		.amdhsa_exception_fp_ieee_underflow 0
		.amdhsa_exception_fp_ieee_inexact 0
		.amdhsa_exception_int_div_zero 0
	.end_amdhsa_kernel
	.section	.text._ZN2at6native6mbtopk10gatherTopKIN3c108BFloat16EjLi1EEEvNS_4cuda6detail10TensorInfoIKT_T0_EESA_SA_bjSA_NS7_IS8_SA_EESA_NS7_IlSA_EESA_jjPS8_PjSF_j,"axG",@progbits,_ZN2at6native6mbtopk10gatherTopKIN3c108BFloat16EjLi1EEEvNS_4cuda6detail10TensorInfoIKT_T0_EESA_SA_bjSA_NS7_IS8_SA_EESA_NS7_IlSA_EESA_jjPS8_PjSF_j,comdat
.Lfunc_end107:
	.size	_ZN2at6native6mbtopk10gatherTopKIN3c108BFloat16EjLi1EEEvNS_4cuda6detail10TensorInfoIKT_T0_EESA_SA_bjSA_NS7_IS8_SA_EESA_NS7_IlSA_EESA_jjPS8_PjSF_j, .Lfunc_end107-_ZN2at6native6mbtopk10gatherTopKIN3c108BFloat16EjLi1EEEvNS_4cuda6detail10TensorInfoIKT_T0_EESA_SA_bjSA_NS7_IS8_SA_EESA_NS7_IlSA_EESA_jjPS8_PjSF_j
                                        ; -- End function
	.section	.AMDGPU.csdata,"",@progbits
; Kernel info:
; codeLenInByte = 2180
; NumSgprs: 43
; NumVgprs: 24
; NumAgprs: 0
; TotalNumVgprs: 24
; ScratchSize: 0
; MemoryBound: 0
; FloatMode: 240
; IeeeMode: 1
; LDSByteSize: 1068 bytes/workgroup (compile time only)
; SGPRBlocks: 5
; VGPRBlocks: 2
; NumSGPRsForWavesPerEU: 43
; NumVGPRsForWavesPerEU: 24
; AccumOffset: 24
; Occupancy: 8
; WaveLimiterHint : 1
; COMPUTE_PGM_RSRC2:SCRATCH_EN: 0
; COMPUTE_PGM_RSRC2:USER_SGPR: 6
; COMPUTE_PGM_RSRC2:TRAP_HANDLER: 0
; COMPUTE_PGM_RSRC2:TGID_X_EN: 1
; COMPUTE_PGM_RSRC2:TGID_Y_EN: 1
; COMPUTE_PGM_RSRC2:TGID_Z_EN: 1
; COMPUTE_PGM_RSRC2:TIDIG_COMP_CNT: 0
; COMPUTE_PGM_RSRC3_GFX90A:ACCUM_OFFSET: 5
; COMPUTE_PGM_RSRC3_GFX90A:TG_SPLIT: 0
	.section	.text._ZN2at6native6sbtopk10gatherTopKIN3c108BFloat16EjLi1ELb0EEEvNS_4cuda6detail10TensorInfoIKT_T0_EESA_SA_bSA_SA_NS7_IS8_SA_EESA_NS7_IlSA_EESA_PS8_,"axG",@progbits,_ZN2at6native6sbtopk10gatherTopKIN3c108BFloat16EjLi1ELb0EEEvNS_4cuda6detail10TensorInfoIKT_T0_EESA_SA_bSA_SA_NS7_IS8_SA_EESA_NS7_IlSA_EESA_PS8_,comdat
	.protected	_ZN2at6native6sbtopk10gatherTopKIN3c108BFloat16EjLi1ELb0EEEvNS_4cuda6detail10TensorInfoIKT_T0_EESA_SA_bSA_SA_NS7_IS8_SA_EESA_NS7_IlSA_EESA_PS8_ ; -- Begin function _ZN2at6native6sbtopk10gatherTopKIN3c108BFloat16EjLi1ELb0EEEvNS_4cuda6detail10TensorInfoIKT_T0_EESA_SA_bSA_SA_NS7_IS8_SA_EESA_NS7_IlSA_EESA_PS8_
	.globl	_ZN2at6native6sbtopk10gatherTopKIN3c108BFloat16EjLi1ELb0EEEvNS_4cuda6detail10TensorInfoIKT_T0_EESA_SA_bSA_SA_NS7_IS8_SA_EESA_NS7_IlSA_EESA_PS8_
	.p2align	8
	.type	_ZN2at6native6sbtopk10gatherTopKIN3c108BFloat16EjLi1ELb0EEEvNS_4cuda6detail10TensorInfoIKT_T0_EESA_SA_bSA_SA_NS7_IS8_SA_EESA_NS7_IlSA_EESA_PS8_,@function
_ZN2at6native6sbtopk10gatherTopKIN3c108BFloat16EjLi1ELb0EEEvNS_4cuda6detail10TensorInfoIKT_T0_EESA_SA_bSA_SA_NS7_IS8_SA_EESA_NS7_IlSA_EESA_PS8_: ; @_ZN2at6native6sbtopk10gatherTopKIN3c108BFloat16EjLi1ELb0EEEvNS_4cuda6detail10TensorInfoIKT_T0_EESA_SA_bSA_SA_NS7_IS8_SA_EESA_NS7_IlSA_EESA_PS8_
; %bb.0:
	s_load_dwordx2 s[10:11], s[4:5], 0x2b8
	s_load_dwordx4 s[60:63], s[4:5], 0xd8
	s_add_u32 s2, s4, 0x2b8
	s_addc_u32 s3, s5, 0
	s_waitcnt lgkmcnt(0)
	s_mul_i32 s0, s11, s8
	s_add_i32 s0, s0, s7
	s_mul_i32 s0, s0, s10
	s_add_i32 s11, s0, s6
	s_cmp_ge_u32 s11, s63
	s_cbranch_scc1 .LBB108_411
; %bb.1:
	s_load_dwordx2 s[0:1], s[4:5], 0x1d0
                                        ; implicit-def: $vgpr54 : SGPR spill to VGPR lane
	s_mov_b32 s14, 0
	v_cmp_eq_u32_e64 s[8:9], 0, v0
	s_waitcnt lgkmcnt(0)
	v_writelane_b32 v54, s0, 0
	v_writelane_b32 v54, s1, 1
	s_load_dwordx2 s[0:1], s[4:5], 0xf0
	s_waitcnt lgkmcnt(0)
	v_writelane_b32 v54, s0, 2
	v_writelane_b32 v54, s1, 3
	s_load_dword s0, s[4:5], 0xe8
	s_waitcnt lgkmcnt(0)
	v_writelane_b32 v54, s0, 4
	s_load_dword s7, s[4:5], 0x6c
	s_load_dwordx2 s[0:1], s[4:5], 0x0
	s_mov_b64 s[12:13], exec
	v_writelane_b32 v54, s8, 5
	v_writelane_b32 v54, s9, 6
	s_and_b64 s[8:9], s[12:13], s[8:9]
	s_mov_b64 exec, s[8:9]
	s_cbranch_execz .LBB108_3
; %bb.2:
	v_mov_b32_e32 v2, 0
	v_mov_b32_e32 v3, s60
	;; [unrolled: 1-line block ×3, first 2 shown]
	ds_write_b96 v2, v[2:4] offset:4096
.LBB108_3:
	s_or_b64 exec, exec, s[12:13]
	s_load_dword s8, s[4:5], 0x23c
	s_mov_b32 s9, s14
	s_mov_b32 s12, 0
	s_waitcnt lgkmcnt(0)
	s_barrier
	v_writelane_b32 v54, s8, 7
	s_load_dword s8, s[4:5], 0x15c
	s_waitcnt lgkmcnt(0)
	v_mbcnt_lo_u32_b32 v1, -1, 0
	v_mbcnt_hi_u32_b32 v1, -1, v1
	v_cmp_gt_u32_e32 vcc, 64, v0
	v_writelane_b32 v54, s8, 8
	s_mul_i32 s8, s7, s11
	s_lshl_b64 s[8:9], s[8:9], 1
	s_add_u32 s33, s0, s8
	v_writelane_b32 v54, s11, 9
	s_addc_u32 s7, s1, s9
	v_writelane_b32 v54, s12, 10
	s_load_dword s0, s[2:3], 0xc
	s_bitcmp1_b32 s62, 0
	v_writelane_b32 v54, s13, 11
	s_cselect_b64 s[8:9], -1, 0
	v_writelane_b32 v54, s8, 12
	v_writelane_b32 v54, s9, 13
	s_xor_b64 s[8:9], s[8:9], -1
	v_writelane_b32 v54, s8, 14
	v_writelane_b32 v54, s9, 15
	s_waitcnt lgkmcnt(0)
	s_and_b32 s72, s0, 0xffff
	s_bfe_u32 s8, s0, 0xa0006
	v_cmp_gt_i32_e64 s[0:1], 4, v1
	s_lshl_b32 s73, s72, 2
	s_and_b64 s[0:1], vcc, s[0:1]
	v_writelane_b32 v54, s0, 16
	s_cmpk_gt_u32 s60, 0x600
	v_writelane_b32 v54, s1, 17
	s_cselect_b64 s[0:1], -1, 0
	v_writelane_b32 v54, s0, 18
	s_cmp_gt_u32 s72, 63
	v_writelane_b32 v54, s1, 19
	s_cselect_b64 s[0:1], -1, 0
	v_writelane_b32 v54, s0, 20
	v_writelane_b32 v54, s1, 21
	s_add_i32 s0, s72, -1
	s_add_i32 s12, s0, s60
	s_cmp_lt_u32 s6, s10
	v_writelane_b32 v54, s0, 22
	s_cselect_b32 s0, 12, 18
	s_add_u32 s0, s2, s0
	s_addc_u32 s1, s3, 0
	v_writelane_b32 v54, s0, 23
	s_add_i32 s2, s8, -2
	v_writelane_b32 v54, s1, 24
	s_lshr_b32 s0, s2, 1
	s_add_i32 s3, s0, 1
	s_cmpk_gt_u32 s72, 0x7f
	s_cselect_b64 s[0:1], -1, 0
	v_writelane_b32 v54, s0, 25
	v_writelane_b32 v54, s1, 26
	;; [unrolled: 1-line block ×3, first 2 shown]
	s_load_dword s9, s[4:5], 0xe8
	v_mov_b32_e32 v11, 0
	v_mov_b32_e32 v13, v11
	v_writelane_b32 v54, s5, 28
	v_cmp_gt_u32_e64 s[10:11], s60, v0
	s_waitcnt lgkmcnt(0)
	v_mul_lo_u32 v12, v0, s9
	v_lshlrev_b64 v[2:3], 1, v[12:13]
	v_mov_b32_e32 v17, s7
	v_add_co_u32_e32 v8, vcc, s33, v2
	v_writelane_b32 v54, s10, 29
	v_lshrrev_b32_e32 v2, 4, v0
	v_addc_co_u32_e32 v9, vcc, v17, v3, vcc
	v_writelane_b32 v54, s11, 30
	v_and_b32_e32 v18, 60, v2
	v_cmp_gt_u32_e64 s[4:5], 2, v0
	v_lshlrev_b64 v[2:3], v1, -1
	v_writelane_b32 v54, s4, 31
	v_not_b32_e32 v6, v2
	v_cvt_f32_u32_e32 v2, s73
	v_writelane_b32 v54, s5, 32
	s_and_b32 s4, s8, 0x3fe
	s_and_b32 s5, s3, 7
	s_cmp_gt_u32 s2, 13
	s_cselect_b64 s[10:11], -1, 0
	v_writelane_b32 v54, s10, 33
	v_rcp_iflag_f32_e32 v2, v2
	v_writelane_b32 v54, s11, 34
	s_and_b32 s2, s3, -8
	v_writelane_b32 v54, s2, 35
	s_cmp_lg_u32 s5, 0
	v_writelane_b32 v54, s5, 36
	s_cselect_b64 s[2:3], -1, 0
	v_writelane_b32 v54, s2, 37
	v_mul_f32_e32 v2, 0x4f7ffffe, v2
	v_writelane_b32 v54, s3, 38
	v_cvt_u32_f32_e32 v2, v2
	v_writelane_b32 v54, s8, 39
	s_cmp_lg_u32 s4, s8
	v_writelane_b32 v54, s4, 40
	s_cselect_b64 s[2:3], -1, 0
	v_writelane_b32 v54, s2, 41
	v_writelane_b32 v54, s3, 42
	s_sub_i32 s2, 0, s73
	v_readfirstlane_b32 s3, v2
	s_mul_i32 s2, s2, s3
	s_mul_hi_u32 s2, s3, s2
	s_add_i32 s2, s3, s2
	v_cvt_f32_u32_e32 v2, s72
	v_writelane_b32 v54, s2, 43
	s_mul_hi_u32 s2, s60, s2
	s_mul_i32 s2, s2, s73
	s_sub_i32 s2, s60, s2
	s_sub_i32 s3, s2, s73
	v_rcp_iflag_f32_e32 v5, v2
	s_cmp_ge_u32 s2, s73
	s_cselect_b32 s2, s3, s2
	s_sub_i32 s3, s2, s73
	s_cmp_ge_u32 s2, s73
	v_mul_f32_e32 v5, 0x4f7ffffe, v5
	s_cselect_b32 s2, s3, s2
	v_cvt_u32_f32_e32 v5, v5
	v_lshlrev_b32_e32 v16, 2, v0
	s_sub_i32 s8, s60, s2
	v_cmp_gt_u32_e64 s[4:5], s8, v16
	v_writelane_b32 v54, s4, 44
	v_writelane_b32 v54, s5, 45
	s_sub_i32 s3, 0, s72
	v_readfirstlane_b32 s5, v5
	s_mul_i32 s3, s3, s5
	s_mul_hi_u32 s3, s5, s3
	s_add_i32 s3, s5, s3
	v_writelane_b32 v54, s3, 46
	s_mul_hi_u32 s3, s12, s3
	s_mul_i32 s3, s3, s72
	s_sub_i32 s3, s12, s3
	s_sub_i32 s5, s3, s72
	v_add_u32_e32 v21, s8, v0
	s_cmp_ge_u32 s3, s72
	v_mul_lo_u32 v10, v21, s9
	s_cselect_b32 s3, s5, s3
	v_not_b32_e32 v7, v3
	v_lshlrev_b64 v[2:3], 1, v[10:11]
	s_sub_i32 s5, s3, s72
	v_add_co_u32_e32 v14, vcc, s33, v2
	s_cmp_ge_u32 s3, s72
	v_mul_lo_u32 v2, s9, v16
	s_cselect_b32 s3, s5, s3
	v_add_u32_e32 v22, s9, v2
	v_or_b32_e32 v2, 2, v16
	s_sub_i32 s74, s12, s3
	v_mul_lo_u32 v23, s9, v2
	v_or_b32_e32 v2, 3, v16
	s_add_i32 s3, s72, s60
	v_cmp_gt_u32_e64 s[4:5], s74, v0
	v_mul_lo_u32 v24, s9, v2
	v_add_u32_e32 v2, s3, v0
	v_lshlrev_b32_e32 v19, 1, v0
	v_lshlrev_b32_e32 v4, 2, v1
	v_mov_b32_e32 v10, s7
	v_writelane_b32 v54, s4, 47
	s_mul_i32 s6, s9, s72
	v_subrev_u32_e32 v2, s2, v2
	v_cmp_eq_u32_e64 s[0:1], 0, v1
	v_add_u32_e32 v20, 0xc00, v19
	v_and_b32_e32 v13, 0x100, v4
	v_cmp_gt_u32_e64 s[14:15], s60, v21
	v_addc_co_u32_e32 v15, vcc, v10, v3, vcc
	v_writelane_b32 v54, s5, 48
	s_lshl_b32 s75, s6, 2
	v_lshlrev_b32_e32 v25, 2, v12
	v_mul_lo_u32 v26, s9, v2
	v_lshlrev_b32_e32 v27, 3, v0
	s_lshl_b32 s4, s72, 3
	s_lshl_b32 s5, s72, 1
	v_or_b32_e32 v28, 0xc00, v4
	s_mov_b32 s13, 14
	s_mov_b64 s[86:87], 0
	v_mov_b32_e32 v37, s61
	s_movk_i32 s12, 0x3f80
	v_mov_b32_e32 v29, 0xffff
	v_mov_b32_e32 v30, 0x8000
	v_mov_b32_e32 v31, -1
	v_mov_b32_e32 v32, 0xc00
	v_mov_b32_e32 v33, 0x5040100
	;; [unrolled: 1-line block ×3, first 2 shown]
	s_mov_b32 s9, 0
	v_mov_b32_e32 v35, 0
	v_mov_b32_e32 v34, 0
                                        ; implicit-def: $sgpr88_sgpr89
                                        ; implicit-def: $sgpr90_sgpr91
                                        ; implicit-def: $sgpr92_sgpr93
                                        ; implicit-def: $sgpr94_sgpr95
                                        ; implicit-def: $sgpr64_sgpr65
                                        ; implicit-def: $sgpr66_sgpr67
                                        ; implicit-def: $sgpr2_sgpr3
                                        ; implicit-def: $sgpr80_sgpr81
                                        ; implicit-def: $sgpr82_sgpr83
                                        ; implicit-def: $sgpr84_sgpr85
	s_branch .LBB108_6
.LBB108_4:                              ;   in Loop: Header=BB108_6 Depth=1
	s_or_b64 exec, exec, s[22:23]
	s_andn2_b64 s[10:11], s[84:85], exec
	s_and_b64 s[20:21], s[20:21], exec
	s_or_b64 s[84:85], s[10:11], s[20:21]
	s_andn2_b64 s[82:83], s[82:83], exec
	s_andn2_b64 s[80:81], s[80:81], exec
	;; [unrolled: 1-line block ×4, first 2 shown]
	s_orn2_b64 s[18:19], s[18:19], exec
	v_mov_b32_e32 v34, v3
	v_mov_b32_e32 v35, v2
	;; [unrolled: 1-line block ×4, first 2 shown]
.LBB108_5:                              ;   in Loop: Header=BB108_6 Depth=1
	s_or_b64 exec, exec, s[16:17]
	s_and_b64 s[10:11], exec, s[18:19]
	s_or_b64 s[86:87], s[10:11], s[86:87]
	s_andn2_b64 s[10:11], s[64:65], exec
	s_and_b64 s[16:17], s[84:85], exec
	s_or_b64 s[64:65], s[10:11], s[16:17]
	s_andn2_b64 s[10:11], s[94:95], exec
	s_and_b64 s[16:17], s[82:83], exec
	;; [unrolled: 3-line block ×5, first 2 shown]
	s_or_b64 s[88:89], s[10:11], s[16:17]
	s_andn2_b64 exec, exec, s[86:87]
	s_cbranch_execz .LBB108_407
.LBB108_6:                              ; =>This Loop Header: Depth=1
                                        ;     Child Loop BB108_11 Depth 2
                                        ;     Child Loop BB108_29 Depth 2
	;; [unrolled: 1-line block ×25, first 2 shown]
	ds_read_b64 v[2:3], v11 offset:4096
	s_waitcnt lgkmcnt(0)
	v_readfirstlane_b32 s10, v2
	s_cmp_lg_u32 s10, 0
	s_cbranch_scc1 .LBB108_36
; %bb.7:                                ;   in Loop: Header=BB108_6 Depth=1
	v_readlane_b32 s10, v54, 18
	v_readlane_b32 s11, v54, 19
	s_and_b64 vcc, exec, s[10:11]
	s_cbranch_vccz .LBB108_19
; %bb.8:                                ;   in Loop: Header=BB108_6 Depth=1
	s_movk_i32 s10, 0x601
	v_cmp_gt_u32_e32 vcc, s10, v3
	s_mov_b64 s[16:17], 0
	s_mov_b64 s[18:19], 0
	s_cbranch_vccz .LBB108_20
; %bb.9:                                ;   in Loop: Header=BB108_6 Depth=1
	v_readlane_b32 s10, v54, 23
	v_readlane_b32 s11, v54, 24
	s_nop 4
	global_load_ushort v2, v11, s[10:11]
	global_load_ushort v3, v[8:9], off
	v_readlane_b32 s10, v54, 27
	v_readlane_b32 s11, v54, 28
	s_load_dword s10, s[10:11], 0xe8
	s_mov_b64 s[22:23], 0
	s_waitcnt vmcnt(1)
	v_add_u32_e32 v5, v0, v2
	s_waitcnt lgkmcnt(0)
	v_mul_lo_u32 v4, s10, v2
	v_mul_lo_u32 v10, s10, v5
	v_mov_b32_e32 v5, v0
	s_branch .LBB108_11
.LBB108_10:                             ;   in Loop: Header=BB108_11 Depth=2
	s_or_b64 exec, exec, s[20:21]
	v_add_u32_e32 v10, v10, v4
	v_mov_b32_e32 v3, v38
	s_andn2_b64 exec, exec, s[22:23]
	s_cbranch_execz .LBB108_21
.LBB108_11:                             ;   Parent Loop BB108_6 Depth=1
                                        ; =>  This Inner Loop Header: Depth=2
	v_add_u32_e32 v5, v5, v2
	v_cmp_gt_u32_e64 s[18:19], s60, v5
	v_cmp_le_u32_e32 vcc, s60, v5
	s_waitcnt lgkmcnt(0)
	v_mov_b32_e32 v39, 0
	v_mov_b32_e32 v38, 0
	s_and_saveexec_b64 s[20:21], s[18:19]
	s_cbranch_execz .LBB108_13
; %bb.12:                               ;   in Loop: Header=BB108_11 Depth=2
	v_lshlrev_b64 v[40:41], 1, v[10:11]
	v_add_co_u32_e64 v40, s[18:19], s33, v40
	v_addc_co_u32_e64 v41, s[18:19], v17, v41, s[18:19]
	global_load_ushort v38, v[40:41], off
.LBB108_13:                             ;   in Loop: Header=BB108_11 Depth=2
	s_or_b64 exec, exec, s[20:21]
	s_waitcnt vmcnt(0)
	v_cmp_lt_i16_e64 s[18:19], -1, v3
	v_cndmask_b32_e64 v40, v29, v30, s[18:19]
	v_lshlrev_b32_e32 v41, 16, v3
	v_xor_b32_sdwa v40, v40, v3 dst_sel:DWORD dst_unused:UNUSED_PAD src0_sel:DWORD src1_sel:WORD_0
	v_cmp_o_f32_e64 s[18:19], v41, v41
	v_cndmask_b32_e64 v40, v29, v40, s[18:19]
	v_and_b32_e32 v40, v40, v34
	v_cmp_eq_u32_e64 s[18:19], v40, v35
	s_cmp_lg_u64 s[18:19], 0
	s_cselect_b64 s[10:11], -1, 0
	s_and_b64 s[10:11], s[0:1], s[10:11]
	s_and_saveexec_b64 s[24:25], s[10:11]
	s_cbranch_execz .LBB108_17
; %bb.14:                               ;   in Loop: Header=BB108_11 Depth=2
	s_mov_b64 s[28:29], exec
	v_mbcnt_lo_u32_b32 v39, s28, 0
	v_mbcnt_hi_u32_b32 v39, s29, v39
	s_bcnt1_i32_b64 s10, s[18:19]
	v_cmp_eq_u32_e64 s[20:21], 0, v39
                                        ; implicit-def: $vgpr40
	s_and_saveexec_b64 s[26:27], s[20:21]
	s_cbranch_execz .LBB108_16
; %bb.15:                               ;   in Loop: Header=BB108_11 Depth=2
	s_bcnt1_i32_b64 s11, s[28:29]
	s_mul_i32 s11, s10, s11
	v_mov_b32_e32 v40, s11
	ds_add_rtn_u32 v40, v11, v40 offset:4104
.LBB108_16:                             ;   in Loop: Header=BB108_11 Depth=2
	s_or_b64 exec, exec, s[26:27]
	s_waitcnt lgkmcnt(0)
	v_readfirstlane_b32 s11, v40
	v_mov_b32_e32 v40, s11
	v_mad_u32_u24 v39, s10, v39, v40
.LBB108_17:                             ;   in Loop: Header=BB108_11 Depth=2
	s_or_b64 exec, exec, s[24:25]
	ds_bpermute_b32 v39, v13, v39
	s_and_b64 s[10:11], exec, vcc
	s_or_b64 s[22:23], s[10:11], s[22:23]
	s_and_saveexec_b64 s[20:21], s[18:19]
	s_cbranch_execz .LBB108_10
; %bb.18:                               ;   in Loop: Header=BB108_11 Depth=2
	v_and_b32_e32 v41, s18, v6
	v_and_b32_e32 v40, s19, v7
	v_bcnt_u32_b32 v41, v41, 0
	v_bcnt_u32_b32 v40, v40, v41
	v_lshlrev_b32_e32 v40, 1, v40
	s_waitcnt lgkmcnt(0)
	v_lshl_add_u32 v39, v39, 1, v40
	ds_write_b16 v39, v3
	s_branch .LBB108_10
.LBB108_19:                             ;   in Loop: Header=BB108_6 Depth=1
	s_mov_b64 s[18:19], 0
                                        ; implicit-def: $sgpr10
	s_cbranch_execnz .LBB108_24
	s_branch .LBB108_34
.LBB108_20:                             ;   in Loop: Header=BB108_6 Depth=1
	s_mov_b32 s10, 0
	s_and_b64 vcc, exec, s[16:17]
	s_cbranch_vccnz .LBB108_24
	s_branch .LBB108_34
.LBB108_21:                             ;   in Loop: Header=BB108_6 Depth=1
	s_or_b64 exec, exec, s[22:23]
	s_waitcnt lgkmcnt(0)
	s_barrier
	s_mov_b64 s[18:19], exec
	v_readlane_b32 s10, v54, 5
	v_readlane_b32 s11, v54, 6
	s_and_b64 s[10:11], s[18:19], s[10:11]
	s_mov_b64 exec, s[10:11]
	s_cbranch_execz .LBB108_23
; %bb.22:                               ;   in Loop: Header=BB108_6 Depth=1
	ds_read_b32 v2, v11 offset:4104
	s_waitcnt lgkmcnt(0)
	ds_write_b32 v11, v2 offset:4096
.LBB108_23:                             ;   in Loop: Header=BB108_6 Depth=1
	s_or_b64 exec, exec, s[18:19]
	s_waitcnt lgkmcnt(0)
	s_barrier
	s_mov_b64 s[18:19], -1
	s_mov_b32 s10, 0
	s_and_b64 vcc, exec, s[16:17]
	s_cbranch_vccz .LBB108_34
.LBB108_24:                             ;   in Loop: Header=BB108_6 Depth=1
	v_mov_b32_e32 v2, 0
	s_mov_b64 s[16:17], exec
	v_readlane_b32 s10, v54, 29
	v_readlane_b32 s11, v54, 30
	s_and_b64 s[10:11], s[16:17], s[10:11]
	s_mov_b64 exec, s[10:11]
	s_cbranch_execz .LBB108_26
; %bb.25:                               ;   in Loop: Header=BB108_6 Depth=1
	global_load_ushort v2, v[8:9], off
.LBB108_26:                             ;   in Loop: Header=BB108_6 Depth=1
	s_or_b64 exec, exec, s[16:17]
	s_mov_b64 s[16:17], exec
	v_readlane_b32 s10, v54, 29
	v_readlane_b32 s11, v54, 30
	s_and_b64 s[10:11], s[16:17], s[10:11]
	s_mov_b64 exec, s[10:11]
	s_cbranch_execz .LBB108_31
; %bb.27:                               ;   in Loop: Header=BB108_6 Depth=1
	v_readlane_b32 s10, v54, 23
	v_readlane_b32 s11, v54, 24
	s_mov_b64 s[20:21], 0
	v_mov_b32_e32 v4, v19
	v_mov_b32_e32 v39, v0
	s_nop 1
	global_load_ushort v3, v11, s[10:11]
	v_readlane_b32 s10, v54, 27
	v_readlane_b32 s11, v54, 28
	s_load_dword s10, s[10:11], 0xe8
	s_waitcnt vmcnt(0)
	v_add_u32_e32 v10, v0, v3
	v_lshlrev_b32_e32 v5, 1, v3
	s_waitcnt lgkmcnt(0)
	v_mul_lo_u32 v38, s10, v3
	v_mul_lo_u32 v10, s10, v10
	s_branch .LBB108_29
.LBB108_28:                             ;   in Loop: Header=BB108_29 Depth=2
	s_or_b64 exec, exec, s[22:23]
	s_and_b64 s[10:11], exec, vcc
	s_or_b64 s[20:21], s[10:11], s[20:21]
	ds_write_b16 v4, v2
	v_add_u32_e32 v4, v4, v5
	v_add_u32_e32 v10, v10, v38
	s_waitcnt vmcnt(0)
	v_mov_b32_e32 v2, v40
	s_andn2_b64 exec, exec, s[20:21]
	s_cbranch_execz .LBB108_31
.LBB108_29:                             ;   Parent Loop BB108_6 Depth=1
                                        ; =>  This Inner Loop Header: Depth=2
	v_add_u32_e32 v39, v39, v3
	v_cmp_gt_u32_e64 s[18:19], s60, v39
	v_cmp_le_u32_e32 vcc, s60, v39
	v_mov_b32_e32 v40, 0
	s_and_saveexec_b64 s[22:23], s[18:19]
	s_cbranch_execz .LBB108_28
; %bb.30:                               ;   in Loop: Header=BB108_29 Depth=2
	v_lshlrev_b64 v[40:41], 1, v[10:11]
	v_mov_b32_e32 v42, s7
	v_add_co_u32_e64 v40, s[18:19], s33, v40
	v_addc_co_u32_e64 v41, s[18:19], v42, v41, s[18:19]
	global_load_ushort v40, v[40:41], off
	s_branch .LBB108_28
.LBB108_31:                             ;   in Loop: Header=BB108_6 Depth=1
	s_or_b64 exec, exec, s[16:17]
	s_waitcnt lgkmcnt(0)
	s_barrier
	s_mov_b64 s[16:17], exec
	v_readlane_b32 s10, v54, 5
	v_readlane_b32 s11, v54, 6
	s_and_b64 s[10:11], s[16:17], s[10:11]
	s_mov_b64 exec, s[10:11]
	s_cbranch_execz .LBB108_33
; %bb.32:                               ;   in Loop: Header=BB108_6 Depth=1
	s_waitcnt vmcnt(0)
	v_mov_b32_e32 v2, s60
	ds_write_b32 v11, v2 offset:4096
.LBB108_33:                             ;   in Loop: Header=BB108_6 Depth=1
	s_or_b64 exec, exec, s[16:17]
	s_mov_b64 s[18:19], -1
	s_waitcnt lgkmcnt(0)
	s_barrier
                                        ; implicit-def: $sgpr10
.LBB108_34:                             ;   in Loop: Header=BB108_6 Depth=1
	s_and_b64 vcc, exec, s[18:19]
	s_cbranch_vccz .LBB108_36
; %bb.35:                               ;   in Loop: Header=BB108_6 Depth=1
	s_waitcnt vmcnt(0)
	ds_read_b32 v2, v11 offset:4096
	s_waitcnt lgkmcnt(0)
	v_readfirstlane_b32 s10, v2
.LBB108_36:                             ;   in Loop: Header=BB108_6 Depth=1
	s_cmp_lt_i32 s10, 1
	s_cbranch_scc0 .LBB108_48
; %bb.37:                               ;   in Loop: Header=BB108_6 Depth=1
	s_waitcnt vmcnt(0)
	v_mov_b32_e32 v2, 0
	s_mov_b32 s11, 0
	v_mov_b32_e32 v3, 0
	v_mov_b32_e32 v4, v2
	;; [unrolled: 1-line block ×3, first 2 shown]
	s_mov_b64 s[48:49], exec
	v_readlane_b32 s16, v54, 44
	v_readlane_b32 s17, v54, 45
	s_and_b64 s[16:17], s[48:49], s[16:17]
	s_mov_b64 exec, s[16:17]
	s_cbranch_execz .LBB108_41
; %bb.38:                               ;   in Loop: Header=BB108_6 Depth=1
	s_and_b32 s16, s13, 0xfe
	s_mov_b64 s[50:51], 0
	s_mov_b32 s17, 0
	s_mov_b32 s52, 0
	;; [unrolled: 1-line block ×4, first 2 shown]
	v_mov_b32_e32 v38, v16
.LBB108_39:                             ;   Parent Loop BB108_6 Depth=1
                                        ; =>  This Inner Loop Header: Depth=2
	v_add_u32_e32 v10, s11, v25
	v_lshlrev_b64 v[2:3], 1, v[10:11]
	v_mov_b32_e32 v39, s7
	v_add_u32_e32 v10, s11, v22
	v_add_co_u32_e64 v2, s[18:19], s33, v2
	v_lshlrev_b64 v[4:5], 1, v[10:11]
	v_addc_co_u32_e64 v3, s[18:19], v39, v3, s[18:19]
	v_add_u32_e32 v10, s11, v23
	global_load_ushort v42, v[2:3], off
	v_add_co_u32_e64 v2, s[18:19], s33, v4
	v_lshlrev_b64 v[40:41], 1, v[10:11]
	v_add_u32_e32 v10, s11, v24
	v_addc_co_u32_e64 v3, s[18:19], v39, v5, s[18:19]
	v_lshlrev_b64 v[4:5], 1, v[10:11]
	global_load_ushort v10, v[2:3], off
	v_add_co_u32_e64 v2, s[18:19], s33, v40
	v_addc_co_u32_e64 v3, s[18:19], v39, v41, s[18:19]
	global_load_ushort v40, v[2:3], off
	v_add_co_u32_e64 v2, s[18:19], s33, v4
	v_addc_co_u32_e64 v3, s[18:19], v39, v5, s[18:19]
	global_load_ushort v2, v[2:3], off
	v_add_u32_e32 v38, s73, v38
	v_cmp_le_u32_e32 vcc, s8, v38
	s_add_i32 s11, s11, s75
	s_waitcnt vmcnt(3)
	v_cmp_lt_i16_e64 s[18:19], -1, v42
	v_lshlrev_b32_e32 v3, 16, v42
	v_cndmask_b32_e64 v4, v29, v30, s[18:19]
	v_xor_b32_sdwa v4, v4, v42 dst_sel:DWORD dst_unused:UNUSED_PAD src0_sel:DWORD src1_sel:WORD_0
	s_waitcnt vmcnt(2)
	v_cmp_lt_i16_e64 s[18:19], -1, v10
	v_cndmask_b32_e64 v39, v29, v30, s[18:19]
	v_cmp_o_f32_e64 s[18:19], v3, v3
	v_lshlrev_b32_e32 v5, 16, v10
	v_cndmask_b32_e64 v4, v29, v4, s[18:19]
	s_waitcnt vmcnt(1)
	v_cmp_lt_i16_e64 s[18:19], -1, v40
	v_xor_b32_sdwa v10, v39, v10 dst_sel:DWORD dst_unused:UNUSED_PAD src0_sel:DWORD src1_sel:WORD_0
	v_cndmask_b32_e64 v39, v29, v30, s[18:19]
	v_cmp_o_f32_e64 s[18:19], v5, v5
	v_lshlrev_b32_e32 v3, 16, v40
	v_cndmask_b32_e64 v10, v29, v10, s[18:19]
	s_waitcnt vmcnt(0)
	v_cmp_lt_i16_e64 s[18:19], -1, v2
	v_xor_b32_sdwa v39, v39, v40 dst_sel:DWORD dst_unused:UNUSED_PAD src0_sel:DWORD src1_sel:WORD_0
	v_cndmask_b32_e64 v40, v29, v30, s[18:19]
	v_and_b32_e32 v41, v4, v34
	v_bfe_u32 v4, v4, s16, 2
	v_cmp_o_f32_e64 s[18:19], v3, v3
	v_cndmask_b32_e64 v3, v29, v39, s[18:19]
	v_cmp_eq_u32_e64 s[18:19], v41, v35
	v_cmp_eq_u32_e64 s[20:21], 0, v4
	v_lshlrev_b32_e32 v5, 16, v2
	v_cmp_eq_u32_e64 s[22:23], 1, v4
	s_and_b64 s[20:21], s[18:19], s[20:21]
	v_xor_b32_sdwa v2, v40, v2 dst_sel:DWORD dst_unused:UNUSED_PAD src0_sel:DWORD src1_sel:WORD_0
	v_and_b32_e32 v39, v10, v34
	v_bfe_u32 v10, v10, s16, 2
	v_cmp_eq_u32_e64 s[24:25], 2, v4
	v_cmp_eq_u32_e64 s[26:27], 3, v4
	v_cmp_o_f32_e64 s[28:29], v5, v5
	v_cndmask_b32_e64 v5, 0, 1, s[20:21]
	s_and_b64 s[20:21], s[18:19], s[22:23]
	v_cndmask_b32_e64 v2, v29, v2, s[28:29]
	v_cmp_eq_u32_e64 s[28:29], v39, v35
	v_and_b32_e32 v4, v3, v34
	v_bfe_u32 v3, v3, s16, 2
	v_cmp_eq_u32_e64 s[30:31], 0, v10
	v_cmp_eq_u32_e64 s[34:35], 1, v10
	;; [unrolled: 1-line block ×4, first 2 shown]
	v_cndmask_b32_e64 v10, 0, 1, s[20:21]
	s_and_b64 s[20:21], s[18:19], s[24:25]
	s_and_b64 s[18:19], s[18:19], s[26:27]
	v_cndmask_b32_e64 v39, 0, 1, s[20:21]
	v_cndmask_b32_e64 v40, 0, 1, s[18:19]
	v_cmp_eq_u32_e64 s[18:19], v4, v35
	v_and_b32_e32 v4, v2, v34
	v_bfe_u32 v2, v2, s16, 2
	v_cmp_eq_u32_e64 s[20:21], 0, v3
	s_and_b64 s[30:31], s[28:29], s[30:31]
	s_and_b64 s[34:35], s[28:29], s[34:35]
	;; [unrolled: 1-line block ×4, first 2 shown]
	v_cmp_eq_u32_e64 s[22:23], 1, v3
	v_cmp_eq_u32_e64 s[24:25], 2, v3
	;; [unrolled: 1-line block ×3, first 2 shown]
	v_cmp_ne_u32_e64 s[40:41], 0, v5
	v_cndmask_b32_e64 v5, 0, 1, s[34:35]
	v_cmp_ne_u32_e64 s[34:35], 0, v39
	v_cndmask_b32_e64 v39, 0, 1, s[28:29]
	v_cmp_eq_u32_e64 s[28:29], v4, v35
	v_cmp_eq_u32_e64 s[38:39], 0, v2
	s_and_b64 s[20:21], s[18:19], s[20:21]
	v_cndmask_b32_e64 v3, 0, 1, s[30:31]
	v_cmp_eq_u32_e64 s[42:43], 1, v2
	v_cmp_eq_u32_e64 s[44:45], 2, v2
	;; [unrolled: 1-line block ×3, first 2 shown]
	v_cndmask_b32_e64 v2, 0, 1, s[20:21]
	s_and_b64 s[22:23], s[18:19], s[22:23]
	s_and_b64 s[24:25], s[18:19], s[24:25]
	;; [unrolled: 1-line block ×4, first 2 shown]
	v_cmp_ne_u32_e64 s[30:31], 0, v10
	v_cndmask_b32_e64 v10, 0, 1, s[36:37]
	v_cmp_ne_u32_e64 s[36:37], 0, v40
	s_bcnt1_i32_b64 s55, s[40:41]
	v_cmp_ne_u32_e64 s[40:41], 0, v3
	v_cmp_ne_u32_e64 s[20:21], 0, v5
	v_cndmask_b32_e64 v3, 0, 1, s[22:23]
	v_cndmask_b32_e64 v5, 0, 1, s[18:19]
	v_cmp_ne_u32_e64 s[18:19], 0, v2
	v_cndmask_b32_e64 v2, 0, 1, s[26:27]
	s_and_b64 s[26:27], s[28:29], s[42:43]
	s_bcnt1_i32_b64 s30, s[30:31]
	s_bcnt1_i32_b64 s31, s[34:35]
	v_cmp_ne_u32_e64 s[22:23], 0, v10
	v_cndmask_b32_e64 v4, 0, 1, s[24:25]
	s_bcnt1_i32_b64 s34, s[36:37]
	s_bcnt1_i32_b64 s37, s[20:21]
	v_cmp_ne_u32_e64 s[20:21], 0, v3
	v_cndmask_b32_e64 v3, 0, 1, s[26:27]
	s_and_b64 s[26:27], s[28:29], s[44:45]
	v_cmp_ne_u32_e64 s[24:25], 0, v39
	s_bcnt1_i32_b64 s38, s[22:23]
	v_cmp_ne_u32_e64 s[22:23], 0, v4
	v_cndmask_b32_e64 v4, 0, 1, s[26:27]
	s_and_b64 s[26:27], s[28:29], s[46:47]
	s_bcnt1_i32_b64 s35, s[40:41]
	s_add_i32 s36, s54, s55
	s_add_i32 s30, s53, s30
	;; [unrolled: 1-line block ×3, first 2 shown]
	s_bcnt1_i32_b64 s39, s[24:25]
	v_cmp_ne_u32_e64 s[24:25], 0, v5
	v_cndmask_b32_e64 v5, 0, 1, s[26:27]
	s_add_i32 s17, s17, s34
	s_bcnt1_i32_b64 s26, s[18:19]
	v_cmp_ne_u32_e64 s[18:19], 0, v2
	s_add_i32 s27, s36, s35
	s_bcnt1_i32_b64 s28, s[20:21]
	v_cmp_ne_u32_e64 s[20:21], 0, v3
	;; [unrolled: 3-line block ×4, first 2 shown]
	s_add_i32 s17, s17, s39
	s_bcnt1_i32_b64 s18, s[18:19]
	s_add_i32 s19, s27, s26
	s_bcnt1_i32_b64 s20, s[20:21]
	;; [unrolled: 2-line block ×4, first 2 shown]
	s_add_i32 s17, s17, s34
	s_add_i32 s54, s19, s18
	;; [unrolled: 1-line block ×5, first 2 shown]
	s_or_b64 s[50:51], vcc, s[50:51]
	v_mov_b32_e32 v2, s54
	v_mov_b32_e32 v3, s53
	;; [unrolled: 1-line block ×4, first 2 shown]
	s_andn2_b64 exec, exec, s[50:51]
	s_cbranch_execnz .LBB108_39
; %bb.40:                               ;   in Loop: Header=BB108_6 Depth=1
	s_or_b64 exec, exec, s[50:51]
.LBB108_41:                             ;   in Loop: Header=BB108_6 Depth=1
	s_or_b64 exec, exec, s[48:49]
	v_mov_b32_e32 v38, 0
	s_and_saveexec_b64 s[16:17], s[14:15]
	s_cbranch_execz .LBB108_43
; %bb.42:                               ;   in Loop: Header=BB108_6 Depth=1
	global_load_ushort v38, v[14:15], off
.LBB108_43:                             ;   in Loop: Header=BB108_6 Depth=1
	s_or_b64 exec, exec, s[16:17]
	s_mov_b64 s[16:17], 0
	s_mov_b64 s[76:77], 0
	s_and_saveexec_b64 s[20:21], s[14:15]
	s_cbranch_execz .LBB108_50
; %bb.44:                               ;   in Loop: Header=BB108_6 Depth=1
	s_and_b32 s11, s13, 0xfe
	s_mov_b64 s[22:23], 0
	v_mov_b32_e32 v10, v26
	v_mov_b32_e32 v39, v21
	s_branch .LBB108_46
.LBB108_45:                             ;   in Loop: Header=BB108_46 Depth=2
	s_or_b64 exec, exec, s[24:25]
	s_and_b64 s[18:19], exec, vcc
	s_waitcnt vmcnt(0)
	v_cmp_lt_i16_e32 vcc, -1, v38
	v_cndmask_b32_e32 v41, v29, v30, vcc
	v_lshlrev_b32_e32 v42, 16, v38
	v_xor_b32_sdwa v38, v41, v38 dst_sel:DWORD dst_unused:UNUSED_PAD src0_sel:DWORD src1_sel:WORD_0
	v_cmp_o_f32_e32 vcc, v42, v42
	v_cndmask_b32_e32 v38, v29, v38, vcc
	v_and_b32_e32 v41, v38, v34
	v_bfe_u32 v38, v38, s11, 2
	s_or_b64 s[22:23], s[18:19], s[22:23]
	v_cmp_eq_u32_e32 vcc, v41, v35
	v_cmp_eq_u32_e64 s[18:19], 0, v38
	s_and_b64 s[18:19], vcc, s[18:19]
	v_cndmask_b32_e64 v41, 0, 1, s[18:19]
	v_cmp_ne_u32_e64 s[18:19], 0, v41
	s_bcnt1_i32_b64 s18, s[18:19]
	v_add_u32_e32 v2, s18, v2
	v_cmp_eq_u32_e64 s[18:19], 1, v38
	s_and_b64 s[18:19], vcc, s[18:19]
	v_cndmask_b32_e64 v41, 0, 1, s[18:19]
	v_cmp_ne_u32_e64 s[18:19], 0, v41
	s_bcnt1_i32_b64 s18, s[18:19]
	v_add_u32_e32 v3, s18, v3
	v_cmp_eq_u32_e64 s[18:19], 2, v38
	s_and_b64 s[18:19], vcc, s[18:19]
	v_cndmask_b32_e64 v41, 0, 1, s[18:19]
	v_cmp_ne_u32_e64 s[18:19], 0, v41
	s_bcnt1_i32_b64 s18, s[18:19]
	v_add_u32_e32 v4, s18, v4
	v_cmp_eq_u32_e64 s[18:19], 3, v38
	s_and_b64 s[18:19], vcc, s[18:19]
	v_cndmask_b32_e64 v38, 0, 1, s[18:19]
	v_cmp_ne_u32_e32 vcc, 0, v38
	s_bcnt1_i32_b64 s18, vcc
	v_add_u32_e32 v5, s18, v5
	v_add_u32_e32 v10, s6, v10
	v_mov_b32_e32 v38, v40
	s_andn2_b64 exec, exec, s[22:23]
	s_cbranch_execz .LBB108_49
.LBB108_46:                             ;   Parent Loop BB108_6 Depth=1
                                        ; =>  This Inner Loop Header: Depth=2
	v_add_u32_e32 v39, s72, v39
	v_cmp_gt_u32_e64 s[18:19], s60, v39
	v_cmp_le_u32_e32 vcc, s60, v39
	v_mov_b32_e32 v40, 0
	s_and_saveexec_b64 s[24:25], s[18:19]
	s_cbranch_execz .LBB108_45
; %bb.47:                               ;   in Loop: Header=BB108_46 Depth=2
	v_lshlrev_b64 v[40:41], 1, v[10:11]
	v_mov_b32_e32 v42, s7
	v_add_co_u32_e64 v40, s[18:19], s33, v40
	v_addc_co_u32_e64 v41, s[18:19], v42, v41, s[18:19]
	global_load_ushort v40, v[40:41], off
	s_branch .LBB108_45
.LBB108_48:                             ;   in Loop: Header=BB108_6 Depth=1
	s_mov_b64 s[76:77], 0
                                        ; implicit-def: $vgpr5
	s_cbranch_execnz .LBB108_51
	s_branch .LBB108_60
.LBB108_49:                             ;   in Loop: Header=BB108_6 Depth=1
	s_or_b64 exec, exec, s[22:23]
	s_mov_b64 s[76:77], exec
.LBB108_50:                             ;   in Loop: Header=BB108_6 Depth=1
	s_or_b64 exec, exec, s[20:21]
	s_and_b64 vcc, exec, s[16:17]
	s_cbranch_vccz .LBB108_60
.LBB108_51:                             ;   in Loop: Header=BB108_6 Depth=1
	v_readlane_b32 s11, v54, 43
	s_mul_hi_u32 s11, s10, s11
	s_mul_i32 s11, s11, s73
	s_sub_i32 s11, s10, s11
	s_sub_i32 s16, s11, s73
	s_cmp_ge_u32 s11, s73
	s_cselect_b32 s11, s16, s11
	s_sub_i32 s16, s11, s73
	s_cmp_ge_u32 s11, s73
	s_cselect_b32 s11, s16, s11
	s_sub_i32 s11, s10, s11
	v_cmp_gt_u32_e32 vcc, s11, v16
	s_mov_b32 s63, 0
	s_waitcnt vmcnt(0)
	v_mov_b32_e32 v2, 0
	v_mov_b32_e32 v3, 0
	v_mov_b32_e32 v4, 0
	v_mov_b32_e32 v5, 0
	s_and_saveexec_b64 s[78:79], vcc
	s_cbranch_execz .LBB108_55
; %bb.52:                               ;   in Loop: Header=BB108_6 Depth=1
	s_and_b32 s62, s13, 0xfe
	s_mov_b64 s[16:17], 0
	v_mov_b32_e32 v10, v27
	s_mov_b32 s68, 0
	s_mov_b32 s69, 0
	;; [unrolled: 1-line block ×3, first 2 shown]
	v_mov_b32_e32 v38, v16
.LBB108_53:                             ;   Parent Loop BB108_6 Depth=1
                                        ; =>  This Inner Loop Header: Depth=2
	ds_read_b64 v[2:3], v10
	v_add_u32_e32 v38, s73, v38
	v_cmp_le_u32_e32 vcc, s11, v38
	v_add_u32_e32 v10, s4, v10
	s_waitcnt lgkmcnt(0)
	v_cmp_lt_i16_e64 s[18:19], -1, v2
	v_cndmask_b32_e64 v41, v29, v30, s[18:19]
	v_cmp_gt_i16_sdwa s[18:19], v2, v31 src0_sel:WORD_1 src1_sel:DWORD
	v_lshlrev_b32_e32 v4, 16, v2
	v_cndmask_b32_e64 v42, v29, v30, s[18:19]
	v_cmp_lt_i16_e64 s[18:19], -1, v3
	v_and_b32_e32 v5, 0xffff0000, v2
	v_cndmask_b32_e64 v43, v29, v30, s[18:19]
	v_cmp_gt_i16_sdwa s[18:19], v3, v31 src0_sel:WORD_1 src1_sel:DWORD
	v_xor_b32_sdwa v42, v42, v2 dst_sel:DWORD dst_unused:UNUSED_PAD src0_sel:DWORD src1_sel:WORD_1
	v_xor_b32_sdwa v2, v41, v2 dst_sel:DWORD dst_unused:UNUSED_PAD src0_sel:DWORD src1_sel:WORD_0
	v_cmp_o_f32_e64 s[24:25], v4, v4
	v_lshlrev_b32_e32 v39, 16, v3
	v_cndmask_b32_e64 v44, v29, v30, s[18:19]
	v_cmp_o_f32_e64 s[18:19], v5, v5
	v_cndmask_b32_e64 v2, v29, v2, s[24:25]
	v_and_b32_e32 v40, 0xffff0000, v3
	v_xor_b32_sdwa v5, v43, v3 dst_sel:DWORD dst_unused:UNUSED_PAD src0_sel:DWORD src1_sel:WORD_0
	v_cmp_o_f32_e64 s[20:21], v39, v39
	v_cndmask_b32_e64 v4, v29, v42, s[18:19]
	v_and_b32_e32 v39, v2, v34
	v_bfe_u32 v2, v2, s62, 2
	v_xor_b32_sdwa v3, v44, v3 dst_sel:DWORD dst_unused:UNUSED_PAD src0_sel:DWORD src1_sel:WORD_1
	v_cmp_o_f32_e64 s[22:23], v40, v40
	v_cndmask_b32_e64 v5, v29, v5, s[20:21]
	v_and_b32_e32 v40, v4, v34
	v_bfe_u32 v4, v4, s62, 2
	v_cmp_eq_u32_e64 s[18:19], v39, v35
	v_cmp_eq_u32_e64 s[26:27], 0, v2
	v_cndmask_b32_e64 v3, v29, v3, s[22:23]
	v_and_b32_e32 v41, v5, v34
	v_bfe_u32 v5, v5, s62, 2
	v_cmp_eq_u32_e64 s[20:21], v40, v35
	v_cmp_eq_u32_e64 s[28:29], 0, v4
	s_and_b64 s[26:27], s[18:19], s[26:27]
	v_and_b32_e32 v42, v3, v34
	v_bfe_u32 v3, v3, s62, 2
	v_cmp_eq_u32_e64 s[22:23], v41, v35
	v_cmp_eq_u32_e64 s[30:31], 0, v5
	;; [unrolled: 1-line block ×5, first 2 shown]
	v_cndmask_b32_e64 v2, 0, 1, s[26:27]
	s_and_b64 s[26:27], s[20:21], s[28:29]
	v_cmp_eq_u32_e64 s[24:25], v42, v35
	v_cmp_eq_u32_e64 s[34:35], 0, v3
	;; [unrolled: 1-line block ×5, first 2 shown]
	v_cndmask_b32_e64 v3, 0, 1, s[26:27]
	s_and_b64 s[26:27], s[22:23], s[30:31]
	v_cmp_eq_u32_e64 s[38:39], 1, v4
	v_cmp_eq_u32_e64 s[46:47], 2, v4
	;; [unrolled: 1-line block ×3, first 2 shown]
	v_cndmask_b32_e64 v4, 0, 1, s[26:27]
	s_and_b64 s[26:27], s[24:25], s[34:35]
	v_cmp_eq_u32_e64 s[40:41], 1, v5
	v_cmp_eq_u32_e64 s[48:49], 2, v5
	;; [unrolled: 1-line block ×3, first 2 shown]
	v_cndmask_b32_e64 v5, 0, 1, s[26:27]
	s_and_b64 s[26:27], s[18:19], s[36:37]
	v_cndmask_b32_e64 v39, 0, 1, s[26:27]
	s_and_b64 s[26:27], s[20:21], s[38:39]
	;; [unrolled: 2-line block ×5, first 2 shown]
	s_and_b64 s[18:19], s[18:19], s[52:53]
	v_cndmask_b32_e64 v43, 0, 1, s[26:27]
	s_and_b64 s[26:27], s[20:21], s[46:47]
	v_cndmask_b32_e64 v47, 0, 1, s[18:19]
	;; [unrolled: 2-line block ×7, first 2 shown]
	v_cndmask_b32_e64 v50, 0, 1, s[18:19]
	v_cmp_ne_u32_e64 s[18:19], 0, v2
	v_cmp_ne_u32_e64 s[20:21], 0, v3
	;; [unrolled: 1-line block ×11, first 2 shown]
	s_bcnt1_i32_b64 s18, s[18:19]
	s_bcnt1_i32_b64 s19, s[20:21]
	;; [unrolled: 1-line block ×8, first 2 shown]
	v_cmp_ne_u32_e64 s[34:35], 0, v42
	v_cmp_ne_u32_e64 s[40:41], 0, v45
	;; [unrolled: 1-line block ×3, first 2 shown]
	s_bcnt1_i32_b64 s23, s[28:29]
	s_bcnt1_i32_b64 s27, s[38:39]
	;; [unrolled: 1-line block ×3, first 2 shown]
	s_add_i32 s18, s70, s18
	s_add_i32 s22, s69, s22
	;; [unrolled: 1-line block ×4, first 2 shown]
	v_cmp_ne_u32_e64 s[42:43], 0, v46
	v_cmp_ne_u32_e64 s[50:51], 0, v50
	s_bcnt1_i32_b64 s25, s[34:35]
	s_bcnt1_i32_b64 s28, s[40:41]
	;; [unrolled: 1-line block ×3, first 2 shown]
	s_add_i32 s18, s18, s19
	s_add_i32 s19, s22, s23
	;; [unrolled: 1-line block ×4, first 2 shown]
	s_bcnt1_i32_b64 s29, s[42:43]
	s_bcnt1_i32_b64 s35, s[50:51]
	s_add_i32 s18, s18, s20
	s_add_i32 s19, s19, s24
	;; [unrolled: 1-line block ×8, first 2 shown]
	s_or_b64 s[16:17], vcc, s[16:17]
	v_mov_b32_e32 v2, s70
	v_mov_b32_e32 v3, s69
	;; [unrolled: 1-line block ×4, first 2 shown]
	s_andn2_b64 exec, exec, s[16:17]
	s_cbranch_execnz .LBB108_53
; %bb.54:                               ;   in Loop: Header=BB108_6 Depth=1
	s_or_b64 exec, exec, s[16:17]
.LBB108_55:                             ;   in Loop: Header=BB108_6 Depth=1
	s_or_b64 exec, exec, s[78:79]
	v_add_u32_e32 v10, s11, v0
	v_cmp_gt_u32_e32 vcc, s10, v10
	s_and_saveexec_b64 s[16:17], vcc
	s_cbranch_execz .LBB108_59
; %bb.56:                               ;   in Loop: Header=BB108_6 Depth=1
	s_and_b32 s11, s13, 0xfe
	v_lshlrev_b32_e32 v38, 1, v10
	s_mov_b64 s[28:29], 0
.LBB108_57:                             ;   Parent Loop BB108_6 Depth=1
                                        ; =>  This Inner Loop Header: Depth=2
	ds_read_u16 v39, v38
	v_add_u32_e32 v10, s72, v10
	v_cmp_le_u32_e32 vcc, s10, v10
	v_add_u32_e32 v38, s5, v38
	s_waitcnt lgkmcnt(0)
	v_cmp_lt_i16_e64 s[18:19], -1, v39
	v_lshlrev_b32_e32 v40, 16, v39
	v_cndmask_b32_e64 v41, v29, v30, s[18:19]
	v_xor_b32_sdwa v39, v41, v39 dst_sel:DWORD dst_unused:UNUSED_PAD src0_sel:DWORD src1_sel:WORD_0
	v_cmp_o_f32_e64 s[18:19], v40, v40
	v_cndmask_b32_e64 v39, v29, v39, s[18:19]
	v_and_b32_e32 v40, v39, v34
	v_bfe_u32 v39, v39, s11, 2
	v_cmp_eq_u32_e64 s[18:19], v40, v35
	v_cmp_eq_u32_e64 s[20:21], 0, v39
	;; [unrolled: 1-line block ×3, first 2 shown]
	s_and_b64 s[20:21], s[18:19], s[20:21]
	v_cmp_eq_u32_e64 s[24:25], 2, v39
	v_cmp_eq_u32_e64 s[26:27], 3, v39
	v_cndmask_b32_e64 v39, 0, 1, s[20:21]
	s_and_b64 s[20:21], s[18:19], s[22:23]
	v_cndmask_b32_e64 v40, 0, 1, s[20:21]
	s_and_b64 s[20:21], s[18:19], s[24:25]
	s_and_b64 s[18:19], s[18:19], s[26:27]
	v_cndmask_b32_e64 v41, 0, 1, s[20:21]
	v_cndmask_b32_e64 v42, 0, 1, s[18:19]
	v_cmp_ne_u32_e64 s[18:19], 0, v39
	v_cmp_ne_u32_e64 s[20:21], 0, v40
	;; [unrolled: 1-line block ×4, first 2 shown]
	s_bcnt1_i32_b64 s18, s[18:19]
	s_bcnt1_i32_b64 s19, s[20:21]
	;; [unrolled: 1-line block ×4, first 2 shown]
	v_add_u32_e32 v2, s18, v2
	v_add_u32_e32 v3, s19, v3
	;; [unrolled: 1-line block ×3, first 2 shown]
	s_or_b64 s[28:29], vcc, s[28:29]
	v_add_u32_e32 v5, s21, v5
	s_andn2_b64 exec, exec, s[28:29]
	s_cbranch_execnz .LBB108_57
; %bb.58:                               ;   in Loop: Header=BB108_6 Depth=1
	s_or_b64 exec, exec, s[28:29]
	s_or_b64 s[76:77], s[76:77], exec
.LBB108_59:                             ;   in Loop: Header=BB108_6 Depth=1
	s_or_b64 exec, exec, s[16:17]
.LBB108_60:                             ;   in Loop: Header=BB108_6 Depth=1
	s_and_saveexec_b64 s[16:17], s[76:77]
	s_or_b64 exec, exec, s[16:17]
	s_lshl_b32 s10, s9, 6
	s_and_saveexec_b64 s[16:17], s[0:1]
	s_cbranch_execz .LBB108_62
; %bb.61:                               ;   in Loop: Header=BB108_6 Depth=1
	v_or_b32_e32 v10, s10, v18
	v_lshlrev_b32_e32 v10, 2, v10
	s_waitcnt vmcnt(0)
	ds_write_b128 v10, v[2:5] offset:3072
.LBB108_62:                             ;   in Loop: Header=BB108_6 Depth=1
	s_or_b64 exec, exec, s[16:17]
	s_waitcnt lgkmcnt(0)
	s_barrier
	s_mov_b64 s[16:17], exec
	v_readlane_b32 s18, v54, 16
	v_readlane_b32 s19, v54, 17
	s_and_b64 s[18:19], s[16:17], s[18:19]
	s_mov_b64 exec, s[18:19]
	s_cbranch_execz .LBB108_76
; %bb.63:                               ;   in Loop: Header=BB108_6 Depth=1
	v_readlane_b32 s18, v54, 20
	v_readlane_b32 s19, v54, 21
	v_add_u32_e32 v4, s10, v1
	s_andn2_b64 vcc, exec, s[18:19]
	s_waitcnt vmcnt(0)
	v_mov_b32_e32 v2, 0
	s_cbranch_vccnz .LBB108_75
; %bb.64:                               ;   in Loop: Header=BB108_6 Depth=1
	v_readlane_b32 s18, v54, 25
	v_readlane_b32 s19, v54, 26
	s_mov_b32 s11, 0
	s_and_b64 vcc, exec, s[18:19]
	v_mov_b32_e32 v2, 0
	s_cbranch_vccz .LBB108_68
; %bb.65:                               ;   in Loop: Header=BB108_6 Depth=1
	v_readlane_b32 s20, v54, 33
	v_readlane_b32 s18, v54, 10
	;; [unrolled: 1-line block ×3, first 2 shown]
	v_lshl_add_u32 v5, v4, 2, v32
	v_readlane_b32 s19, v54, 11
	s_andn2_b64 vcc, exec, s[20:21]
	s_cbranch_vccnz .LBB108_69
; %bb.66:                               ;   in Loop: Header=BB108_6 Depth=1
	v_writelane_b32 v54, s18, 10
	v_writelane_b32 v54, s19, 11
	s_mov_b32 s19, 1
	s_mov_b32 s18, 0
	v_mov_b32_e32 v2, 0
	v_readlane_b32 s11, v54, 35
	v_mov_b32_e32 v3, 0
.LBB108_67:                             ;   Parent Loop BB108_6 Depth=1
                                        ; =>  This Inner Loop Header: Depth=2
	v_lshl_add_u32 v10, s18, 4, v5
	v_lshl_add_u32 v52, s19, 4, v5
	ds_read2_b32 v[38:39], v10 offset1:8
	ds_read2_b32 v[40:41], v52 offset1:8
	ds_read2_b32 v[42:43], v10 offset0:16 offset1:24
	ds_read2_b32 v[44:45], v52 offset0:16 offset1:24
	;; [unrolled: 1-line block ×6, first 2 shown]
	s_waitcnt lgkmcnt(7)
	v_add3_u32 v2, v38, v2, v39
	s_waitcnt lgkmcnt(6)
	v_add3_u32 v3, v40, v3, v41
	;; [unrolled: 2-line block ×3, first 2 shown]
	v_add3_u32 v2, v42, v2, v43
	s_add_i32 s19, s19, 16
	s_add_i32 s18, s18, 16
	s_add_i32 s11, s11, -8
	s_waitcnt lgkmcnt(3)
	v_add3_u32 v2, v46, v2, v47
	s_waitcnt lgkmcnt(2)
	v_add3_u32 v3, v48, v3, v49
	s_cmp_lg_u32 s11, 0
	s_waitcnt lgkmcnt(0)
	v_add3_u32 v3, v52, v3, v53
	v_add3_u32 v2, v50, v2, v51
	s_cbranch_scc1 .LBB108_67
	s_branch .LBB108_70
.LBB108_68:                             ;   in Loop: Header=BB108_6 Depth=1
	s_cbranch_execnz .LBB108_73
	s_branch .LBB108_75
.LBB108_69:                             ;   in Loop: Header=BB108_6 Depth=1
	s_mov_b32 s20, s18
	s_mov_b32 s19, s18
	v_writelane_b32 v54, s20, 10
	v_pk_mov_b32 v[2:3], s[18:19], s[18:19] op_sel:[0,1]
	s_mov_b32 s19, 1
	v_writelane_b32 v54, s21, 11
.LBB108_70:                             ;   in Loop: Header=BB108_6 Depth=1
	v_readlane_b32 s20, v54, 37
	v_readlane_b32 s21, v54, 38
	s_andn2_b64 vcc, exec, s[20:21]
	v_readlane_b32 s11, v54, 36
	s_cbranch_vccnz .LBB108_72
.LBB108_71:                             ;   Parent Loop BB108_6 Depth=1
                                        ; =>  This Inner Loop Header: Depth=2
	v_lshl_add_u32 v10, s18, 4, v5
	v_lshl_add_u32 v38, s19, 4, v5
	ds_read_b32 v38, v38
	ds_read_b32 v10, v10
	s_add_i32 s19, s19, 2
	s_add_i32 s18, s18, 2
	s_add_i32 s11, s11, -1
	s_cmp_lg_u32 s11, 0
	s_waitcnt lgkmcnt(1)
	v_add_u32_e32 v3, v38, v3
	s_waitcnt lgkmcnt(0)
	v_add_u32_e32 v2, v10, v2
	s_cbranch_scc1 .LBB108_71
.LBB108_72:                             ;   in Loop: Header=BB108_6 Depth=1
	v_readlane_b32 s18, v54, 41
	v_add_u32_e32 v2, v2, v3
	v_readlane_b32 s11, v54, 40
	v_readlane_b32 s19, v54, 42
	s_and_b64 vcc, exec, s[18:19]
	s_cbranch_vccz .LBB108_75
.LBB108_73:                             ;   in Loop: Header=BB108_6 Depth=1
	s_lshl_b32 s18, s9, 8
	s_lshl_b32 s19, s11, 4
	s_add_i32 s18, s18, s19
	v_add_u32_e32 v3, s18, v28
	v_readlane_b32 s18, v54, 39
	s_sub_i32 s11, s18, s11
.LBB108_74:                             ;   Parent Loop BB108_6 Depth=1
                                        ; =>  This Inner Loop Header: Depth=2
	ds_read_b32 v5, v3
	s_add_i32 s11, s11, -1
	v_add_u32_e32 v3, 16, v3
	s_cmp_eq_u32 s11, 0
	s_waitcnt lgkmcnt(0)
	v_add_u32_e32 v2, v5, v2
	s_cbranch_scc0 .LBB108_74
.LBB108_75:                             ;   in Loop: Header=BB108_6 Depth=1
	v_lshlrev_b32_e32 v3, 2, v4
	ds_write_b32 v3, v2 offset:3072
.LBB108_76:                             ;   in Loop: Header=BB108_6 Depth=1
	s_or_b64 exec, exec, s[16:17]
	s_lshl_b32 s10, s10, 2
	s_waitcnt vmcnt(0)
	v_mov_b32_e32 v2, s10
	s_waitcnt lgkmcnt(0)
	s_barrier
	ds_read_b128 v[2:5], v2 offset:3072
	s_and_b32 s62, s13, 0xfe
	v_readlane_b32 s16, v54, 14
	s_lshl_b32 s68, 3, s62
	v_readlane_b32 s17, v54, 15
	s_waitcnt lgkmcnt(0)
	v_readfirstlane_b32 s69, v2
	v_readfirstlane_b32 s11, v3
	v_readfirstlane_b32 s63, v4
	v_readfirstlane_b32 s70, v5
	s_not_b32 s10, s68
	s_andn2_b64 vcc, exec, s[16:17]
	v_cmp_eq_u32_e64 s[18:19], 1, v37
	s_cbranch_vccnz .LBB108_89
; %bb.77:                               ;   in Loop: Header=BB108_6 Depth=1
	s_cmp_eq_u32 s69, 1
	s_cselect_b64 s[16:17], -1, 0
	s_and_b64 s[36:37], s[16:17], s[18:19]
	s_mov_b64 s[38:39], -1
	v_mov_b32_e32 v2, v35
	v_mov_b32_e32 v3, v34
	;; [unrolled: 1-line block ×3, first 2 shown]
                                        ; implicit-def: $sgpr22_sgpr23
                                        ; implicit-def: $sgpr28_sgpr29
                                        ; implicit-def: $sgpr26_sgpr27
	s_and_saveexec_b64 s[16:17], s[36:37]
	s_cbranch_execz .LBB108_105
; %bb.78:                               ;   in Loop: Header=BB108_6 Depth=1
	ds_read_b32 v2, v11 offset:4096
	s_waitcnt lgkmcnt(0)
	s_barrier
	v_readfirstlane_b32 s28, v2
	s_mov_b64 s[20:21], exec
	v_readlane_b32 s22, v54, 31
	v_readlane_b32 s23, v54, 32
	s_and_b64 s[22:23], s[20:21], s[22:23]
	s_mov_b64 exec, s[22:23]
	s_cbranch_execz .LBB108_80
; %bb.79:                               ;   in Loop: Header=BB108_6 Depth=1
	ds_write_b16 v20, v11
.LBB108_80:                             ;   in Loop: Header=BB108_6 Depth=1
	s_or_b64 exec, exec, s[20:21]
	v_and_b32_e32 v2, s10, v35
	v_or_b32_e32 v3, s68, v34
	s_cmp_eq_u32 s28, 0
	s_waitcnt lgkmcnt(0)
	s_barrier
	s_cbranch_scc1 .LBB108_91
; %bb.81:                               ;   in Loop: Header=BB108_6 Depth=1
	v_readlane_b32 s20, v54, 22
	s_add_i32 s20, s28, s20
	v_readlane_b32 s21, v54, 46
	s_mul_hi_u32 s21, s20, s21
	s_mul_i32 s21, s21, s72
	s_sub_i32 s21, s20, s21
	s_sub_i32 s22, s21, s72
	s_cmp_ge_u32 s21, s72
	s_cselect_b32 s21, s22, s21
	s_sub_i32 s22, s21, s72
	s_cmp_ge_u32 s21, s72
	s_cselect_b32 s21, s22, s21
	s_sub_i32 s29, s20, s21
	v_cmp_gt_u32_e32 vcc, s29, v0
	s_mov_b64 s[20:21], 0
                                        ; implicit-def: $vgpr4
	s_and_saveexec_b64 s[22:23], vcc
	s_cbranch_execz .LBB108_93
; %bb.82:                               ;   in Loop: Header=BB108_6 Depth=1
	s_mov_b64 s[24:25], 0
	v_mov_b32_e32 v4, v19
	v_mov_b32_e32 v5, v0
                                        ; implicit-def: $sgpr26_sgpr27
	s_branch .LBB108_84
.LBB108_83:                             ;   in Loop: Header=BB108_84 Depth=2
	s_or_b64 exec, exec, s[20:21]
	s_waitcnt lgkmcnt(0)
	s_barrier
	ds_read_b32 v10, v11 offset:3072
	v_add_u32_e32 v5, s72, v5
	v_cmp_le_u32_e64 s[20:21], s29, v5
	v_add_u32_e32 v4, s5, v4
	s_waitcnt lgkmcnt(0)
	v_and_b32_e32 v38, 0x7fff, v10
	v_cmp_ne_u16_e32 vcc, 0, v38
	s_or_b64 s[20:21], s[20:21], vcc
	s_and_b64 s[20:21], exec, s[20:21]
	s_or_b64 s[24:25], s[20:21], s[24:25]
	s_andn2_b64 s[20:21], s[26:27], exec
	s_and_b64 s[26:27], vcc, exec
	s_or_b64 s[26:27], s[20:21], s[26:27]
	s_barrier
	s_andn2_b64 exec, exec, s[24:25]
	s_cbranch_execz .LBB108_92
.LBB108_84:                             ;   Parent Loop BB108_6 Depth=1
                                        ; =>  This Inner Loop Header: Depth=2
	v_cmp_gt_u32_e32 vcc, s28, v5
	v_mov_b32_e32 v10, 0
	s_and_saveexec_b64 s[20:21], vcc
	s_cbranch_execz .LBB108_86
; %bb.85:                               ;   in Loop: Header=BB108_84 Depth=2
	ds_read_u16 v10, v4
.LBB108_86:                             ;   in Loop: Header=BB108_84 Depth=2
	s_or_b64 exec, exec, s[20:21]
	s_and_saveexec_b64 s[20:21], vcc
	s_cbranch_execz .LBB108_83
; %bb.87:                               ;   in Loop: Header=BB108_84 Depth=2
	s_waitcnt lgkmcnt(0)
	v_cmp_lt_i16_e32 vcc, -1, v10
	v_cndmask_b32_e32 v38, v29, v30, vcc
	v_lshlrev_b32_e32 v39, 16, v10
	v_xor_b32_sdwa v38, v38, v10 dst_sel:DWORD dst_unused:UNUSED_PAD src0_sel:DWORD src1_sel:WORD_0
	v_cmp_o_f32_e32 vcc, v39, v39
	v_cndmask_b32_e32 v38, v29, v38, vcc
	v_and_b32_e32 v38, v38, v3
	v_cmp_eq_u32_e32 vcc, v38, v2
	s_and_b64 exec, exec, vcc
	s_cbranch_execz .LBB108_83
; %bb.88:                               ;   in Loop: Header=BB108_84 Depth=2
	v_perm_b32 v10, v10, s12, v33
	ds_write_b32 v11, v10 offset:3072
	s_branch .LBB108_83
.LBB108_89:                             ;   in Loop: Header=BB108_6 Depth=1
	s_mov_b64 s[24:25], 0
	s_mov_b64 s[20:21], 0
                                        ; implicit-def: $sgpr26_sgpr27
                                        ; implicit-def: $sgpr28_sgpr29
                                        ; implicit-def: $sgpr22_sgpr23
                                        ; implicit-def: $vgpr10
                                        ; implicit-def: $vgpr5
                                        ; implicit-def: $vgpr2
                                        ; implicit-def: $vgpr3
                                        ; implicit-def: $vgpr4
	s_cbranch_execnz .LBB108_241
.LBB108_90:                             ;   in Loop: Header=BB108_6 Depth=1
	s_mov_b64 s[30:31], s[22:23]
	s_mov_b64 s[34:35], s[22:23]
	s_and_saveexec_b64 s[16:17], s[24:25]
	s_cbranch_execnz .LBB108_403
	s_branch .LBB108_404
.LBB108_91:                             ;   in Loop: Header=BB108_6 Depth=1
	s_mov_b64 s[22:23], -1
	s_mov_b64 s[20:21], 0
                                        ; implicit-def: $sgpr26_sgpr27
                                        ; implicit-def: $vgpr4
	s_mov_b64 s[28:29], s[22:23]
	s_cbranch_execnz .LBB108_94
	s_branch .LBB108_104
.LBB108_92:                             ;   in Loop: Header=BB108_6 Depth=1
	s_or_b64 exec, exec, s[24:25]
	v_lshrrev_b32_e32 v4, 16, v10
	s_and_b64 s[20:21], s[26:27], exec
.LBB108_93:                             ;   in Loop: Header=BB108_6 Depth=1
	s_or_b64 exec, exec, s[22:23]
	s_mov_b64 s[26:27], -1
	s_mov_b64 s[22:23], 0
	s_mov_b64 s[28:29], s[22:23]
	s_branch .LBB108_104
.LBB108_94:                             ;   in Loop: Header=BB108_6 Depth=1
	s_mov_b64 s[20:21], 0
                                        ; implicit-def: $vgpr4
	s_mov_b64 s[22:23], exec
	v_readlane_b32 s24, v54, 47
	v_readlane_b32 s25, v54, 48
	s_and_b64 s[24:25], s[22:23], s[24:25]
	s_mov_b64 exec, s[24:25]
	s_cbranch_execz .LBB108_103
; %bb.95:                               ;   in Loop: Header=BB108_6 Depth=1
	s_mov_b64 s[24:25], 0
	v_mov_b32_e32 v10, v12
	v_mov_b32_e32 v4, v0
                                        ; implicit-def: $sgpr26_sgpr27
	s_branch .LBB108_97
.LBB108_96:                             ;   in Loop: Header=BB108_97 Depth=2
	s_or_b64 exec, exec, s[20:21]
	s_waitcnt lgkmcnt(0)
	s_barrier
	s_waitcnt vmcnt(0)
	ds_read_b32 v5, v11 offset:3072
	v_add_u32_e32 v4, s72, v4
	v_cmp_le_u32_e64 s[20:21], s74, v4
	v_add_u32_e32 v10, s6, v10
	s_waitcnt lgkmcnt(0)
	v_and_b32_e32 v38, 0x7fff, v5
	v_cmp_ne_u16_e32 vcc, 0, v38
	s_or_b64 s[20:21], s[20:21], vcc
	s_and_b64 s[20:21], exec, s[20:21]
	s_or_b64 s[24:25], s[20:21], s[24:25]
	s_andn2_b64 s[20:21], s[26:27], exec
	s_and_b64 s[26:27], vcc, exec
	s_or_b64 s[26:27], s[20:21], s[26:27]
	s_barrier
	s_andn2_b64 exec, exec, s[24:25]
	s_cbranch_execz .LBB108_102
.LBB108_97:                             ;   Parent Loop BB108_6 Depth=1
                                        ; =>  This Inner Loop Header: Depth=2
	v_cmp_gt_u32_e32 vcc, s60, v4
	v_mov_b32_e32 v5, 0
	s_and_saveexec_b64 s[28:29], vcc
	s_cbranch_execz .LBB108_99
; %bb.98:                               ;   in Loop: Header=BB108_97 Depth=2
	v_lshlrev_b64 v[38:39], 1, v[10:11]
	v_mov_b32_e32 v5, s7
	v_add_co_u32_e64 v38, s[20:21], s33, v38
	v_addc_co_u32_e64 v39, s[20:21], v5, v39, s[20:21]
	global_load_ushort v5, v[38:39], off
.LBB108_99:                             ;   in Loop: Header=BB108_97 Depth=2
	s_or_b64 exec, exec, s[28:29]
	s_and_saveexec_b64 s[20:21], vcc
	s_cbranch_execz .LBB108_96
; %bb.100:                              ;   in Loop: Header=BB108_97 Depth=2
	s_waitcnt vmcnt(0)
	v_cmp_lt_i16_e32 vcc, -1, v5
	v_cndmask_b32_e32 v38, v29, v30, vcc
	v_lshlrev_b32_e32 v39, 16, v5
	v_xor_b32_sdwa v38, v38, v5 dst_sel:DWORD dst_unused:UNUSED_PAD src0_sel:DWORD src1_sel:WORD_0
	v_cmp_o_f32_e32 vcc, v39, v39
	v_cndmask_b32_e32 v38, v29, v38, vcc
	v_and_b32_e32 v38, v38, v3
	v_cmp_eq_u32_e32 vcc, v38, v2
	s_and_b64 exec, exec, vcc
	s_cbranch_execz .LBB108_96
; %bb.101:                              ;   in Loop: Header=BB108_97 Depth=2
	v_perm_b32 v5, v5, s12, v33
	ds_write_b32 v11, v5 offset:3072
	s_branch .LBB108_96
.LBB108_102:                            ;   in Loop: Header=BB108_6 Depth=1
	s_or_b64 exec, exec, s[24:25]
	v_lshrrev_b32_e32 v4, 16, v5
	s_and_b64 s[20:21], s[26:27], exec
.LBB108_103:                            ;   in Loop: Header=BB108_6 Depth=1
	s_or_b64 exec, exec, s[22:23]
	s_mov_b64 s[28:29], -1
	s_mov_b64 s[22:23], 0
	s_mov_b64 s[26:27], 0
.LBB108_104:                            ;   in Loop: Header=BB108_6 Depth=1
	s_orn2_b64 s[38:39], s[20:21], exec
.LBB108_105:                            ;   in Loop: Header=BB108_6 Depth=1
	s_or_b64 exec, exec, s[16:17]
	s_mov_b64 s[30:31], 0
	s_mov_b64 s[24:25], 0
	;; [unrolled: 1-line block ×3, first 2 shown]
                                        ; implicit-def: $vgpr10
                                        ; implicit-def: $vgpr5
	s_and_saveexec_b64 s[34:35], s[38:39]
	s_cbranch_execz .LBB108_240
; %bb.106:                              ;   in Loop: Header=BB108_6 Depth=1
	s_xor_b64 s[24:25], s[36:37], -1
	v_mov_b32_e32 v5, 1
	v_mov_b32_e32 v10, 1
	s_and_saveexec_b64 s[16:17], s[24:25]
	s_cbranch_execz .LBB108_116
; %bb.107:                              ;   in Loop: Header=BB108_6 Depth=1
	v_cmp_ge_u32_e32 vcc, s69, v37
                                        ; implicit-def: $sgpr36
                                        ; implicit-def: $sgpr20_sgpr21
	s_and_saveexec_b64 s[24:25], vcc
	s_xor_b64 s[24:25], exec, s[24:25]
	s_cbranch_execz .LBB108_113
; %bb.108:                              ;   in Loop: Header=BB108_6 Depth=1
	ds_read_b32 v5, v11 offset:4096
	s_waitcnt lgkmcnt(0)
	v_cmp_ne_u32_e32 vcc, 0, v5
	s_cbranch_vccnz .LBB108_112
; %bb.109:                              ;   in Loop: Header=BB108_6 Depth=1
	s_mov_b64 s[20:21], exec
	v_readlane_b32 s36, v54, 5
	v_readlane_b32 s37, v54, 6
	s_and_b64 s[36:37], s[20:21], s[36:37]
	s_mov_b64 exec, s[36:37]
	s_cbranch_execz .LBB108_111
; %bb.110:                              ;   in Loop: Header=BB108_6 Depth=1
	v_mov_b32_e32 v5, s69
	ds_write_b32 v11, v5 offset:4100
.LBB108_111:                            ;   in Loop: Header=BB108_6 Depth=1
	s_or_b64 exec, exec, s[20:21]
	s_waitcnt lgkmcnt(0)
	s_barrier
.LBB108_112:                            ;   in Loop: Header=BB108_6 Depth=1
	v_and_b32_e32 v2, s10, v2
	v_or_b32_e32 v3, s68, v3
	s_mov_b64 s[20:21], 0
	s_mov_b32 s36, 8
.LBB108_113:                            ;   in Loop: Header=BB108_6 Depth=1
	s_or_saveexec_b64 s[24:25], s[24:25]
	v_mov_b32_e32 v10, s36
	v_mov_b32_e32 v5, v37
	s_xor_b64 exec, exec, s[24:25]
; %bb.114:                              ;   in Loop: Header=BB108_6 Depth=1
	v_subrev_u32_e32 v5, s69, v37
	v_mov_b32_e32 v10, 0
	s_or_b64 s[20:21], s[20:21], exec
; %bb.115:                              ;   in Loop: Header=BB108_6 Depth=1
	s_or_b64 exec, exec, s[24:25]
	s_and_b64 s[20:21], s[20:21], exec
.LBB108_116:                            ;   in Loop: Header=BB108_6 Depth=1
	s_or_b64 exec, exec, s[16:17]
	s_mov_b64 s[38:39], -1
                                        ; implicit-def: $sgpr16_sgpr17
                                        ; implicit-def: $sgpr36_sgpr37
                                        ; implicit-def: $sgpr42_sgpr43
	s_and_saveexec_b64 s[24:25], s[20:21]
	s_xor_b64 s[24:25], exec, s[24:25]
	s_cbranch_execz .LBB108_237
; %bb.117:                              ;   in Loop: Header=BB108_6 Depth=1
	s_cmp_eq_u32 s11, 1
	s_cselect_b64 s[16:17], -1, 0
	v_cmp_eq_u32_e32 vcc, 1, v5
	s_and_b64 s[44:45], s[16:17], vcc
	s_mov_b64 s[46:47], -1
                                        ; implicit-def: $sgpr36_sgpr37
                                        ; implicit-def: $sgpr40_sgpr41
                                        ; implicit-def: $sgpr38_sgpr39
	s_and_saveexec_b64 s[16:17], s[44:45]
	s_cbranch_execz .LBB108_143
; %bb.118:                              ;   in Loop: Header=BB108_6 Depth=1
	ds_read_b32 v4, v11 offset:4096
	s_waitcnt lgkmcnt(0)
	s_barrier
	v_readfirstlane_b32 s42, v4
	s_mov_b64 s[20:21], exec
	v_readlane_b32 s36, v54, 31
	v_readlane_b32 s37, v54, 32
	s_and_b64 s[36:37], s[20:21], s[36:37]
	s_mov_b64 exec, s[36:37]
	s_cbranch_execz .LBB108_120
; %bb.119:                              ;   in Loop: Header=BB108_6 Depth=1
	ds_write_b16 v20, v11
.LBB108_120:                            ;   in Loop: Header=BB108_6 Depth=1
	s_or_b64 exec, exec, s[20:21]
	v_and_b32_e32 v2, s10, v2
	v_lshl_or_b32 v2, 1, s62, v2
	v_or_b32_e32 v3, s68, v3
	s_cmp_eq_u32 s42, 0
	s_waitcnt lgkmcnt(0)
	s_barrier
	s_cbranch_scc1 .LBB108_129
; %bb.121:                              ;   in Loop: Header=BB108_6 Depth=1
	v_readlane_b32 s20, v54, 22
	s_add_i32 s20, s42, s20
	v_readlane_b32 s21, v54, 46
	s_mul_hi_u32 s21, s20, s21
	s_mul_i32 s21, s21, s72
	s_sub_i32 s21, s20, s21
	s_sub_i32 s36, s21, s72
	s_cmp_ge_u32 s21, s72
	s_cselect_b32 s21, s36, s21
	s_sub_i32 s36, s21, s72
	s_cmp_ge_u32 s21, s72
	s_cselect_b32 s21, s36, s21
	s_sub_i32 s43, s20, s21
	v_cmp_gt_u32_e32 vcc, s43, v0
	s_mov_b64 s[20:21], 0
                                        ; implicit-def: $vgpr4
	s_and_saveexec_b64 s[36:37], vcc
	s_cbranch_execz .LBB108_131
; %bb.122:                              ;   in Loop: Header=BB108_6 Depth=1
	s_mov_b64 s[38:39], 0
	v_mov_b32_e32 v4, v19
	v_mov_b32_e32 v10, v0
                                        ; implicit-def: $sgpr40_sgpr41
	s_branch .LBB108_124
.LBB108_123:                            ;   in Loop: Header=BB108_124 Depth=2
	s_or_b64 exec, exec, s[20:21]
	s_waitcnt lgkmcnt(0)
	s_barrier
	ds_read_b32 v38, v11 offset:3072
	v_add_u32_e32 v10, s72, v10
	v_cmp_le_u32_e64 s[20:21], s43, v10
	v_add_u32_e32 v4, s5, v4
	s_waitcnt lgkmcnt(0)
	v_and_b32_e32 v39, 0x7fff, v38
	v_cmp_ne_u16_e32 vcc, 0, v39
	s_or_b64 s[20:21], s[20:21], vcc
	s_and_b64 s[20:21], exec, s[20:21]
	s_or_b64 s[38:39], s[20:21], s[38:39]
	s_andn2_b64 s[20:21], s[40:41], exec
	s_and_b64 s[40:41], vcc, exec
	s_or_b64 s[40:41], s[20:21], s[40:41]
	s_barrier
	s_andn2_b64 exec, exec, s[38:39]
	s_cbranch_execz .LBB108_130
.LBB108_124:                            ;   Parent Loop BB108_6 Depth=1
                                        ; =>  This Inner Loop Header: Depth=2
	v_cmp_gt_u32_e32 vcc, s42, v10
	v_mov_b32_e32 v38, 0
	s_and_saveexec_b64 s[20:21], vcc
	s_cbranch_execz .LBB108_126
; %bb.125:                              ;   in Loop: Header=BB108_124 Depth=2
	ds_read_u16 v38, v4
.LBB108_126:                            ;   in Loop: Header=BB108_124 Depth=2
	s_or_b64 exec, exec, s[20:21]
	s_and_saveexec_b64 s[20:21], vcc
	s_cbranch_execz .LBB108_123
; %bb.127:                              ;   in Loop: Header=BB108_124 Depth=2
	s_waitcnt lgkmcnt(0)
	v_cmp_lt_i16_e32 vcc, -1, v38
	v_cndmask_b32_e32 v39, v29, v30, vcc
	v_lshlrev_b32_e32 v40, 16, v38
	v_xor_b32_sdwa v39, v39, v38 dst_sel:DWORD dst_unused:UNUSED_PAD src0_sel:DWORD src1_sel:WORD_0
	v_cmp_o_f32_e32 vcc, v40, v40
	v_cndmask_b32_e32 v39, v29, v39, vcc
	v_and_b32_e32 v39, v39, v3
	v_cmp_eq_u32_e32 vcc, v39, v2
	s_and_b64 exec, exec, vcc
	s_cbranch_execz .LBB108_123
; %bb.128:                              ;   in Loop: Header=BB108_124 Depth=2
	v_perm_b32 v38, v38, s12, v33
	ds_write_b32 v11, v38 offset:3072
	s_branch .LBB108_123
.LBB108_129:                            ;   in Loop: Header=BB108_6 Depth=1
	s_mov_b64 s[36:37], -1
	s_mov_b64 s[20:21], 0
                                        ; implicit-def: $sgpr38_sgpr39
                                        ; implicit-def: $vgpr4
	s_mov_b64 s[40:41], s[36:37]
	s_cbranch_execnz .LBB108_132
	s_branch .LBB108_142
.LBB108_130:                            ;   in Loop: Header=BB108_6 Depth=1
	s_or_b64 exec, exec, s[38:39]
	v_lshrrev_b32_e32 v4, 16, v38
	s_and_b64 s[20:21], s[40:41], exec
.LBB108_131:                            ;   in Loop: Header=BB108_6 Depth=1
	s_or_b64 exec, exec, s[36:37]
	s_mov_b64 s[38:39], -1
	s_mov_b64 s[36:37], 0
	s_mov_b64 s[40:41], s[36:37]
	s_branch .LBB108_142
.LBB108_132:                            ;   in Loop: Header=BB108_6 Depth=1
	s_mov_b64 s[20:21], 0
                                        ; implicit-def: $vgpr4
	s_mov_b64 s[36:37], exec
	v_readlane_b32 s38, v54, 47
	v_readlane_b32 s39, v54, 48
	s_and_b64 s[38:39], s[36:37], s[38:39]
	s_mov_b64 exec, s[38:39]
	s_cbranch_execz .LBB108_141
; %bb.133:                              ;   in Loop: Header=BB108_6 Depth=1
	s_mov_b64 s[38:39], 0
	v_mov_b32_e32 v10, v12
	v_mov_b32_e32 v4, v0
                                        ; implicit-def: $sgpr40_sgpr41
	s_branch .LBB108_135
.LBB108_134:                            ;   in Loop: Header=BB108_135 Depth=2
	s_or_b64 exec, exec, s[20:21]
	s_waitcnt lgkmcnt(0)
	s_barrier
	s_waitcnt vmcnt(0)
	ds_read_b32 v38, v11 offset:3072
	v_add_u32_e32 v4, s72, v4
	v_cmp_le_u32_e64 s[20:21], s74, v4
	v_add_u32_e32 v10, s6, v10
	s_waitcnt lgkmcnt(0)
	v_and_b32_e32 v39, 0x7fff, v38
	v_cmp_ne_u16_e32 vcc, 0, v39
	s_or_b64 s[20:21], s[20:21], vcc
	s_and_b64 s[20:21], exec, s[20:21]
	s_or_b64 s[38:39], s[20:21], s[38:39]
	s_andn2_b64 s[20:21], s[40:41], exec
	s_and_b64 s[40:41], vcc, exec
	s_or_b64 s[40:41], s[20:21], s[40:41]
	s_barrier
	s_andn2_b64 exec, exec, s[38:39]
	s_cbranch_execz .LBB108_140
.LBB108_135:                            ;   Parent Loop BB108_6 Depth=1
                                        ; =>  This Inner Loop Header: Depth=2
	v_cmp_gt_u32_e32 vcc, s60, v4
	v_mov_b32_e32 v38, 0
	s_and_saveexec_b64 s[42:43], vcc
	s_cbranch_execz .LBB108_137
; %bb.136:                              ;   in Loop: Header=BB108_135 Depth=2
	v_lshlrev_b64 v[38:39], 1, v[10:11]
	v_mov_b32_e32 v40, s7
	v_add_co_u32_e64 v38, s[20:21], s33, v38
	v_addc_co_u32_e64 v39, s[20:21], v40, v39, s[20:21]
	global_load_ushort v38, v[38:39], off
.LBB108_137:                            ;   in Loop: Header=BB108_135 Depth=2
	s_or_b64 exec, exec, s[42:43]
	s_and_saveexec_b64 s[20:21], vcc
	s_cbranch_execz .LBB108_134
; %bb.138:                              ;   in Loop: Header=BB108_135 Depth=2
	s_waitcnt vmcnt(0)
	v_cmp_lt_i16_e32 vcc, -1, v38
	v_cndmask_b32_e32 v39, v29, v30, vcc
	v_lshlrev_b32_e32 v40, 16, v38
	v_xor_b32_sdwa v39, v39, v38 dst_sel:DWORD dst_unused:UNUSED_PAD src0_sel:DWORD src1_sel:WORD_0
	v_cmp_o_f32_e32 vcc, v40, v40
	v_cndmask_b32_e32 v39, v29, v39, vcc
	v_and_b32_e32 v39, v39, v3
	v_cmp_eq_u32_e32 vcc, v39, v2
	s_and_b64 exec, exec, vcc
	s_cbranch_execz .LBB108_134
; %bb.139:                              ;   in Loop: Header=BB108_135 Depth=2
	v_perm_b32 v38, v38, s12, v33
	ds_write_b32 v11, v38 offset:3072
	s_branch .LBB108_134
.LBB108_140:                            ;   in Loop: Header=BB108_6 Depth=1
	s_or_b64 exec, exec, s[38:39]
	v_lshrrev_b32_e32 v4, 16, v38
	s_and_b64 s[20:21], s[40:41], exec
.LBB108_141:                            ;   in Loop: Header=BB108_6 Depth=1
	s_or_b64 exec, exec, s[36:37]
	s_mov_b64 s[40:41], -1
	s_mov_b64 s[36:37], 0
	s_mov_b64 s[38:39], 0
.LBB108_142:                            ;   in Loop: Header=BB108_6 Depth=1
	s_orn2_b64 s[46:47], s[20:21], exec
.LBB108_143:                            ;   in Loop: Header=BB108_6 Depth=1
	s_or_b64 exec, exec, s[16:17]
	s_mov_b64 s[20:21], 0
                                        ; implicit-def: $vgpr10
	s_and_saveexec_b64 s[42:43], s[46:47]
	s_cbranch_execz .LBB108_236
; %bb.144:                              ;   in Loop: Header=BB108_6 Depth=1
	s_xor_b64 s[20:21], s[44:45], -1
	s_mov_b64 s[48:49], 0
	v_mov_b32_e32 v38, 1
	v_mov_b32_e32 v10, 1
	s_and_saveexec_b64 s[16:17], s[20:21]
	s_cbranch_execz .LBB108_154
; %bb.145:                              ;   in Loop: Header=BB108_6 Depth=1
	v_cmp_ge_u32_e32 vcc, s11, v5
                                        ; implicit-def: $sgpr46
                                        ; implicit-def: $sgpr20_sgpr21
	s_and_saveexec_b64 s[44:45], vcc
	s_xor_b64 s[44:45], exec, s[44:45]
	s_cbranch_execz .LBB108_151
; %bb.146:                              ;   in Loop: Header=BB108_6 Depth=1
	ds_read_b32 v10, v11 offset:4096
	s_waitcnt lgkmcnt(0)
	v_cmp_ne_u32_e32 vcc, 0, v10
	s_cbranch_vccnz .LBB108_150
; %bb.147:                              ;   in Loop: Header=BB108_6 Depth=1
	s_mov_b64 s[20:21], exec
	v_readlane_b32 s46, v54, 5
	v_readlane_b32 s47, v54, 6
	s_and_b64 s[46:47], s[20:21], s[46:47]
	s_mov_b64 exec, s[46:47]
	s_cbranch_execz .LBB108_149
; %bb.148:                              ;   in Loop: Header=BB108_6 Depth=1
	v_mov_b32_e32 v10, s11
	ds_write_b32 v11, v10 offset:4100
.LBB108_149:                            ;   in Loop: Header=BB108_6 Depth=1
	s_or_b64 exec, exec, s[20:21]
	s_waitcnt lgkmcnt(0)
	s_barrier
.LBB108_150:                            ;   in Loop: Header=BB108_6 Depth=1
	v_and_b32_e32 v2, s10, v2
	v_lshl_or_b32 v2, 1, s62, v2
	v_or_b32_e32 v3, s68, v3
	s_mov_b64 s[20:21], 0
	s_mov_b32 s46, 8
.LBB108_151:                            ;   in Loop: Header=BB108_6 Depth=1
	s_or_saveexec_b64 s[44:45], s[44:45]
	v_mov_b32_e32 v10, s46
	s_xor_b64 exec, exec, s[44:45]
; %bb.152:                              ;   in Loop: Header=BB108_6 Depth=1
	v_subrev_u32_e32 v5, s11, v5
	v_mov_b32_e32 v10, 0
	s_or_b64 s[20:21], s[20:21], exec
; %bb.153:                              ;   in Loop: Header=BB108_6 Depth=1
	s_or_b64 exec, exec, s[44:45]
	s_and_b64 s[48:49], s[20:21], exec
	v_mov_b32_e32 v38, v5
.LBB108_154:                            ;   in Loop: Header=BB108_6 Depth=1
	s_or_b64 exec, exec, s[16:17]
	s_mov_b64 s[16:17], -1
                                        ; implicit-def: $sgpr20_sgpr21
                                        ; implicit-def: $sgpr46_sgpr47
                                        ; implicit-def: $sgpr52_sgpr53
	s_and_saveexec_b64 s[44:45], s[48:49]
	s_cbranch_execz .LBB108_235
; %bb.155:                              ;   in Loop: Header=BB108_6 Depth=1
	s_cmp_eq_u32 s63, 1
	s_cselect_b64 s[16:17], -1, 0
	v_cmp_eq_u32_e32 vcc, 1, v38
	s_and_b64 s[54:55], s[16:17], vcc
	s_mov_b64 s[20:21], -1
                                        ; implicit-def: $sgpr46_sgpr47
                                        ; implicit-def: $sgpr50_sgpr51
                                        ; implicit-def: $sgpr48_sgpr49
	s_and_saveexec_b64 s[16:17], s[54:55]
	s_cbranch_execz .LBB108_181
; %bb.156:                              ;   in Loop: Header=BB108_6 Depth=1
	ds_read_b32 v4, v11 offset:4096
	s_waitcnt lgkmcnt(0)
	s_barrier
	v_readfirstlane_b32 s52, v4
	s_mov_b64 s[20:21], exec
	v_readlane_b32 s46, v54, 31
	v_readlane_b32 s47, v54, 32
	s_and_b64 s[46:47], s[20:21], s[46:47]
	s_mov_b64 exec, s[46:47]
	s_cbranch_execz .LBB108_158
; %bb.157:                              ;   in Loop: Header=BB108_6 Depth=1
	ds_write_b16 v20, v11
.LBB108_158:                            ;   in Loop: Header=BB108_6 Depth=1
	s_or_b64 exec, exec, s[20:21]
	v_and_b32_e32 v2, s10, v2
	v_lshl_or_b32 v2, 2, s62, v2
	v_or_b32_e32 v3, s68, v3
	s_cmp_eq_u32 s52, 0
	s_waitcnt lgkmcnt(0)
	s_barrier
	s_cbranch_scc1 .LBB108_167
; %bb.159:                              ;   in Loop: Header=BB108_6 Depth=1
	v_readlane_b32 s20, v54, 22
	s_add_i32 s20, s52, s20
	v_readlane_b32 s21, v54, 46
	s_mul_hi_u32 s21, s20, s21
	s_mul_i32 s21, s21, s72
	s_sub_i32 s21, s20, s21
	s_sub_i32 s46, s21, s72
	s_cmp_ge_u32 s21, s72
	s_cselect_b32 s21, s46, s21
	s_sub_i32 s46, s21, s72
	s_cmp_ge_u32 s21, s72
	s_cselect_b32 s21, s46, s21
	s_sub_i32 s53, s20, s21
	v_cmp_gt_u32_e32 vcc, s53, v0
	s_mov_b64 s[20:21], 0
                                        ; implicit-def: $vgpr4
	s_and_saveexec_b64 s[46:47], vcc
	s_cbranch_execz .LBB108_169
; %bb.160:                              ;   in Loop: Header=BB108_6 Depth=1
	s_mov_b64 s[48:49], 0
	v_mov_b32_e32 v4, v19
	v_mov_b32_e32 v5, v0
                                        ; implicit-def: $sgpr50_sgpr51
	s_branch .LBB108_162
.LBB108_161:                            ;   in Loop: Header=BB108_162 Depth=2
	s_or_b64 exec, exec, s[20:21]
	s_waitcnt lgkmcnt(0)
	s_barrier
	ds_read_b32 v10, v11 offset:3072
	v_add_u32_e32 v5, s72, v5
	v_cmp_le_u32_e64 s[20:21], s53, v5
	v_add_u32_e32 v4, s5, v4
	s_waitcnt lgkmcnt(0)
	v_and_b32_e32 v39, 0x7fff, v10
	v_cmp_ne_u16_e32 vcc, 0, v39
	s_or_b64 s[20:21], s[20:21], vcc
	s_and_b64 s[20:21], exec, s[20:21]
	s_or_b64 s[48:49], s[20:21], s[48:49]
	s_andn2_b64 s[20:21], s[50:51], exec
	s_and_b64 s[50:51], vcc, exec
	s_or_b64 s[50:51], s[20:21], s[50:51]
	s_barrier
	s_andn2_b64 exec, exec, s[48:49]
	s_cbranch_execz .LBB108_168
.LBB108_162:                            ;   Parent Loop BB108_6 Depth=1
                                        ; =>  This Inner Loop Header: Depth=2
	v_cmp_gt_u32_e32 vcc, s52, v5
	v_mov_b32_e32 v10, 0
	s_and_saveexec_b64 s[20:21], vcc
	s_cbranch_execz .LBB108_164
; %bb.163:                              ;   in Loop: Header=BB108_162 Depth=2
	ds_read_u16 v10, v4
.LBB108_164:                            ;   in Loop: Header=BB108_162 Depth=2
	s_or_b64 exec, exec, s[20:21]
	s_and_saveexec_b64 s[20:21], vcc
	s_cbranch_execz .LBB108_161
; %bb.165:                              ;   in Loop: Header=BB108_162 Depth=2
	s_waitcnt lgkmcnt(0)
	v_cmp_lt_i16_e32 vcc, -1, v10
	v_cndmask_b32_e32 v39, v29, v30, vcc
	v_lshlrev_b32_e32 v40, 16, v10
	v_xor_b32_sdwa v39, v39, v10 dst_sel:DWORD dst_unused:UNUSED_PAD src0_sel:DWORD src1_sel:WORD_0
	v_cmp_o_f32_e32 vcc, v40, v40
	v_cndmask_b32_e32 v39, v29, v39, vcc
	v_and_b32_e32 v39, v39, v3
	v_cmp_eq_u32_e32 vcc, v39, v2
	s_and_b64 exec, exec, vcc
	s_cbranch_execz .LBB108_161
; %bb.166:                              ;   in Loop: Header=BB108_162 Depth=2
	v_perm_b32 v10, v10, s12, v33
	ds_write_b32 v11, v10 offset:3072
	s_branch .LBB108_161
.LBB108_167:                            ;   in Loop: Header=BB108_6 Depth=1
	s_mov_b64 s[46:47], -1
	s_mov_b64 s[20:21], 0
                                        ; implicit-def: $sgpr48_sgpr49
                                        ; implicit-def: $vgpr4
	s_mov_b64 s[50:51], s[46:47]
	s_cbranch_execnz .LBB108_170
	s_branch .LBB108_180
.LBB108_168:                            ;   in Loop: Header=BB108_6 Depth=1
	s_or_b64 exec, exec, s[48:49]
	v_lshrrev_b32_e32 v4, 16, v10
	s_and_b64 s[20:21], s[50:51], exec
.LBB108_169:                            ;   in Loop: Header=BB108_6 Depth=1
	s_or_b64 exec, exec, s[46:47]
	s_mov_b64 s[48:49], -1
	s_mov_b64 s[46:47], 0
	s_mov_b64 s[50:51], s[46:47]
	s_branch .LBB108_180
.LBB108_170:                            ;   in Loop: Header=BB108_6 Depth=1
	s_mov_b64 s[20:21], 0
                                        ; implicit-def: $vgpr4
	s_mov_b64 s[46:47], exec
	v_readlane_b32 s48, v54, 47
	v_readlane_b32 s49, v54, 48
	s_and_b64 s[48:49], s[46:47], s[48:49]
	s_mov_b64 exec, s[48:49]
	s_cbranch_execz .LBB108_179
; %bb.171:                              ;   in Loop: Header=BB108_6 Depth=1
	s_mov_b64 s[48:49], 0
	v_mov_b32_e32 v10, v12
	v_mov_b32_e32 v4, v0
                                        ; implicit-def: $sgpr50_sgpr51
	s_branch .LBB108_173
.LBB108_172:                            ;   in Loop: Header=BB108_173 Depth=2
	s_or_b64 exec, exec, s[20:21]
	s_waitcnt lgkmcnt(0)
	s_barrier
	s_waitcnt vmcnt(0)
	ds_read_b32 v5, v11 offset:3072
	v_add_u32_e32 v4, s72, v4
	v_cmp_le_u32_e64 s[20:21], s74, v4
	v_add_u32_e32 v10, s6, v10
	s_waitcnt lgkmcnt(0)
	v_and_b32_e32 v39, 0x7fff, v5
	v_cmp_ne_u16_e32 vcc, 0, v39
	s_or_b64 s[20:21], s[20:21], vcc
	s_and_b64 s[20:21], exec, s[20:21]
	s_or_b64 s[48:49], s[20:21], s[48:49]
	s_andn2_b64 s[20:21], s[50:51], exec
	s_and_b64 s[50:51], vcc, exec
	s_or_b64 s[50:51], s[20:21], s[50:51]
	s_barrier
	s_andn2_b64 exec, exec, s[48:49]
	s_cbranch_execz .LBB108_178
.LBB108_173:                            ;   Parent Loop BB108_6 Depth=1
                                        ; =>  This Inner Loop Header: Depth=2
	v_cmp_gt_u32_e32 vcc, s60, v4
	v_mov_b32_e32 v5, 0
	s_and_saveexec_b64 s[52:53], vcc
	s_cbranch_execz .LBB108_175
; %bb.174:                              ;   in Loop: Header=BB108_173 Depth=2
	v_lshlrev_b64 v[40:41], 1, v[10:11]
	v_mov_b32_e32 v5, s7
	v_add_co_u32_e64 v40, s[20:21], s33, v40
	v_addc_co_u32_e64 v41, s[20:21], v5, v41, s[20:21]
	global_load_ushort v5, v[40:41], off
.LBB108_175:                            ;   in Loop: Header=BB108_173 Depth=2
	s_or_b64 exec, exec, s[52:53]
	s_and_saveexec_b64 s[20:21], vcc
	s_cbranch_execz .LBB108_172
; %bb.176:                              ;   in Loop: Header=BB108_173 Depth=2
	s_waitcnt vmcnt(0)
	v_cmp_lt_i16_e32 vcc, -1, v5
	v_cndmask_b32_e32 v39, v29, v30, vcc
	v_lshlrev_b32_e32 v40, 16, v5
	v_xor_b32_sdwa v39, v39, v5 dst_sel:DWORD dst_unused:UNUSED_PAD src0_sel:DWORD src1_sel:WORD_0
	v_cmp_o_f32_e32 vcc, v40, v40
	v_cndmask_b32_e32 v39, v29, v39, vcc
	v_and_b32_e32 v39, v39, v3
	v_cmp_eq_u32_e32 vcc, v39, v2
	s_and_b64 exec, exec, vcc
	s_cbranch_execz .LBB108_172
; %bb.177:                              ;   in Loop: Header=BB108_173 Depth=2
	v_perm_b32 v5, v5, s12, v33
	ds_write_b32 v11, v5 offset:3072
	s_branch .LBB108_172
.LBB108_178:                            ;   in Loop: Header=BB108_6 Depth=1
	s_or_b64 exec, exec, s[48:49]
	v_lshrrev_b32_e32 v4, 16, v5
	s_and_b64 s[20:21], s[50:51], exec
.LBB108_179:                            ;   in Loop: Header=BB108_6 Depth=1
	s_or_b64 exec, exec, s[46:47]
	s_mov_b64 s[50:51], -1
	s_mov_b64 s[46:47], 0
	s_mov_b64 s[48:49], 0
.LBB108_180:                            ;   in Loop: Header=BB108_6 Depth=1
	s_orn2_b64 s[20:21], s[20:21], exec
.LBB108_181:                            ;   in Loop: Header=BB108_6 Depth=1
	s_or_b64 exec, exec, s[16:17]
	s_mov_b64 s[16:17], 0
                                        ; implicit-def: $vgpr10
	s_and_saveexec_b64 s[52:53], s[20:21]
	s_cbranch_execz .LBB108_234
; %bb.182:                              ;   in Loop: Header=BB108_6 Depth=1
	s_xor_b64 s[20:21], s[54:55], -1
	s_mov_b64 s[56:57], 0
	v_mov_b32_e32 v5, 1
	v_mov_b32_e32 v10, 1
	s_and_saveexec_b64 s[16:17], s[20:21]
	s_cbranch_execz .LBB108_192
; %bb.183:                              ;   in Loop: Header=BB108_6 Depth=1
	v_cmp_ge_u32_e32 vcc, s63, v38
                                        ; implicit-def: $sgpr56
                                        ; implicit-def: $sgpr20_sgpr21
	s_and_saveexec_b64 s[54:55], vcc
	s_xor_b64 s[54:55], exec, s[54:55]
	s_cbranch_execz .LBB108_189
; %bb.184:                              ;   in Loop: Header=BB108_6 Depth=1
	ds_read_b32 v5, v11 offset:4096
	s_waitcnt lgkmcnt(0)
	v_cmp_ne_u32_e32 vcc, 0, v5
	s_cbranch_vccnz .LBB108_188
; %bb.185:                              ;   in Loop: Header=BB108_6 Depth=1
	s_mov_b64 s[20:21], exec
	v_readlane_b32 s56, v54, 5
	v_readlane_b32 s57, v54, 6
	s_and_b64 s[56:57], s[20:21], s[56:57]
	s_mov_b64 exec, s[56:57]
	s_cbranch_execz .LBB108_187
; %bb.186:                              ;   in Loop: Header=BB108_6 Depth=1
	v_mov_b32_e32 v5, s63
	ds_write_b32 v11, v5 offset:4100
.LBB108_187:                            ;   in Loop: Header=BB108_6 Depth=1
	s_or_b64 exec, exec, s[20:21]
	s_waitcnt lgkmcnt(0)
	s_barrier
.LBB108_188:                            ;   in Loop: Header=BB108_6 Depth=1
	v_and_b32_e32 v2, s10, v2
	v_lshl_or_b32 v2, 2, s62, v2
	v_or_b32_e32 v3, s68, v3
	s_mov_b64 s[20:21], 0
	s_mov_b32 s56, 8
.LBB108_189:                            ;   in Loop: Header=BB108_6 Depth=1
	s_or_saveexec_b64 s[54:55], s[54:55]
	v_mov_b32_e32 v10, s56
	s_xor_b64 exec, exec, s[54:55]
; %bb.190:                              ;   in Loop: Header=BB108_6 Depth=1
	v_subrev_u32_e32 v38, s63, v38
	v_mov_b32_e32 v10, 0
	s_or_b64 s[20:21], s[20:21], exec
; %bb.191:                              ;   in Loop: Header=BB108_6 Depth=1
	s_or_b64 exec, exec, s[54:55]
	s_and_b64 s[56:57], s[20:21], exec
	v_mov_b32_e32 v5, v38
.LBB108_192:                            ;   in Loop: Header=BB108_6 Depth=1
	s_or_b64 exec, exec, s[16:17]
	s_mov_b64 s[16:17], -1
                                        ; implicit-def: $sgpr20_sgpr21
                                        ; implicit-def: $sgpr76_sgpr77
                                        ; implicit-def: $sgpr58_sgpr59
	s_and_saveexec_b64 s[54:55], s[56:57]
	s_cbranch_execz .LBB108_233
; %bb.193:                              ;   in Loop: Header=BB108_6 Depth=1
	s_cmp_eq_u32 s70, 1
	s_cselect_b64 s[16:17], -1, 0
	v_cmp_eq_u32_e32 vcc, 1, v5
	s_mov_b64 s[78:79], -1
	s_and_b64 s[56:57], s[16:17], vcc
                                        ; implicit-def: $sgpr20_sgpr21
                                        ; implicit-def: $sgpr76_sgpr77
                                        ; implicit-def: $sgpr58_sgpr59
	s_mov_b64 s[16:17], exec
	v_writelane_b32 v54, s56, 49
	v_writelane_b32 v54, s57, 50
	s_and_b64 s[56:57], s[16:17], s[56:57]
	s_mov_b64 exec, s[56:57]
	s_cbranch_execz .LBB108_220
; %bb.194:                              ;   in Loop: Header=BB108_6 Depth=1
	ds_read_b32 v4, v11 offset:4096
	s_waitcnt lgkmcnt(0)
	s_barrier
	v_readfirstlane_b32 s71, v4
	s_mov_b64 s[20:21], exec
	v_readlane_b32 s56, v54, 31
	v_readlane_b32 s57, v54, 32
	s_and_b64 s[56:57], s[20:21], s[56:57]
	s_mov_b64 exec, s[56:57]
	s_cbranch_execz .LBB108_196
; %bb.195:                              ;   in Loop: Header=BB108_6 Depth=1
	ds_write_b16 v20, v11
.LBB108_196:                            ;   in Loop: Header=BB108_6 Depth=1
	s_or_b64 exec, exec, s[20:21]
	v_or_b32_e32 v2, s68, v2
	v_or_b32_e32 v3, s68, v3
	s_cmp_eq_u32 s71, 0
	s_waitcnt lgkmcnt(0)
	s_barrier
	s_cbranch_scc1 .LBB108_205
; %bb.197:                              ;   in Loop: Header=BB108_6 Depth=1
	v_readlane_b32 s20, v54, 22
	s_add_i32 s20, s71, s20
	v_readlane_b32 s21, v54, 46
	s_mul_hi_u32 s21, s20, s21
	s_mul_i32 s21, s21, s72
	s_sub_i32 s21, s20, s21
	s_sub_i32 s56, s21, s72
	s_cmp_ge_u32 s21, s72
	s_cselect_b32 s21, s56, s21
	s_sub_i32 s56, s21, s72
	s_cmp_ge_u32 s21, s72
	s_cselect_b32 s21, s56, s21
	s_sub_i32 s56, s20, s21
	s_mov_b64 s[78:79], 0
	v_cmp_gt_u32_e32 vcc, s56, v0
                                        ; implicit-def: $vgpr4
	s_mov_b64 s[20:21], exec
	v_writelane_b32 v54, s20, 51
	v_writelane_b32 v54, s21, 52
	s_and_b64 s[20:21], s[20:21], vcc
	s_mov_b64 exec, s[20:21]
	s_cbranch_execz .LBB108_207
; %bb.198:                              ;   in Loop: Header=BB108_6 Depth=1
	s_mov_b64 s[76:77], 0
	v_mov_b32_e32 v4, v19
	v_mov_b32_e32 v10, v0
                                        ; implicit-def: $sgpr78_sgpr79
	s_branch .LBB108_200
.LBB108_199:                            ;   in Loop: Header=BB108_200 Depth=2
	s_or_b64 exec, exec, s[20:21]
	s_waitcnt lgkmcnt(0)
	s_barrier
	ds_read_b32 v38, v11 offset:3072
	v_add_u32_e32 v10, s72, v10
	v_cmp_le_u32_e64 s[20:21], s56, v10
	v_add_u32_e32 v4, s5, v4
	s_waitcnt lgkmcnt(0)
	v_and_b32_e32 v39, 0x7fff, v38
	v_cmp_ne_u16_e32 vcc, 0, v39
	s_or_b64 s[20:21], s[20:21], vcc
	s_and_b64 s[20:21], exec, s[20:21]
	s_or_b64 s[76:77], s[20:21], s[76:77]
	s_andn2_b64 s[20:21], s[78:79], exec
	s_and_b64 s[58:59], vcc, exec
	s_or_b64 s[78:79], s[20:21], s[58:59]
	s_barrier
	s_andn2_b64 exec, exec, s[76:77]
	s_cbranch_execz .LBB108_206
.LBB108_200:                            ;   Parent Loop BB108_6 Depth=1
                                        ; =>  This Inner Loop Header: Depth=2
	v_cmp_gt_u32_e32 vcc, s71, v10
	v_mov_b32_e32 v38, 0
	s_and_saveexec_b64 s[20:21], vcc
	s_cbranch_execz .LBB108_202
; %bb.201:                              ;   in Loop: Header=BB108_200 Depth=2
	ds_read_u16 v38, v4
.LBB108_202:                            ;   in Loop: Header=BB108_200 Depth=2
	s_or_b64 exec, exec, s[20:21]
	s_and_saveexec_b64 s[20:21], vcc
	s_cbranch_execz .LBB108_199
; %bb.203:                              ;   in Loop: Header=BB108_200 Depth=2
	s_waitcnt lgkmcnt(0)
	v_cmp_lt_i16_e32 vcc, -1, v38
	v_cndmask_b32_e32 v39, v29, v30, vcc
	v_lshlrev_b32_e32 v40, 16, v38
	v_xor_b32_sdwa v39, v39, v38 dst_sel:DWORD dst_unused:UNUSED_PAD src0_sel:DWORD src1_sel:WORD_0
	v_cmp_o_f32_e32 vcc, v40, v40
	v_cndmask_b32_e32 v39, v29, v39, vcc
	v_and_b32_e32 v39, v39, v3
	v_cmp_eq_u32_e32 vcc, v39, v2
	s_and_b64 exec, exec, vcc
	s_cbranch_execz .LBB108_199
; %bb.204:                              ;   in Loop: Header=BB108_200 Depth=2
	v_perm_b32 v38, v38, s12, v33
	ds_write_b32 v11, v38 offset:3072
	s_branch .LBB108_199
.LBB108_205:                            ;   in Loop: Header=BB108_6 Depth=1
	s_mov_b64 s[20:21], -1
	s_mov_b64 s[78:79], 0
                                        ; implicit-def: $sgpr58_sgpr59
                                        ; implicit-def: $vgpr4
	s_branch .LBB108_208
.LBB108_206:                            ;   in Loop: Header=BB108_6 Depth=1
	s_or_b64 exec, exec, s[76:77]
	v_lshrrev_b32_e32 v4, 16, v38
	s_and_b64 s[78:79], s[78:79], exec
.LBB108_207:                            ;   in Loop: Header=BB108_6 Depth=1
	v_readlane_b32 s20, v54, 51
	v_readlane_b32 s21, v54, 52
	s_or_b64 exec, exec, s[20:21]
	s_mov_b64 s[58:59], -1
	s_mov_b64 s[20:21], 0
.LBB108_208:                            ;   in Loop: Header=BB108_6 Depth=1
	s_and_b64 vcc, exec, s[20:21]
	s_mov_b64 s[76:77], s[20:21]
	s_cbranch_vccz .LBB108_219
; %bb.209:                              ;   in Loop: Header=BB108_6 Depth=1
	s_mov_b64 s[78:79], 0
                                        ; implicit-def: $vgpr4
	s_mov_b64 s[56:57], exec
	v_readlane_b32 s20, v54, 47
	v_readlane_b32 s21, v54, 48
	v_writelane_b32 v54, s56, 53
	s_and_b64 s[20:21], s[56:57], s[20:21]
	v_writelane_b32 v54, s57, 54
	s_mov_b64 exec, s[20:21]
	s_cbranch_execz .LBB108_218
; %bb.210:                              ;   in Loop: Header=BB108_6 Depth=1
	s_mov_b64 s[76:77], 0
	v_mov_b32_e32 v10, v12
	v_mov_b32_e32 v4, v0
                                        ; implicit-def: $sgpr78_sgpr79
	s_branch .LBB108_212
.LBB108_211:                            ;   in Loop: Header=BB108_212 Depth=2
	s_or_b64 exec, exec, s[20:21]
	s_waitcnt lgkmcnt(0)
	s_barrier
	s_waitcnt vmcnt(0)
	ds_read_b32 v38, v11 offset:3072
	v_add_u32_e32 v4, s72, v4
	v_cmp_le_u32_e64 s[20:21], s74, v4
	v_add_u32_e32 v10, s6, v10
	s_waitcnt lgkmcnt(0)
	v_and_b32_e32 v39, 0x7fff, v38
	v_cmp_ne_u16_e32 vcc, 0, v39
	s_or_b64 s[20:21], s[20:21], vcc
	s_and_b64 s[20:21], exec, s[20:21]
	s_or_b64 s[76:77], s[20:21], s[76:77]
	s_andn2_b64 s[20:21], s[78:79], exec
	s_and_b64 s[56:57], vcc, exec
	s_or_b64 s[78:79], s[20:21], s[56:57]
	s_barrier
	s_andn2_b64 exec, exec, s[76:77]
	s_cbranch_execz .LBB108_217
.LBB108_212:                            ;   Parent Loop BB108_6 Depth=1
                                        ; =>  This Inner Loop Header: Depth=2
	v_cmp_gt_u32_e32 vcc, s60, v4
	v_mov_b32_e32 v38, 0
	s_and_saveexec_b64 s[58:59], vcc
	s_cbranch_execz .LBB108_214
; %bb.213:                              ;   in Loop: Header=BB108_212 Depth=2
	v_lshlrev_b64 v[38:39], 1, v[10:11]
	v_mov_b32_e32 v40, s7
	v_add_co_u32_e64 v38, s[20:21], s33, v38
	v_addc_co_u32_e64 v39, s[20:21], v40, v39, s[20:21]
	global_load_ushort v38, v[38:39], off
.LBB108_214:                            ;   in Loop: Header=BB108_212 Depth=2
	s_or_b64 exec, exec, s[58:59]
	s_and_saveexec_b64 s[20:21], vcc
	s_cbranch_execz .LBB108_211
; %bb.215:                              ;   in Loop: Header=BB108_212 Depth=2
	s_waitcnt vmcnt(0)
	v_cmp_lt_i16_e32 vcc, -1, v38
	v_cndmask_b32_e32 v39, v29, v30, vcc
	v_lshlrev_b32_e32 v40, 16, v38
	v_xor_b32_sdwa v39, v39, v38 dst_sel:DWORD dst_unused:UNUSED_PAD src0_sel:DWORD src1_sel:WORD_0
	v_cmp_o_f32_e32 vcc, v40, v40
	v_cndmask_b32_e32 v39, v29, v39, vcc
	v_and_b32_e32 v39, v39, v3
	v_cmp_eq_u32_e32 vcc, v39, v2
	s_and_b64 exec, exec, vcc
	s_cbranch_execz .LBB108_211
; %bb.216:                              ;   in Loop: Header=BB108_212 Depth=2
	v_perm_b32 v38, v38, s12, v33
	ds_write_b32 v11, v38 offset:3072
	s_branch .LBB108_211
.LBB108_217:                            ;   in Loop: Header=BB108_6 Depth=1
	s_or_b64 exec, exec, s[76:77]
	v_lshrrev_b32_e32 v4, 16, v38
	s_and_b64 s[78:79], s[78:79], exec
.LBB108_218:                            ;   in Loop: Header=BB108_6 Depth=1
	v_readlane_b32 s20, v54, 53
	v_readlane_b32 s21, v54, 54
	s_or_b64 exec, exec, s[20:21]
	s_mov_b64 s[76:77], -1
	s_mov_b64 s[20:21], 0
	s_mov_b64 s[58:59], 0
.LBB108_219:                            ;   in Loop: Header=BB108_6 Depth=1
	s_orn2_b64 s[78:79], s[78:79], exec
.LBB108_220:                            ;   in Loop: Header=BB108_6 Depth=1
	s_or_b64 exec, exec, s[16:17]
	s_mov_b64 vcc, 0
                                        ; implicit-def: $vgpr10
                                        ; implicit-def: $vgpr38
	s_and_saveexec_b64 s[16:17], s[78:79]
	s_cbranch_execz .LBB108_232
; %bb.221:                              ;   in Loop: Header=BB108_6 Depth=1
	v_readlane_b32 s56, v54, 49
	v_readlane_b32 s57, v54, 50
	s_xor_b64 s[78:79], s[56:57], -1
	v_mov_b32_e32 v10, 1
	v_mov_b32_e32 v38, 1
	s_and_saveexec_b64 s[56:57], s[78:79]
	s_cbranch_execz .LBB108_231
; %bb.222:                              ;   in Loop: Header=BB108_6 Depth=1
	v_cmp_ge_u32_e32 vcc, s70, v5
                                        ; implicit-def: $sgpr71
	s_and_saveexec_b64 s[78:79], vcc
	s_xor_b64 s[78:79], exec, s[78:79]
	s_cbranch_execz .LBB108_228
; %bb.223:                              ;   in Loop: Header=BB108_6 Depth=1
	ds_read_b32 v10, v11 offset:4096
	s_waitcnt lgkmcnt(0)
	v_cmp_ne_u32_e32 vcc, 0, v10
	s_cbranch_vccnz .LBB108_227
; %bb.224:                              ;   in Loop: Header=BB108_6 Depth=1
	v_writelane_b32 v54, s78, 55
	v_writelane_b32 v54, s79, 56
	s_mov_b64 s[78:79], exec
	v_writelane_b32 v54, s78, 57
	v_writelane_b32 v54, s79, 58
	v_readlane_b32 vcc_lo, v54, 5
	v_readlane_b32 s78, v54, 57
	v_readlane_b32 vcc_hi, v54, 6
	v_readlane_b32 s79, v54, 58
	s_and_b64 vcc, s[78:79], vcc
	s_mov_b64 exec, vcc
	s_cbranch_execz .LBB108_226
; %bb.225:                              ;   in Loop: Header=BB108_6 Depth=1
	v_mov_b32_e32 v10, s70
	ds_write_b32 v11, v10 offset:4100
.LBB108_226:                            ;   in Loop: Header=BB108_6 Depth=1
	v_readlane_b32 vcc_lo, v54, 57
	v_readlane_b32 vcc_hi, v54, 58
	s_or_b64 exec, exec, vcc
	v_readlane_b32 s78, v54, 55
	v_readlane_b32 s79, v54, 56
	s_waitcnt lgkmcnt(0)
	s_barrier
.LBB108_227:                            ;   in Loop: Header=BB108_6 Depth=1
	v_or_b32_e32 v2, s68, v2
	v_or_b32_e32 v3, s68, v3
	s_mov_b32 s71, 8
.LBB108_228:                            ;   in Loop: Header=BB108_6 Depth=1
	s_or_saveexec_b64 s[78:79], s[78:79]
	v_mov_b32_e32 v10, s71
	s_xor_b64 exec, exec, s[78:79]
; %bb.229:                              ;   in Loop: Header=BB108_6 Depth=1
	v_subrev_u32_e32 v5, s70, v5
	v_mov_b32_e32 v10, 8
; %bb.230:                              ;   in Loop: Header=BB108_6 Depth=1
	s_or_b64 exec, exec, s[78:79]
	v_mov_b32_e32 v38, v5
.LBB108_231:                            ;   in Loop: Header=BB108_6 Depth=1
	s_or_b64 exec, exec, s[56:57]
	s_mov_b64 vcc, exec
.LBB108_232:                            ;   in Loop: Header=BB108_6 Depth=1
	s_or_b64 exec, exec, s[16:17]
	s_orn2_b64 s[16:17], vcc, exec
	v_mov_b32_e32 v5, v38
.LBB108_233:                            ;   in Loop: Header=BB108_6 Depth=1
	s_or_b64 exec, exec, s[54:55]
	s_andn2_b64 s[46:47], s[46:47], exec
	s_and_b64 s[20:21], s[20:21], exec
	s_or_b64 s[46:47], s[46:47], s[20:21]
	s_andn2_b64 s[20:21], s[50:51], exec
	s_and_b64 s[50:51], s[76:77], exec
	s_or_b64 s[50:51], s[20:21], s[50:51]
	;; [unrolled: 3-line block ×3, first 2 shown]
	s_and_b64 s[16:17], s[16:17], exec
	v_mov_b32_e32 v38, v5
.LBB108_234:                            ;   in Loop: Header=BB108_6 Depth=1
	s_or_b64 exec, exec, s[52:53]
	s_and_b64 s[52:53], s[46:47], exec
	s_and_b64 s[46:47], s[50:51], exec
	;; [unrolled: 1-line block ×3, first 2 shown]
	s_orn2_b64 s[16:17], s[16:17], exec
.LBB108_235:                            ;   in Loop: Header=BB108_6 Depth=1
	s_or_b64 exec, exec, s[44:45]
	s_andn2_b64 s[36:37], s[36:37], exec
	s_and_b64 s[44:45], s[52:53], exec
	s_or_b64 s[36:37], s[36:37], s[44:45]
	s_andn2_b64 s[40:41], s[40:41], exec
	s_and_b64 s[44:45], s[46:47], exec
	s_andn2_b64 s[38:39], s[38:39], exec
	s_and_b64 s[20:21], s[20:21], exec
	s_or_b64 s[40:41], s[40:41], s[44:45]
	s_or_b64 s[38:39], s[38:39], s[20:21]
	s_and_b64 s[20:21], s[16:17], exec
	v_mov_b32_e32 v5, v38
.LBB108_236:                            ;   in Loop: Header=BB108_6 Depth=1
	s_or_b64 exec, exec, s[42:43]
	s_and_b64 s[42:43], s[36:37], exec
	s_and_b64 s[36:37], s[40:41], exec
	;; [unrolled: 1-line block ×3, first 2 shown]
	s_orn2_b64 s[38:39], s[20:21], exec
.LBB108_237:                            ;   in Loop: Header=BB108_6 Depth=1
	s_or_b64 exec, exec, s[24:25]
	s_mov_b64 s[24:25], 0
	s_mov_b64 s[20:21], 0
	s_and_saveexec_b64 s[40:41], s[38:39]
	s_xor_b64 s[38:39], exec, s[40:41]
; %bb.238:                              ;   in Loop: Header=BB108_6 Depth=1
	v_cmp_eq_u32_e32 vcc, 8, v10
	v_cmp_ne_u32_e64 s[20:21], 8, v10
	s_andn2_b64 s[42:43], s[42:43], exec
	s_andn2_b64 s[36:37], s[36:37], exec
	s_andn2_b64 s[16:17], s[16:17], exec
	s_and_b64 s[20:21], s[20:21], exec
	s_and_b64 s[24:25], vcc, exec
; %bb.239:                              ;   in Loop: Header=BB108_6 Depth=1
	s_or_b64 exec, exec, s[38:39]
	s_andn2_b64 s[22:23], s[22:23], exec
	s_and_b64 s[38:39], s[42:43], exec
	s_andn2_b64 s[28:29], s[28:29], exec
	s_and_b64 s[36:37], s[36:37], exec
	;; [unrolled: 2-line block ×3, first 2 shown]
	s_or_b64 s[22:23], s[22:23], s[38:39]
	s_or_b64 s[28:29], s[28:29], s[36:37]
	;; [unrolled: 1-line block ×3, first 2 shown]
	s_and_b64 s[20:21], s[20:21], exec
	s_and_b64 s[24:25], s[24:25], exec
.LBB108_240:                            ;   in Loop: Header=BB108_6 Depth=1
	s_or_b64 exec, exec, s[34:35]
	s_and_b64 vcc, exec, s[30:31]
	s_cbranch_vccz .LBB108_90
.LBB108_241:                            ;   in Loop: Header=BB108_6 Depth=1
	s_cmp_eq_u32 s70, 1
	s_cselect_b64 s[16:17], -1, 0
	s_and_b64 s[28:29], s[16:17], s[18:19]
	s_mov_b64 s[18:19], -1
                                        ; implicit-def: $sgpr30_sgpr31
                                        ; implicit-def: $sgpr34_sgpr35
                                        ; implicit-def: $sgpr22_sgpr23
	s_and_saveexec_b64 s[16:17], s[28:29]
	s_cbranch_execz .LBB108_267
; %bb.242:                              ;   in Loop: Header=BB108_6 Depth=1
	ds_read_b32 v2, v11 offset:4096
	s_waitcnt lgkmcnt(0)
	s_barrier
	v_readfirstlane_b32 s34, v2
	s_mov_b64 s[18:19], exec
	v_readlane_b32 s22, v54, 31
	v_readlane_b32 s23, v54, 32
	s_and_b64 s[22:23], s[18:19], s[22:23]
	s_mov_b64 exec, s[22:23]
	s_cbranch_execz .LBB108_244
; %bb.243:                              ;   in Loop: Header=BB108_6 Depth=1
	ds_write_b16 v20, v11
.LBB108_244:                            ;   in Loop: Header=BB108_6 Depth=1
	s_or_b64 exec, exec, s[18:19]
	v_or_b32_e32 v35, s68, v35
	v_or_b32_e32 v34, s68, v34
	s_cmp_eq_u32 s34, 0
	s_waitcnt lgkmcnt(0)
	s_barrier
	s_cbranch_scc1 .LBB108_253
; %bb.245:                              ;   in Loop: Header=BB108_6 Depth=1
	v_readlane_b32 s18, v54, 22
	s_add_i32 s18, s34, s18
	v_readlane_b32 s19, v54, 46
	s_mul_hi_u32 s19, s18, s19
	s_mul_i32 s19, s19, s72
	s_sub_i32 s19, s18, s19
	s_sub_i32 s22, s19, s72
	s_cmp_ge_u32 s19, s72
	s_cselect_b32 s19, s22, s19
	s_sub_i32 s22, s19, s72
	s_cmp_ge_u32 s19, s72
	s_cselect_b32 s19, s22, s19
	s_sub_i32 s35, s18, s19
	v_cmp_gt_u32_e32 vcc, s35, v0
	s_mov_b64 s[18:19], 0
                                        ; implicit-def: $vgpr36
	s_and_saveexec_b64 s[22:23], vcc
	s_cbranch_execz .LBB108_255
; %bb.246:                              ;   in Loop: Header=BB108_6 Depth=1
	s_mov_b64 s[26:27], 0
	v_mov_b32_e32 v2, v19
	v_mov_b32_e32 v3, v0
                                        ; implicit-def: $sgpr30_sgpr31
	s_branch .LBB108_248
.LBB108_247:                            ;   in Loop: Header=BB108_248 Depth=2
	s_or_b64 exec, exec, s[18:19]
	s_waitcnt lgkmcnt(0)
	s_barrier
	ds_read_b32 v4, v11 offset:3072
	v_add_u32_e32 v3, s72, v3
	v_cmp_le_u32_e64 s[18:19], s35, v3
	v_add_u32_e32 v2, s5, v2
	s_waitcnt lgkmcnt(0)
	v_and_b32_e32 v5, 0x7fff, v4
	v_cmp_ne_u16_e32 vcc, 0, v5
	s_or_b64 s[18:19], s[18:19], vcc
	s_and_b64 s[18:19], exec, s[18:19]
	s_or_b64 s[26:27], s[18:19], s[26:27]
	s_andn2_b64 s[18:19], s[30:31], exec
	s_and_b64 s[30:31], vcc, exec
	s_or_b64 s[30:31], s[18:19], s[30:31]
	s_barrier
	s_andn2_b64 exec, exec, s[26:27]
	s_cbranch_execz .LBB108_254
.LBB108_248:                            ;   Parent Loop BB108_6 Depth=1
                                        ; =>  This Inner Loop Header: Depth=2
	v_cmp_gt_u32_e32 vcc, s34, v3
	v_mov_b32_e32 v4, 0
	s_and_saveexec_b64 s[18:19], vcc
	s_cbranch_execz .LBB108_250
; %bb.249:                              ;   in Loop: Header=BB108_248 Depth=2
	ds_read_u16 v4, v2
.LBB108_250:                            ;   in Loop: Header=BB108_248 Depth=2
	s_or_b64 exec, exec, s[18:19]
	s_and_saveexec_b64 s[18:19], vcc
	s_cbranch_execz .LBB108_247
; %bb.251:                              ;   in Loop: Header=BB108_248 Depth=2
	s_waitcnt lgkmcnt(0)
	v_cmp_lt_i16_e32 vcc, -1, v4
	v_cndmask_b32_e32 v5, v29, v30, vcc
	v_lshlrev_b32_e32 v10, 16, v4
	v_xor_b32_sdwa v5, v5, v4 dst_sel:DWORD dst_unused:UNUSED_PAD src0_sel:DWORD src1_sel:WORD_0
	v_cmp_o_f32_e32 vcc, v10, v10
	v_cndmask_b32_e32 v5, v29, v5, vcc
	v_and_b32_e32 v5, v5, v34
	v_cmp_eq_u32_e32 vcc, v5, v35
	s_and_b64 exec, exec, vcc
	s_cbranch_execz .LBB108_247
; %bb.252:                              ;   in Loop: Header=BB108_248 Depth=2
	v_perm_b32 v4, v4, s12, v33
	ds_write_b32 v11, v4 offset:3072
	s_branch .LBB108_247
.LBB108_253:                            ;   in Loop: Header=BB108_6 Depth=1
	s_mov_b64 s[30:31], -1
	s_mov_b64 s[18:19], 0
                                        ; implicit-def: $sgpr34_sgpr35
                                        ; implicit-def: $vgpr36
	s_mov_b64 s[22:23], s[30:31]
	s_cbranch_execnz .LBB108_256
	s_branch .LBB108_266
.LBB108_254:                            ;   in Loop: Header=BB108_6 Depth=1
	s_or_b64 exec, exec, s[26:27]
	v_lshrrev_b32_e32 v36, 16, v4
	s_and_b64 s[18:19], s[30:31], exec
.LBB108_255:                            ;   in Loop: Header=BB108_6 Depth=1
	s_or_b64 exec, exec, s[22:23]
	s_mov_b64 s[30:31], 0
	s_mov_b64 s[34:35], -1
	s_mov_b64 s[22:23], s[30:31]
	s_branch .LBB108_266
.LBB108_256:                            ;   in Loop: Header=BB108_6 Depth=1
	s_mov_b64 s[18:19], 0
                                        ; implicit-def: $vgpr36
	s_mov_b64 s[22:23], exec
	v_readlane_b32 s26, v54, 47
	v_readlane_b32 s27, v54, 48
	s_and_b64 s[26:27], s[22:23], s[26:27]
	s_mov_b64 exec, s[26:27]
	s_cbranch_execz .LBB108_265
; %bb.257:                              ;   in Loop: Header=BB108_6 Depth=1
	s_mov_b64 s[26:27], 0
	v_mov_b32_e32 v10, v12
	v_mov_b32_e32 v2, v0
                                        ; implicit-def: $sgpr30_sgpr31
	s_branch .LBB108_259
.LBB108_258:                            ;   in Loop: Header=BB108_259 Depth=2
	s_or_b64 exec, exec, s[18:19]
	s_waitcnt lgkmcnt(0)
	s_barrier
	s_waitcnt vmcnt(0)
	ds_read_b32 v3, v11 offset:3072
	v_add_u32_e32 v2, s72, v2
	v_cmp_le_u32_e64 s[18:19], s74, v2
	v_add_u32_e32 v10, s6, v10
	s_waitcnt lgkmcnt(0)
	v_and_b32_e32 v4, 0x7fff, v3
	v_cmp_ne_u16_e32 vcc, 0, v4
	s_or_b64 s[18:19], s[18:19], vcc
	s_and_b64 s[18:19], exec, s[18:19]
	s_or_b64 s[26:27], s[18:19], s[26:27]
	s_andn2_b64 s[18:19], s[30:31], exec
	s_and_b64 s[30:31], vcc, exec
	s_or_b64 s[30:31], s[18:19], s[30:31]
	s_barrier
	s_andn2_b64 exec, exec, s[26:27]
	s_cbranch_execz .LBB108_264
.LBB108_259:                            ;   Parent Loop BB108_6 Depth=1
                                        ; =>  This Inner Loop Header: Depth=2
	v_cmp_gt_u32_e32 vcc, s60, v2
	v_mov_b32_e32 v3, 0
	s_and_saveexec_b64 s[34:35], vcc
	s_cbranch_execz .LBB108_261
; %bb.260:                              ;   in Loop: Header=BB108_259 Depth=2
	v_lshlrev_b64 v[4:5], 1, v[10:11]
	v_mov_b32_e32 v3, s7
	v_add_co_u32_e64 v4, s[18:19], s33, v4
	v_addc_co_u32_e64 v5, s[18:19], v3, v5, s[18:19]
	global_load_ushort v3, v[4:5], off
.LBB108_261:                            ;   in Loop: Header=BB108_259 Depth=2
	s_or_b64 exec, exec, s[34:35]
	s_and_saveexec_b64 s[18:19], vcc
	s_cbranch_execz .LBB108_258
; %bb.262:                              ;   in Loop: Header=BB108_259 Depth=2
	s_waitcnt vmcnt(0)
	v_cmp_lt_i16_e32 vcc, -1, v3
	v_cndmask_b32_e32 v4, v29, v30, vcc
	v_lshlrev_b32_e32 v5, 16, v3
	v_xor_b32_sdwa v4, v4, v3 dst_sel:DWORD dst_unused:UNUSED_PAD src0_sel:DWORD src1_sel:WORD_0
	v_cmp_o_f32_e32 vcc, v5, v5
	v_cndmask_b32_e32 v4, v29, v4, vcc
	v_and_b32_e32 v4, v4, v34
	v_cmp_eq_u32_e32 vcc, v4, v35
	s_and_b64 exec, exec, vcc
	s_cbranch_execz .LBB108_258
; %bb.263:                              ;   in Loop: Header=BB108_259 Depth=2
	v_perm_b32 v3, v3, s12, v33
	ds_write_b32 v11, v3 offset:3072
	s_branch .LBB108_258
.LBB108_264:                            ;   in Loop: Header=BB108_6 Depth=1
	s_or_b64 exec, exec, s[26:27]
	v_lshrrev_b32_e32 v36, 16, v3
	s_and_b64 s[18:19], s[30:31], exec
.LBB108_265:                            ;   in Loop: Header=BB108_6 Depth=1
	s_or_b64 exec, exec, s[22:23]
	s_mov_b64 s[34:35], 0
	s_mov_b64 s[30:31], -1
	s_mov_b64 s[22:23], 0
.LBB108_266:                            ;   in Loop: Header=BB108_6 Depth=1
	s_orn2_b64 s[18:19], s[18:19], exec
.LBB108_267:                            ;   in Loop: Header=BB108_6 Depth=1
	s_or_b64 exec, exec, s[16:17]
                                        ; implicit-def: $vgpr10
                                        ; implicit-def: $vgpr5
                                        ; implicit-def: $vgpr2
                                        ; implicit-def: $vgpr3
                                        ; implicit-def: $vgpr4
	s_and_saveexec_b64 s[26:27], s[18:19]
	s_cbranch_execz .LBB108_402
; %bb.268:                              ;   in Loop: Header=BB108_6 Depth=1
	s_xor_b64 s[28:29], s[28:29], -1
	s_mov_b64 s[18:19], 0
	v_mov_b32_e32 v5, 1
	v_mov_b32_e32 v10, 1
	s_and_saveexec_b64 s[16:17], s[28:29]
	s_cbranch_execz .LBB108_278
; %bb.269:                              ;   in Loop: Header=BB108_6 Depth=1
	v_cmp_ge_u32_e32 vcc, s70, v37
                                        ; implicit-def: $sgpr36
                                        ; implicit-def: $sgpr18_sgpr19
	s_and_saveexec_b64 s[28:29], vcc
	s_xor_b64 s[28:29], exec, s[28:29]
	s_cbranch_execz .LBB108_275
; %bb.270:                              ;   in Loop: Header=BB108_6 Depth=1
	ds_read_b32 v2, v11 offset:4096
	s_waitcnt lgkmcnt(0)
	v_cmp_ne_u32_e32 vcc, 0, v2
	s_cbranch_vccnz .LBB108_274
; %bb.271:                              ;   in Loop: Header=BB108_6 Depth=1
	s_mov_b64 s[18:19], exec
	v_readlane_b32 s36, v54, 5
	v_readlane_b32 s37, v54, 6
	s_and_b64 s[36:37], s[18:19], s[36:37]
	s_mov_b64 exec, s[36:37]
	s_cbranch_execz .LBB108_273
; %bb.272:                              ;   in Loop: Header=BB108_6 Depth=1
	v_mov_b32_e32 v2, s70
	ds_write_b32 v11, v2 offset:4100
.LBB108_273:                            ;   in Loop: Header=BB108_6 Depth=1
	s_or_b64 exec, exec, s[18:19]
	s_waitcnt lgkmcnt(0)
	s_barrier
.LBB108_274:                            ;   in Loop: Header=BB108_6 Depth=1
	v_or_b32_e32 v35, s68, v35
	v_or_b32_e32 v34, s68, v34
	s_mov_b64 s[18:19], 0
	s_mov_b32 s36, 5
.LBB108_275:                            ;   in Loop: Header=BB108_6 Depth=1
	s_or_saveexec_b64 s[28:29], s[28:29]
	v_mov_b32_e32 v10, s36
	s_xor_b64 exec, exec, s[28:29]
; %bb.276:                              ;   in Loop: Header=BB108_6 Depth=1
	v_subrev_u32_e32 v37, s70, v37
	v_mov_b32_e32 v10, 0
	s_or_b64 s[18:19], s[18:19], exec
; %bb.277:                              ;   in Loop: Header=BB108_6 Depth=1
	s_or_b64 exec, exec, s[28:29]
	s_and_b64 s[18:19], s[18:19], exec
	v_mov_b32_e32 v5, v37
.LBB108_278:                            ;   in Loop: Header=BB108_6 Depth=1
	s_or_b64 exec, exec, s[16:17]
	s_mov_b64 s[38:39], -1
                                        ; implicit-def: $sgpr16_sgpr17
                                        ; implicit-def: $sgpr36_sgpr37
                                        ; implicit-def: $sgpr42_sgpr43
	s_and_saveexec_b64 s[28:29], s[18:19]
	s_xor_b64 s[28:29], exec, s[28:29]
	s_cbranch_execz .LBB108_399
; %bb.279:                              ;   in Loop: Header=BB108_6 Depth=1
	s_cmp_eq_u32 s63, 1
	s_cselect_b64 s[16:17], -1, 0
	v_cmp_eq_u32_e32 vcc, 1, v5
	s_and_b64 s[44:45], s[16:17], vcc
	s_mov_b64 s[46:47], -1
                                        ; implicit-def: $sgpr36_sgpr37
                                        ; implicit-def: $sgpr38_sgpr39
                                        ; implicit-def: $sgpr40_sgpr41
	s_and_saveexec_b64 s[16:17], s[44:45]
	s_cbranch_execz .LBB108_305
; %bb.280:                              ;   in Loop: Header=BB108_6 Depth=1
	ds_read_b32 v2, v11 offset:4096
	s_waitcnt lgkmcnt(0)
	s_barrier
	v_readfirstlane_b32 s42, v2
	s_mov_b64 s[18:19], exec
	v_readlane_b32 s36, v54, 31
	v_readlane_b32 s37, v54, 32
	s_and_b64 s[36:37], s[18:19], s[36:37]
	s_mov_b64 exec, s[36:37]
	s_cbranch_execz .LBB108_282
; %bb.281:                              ;   in Loop: Header=BB108_6 Depth=1
	ds_write_b16 v20, v11
.LBB108_282:                            ;   in Loop: Header=BB108_6 Depth=1
	s_or_b64 exec, exec, s[18:19]
	v_and_b32_e32 v2, s10, v35
	v_lshl_or_b32 v35, 2, s62, v2
	v_or_b32_e32 v34, s68, v34
	s_cmp_eq_u32 s42, 0
	s_waitcnt lgkmcnt(0)
	s_barrier
	s_cbranch_scc1 .LBB108_291
; %bb.283:                              ;   in Loop: Header=BB108_6 Depth=1
	v_readlane_b32 s18, v54, 22
	s_add_i32 s18, s42, s18
	v_readlane_b32 s19, v54, 46
	s_mul_hi_u32 s19, s18, s19
	s_mul_i32 s19, s19, s72
	s_sub_i32 s19, s18, s19
	s_sub_i32 s36, s19, s72
	s_cmp_ge_u32 s19, s72
	s_cselect_b32 s19, s36, s19
	s_sub_i32 s36, s19, s72
	s_cmp_ge_u32 s19, s72
	s_cselect_b32 s19, s36, s19
	s_sub_i32 s43, s18, s19
	v_cmp_gt_u32_e32 vcc, s43, v0
	s_mov_b64 s[18:19], 0
                                        ; implicit-def: $vgpr36
	s_and_saveexec_b64 s[36:37], vcc
	s_cbranch_execz .LBB108_293
; %bb.284:                              ;   in Loop: Header=BB108_6 Depth=1
	s_mov_b64 s[38:39], 0
	v_mov_b32_e32 v2, v19
	v_mov_b32_e32 v3, v0
                                        ; implicit-def: $sgpr40_sgpr41
	s_branch .LBB108_286
.LBB108_285:                            ;   in Loop: Header=BB108_286 Depth=2
	s_or_b64 exec, exec, s[18:19]
	s_waitcnt lgkmcnt(0)
	s_barrier
	ds_read_b32 v4, v11 offset:3072
	v_add_u32_e32 v3, s72, v3
	v_cmp_le_u32_e64 s[18:19], s43, v3
	v_add_u32_e32 v2, s5, v2
	s_waitcnt lgkmcnt(0)
	v_and_b32_e32 v10, 0x7fff, v4
	v_cmp_ne_u16_e32 vcc, 0, v10
	s_or_b64 s[18:19], s[18:19], vcc
	s_and_b64 s[18:19], exec, s[18:19]
	s_or_b64 s[38:39], s[18:19], s[38:39]
	s_andn2_b64 s[18:19], s[40:41], exec
	s_and_b64 s[40:41], vcc, exec
	s_or_b64 s[40:41], s[18:19], s[40:41]
	s_barrier
	s_andn2_b64 exec, exec, s[38:39]
	s_cbranch_execz .LBB108_292
.LBB108_286:                            ;   Parent Loop BB108_6 Depth=1
                                        ; =>  This Inner Loop Header: Depth=2
	v_cmp_gt_u32_e32 vcc, s42, v3
	v_mov_b32_e32 v4, 0
	s_and_saveexec_b64 s[18:19], vcc
	s_cbranch_execz .LBB108_288
; %bb.287:                              ;   in Loop: Header=BB108_286 Depth=2
	ds_read_u16 v4, v2
.LBB108_288:                            ;   in Loop: Header=BB108_286 Depth=2
	s_or_b64 exec, exec, s[18:19]
	s_and_saveexec_b64 s[18:19], vcc
	s_cbranch_execz .LBB108_285
; %bb.289:                              ;   in Loop: Header=BB108_286 Depth=2
	s_waitcnt lgkmcnt(0)
	v_cmp_lt_i16_e32 vcc, -1, v4
	v_cndmask_b32_e32 v10, v29, v30, vcc
	v_lshlrev_b32_e32 v36, 16, v4
	v_xor_b32_sdwa v10, v10, v4 dst_sel:DWORD dst_unused:UNUSED_PAD src0_sel:DWORD src1_sel:WORD_0
	v_cmp_o_f32_e32 vcc, v36, v36
	v_cndmask_b32_e32 v10, v29, v10, vcc
	v_and_b32_e32 v10, v10, v34
	v_cmp_eq_u32_e32 vcc, v10, v35
	s_and_b64 exec, exec, vcc
	s_cbranch_execz .LBB108_285
; %bb.290:                              ;   in Loop: Header=BB108_286 Depth=2
	v_perm_b32 v4, v4, s12, v33
	ds_write_b32 v11, v4 offset:3072
	s_branch .LBB108_285
.LBB108_291:                            ;   in Loop: Header=BB108_6 Depth=1
	s_mov_b64 s[36:37], -1
	s_mov_b64 s[18:19], 0
                                        ; implicit-def: $sgpr38_sgpr39
                                        ; implicit-def: $vgpr36
	s_mov_b64 s[40:41], s[36:37]
	s_cbranch_execnz .LBB108_294
	s_branch .LBB108_304
.LBB108_292:                            ;   in Loop: Header=BB108_6 Depth=1
	s_or_b64 exec, exec, s[38:39]
	v_lshrrev_b32_e32 v36, 16, v4
	s_and_b64 s[18:19], s[40:41], exec
.LBB108_293:                            ;   in Loop: Header=BB108_6 Depth=1
	s_or_b64 exec, exec, s[36:37]
	s_mov_b64 s[36:37], 0
	s_mov_b64 s[38:39], -1
	s_mov_b64 s[40:41], s[36:37]
	s_branch .LBB108_304
.LBB108_294:                            ;   in Loop: Header=BB108_6 Depth=1
	s_mov_b64 s[18:19], 0
                                        ; implicit-def: $vgpr36
	s_mov_b64 s[36:37], exec
	v_readlane_b32 s38, v54, 47
	v_readlane_b32 s39, v54, 48
	s_and_b64 s[38:39], s[36:37], s[38:39]
	s_mov_b64 exec, s[38:39]
	s_cbranch_execz .LBB108_303
; %bb.295:                              ;   in Loop: Header=BB108_6 Depth=1
	s_mov_b64 s[38:39], 0
	v_mov_b32_e32 v10, v12
	v_mov_b32_e32 v2, v0
                                        ; implicit-def: $sgpr40_sgpr41
	s_branch .LBB108_297
.LBB108_296:                            ;   in Loop: Header=BB108_297 Depth=2
	s_or_b64 exec, exec, s[18:19]
	s_waitcnt lgkmcnt(0)
	s_barrier
	s_waitcnt vmcnt(0)
	ds_read_b32 v3, v11 offset:3072
	v_add_u32_e32 v2, s72, v2
	v_cmp_le_u32_e64 s[18:19], s74, v2
	v_add_u32_e32 v10, s6, v10
	s_waitcnt lgkmcnt(0)
	v_and_b32_e32 v4, 0x7fff, v3
	v_cmp_ne_u16_e32 vcc, 0, v4
	s_or_b64 s[18:19], s[18:19], vcc
	s_and_b64 s[18:19], exec, s[18:19]
	s_or_b64 s[38:39], s[18:19], s[38:39]
	s_andn2_b64 s[18:19], s[40:41], exec
	s_and_b64 s[40:41], vcc, exec
	s_or_b64 s[40:41], s[18:19], s[40:41]
	s_barrier
	s_andn2_b64 exec, exec, s[38:39]
	s_cbranch_execz .LBB108_302
.LBB108_297:                            ;   Parent Loop BB108_6 Depth=1
                                        ; =>  This Inner Loop Header: Depth=2
	v_cmp_gt_u32_e32 vcc, s60, v2
	v_mov_b32_e32 v3, 0
	s_and_saveexec_b64 s[42:43], vcc
	s_cbranch_execz .LBB108_299
; %bb.298:                              ;   in Loop: Header=BB108_297 Depth=2
	v_lshlrev_b64 v[36:37], 1, v[10:11]
	v_mov_b32_e32 v3, s7
	v_add_co_u32_e64 v36, s[18:19], s33, v36
	v_addc_co_u32_e64 v37, s[18:19], v3, v37, s[18:19]
	global_load_ushort v3, v[36:37], off
.LBB108_299:                            ;   in Loop: Header=BB108_297 Depth=2
	s_or_b64 exec, exec, s[42:43]
	s_and_saveexec_b64 s[18:19], vcc
	s_cbranch_execz .LBB108_296
; %bb.300:                              ;   in Loop: Header=BB108_297 Depth=2
	s_waitcnt vmcnt(0)
	v_cmp_lt_i16_e32 vcc, -1, v3
	v_cndmask_b32_e32 v4, v29, v30, vcc
	v_lshlrev_b32_e32 v36, 16, v3
	v_xor_b32_sdwa v4, v4, v3 dst_sel:DWORD dst_unused:UNUSED_PAD src0_sel:DWORD src1_sel:WORD_0
	v_cmp_o_f32_e32 vcc, v36, v36
	v_cndmask_b32_e32 v4, v29, v4, vcc
	v_and_b32_e32 v4, v4, v34
	v_cmp_eq_u32_e32 vcc, v4, v35
	s_and_b64 exec, exec, vcc
	s_cbranch_execz .LBB108_296
; %bb.301:                              ;   in Loop: Header=BB108_297 Depth=2
	v_perm_b32 v3, v3, s12, v33
	ds_write_b32 v11, v3 offset:3072
	s_branch .LBB108_296
.LBB108_302:                            ;   in Loop: Header=BB108_6 Depth=1
	s_or_b64 exec, exec, s[38:39]
	v_lshrrev_b32_e32 v36, 16, v3
	s_and_b64 s[18:19], s[40:41], exec
.LBB108_303:                            ;   in Loop: Header=BB108_6 Depth=1
	s_or_b64 exec, exec, s[36:37]
	s_mov_b64 s[38:39], 0
	s_mov_b64 s[36:37], -1
	s_mov_b64 s[40:41], 0
.LBB108_304:                            ;   in Loop: Header=BB108_6 Depth=1
	s_orn2_b64 s[46:47], s[18:19], exec
.LBB108_305:                            ;   in Loop: Header=BB108_6 Depth=1
	s_or_b64 exec, exec, s[16:17]
	s_mov_b64 s[18:19], 0
                                        ; implicit-def: $vgpr10
	s_and_saveexec_b64 s[42:43], s[46:47]
	s_cbranch_execz .LBB108_398
; %bb.306:                              ;   in Loop: Header=BB108_6 Depth=1
	s_xor_b64 s[18:19], s[44:45], -1
	s_mov_b64 s[48:49], 0
	v_mov_b32_e32 v2, 1
	v_mov_b32_e32 v10, 1
	s_and_saveexec_b64 s[16:17], s[18:19]
	s_cbranch_execz .LBB108_316
; %bb.307:                              ;   in Loop: Header=BB108_6 Depth=1
	v_cmp_ge_u32_e32 vcc, s63, v5
                                        ; implicit-def: $sgpr46
                                        ; implicit-def: $sgpr18_sgpr19
	s_and_saveexec_b64 s[44:45], vcc
	s_xor_b64 s[44:45], exec, s[44:45]
	s_cbranch_execz .LBB108_313
; %bb.308:                              ;   in Loop: Header=BB108_6 Depth=1
	ds_read_b32 v2, v11 offset:4096
	s_waitcnt lgkmcnt(0)
	v_cmp_ne_u32_e32 vcc, 0, v2
	s_cbranch_vccnz .LBB108_312
; %bb.309:                              ;   in Loop: Header=BB108_6 Depth=1
	s_mov_b64 s[18:19], exec
	v_readlane_b32 s46, v54, 5
	v_readlane_b32 s47, v54, 6
	s_and_b64 s[46:47], s[18:19], s[46:47]
	s_mov_b64 exec, s[46:47]
	s_cbranch_execz .LBB108_311
; %bb.310:                              ;   in Loop: Header=BB108_6 Depth=1
	v_mov_b32_e32 v2, s63
	ds_write_b32 v11, v2 offset:4100
.LBB108_311:                            ;   in Loop: Header=BB108_6 Depth=1
	s_or_b64 exec, exec, s[18:19]
	s_waitcnt lgkmcnt(0)
	s_barrier
.LBB108_312:                            ;   in Loop: Header=BB108_6 Depth=1
	v_and_b32_e32 v2, s10, v35
	v_lshl_or_b32 v35, 2, s62, v2
	v_or_b32_e32 v34, s68, v34
	s_mov_b64 s[18:19], 0
	s_mov_b32 s46, 5
.LBB108_313:                            ;   in Loop: Header=BB108_6 Depth=1
	s_or_saveexec_b64 s[44:45], s[44:45]
	v_mov_b32_e32 v10, s46
	s_xor_b64 exec, exec, s[44:45]
; %bb.314:                              ;   in Loop: Header=BB108_6 Depth=1
	v_subrev_u32_e32 v5, s63, v5
	v_mov_b32_e32 v10, 0
	s_or_b64 s[18:19], s[18:19], exec
; %bb.315:                              ;   in Loop: Header=BB108_6 Depth=1
	s_or_b64 exec, exec, s[44:45]
	s_and_b64 s[48:49], s[18:19], exec
	v_mov_b32_e32 v2, v5
.LBB108_316:                            ;   in Loop: Header=BB108_6 Depth=1
	s_or_b64 exec, exec, s[16:17]
	s_mov_b64 s[16:17], -1
                                        ; implicit-def: $sgpr18_sgpr19
                                        ; implicit-def: $sgpr46_sgpr47
                                        ; implicit-def: $sgpr52_sgpr53
	s_and_saveexec_b64 s[44:45], s[48:49]
	s_cbranch_execz .LBB108_397
; %bb.317:                              ;   in Loop: Header=BB108_6 Depth=1
	s_cmp_eq_u32 s11, 1
	s_cselect_b64 s[16:17], -1, 0
	v_cmp_eq_u32_e32 vcc, 1, v2
	s_and_b64 s[54:55], s[16:17], vcc
	s_mov_b64 s[18:19], -1
                                        ; implicit-def: $sgpr46_sgpr47
                                        ; implicit-def: $sgpr48_sgpr49
                                        ; implicit-def: $sgpr50_sgpr51
	s_and_saveexec_b64 s[16:17], s[54:55]
	s_cbranch_execz .LBB108_343
; %bb.318:                              ;   in Loop: Header=BB108_6 Depth=1
	ds_read_b32 v3, v11 offset:4096
	s_waitcnt lgkmcnt(0)
	s_barrier
	v_readfirstlane_b32 s52, v3
	s_mov_b64 s[18:19], exec
	v_readlane_b32 s46, v54, 31
	v_readlane_b32 s47, v54, 32
	s_and_b64 s[46:47], s[18:19], s[46:47]
	s_mov_b64 exec, s[46:47]
	s_cbranch_execz .LBB108_320
; %bb.319:                              ;   in Loop: Header=BB108_6 Depth=1
	ds_write_b16 v20, v11
.LBB108_320:                            ;   in Loop: Header=BB108_6 Depth=1
	s_or_b64 exec, exec, s[18:19]
	v_and_b32_e32 v3, s10, v35
	v_lshl_or_b32 v35, 1, s62, v3
	v_or_b32_e32 v34, s68, v34
	s_cmp_eq_u32 s52, 0
	s_waitcnt lgkmcnt(0)
	s_barrier
	s_cbranch_scc1 .LBB108_329
; %bb.321:                              ;   in Loop: Header=BB108_6 Depth=1
	v_readlane_b32 s18, v54, 22
	s_add_i32 s18, s52, s18
	v_readlane_b32 s19, v54, 46
	s_mul_hi_u32 s19, s18, s19
	s_mul_i32 s19, s19, s72
	s_sub_i32 s19, s18, s19
	s_sub_i32 s46, s19, s72
	s_cmp_ge_u32 s19, s72
	s_cselect_b32 s19, s46, s19
	s_sub_i32 s46, s19, s72
	s_cmp_ge_u32 s19, s72
	s_cselect_b32 s19, s46, s19
	s_sub_i32 s53, s18, s19
	v_cmp_gt_u32_e32 vcc, s53, v0
	s_mov_b64 s[18:19], 0
                                        ; implicit-def: $vgpr36
	s_and_saveexec_b64 s[46:47], vcc
	s_cbranch_execz .LBB108_331
; %bb.322:                              ;   in Loop: Header=BB108_6 Depth=1
	s_mov_b64 s[48:49], 0
	v_mov_b32_e32 v3, v19
	v_mov_b32_e32 v4, v0
                                        ; implicit-def: $sgpr50_sgpr51
	s_branch .LBB108_324
.LBB108_323:                            ;   in Loop: Header=BB108_324 Depth=2
	s_or_b64 exec, exec, s[18:19]
	s_waitcnt lgkmcnt(0)
	s_barrier
	ds_read_b32 v5, v11 offset:3072
	v_add_u32_e32 v4, s72, v4
	v_cmp_le_u32_e64 s[18:19], s53, v4
	v_add_u32_e32 v3, s5, v3
	s_waitcnt lgkmcnt(0)
	v_and_b32_e32 v10, 0x7fff, v5
	v_cmp_ne_u16_e32 vcc, 0, v10
	s_or_b64 s[18:19], s[18:19], vcc
	s_and_b64 s[18:19], exec, s[18:19]
	s_or_b64 s[48:49], s[18:19], s[48:49]
	s_andn2_b64 s[18:19], s[50:51], exec
	s_and_b64 s[50:51], vcc, exec
	s_or_b64 s[50:51], s[18:19], s[50:51]
	s_barrier
	s_andn2_b64 exec, exec, s[48:49]
	s_cbranch_execz .LBB108_330
.LBB108_324:                            ;   Parent Loop BB108_6 Depth=1
                                        ; =>  This Inner Loop Header: Depth=2
	v_cmp_gt_u32_e32 vcc, s52, v4
	v_mov_b32_e32 v5, 0
	s_and_saveexec_b64 s[18:19], vcc
	s_cbranch_execz .LBB108_326
; %bb.325:                              ;   in Loop: Header=BB108_324 Depth=2
	ds_read_u16 v5, v3
.LBB108_326:                            ;   in Loop: Header=BB108_324 Depth=2
	s_or_b64 exec, exec, s[18:19]
	s_and_saveexec_b64 s[18:19], vcc
	s_cbranch_execz .LBB108_323
; %bb.327:                              ;   in Loop: Header=BB108_324 Depth=2
	s_waitcnt lgkmcnt(0)
	v_cmp_lt_i16_e32 vcc, -1, v5
	v_cndmask_b32_e32 v10, v29, v30, vcc
	v_lshlrev_b32_e32 v36, 16, v5
	v_xor_b32_sdwa v10, v10, v5 dst_sel:DWORD dst_unused:UNUSED_PAD src0_sel:DWORD src1_sel:WORD_0
	v_cmp_o_f32_e32 vcc, v36, v36
	v_cndmask_b32_e32 v10, v29, v10, vcc
	v_and_b32_e32 v10, v10, v34
	v_cmp_eq_u32_e32 vcc, v10, v35
	s_and_b64 exec, exec, vcc
	s_cbranch_execz .LBB108_323
; %bb.328:                              ;   in Loop: Header=BB108_324 Depth=2
	v_perm_b32 v5, v5, s12, v33
	ds_write_b32 v11, v5 offset:3072
	s_branch .LBB108_323
.LBB108_329:                            ;   in Loop: Header=BB108_6 Depth=1
	s_mov_b64 s[46:47], -1
	s_mov_b64 s[18:19], 0
                                        ; implicit-def: $sgpr48_sgpr49
                                        ; implicit-def: $vgpr36
	s_mov_b64 s[50:51], s[46:47]
	s_cbranch_execnz .LBB108_332
	s_branch .LBB108_342
.LBB108_330:                            ;   in Loop: Header=BB108_6 Depth=1
	s_or_b64 exec, exec, s[48:49]
	v_lshrrev_b32_e32 v36, 16, v5
	s_and_b64 s[18:19], s[50:51], exec
.LBB108_331:                            ;   in Loop: Header=BB108_6 Depth=1
	s_or_b64 exec, exec, s[46:47]
	s_mov_b64 s[46:47], 0
	s_mov_b64 s[48:49], -1
	s_mov_b64 s[50:51], s[46:47]
	s_branch .LBB108_342
.LBB108_332:                            ;   in Loop: Header=BB108_6 Depth=1
	s_mov_b64 s[18:19], 0
                                        ; implicit-def: $vgpr36
	s_mov_b64 s[46:47], exec
	v_readlane_b32 s48, v54, 47
	v_readlane_b32 s49, v54, 48
	s_and_b64 s[48:49], s[46:47], s[48:49]
	s_mov_b64 exec, s[48:49]
	s_cbranch_execz .LBB108_341
; %bb.333:                              ;   in Loop: Header=BB108_6 Depth=1
	s_mov_b64 s[48:49], 0
	v_mov_b32_e32 v10, v12
	v_mov_b32_e32 v3, v0
                                        ; implicit-def: $sgpr50_sgpr51
	s_branch .LBB108_335
.LBB108_334:                            ;   in Loop: Header=BB108_335 Depth=2
	s_or_b64 exec, exec, s[18:19]
	s_waitcnt lgkmcnt(0)
	s_barrier
	s_waitcnt vmcnt(0)
	ds_read_b32 v4, v11 offset:3072
	v_add_u32_e32 v3, s72, v3
	v_cmp_le_u32_e64 s[18:19], s74, v3
	v_add_u32_e32 v10, s6, v10
	s_waitcnt lgkmcnt(0)
	v_and_b32_e32 v5, 0x7fff, v4
	v_cmp_ne_u16_e32 vcc, 0, v5
	s_or_b64 s[18:19], s[18:19], vcc
	s_and_b64 s[18:19], exec, s[18:19]
	s_or_b64 s[48:49], s[18:19], s[48:49]
	s_andn2_b64 s[18:19], s[50:51], exec
	s_and_b64 s[50:51], vcc, exec
	s_or_b64 s[50:51], s[18:19], s[50:51]
	s_barrier
	s_andn2_b64 exec, exec, s[48:49]
	s_cbranch_execz .LBB108_340
.LBB108_335:                            ;   Parent Loop BB108_6 Depth=1
                                        ; =>  This Inner Loop Header: Depth=2
	v_cmp_gt_u32_e32 vcc, s60, v3
	v_mov_b32_e32 v4, 0
	s_and_saveexec_b64 s[52:53], vcc
	s_cbranch_execz .LBB108_337
; %bb.336:                              ;   in Loop: Header=BB108_335 Depth=2
	v_lshlrev_b64 v[4:5], 1, v[10:11]
	v_mov_b32_e32 v36, s7
	v_add_co_u32_e64 v4, s[18:19], s33, v4
	v_addc_co_u32_e64 v5, s[18:19], v36, v5, s[18:19]
	global_load_ushort v4, v[4:5], off
.LBB108_337:                            ;   in Loop: Header=BB108_335 Depth=2
	s_or_b64 exec, exec, s[52:53]
	s_and_saveexec_b64 s[18:19], vcc
	s_cbranch_execz .LBB108_334
; %bb.338:                              ;   in Loop: Header=BB108_335 Depth=2
	s_waitcnt vmcnt(0)
	v_cmp_lt_i16_e32 vcc, -1, v4
	v_cndmask_b32_e32 v5, v29, v30, vcc
	v_lshlrev_b32_e32 v36, 16, v4
	v_xor_b32_sdwa v5, v5, v4 dst_sel:DWORD dst_unused:UNUSED_PAD src0_sel:DWORD src1_sel:WORD_0
	v_cmp_o_f32_e32 vcc, v36, v36
	v_cndmask_b32_e32 v5, v29, v5, vcc
	v_and_b32_e32 v5, v5, v34
	v_cmp_eq_u32_e32 vcc, v5, v35
	s_and_b64 exec, exec, vcc
	s_cbranch_execz .LBB108_334
; %bb.339:                              ;   in Loop: Header=BB108_335 Depth=2
	v_perm_b32 v4, v4, s12, v33
	ds_write_b32 v11, v4 offset:3072
	s_branch .LBB108_334
.LBB108_340:                            ;   in Loop: Header=BB108_6 Depth=1
	s_or_b64 exec, exec, s[48:49]
	v_lshrrev_b32_e32 v36, 16, v4
	s_and_b64 s[18:19], s[50:51], exec
.LBB108_341:                            ;   in Loop: Header=BB108_6 Depth=1
	s_or_b64 exec, exec, s[46:47]
	s_mov_b64 s[48:49], 0
	s_mov_b64 s[46:47], -1
	s_mov_b64 s[50:51], 0
.LBB108_342:                            ;   in Loop: Header=BB108_6 Depth=1
	s_orn2_b64 s[18:19], s[18:19], exec
.LBB108_343:                            ;   in Loop: Header=BB108_6 Depth=1
	s_or_b64 exec, exec, s[16:17]
	s_mov_b64 s[16:17], 0
                                        ; implicit-def: $vgpr10
	s_and_saveexec_b64 s[52:53], s[18:19]
	s_cbranch_execz .LBB108_396
; %bb.344:                              ;   in Loop: Header=BB108_6 Depth=1
	s_xor_b64 s[18:19], s[54:55], -1
	s_mov_b64 s[56:57], 0
	v_mov_b32_e32 v3, 1
	v_mov_b32_e32 v10, 1
	s_and_saveexec_b64 s[16:17], s[18:19]
	s_cbranch_execz .LBB108_354
; %bb.345:                              ;   in Loop: Header=BB108_6 Depth=1
	v_cmp_ge_u32_e32 vcc, s11, v2
                                        ; implicit-def: $sgpr56
                                        ; implicit-def: $sgpr18_sgpr19
	s_and_saveexec_b64 s[54:55], vcc
	s_xor_b64 s[54:55], exec, s[54:55]
	s_cbranch_execz .LBB108_351
; %bb.346:                              ;   in Loop: Header=BB108_6 Depth=1
	ds_read_b32 v3, v11 offset:4096
	s_waitcnt lgkmcnt(0)
	v_cmp_ne_u32_e32 vcc, 0, v3
	s_cbranch_vccnz .LBB108_350
; %bb.347:                              ;   in Loop: Header=BB108_6 Depth=1
	s_mov_b64 s[18:19], exec
	v_readlane_b32 s56, v54, 5
	v_readlane_b32 s57, v54, 6
	s_and_b64 s[56:57], s[18:19], s[56:57]
	s_mov_b64 exec, s[56:57]
	s_cbranch_execz .LBB108_349
; %bb.348:                              ;   in Loop: Header=BB108_6 Depth=1
	v_mov_b32_e32 v3, s11
	ds_write_b32 v11, v3 offset:4100
.LBB108_349:                            ;   in Loop: Header=BB108_6 Depth=1
	s_or_b64 exec, exec, s[18:19]
	s_waitcnt lgkmcnt(0)
	s_barrier
.LBB108_350:                            ;   in Loop: Header=BB108_6 Depth=1
	v_and_b32_e32 v3, s10, v35
	v_lshl_or_b32 v35, 1, s62, v3
	v_or_b32_e32 v34, s68, v34
	s_mov_b64 s[18:19], 0
	s_mov_b32 s56, 5
.LBB108_351:                            ;   in Loop: Header=BB108_6 Depth=1
	s_or_saveexec_b64 s[54:55], s[54:55]
	v_mov_b32_e32 v10, s56
	s_xor_b64 exec, exec, s[54:55]
; %bb.352:                              ;   in Loop: Header=BB108_6 Depth=1
	v_subrev_u32_e32 v2, s11, v2
	v_mov_b32_e32 v10, 0
	s_or_b64 s[18:19], s[18:19], exec
; %bb.353:                              ;   in Loop: Header=BB108_6 Depth=1
	s_or_b64 exec, exec, s[54:55]
	s_and_b64 s[56:57], s[18:19], exec
	v_mov_b32_e32 v3, v2
.LBB108_354:                            ;   in Loop: Header=BB108_6 Depth=1
	s_or_b64 exec, exec, s[16:17]
	s_mov_b64 s[16:17], -1
                                        ; implicit-def: $sgpr18_sgpr19
                                        ; implicit-def: $sgpr58_sgpr59
                                        ; implicit-def: $sgpr76_sgpr77
	s_and_saveexec_b64 s[54:55], s[56:57]
	s_cbranch_execz .LBB108_395
; %bb.355:                              ;   in Loop: Header=BB108_6 Depth=1
	s_cmp_eq_u32 s69, 1
	s_cselect_b64 s[16:17], -1, 0
	v_cmp_eq_u32_e32 vcc, 1, v3
	s_and_b64 s[56:57], s[16:17], vcc
	s_mov_b64 s[78:79], -1
                                        ; implicit-def: $sgpr18_sgpr19
                                        ; implicit-def: $sgpr58_sgpr59
                                        ; implicit-def: $sgpr76_sgpr77
	s_and_saveexec_b64 s[16:17], s[56:57]
	s_cbranch_execz .LBB108_382
; %bb.356:                              ;   in Loop: Header=BB108_6 Depth=1
	ds_read_b32 v2, v11 offset:4096
	s_waitcnt lgkmcnt(0)
	s_barrier
	v_readfirstlane_b32 s11, v2
	s_mov_b64 s[18:19], exec
	v_readlane_b32 s58, v54, 31
	v_readlane_b32 s59, v54, 32
	s_and_b64 s[58:59], s[18:19], s[58:59]
	s_mov_b64 exec, s[58:59]
	s_cbranch_execz .LBB108_358
; %bb.357:                              ;   in Loop: Header=BB108_6 Depth=1
	ds_write_b16 v20, v11
.LBB108_358:                            ;   in Loop: Header=BB108_6 Depth=1
	s_or_b64 exec, exec, s[18:19]
	v_and_b32_e32 v35, s10, v35
	v_or_b32_e32 v34, s68, v34
	s_cmp_eq_u32 s11, 0
	s_waitcnt lgkmcnt(0)
	s_barrier
	s_cbranch_scc1 .LBB108_367
; %bb.359:                              ;   in Loop: Header=BB108_6 Depth=1
	v_readlane_b32 s18, v54, 22
	s_add_i32 s18, s11, s18
	v_readlane_b32 s19, v54, 46
	s_mul_hi_u32 s19, s18, s19
	s_mul_i32 s19, s19, s72
	s_sub_i32 s19, s18, s19
	s_sub_i32 s58, s19, s72
	s_cmp_ge_u32 s19, s72
	s_cselect_b32 s19, s58, s19
	s_sub_i32 s58, s19, s72
	s_cmp_ge_u32 s19, s72
	s_cselect_b32 s19, s58, s19
	s_sub_i32 s62, s18, s19
	v_cmp_gt_u32_e32 vcc, s62, v0
	s_mov_b64 s[78:79], 0
                                        ; implicit-def: $vgpr36
	s_and_saveexec_b64 s[58:59], vcc
	s_cbranch_execz .LBB108_369
; %bb.360:                              ;   in Loop: Header=BB108_6 Depth=1
	s_mov_b64 s[76:77], 0
	v_mov_b32_e32 v2, v19
	v_mov_b32_e32 v4, v0
                                        ; implicit-def: $sgpr78_sgpr79
	s_branch .LBB108_362
.LBB108_361:                            ;   in Loop: Header=BB108_362 Depth=2
	s_or_b64 exec, exec, s[18:19]
	s_waitcnt lgkmcnt(0)
	s_barrier
	ds_read_b32 v5, v11 offset:3072
	v_add_u32_e32 v4, s72, v4
	v_cmp_le_u32_e64 s[18:19], s62, v4
	v_add_u32_e32 v2, s5, v2
	s_waitcnt lgkmcnt(0)
	v_and_b32_e32 v10, 0x7fff, v5
	v_cmp_ne_u16_e32 vcc, 0, v10
	s_or_b64 s[18:19], s[18:19], vcc
	s_and_b64 s[18:19], exec, s[18:19]
	s_or_b64 s[76:77], s[18:19], s[76:77]
	s_andn2_b64 s[18:19], s[78:79], exec
	s_and_b64 s[70:71], vcc, exec
	s_or_b64 s[78:79], s[18:19], s[70:71]
	s_barrier
	s_andn2_b64 exec, exec, s[76:77]
	s_cbranch_execz .LBB108_368
.LBB108_362:                            ;   Parent Loop BB108_6 Depth=1
                                        ; =>  This Inner Loop Header: Depth=2
	v_cmp_gt_u32_e32 vcc, s11, v4
	v_mov_b32_e32 v5, 0
	s_and_saveexec_b64 s[18:19], vcc
	s_cbranch_execz .LBB108_364
; %bb.363:                              ;   in Loop: Header=BB108_362 Depth=2
	ds_read_u16 v5, v2
.LBB108_364:                            ;   in Loop: Header=BB108_362 Depth=2
	s_or_b64 exec, exec, s[18:19]
	s_and_saveexec_b64 s[18:19], vcc
	s_cbranch_execz .LBB108_361
; %bb.365:                              ;   in Loop: Header=BB108_362 Depth=2
	s_waitcnt lgkmcnt(0)
	v_cmp_lt_i16_e32 vcc, -1, v5
	v_cndmask_b32_e32 v10, v29, v30, vcc
	v_lshlrev_b32_e32 v36, 16, v5
	v_xor_b32_sdwa v10, v10, v5 dst_sel:DWORD dst_unused:UNUSED_PAD src0_sel:DWORD src1_sel:WORD_0
	v_cmp_o_f32_e32 vcc, v36, v36
	v_cndmask_b32_e32 v10, v29, v10, vcc
	v_and_b32_e32 v10, v10, v34
	v_cmp_eq_u32_e32 vcc, v10, v35
	s_and_b64 exec, exec, vcc
	s_cbranch_execz .LBB108_361
; %bb.366:                              ;   in Loop: Header=BB108_362 Depth=2
	v_perm_b32 v5, v5, s12, v33
	ds_write_b32 v11, v5 offset:3072
	s_branch .LBB108_361
.LBB108_367:                            ;   in Loop: Header=BB108_6 Depth=1
	s_mov_b64 s[18:19], -1
	s_mov_b64 s[78:79], 0
                                        ; implicit-def: $sgpr58_sgpr59
                                        ; implicit-def: $vgpr36
	s_branch .LBB108_370
.LBB108_368:                            ;   in Loop: Header=BB108_6 Depth=1
	s_or_b64 exec, exec, s[76:77]
	v_lshrrev_b32_e32 v36, 16, v5
	s_and_b64 s[78:79], s[78:79], exec
.LBB108_369:                            ;   in Loop: Header=BB108_6 Depth=1
	s_or_b64 exec, exec, s[58:59]
	s_mov_b64 s[18:19], 0
	s_mov_b64 s[58:59], -1
.LBB108_370:                            ;   in Loop: Header=BB108_6 Depth=1
	s_and_b64 vcc, exec, s[18:19]
	s_mov_b64 s[76:77], s[18:19]
	s_cbranch_vccz .LBB108_381
; %bb.371:                              ;   in Loop: Header=BB108_6 Depth=1
	s_mov_b64 s[78:79], 0
                                        ; implicit-def: $vgpr36
	s_mov_b64 s[62:63], exec
	v_readlane_b32 s18, v54, 47
	v_readlane_b32 s19, v54, 48
	s_and_b64 s[18:19], s[62:63], s[18:19]
	s_mov_b64 exec, s[18:19]
	s_cbranch_execz .LBB108_380
; %bb.372:                              ;   in Loop: Header=BB108_6 Depth=1
	s_mov_b64 s[76:77], 0
	v_mov_b32_e32 v10, v12
	v_mov_b32_e32 v2, v0
                                        ; implicit-def: $sgpr78_sgpr79
	s_branch .LBB108_374
.LBB108_373:                            ;   in Loop: Header=BB108_374 Depth=2
	s_or_b64 exec, exec, s[18:19]
	s_waitcnt lgkmcnt(0)
	s_barrier
	s_waitcnt vmcnt(0)
	ds_read_b32 v4, v11 offset:3072
	v_add_u32_e32 v2, s72, v2
	v_cmp_le_u32_e64 s[18:19], s74, v2
	v_add_u32_e32 v10, s6, v10
	s_waitcnt lgkmcnt(0)
	v_and_b32_e32 v5, 0x7fff, v4
	v_cmp_ne_u16_e32 vcc, 0, v5
	s_or_b64 s[18:19], s[18:19], vcc
	s_and_b64 s[18:19], exec, s[18:19]
	s_or_b64 s[76:77], s[18:19], s[76:77]
	s_andn2_b64 s[18:19], s[78:79], exec
	s_and_b64 s[58:59], vcc, exec
	s_or_b64 s[78:79], s[18:19], s[58:59]
	s_barrier
	s_andn2_b64 exec, exec, s[76:77]
	s_cbranch_execz .LBB108_379
.LBB108_374:                            ;   Parent Loop BB108_6 Depth=1
                                        ; =>  This Inner Loop Header: Depth=2
	v_cmp_gt_u32_e32 vcc, s60, v2
	v_mov_b32_e32 v4, 0
	s_and_saveexec_b64 s[58:59], vcc
	s_cbranch_execz .LBB108_376
; %bb.375:                              ;   in Loop: Header=BB108_374 Depth=2
	v_lshlrev_b64 v[4:5], 1, v[10:11]
	v_mov_b32_e32 v36, s7
	v_add_co_u32_e64 v4, s[18:19], s33, v4
	v_addc_co_u32_e64 v5, s[18:19], v36, v5, s[18:19]
	global_load_ushort v4, v[4:5], off
.LBB108_376:                            ;   in Loop: Header=BB108_374 Depth=2
	s_or_b64 exec, exec, s[58:59]
	s_and_saveexec_b64 s[18:19], vcc
	s_cbranch_execz .LBB108_373
; %bb.377:                              ;   in Loop: Header=BB108_374 Depth=2
	s_waitcnt vmcnt(0)
	v_cmp_lt_i16_e32 vcc, -1, v4
	v_cndmask_b32_e32 v5, v29, v30, vcc
	v_lshlrev_b32_e32 v36, 16, v4
	v_xor_b32_sdwa v5, v5, v4 dst_sel:DWORD dst_unused:UNUSED_PAD src0_sel:DWORD src1_sel:WORD_0
	v_cmp_o_f32_e32 vcc, v36, v36
	v_cndmask_b32_e32 v5, v29, v5, vcc
	v_and_b32_e32 v5, v5, v34
	v_cmp_eq_u32_e32 vcc, v5, v35
	s_and_b64 exec, exec, vcc
	s_cbranch_execz .LBB108_373
; %bb.378:                              ;   in Loop: Header=BB108_374 Depth=2
	v_perm_b32 v4, v4, s12, v33
	ds_write_b32 v11, v4 offset:3072
	s_branch .LBB108_373
.LBB108_379:                            ;   in Loop: Header=BB108_6 Depth=1
	s_or_b64 exec, exec, s[76:77]
	v_lshrrev_b32_e32 v36, 16, v4
	s_and_b64 s[78:79], s[78:79], exec
.LBB108_380:                            ;   in Loop: Header=BB108_6 Depth=1
	s_or_b64 exec, exec, s[62:63]
	s_mov_b64 s[58:59], 0
	s_mov_b64 s[18:19], -1
	s_mov_b64 s[76:77], 0
.LBB108_381:                            ;   in Loop: Header=BB108_6 Depth=1
	s_orn2_b64 s[78:79], s[78:79], exec
.LBB108_382:                            ;   in Loop: Header=BB108_6 Depth=1
	s_or_b64 exec, exec, s[16:17]
	s_mov_b64 vcc, 0
                                        ; implicit-def: $vgpr10
                                        ; implicit-def: $vgpr2
	s_and_saveexec_b64 s[16:17], s[78:79]
	s_cbranch_execz .LBB108_394
; %bb.383:                              ;   in Loop: Header=BB108_6 Depth=1
	s_xor_b64 s[62:63], s[56:57], -1
	v_mov_b32_e32 v10, 1
	v_mov_b32_e32 v2, 1
	s_and_saveexec_b64 s[56:57], s[62:63]
	s_cbranch_execz .LBB108_393
; %bb.384:                              ;   in Loop: Header=BB108_6 Depth=1
	v_cmp_ge_u32_e32 vcc, s69, v3
                                        ; implicit-def: $sgpr11
	s_and_saveexec_b64 s[62:63], vcc
	s_xor_b64 s[78:79], exec, s[62:63]
	s_cbranch_execz .LBB108_390
; %bb.385:                              ;   in Loop: Header=BB108_6 Depth=1
	ds_read_b32 v2, v11 offset:4096
	s_waitcnt lgkmcnt(0)
	v_cmp_ne_u32_e32 vcc, 0, v2
	s_cbranch_vccnz .LBB108_389
; %bb.386:                              ;   in Loop: Header=BB108_6 Depth=1
	s_mov_b64 vcc, exec
	v_readlane_b32 s62, v54, 5
	v_readlane_b32 s63, v54, 6
	s_and_b64 s[62:63], vcc, s[62:63]
	s_mov_b64 exec, s[62:63]
	s_cbranch_execz .LBB108_388
; %bb.387:                              ;   in Loop: Header=BB108_6 Depth=1
	v_mov_b32_e32 v2, s69
	ds_write_b32 v11, v2 offset:4100
.LBB108_388:                            ;   in Loop: Header=BB108_6 Depth=1
	s_or_b64 exec, exec, vcc
	s_waitcnt lgkmcnt(0)
	s_barrier
.LBB108_389:                            ;   in Loop: Header=BB108_6 Depth=1
	v_and_b32_e32 v35, s10, v35
	v_or_b32_e32 v34, s68, v34
	s_mov_b32 s11, 5
.LBB108_390:                            ;   in Loop: Header=BB108_6 Depth=1
	s_or_saveexec_b64 s[78:79], s[78:79]
	v_mov_b32_e32 v10, s11
	s_xor_b64 exec, exec, s[78:79]
; %bb.391:                              ;   in Loop: Header=BB108_6 Depth=1
	v_subrev_u32_e32 v3, s69, v3
	v_mov_b32_e32 v10, 5
; %bb.392:                              ;   in Loop: Header=BB108_6 Depth=1
	s_or_b64 exec, exec, s[78:79]
	v_mov_b32_e32 v2, v3
.LBB108_393:                            ;   in Loop: Header=BB108_6 Depth=1
	s_or_b64 exec, exec, s[56:57]
	s_mov_b64 vcc, exec
.LBB108_394:                            ;   in Loop: Header=BB108_6 Depth=1
	s_or_b64 exec, exec, s[16:17]
	s_orn2_b64 s[16:17], vcc, exec
	v_mov_b32_e32 v3, v2
.LBB108_395:                            ;   in Loop: Header=BB108_6 Depth=1
	s_or_b64 exec, exec, s[54:55]
	s_andn2_b64 s[10:11], s[46:47], exec
	s_and_b64 s[18:19], s[18:19], exec
	s_or_b64 s[46:47], s[10:11], s[18:19]
	s_andn2_b64 s[10:11], s[48:49], exec
	s_and_b64 s[18:19], s[58:59], exec
	s_or_b64 s[48:49], s[10:11], s[18:19]
	;; [unrolled: 3-line block ×3, first 2 shown]
	s_and_b64 s[16:17], s[16:17], exec
	v_mov_b32_e32 v2, v3
.LBB108_396:                            ;   in Loop: Header=BB108_6 Depth=1
	s_or_b64 exec, exec, s[52:53]
	s_and_b64 s[52:53], s[46:47], exec
	s_and_b64 s[46:47], s[48:49], exec
	;; [unrolled: 1-line block ×3, first 2 shown]
	s_orn2_b64 s[16:17], s[16:17], exec
.LBB108_397:                            ;   in Loop: Header=BB108_6 Depth=1
	s_or_b64 exec, exec, s[44:45]
	s_andn2_b64 s[10:11], s[36:37], exec
	s_and_b64 s[36:37], s[52:53], exec
	s_or_b64 s[36:37], s[10:11], s[36:37]
	s_andn2_b64 s[10:11], s[38:39], exec
	s_and_b64 s[38:39], s[46:47], exec
	s_or_b64 s[38:39], s[10:11], s[38:39]
	;; [unrolled: 3-line block ×3, first 2 shown]
	s_and_b64 s[18:19], s[16:17], exec
	v_mov_b32_e32 v5, v2
.LBB108_398:                            ;   in Loop: Header=BB108_6 Depth=1
	s_or_b64 exec, exec, s[42:43]
	s_and_b64 s[42:43], s[36:37], exec
	s_and_b64 s[36:37], s[38:39], exec
	;; [unrolled: 1-line block ×3, first 2 shown]
	s_orn2_b64 s[38:39], s[18:19], exec
.LBB108_399:                            ;   in Loop: Header=BB108_6 Depth=1
	s_or_b64 exec, exec, s[28:29]
	s_mov_b64 s[18:19], s[24:25]
	s_mov_b64 s[28:29], s[20:21]
	s_and_saveexec_b64 s[40:41], s[38:39]
; %bb.400:                              ;   in Loop: Header=BB108_6 Depth=1
	v_cmp_ne_u32_e64 s[18:19], 5, v10
	v_cmp_eq_u32_e32 vcc, 5, v10
	s_andn2_b64 s[10:11], s[20:21], exec
	s_and_b64 s[18:19], s[18:19], exec
	s_or_b64 s[28:29], s[10:11], s[18:19]
	s_andn2_b64 s[10:11], s[24:25], exec
	s_and_b64 s[18:19], vcc, exec
	s_andn2_b64 s[42:43], s[42:43], exec
	s_andn2_b64 s[36:37], s[36:37], exec
	;; [unrolled: 1-line block ×3, first 2 shown]
	s_or_b64 s[18:19], s[10:11], s[18:19]
; %bb.401:                              ;   in Loop: Header=BB108_6 Depth=1
	s_or_b64 exec, exec, s[40:41]
	s_andn2_b64 s[10:11], s[30:31], exec
	s_and_b64 s[30:31], s[42:43], exec
	s_or_b64 s[30:31], s[10:11], s[30:31]
	s_andn2_b64 s[10:11], s[34:35], exec
	s_and_b64 s[34:35], s[36:37], exec
	s_or_b64 s[34:35], s[10:11], s[34:35]
	;; [unrolled: 3-line block ×5, first 2 shown]
	v_mov_b32_e32 v2, v35
	v_mov_b32_e32 v3, v34
	;; [unrolled: 1-line block ×3, first 2 shown]
.LBB108_402:                            ;   in Loop: Header=BB108_6 Depth=1
	s_or_b64 exec, exec, s[26:27]
	s_mov_b64 s[28:29], s[22:23]
	s_mov_b64 s[26:27], s[22:23]
	s_and_saveexec_b64 s[16:17], s[24:25]
.LBB108_403:                            ;   in Loop: Header=BB108_6 Depth=1
	v_mov_b32_e32 v10, 0
	s_andn2_b64 s[22:23], s[22:23], exec
	s_andn2_b64 s[30:31], s[30:31], exec
	;; [unrolled: 1-line block ×5, first 2 shown]
	s_or_b64 s[20:21], s[20:21], exec
.LBB108_404:                            ;   in Loop: Header=BB108_6 Depth=1
	s_or_b64 exec, exec, s[16:17]
	s_andn2_b64 s[10:11], s[84:85], exec
	s_and_b64 s[16:17], s[22:23], exec
	s_or_b64 s[84:85], s[10:11], s[16:17]
	s_andn2_b64 s[10:11], s[82:83], exec
	s_and_b64 s[16:17], s[30:31], exec
	s_or_b64 s[82:83], s[10:11], s[16:17]
	;; [unrolled: 3-line block ×4, first 2 shown]
	s_andn2_b64 s[10:11], s[66:67], exec
	s_and_b64 s[16:17], s[26:27], exec
	s_mov_b64 s[18:19], -1
	s_or_b64 s[66:67], s[10:11], s[16:17]
                                        ; implicit-def: $vgpr34
                                        ; implicit-def: $vgpr35
                                        ; implicit-def: $vgpr37
                                        ; implicit-def: $vgpr36
	s_and_saveexec_b64 s[10:11], s[20:21]
	s_xor_b64 s[16:17], exec, s[10:11]
	s_cbranch_execz .LBB108_5
; %bb.405:                              ;   in Loop: Header=BB108_6 Depth=1
	v_cmp_eq_u32_e32 vcc, 0, v10
	s_mov_b64 s[20:21], -1
	s_and_saveexec_b64 s[22:23], vcc
	s_cbranch_execz .LBB108_4
; %bb.406:                              ;   in Loop: Header=BB108_6 Depth=1
	s_xor_b32 s9, s9, 1
	s_add_i32 s24, s13, -2
	s_cmp_eq_u32 s13, 0
	s_cselect_b64 s[10:11], -1, 0
	s_xor_b64 s[20:21], exec, -1
	s_orn2_b64 s[18:19], s[10:11], exec
	s_mov_b32 s13, s24
	s_branch .LBB108_4
.LBB108_407:
	s_or_b64 exec, exec, s[86:87]
	s_xor_b64 s[16:17], s[94:95], -1
	s_xor_b64 s[20:21], s[92:93], -1
	;; [unrolled: 1-line block ×5, first 2 shown]
	s_mov_b64 s[12:13], 0
	s_and_saveexec_b64 s[8:9], s[4:5]
	s_xor_b64 s[10:11], exec, s[8:9]
	s_cbranch_execnz .LBB108_412
; %bb.408:
	s_andn2_saveexec_b64 s[0:1], s[10:11]
	s_cbranch_execnz .LBB108_431
.LBB108_409:
	s_or_b64 exec, exec, s[0:1]
	s_and_saveexec_b64 s[0:1], s[12:13]
.LBB108_410:
	; divergent unreachable
.LBB108_411:
	s_endpgm
.LBB108_412:
	s_mov_b64 s[14:15], 0
	s_and_saveexec_b64 s[4:5], s[18:19]
	s_xor_b64 s[12:13], exec, s[4:5]
	s_cbranch_execz .LBB108_429
; %bb.413:
	s_mov_b64 s[18:19], 0
	s_and_saveexec_b64 s[4:5], s[20:21]
	s_xor_b64 s[14:15], exec, s[4:5]
	s_cbranch_execz .LBB108_427
; %bb.414:
	s_and_saveexec_b64 s[4:5], s[16:17]
	s_xor_b64 s[16:17], exec, s[4:5]
	s_cbranch_execz .LBB108_425
; %bb.415:
	s_and_saveexec_b64 s[4:5], s[2:3]
	s_xor_b64 s[2:3], exec, s[4:5]
; %bb.416:
	v_and_b32_e32 v1, 0x8000, v2
	v_mov_b32_e32 v3, 0x8000
	v_mov_b32_e32 v4, 0xffff
	v_cmp_eq_u32_e32 vcc, 0, v1
	v_cndmask_b32_e32 v1, v3, v4, vcc
	v_xor_b32_e32 v4, v1, v2
; %bb.417:
	s_or_b64 exec, exec, s[2:3]
	s_mov_b64 s[2:3], exec
	v_readlane_b32 s4, v54, 5
	v_readlane_b32 s5, v54, 6
	v_readlane_b32 s42, v54, 12
	s_and_b64 s[4:5], s[2:3], s[4:5]
	v_readlane_b32 s43, v54, 13
	s_mov_b64 exec, s[4:5]
	s_cbranch_execz .LBB108_419
; %bb.418:
	v_mov_b32_e32 v1, 0
	ds_write_b32 v1, v1 offset:4108
.LBB108_419:
	s_or_b64 exec, exec, s[2:3]
	v_mov_b32_e32 v5, 0
	s_waitcnt lgkmcnt(0)
	s_barrier
	s_mov_b64 s[2:3], exec
	v_readlane_b32 s4, v54, 29
	v_readlane_b32 s5, v54, 30
	s_and_b64 s[4:5], s[2:3], s[4:5]
	s_mov_b64 exec, s[4:5]
	s_cbranch_execz .LBB108_421
; %bb.420:
	global_load_ushort v5, v[8:9], off
.LBB108_421:
	s_or_b64 exec, exec, s[2:3]
	v_readlane_b32 s3, v54, 9
	v_readlane_b32 s2, v54, 8
	;; [unrolled: 1-line block ×3, first 2 shown]
	s_add_i32 s34, s60, 63
	s_mul_i32 s2, s2, s3
	s_mul_i32 s4, s4, s3
	s_mov_b32 s3, 0
	s_andn2_b32 s34, s34, 63
	s_lshl_b64 s[8:9], s[2:3], 1
	v_readlane_b32 s18, v54, 2
	v_readlane_b32 s19, v54, 3
	s_add_u32 s35, s18, s8
	s_mov_b32 s5, s3
	s_addc_u32 s36, s19, s9
	s_lshl_b64 s[2:3], s[4:5], 3
	v_readlane_b32 s4, v54, 0
	v_readlane_b32 s5, v54, 1
	s_add_u32 s37, s4, s2
	s_addc_u32 s38, s5, s3
	v_readlane_b32 s2, v54, 27
	v_readlane_b32 s3, v54, 28
	s_load_dword s39, s[2:3], 0x1c8
	s_load_dword s40, s[2:3], 0x2a8
	v_mov_b32_e32 v1, 0xffff
	v_mov_b32_e32 v11, 0x8000
	v_cmp_lt_i16_e32 vcc, -1, v4
	v_cndmask_b32_e32 v2, v1, v11, vcc
	v_lshlrev_b32_e32 v3, 16, v4
	v_xor_b32_sdwa v2, v2, v4 dst_sel:DWORD dst_unused:UNUSED_PAD src0_sel:DWORD src1_sel:WORD_0
	v_cmp_o_f32_e32 vcc, v3, v3
	v_cndmask_b32_e32 v10, v1, v2, vcc
	v_cmp_gt_u32_e32 vcc, s34, v0
	s_mov_b64 s[20:21], -1
	s_mov_b64 s[2:3], 0
	s_mov_b64 s[4:5], 0
	s_and_saveexec_b64 s[18:19], vcc
	s_cbranch_execnz .LBB108_432
; %bb.422:
	s_or_b64 exec, exec, s[18:19]
	s_and_saveexec_b64 s[8:9], s[20:21]
	s_cbranch_execnz .LBB108_449
.LBB108_423:
	s_or_b64 exec, exec, s[8:9]
	s_and_saveexec_b64 s[0:1], s[4:5]
	s_xor_b64 s[0:1], exec, s[0:1]
	s_cbranch_execnz .LBB108_474
.LBB108_424:
	s_or_b64 exec, exec, s[0:1]
	s_and_b64 s[18:19], s[2:3], exec
.LBB108_425:
	s_andn2_saveexec_b64 s[0:1], s[16:17]
	s_cbranch_execnz .LBB108_476
.LBB108_426:
	s_or_b64 exec, exec, s[0:1]
	s_and_b64 s[18:19], s[18:19], exec
.LBB108_427:
	s_andn2_saveexec_b64 s[0:1], s[14:15]
	s_cbranch_execnz .LBB108_475
.LBB108_428:
	s_or_b64 exec, exec, s[0:1]
	s_and_b64 s[14:15], s[18:19], exec
.LBB108_429:
	s_andn2_saveexec_b64 s[0:1], s[12:13]
	s_cbranch_execnz .LBB108_470
.LBB108_430:
	s_or_b64 exec, exec, s[0:1]
	s_and_b64 s[12:13], s[14:15], exec
	s_andn2_saveexec_b64 s[0:1], s[10:11]
	s_cbranch_execz .LBB108_409
.LBB108_431:
	s_or_b64 s[12:13], s[12:13], exec
	s_trap 2
	s_or_b64 exec, exec, s[0:1]
	s_and_saveexec_b64 s[0:1], s[12:13]
	s_cbranch_execnz .LBB108_410
	s_branch .LBB108_411
.LBB108_432:
	v_add_u32_e32 v2, s72, v0
	v_readlane_b32 s4, v54, 4
	v_mul_lo_u32 v2, s4, v2
	s_mov_b64 s[20:21], 0
	v_mov_b32_e32 v3, 0
	v_mov_b32_e32 v4, v0
                                        ; implicit-def: $sgpr22_sgpr23
                                        ; implicit-def: $vgpr14
	s_branch .LBB108_434
.LBB108_433:                            ;   in Loop: Header=BB108_434 Depth=1
	s_or_b64 exec, exec, s[24:25]
	s_xor_b64 s[4:5], s[28:29], -1
	s_and_b64 s[8:9], exec, s[8:9]
	s_or_b64 s[20:21], s[8:9], s[20:21]
	s_andn2_b64 s[8:9], s[22:23], exec
	s_and_b64 s[4:5], s[4:5], exec
	s_or_b64 s[22:23], s[8:9], s[4:5]
	v_mov_b32_e32 v4, v12
	s_waitcnt vmcnt(0)
	v_mov_b32_e32 v5, v15
	s_andn2_b64 exec, exec, s[20:21]
	s_cbranch_execz .LBB108_448
.LBB108_434:                            ; =>This Inner Loop Header: Depth=1
	v_add_u32_e32 v12, s72, v4
	v_cmp_gt_u32_e64 s[4:5], s60, v12
	v_mov_b32_e32 v15, 0
	s_and_saveexec_b64 s[8:9], s[4:5]
	s_cbranch_execz .LBB108_436
; %bb.435:                              ;   in Loop: Header=BB108_434 Depth=1
	v_lshlrev_b64 v[16:17], 1, v[2:3]
	v_mov_b32_e32 v15, s7
	v_add_co_u32_e64 v16, s[4:5], s33, v16
	v_addc_co_u32_e64 v17, s[4:5], v15, v17, s[4:5]
	global_load_ushort v15, v[16:17], off
.LBB108_436:                            ;   in Loop: Header=BB108_434 Depth=1
	s_or_b64 exec, exec, s[8:9]
	v_cmp_gt_u32_e64 s[4:5], s60, v4
	s_mov_b64 s[24:25], 0
	s_and_saveexec_b64 s[8:9], s[4:5]
	s_cbranch_execz .LBB108_438
; %bb.437:                              ;   in Loop: Header=BB108_434 Depth=1
	s_waitcnt vmcnt(0)
	v_cmp_lt_i16_e64 s[4:5], -1, v5
	v_cndmask_b32_e64 v16, v1, v11, s[4:5]
	v_lshlrev_b32_e32 v17, 16, v5
	v_xor_b32_sdwa v16, v16, v5 dst_sel:DWORD dst_unused:UNUSED_PAD src0_sel:DWORD src1_sel:WORD_0
	v_cmp_o_f32_e64 s[4:5], v17, v17
	v_cndmask_b32_e64 v16, v1, v16, s[4:5]
	v_cmp_gt_u32_e64 s[4:5], v16, v10
	v_cndmask_b32_e64 v17, 0, 1, s[4:5]
	v_cmp_lt_u32_e64 s[4:5], v16, v10
	v_cndmask_b32_e64 v16, 0, 1, s[4:5]
	v_cndmask_b32_e64 v16, v16, v17, s[42:43]
	v_and_b32_e32 v16, 1, v16
	v_cmp_eq_u32_e64 s[4:5], 1, v16
	s_and_b64 s[24:25], s[4:5], exec
.LBB108_438:                            ;   in Loop: Header=BB108_434 Depth=1
	s_or_b64 exec, exec, s[8:9]
	v_cndmask_b32_e64 v16, 0, 1, s[24:25]
	v_cmp_ne_u32_e64 s[4:5], 0, v16
	s_cmp_lg_u64 s[4:5], 0
	s_cselect_b64 s[8:9], -1, 0
	s_and_b64 s[8:9], s[0:1], s[8:9]
	s_and_saveexec_b64 s[26:27], s[8:9]
	s_cbranch_execz .LBB108_442
; %bb.439:                              ;   in Loop: Header=BB108_434 Depth=1
	s_mov_b64 s[30:31], exec
	s_waitcnt lgkmcnt(0)
	v_mbcnt_lo_u32_b32 v14, s30, 0
	v_mbcnt_hi_u32_b32 v14, s31, v14
	s_bcnt1_i32_b64 s41, s[4:5]
	v_cmp_eq_u32_e64 s[8:9], 0, v14
                                        ; implicit-def: $vgpr16
	s_and_saveexec_b64 s[28:29], s[8:9]
	s_cbranch_execz .LBB108_441
; %bb.440:                              ;   in Loop: Header=BB108_434 Depth=1
	s_bcnt1_i32_b64 s8, s[30:31]
	s_mul_i32 s8, s41, s8
	v_mov_b32_e32 v16, s8
	ds_add_rtn_u32 v16, v3, v16 offset:4108
.LBB108_441:                            ;   in Loop: Header=BB108_434 Depth=1
	s_or_b64 exec, exec, s[28:29]
	s_waitcnt lgkmcnt(0)
	v_readfirstlane_b32 s8, v16
	v_mov_b32_e32 v16, s8
	v_mad_u32_u24 v14, s41, v14, v16
.LBB108_442:                            ;   in Loop: Header=BB108_434 Depth=1
	s_or_b64 exec, exec, s[26:27]
	s_waitcnt lgkmcnt(0)
	ds_bpermute_b32 v14, v13, v14
	s_mov_b64 s[8:9], -1
	s_mov_b64 s[30:31], -1
                                        ; implicit-def: $sgpr28_sgpr29
	s_and_saveexec_b64 s[26:27], s[24:25]
	s_cbranch_execz .LBB108_446
; %bb.443:                              ;   in Loop: Header=BB108_434 Depth=1
	v_and_b32_e32 v17, s4, v6
	v_and_b32_e32 v16, s5, v7
	v_bcnt_u32_b32 v17, v17, 0
	v_bcnt_u32_b32 v16, v16, v17
	s_waitcnt lgkmcnt(0)
	v_add_u32_e32 v16, v14, v16
	v_cmp_gt_u32_e64 s[4:5], s61, v16
	s_mov_b64 s[24:25], 0
	s_and_saveexec_b64 s[28:29], s[4:5]
	s_cbranch_execz .LBB108_445
; %bb.444:                              ;   in Loop: Header=BB108_434 Depth=1
	v_mul_lo_u32 v18, v16, s39
	v_mov_b32_e32 v19, v3
	v_lshlrev_b64 v[18:19], 1, v[18:19]
	v_mov_b32_e32 v17, s36
	v_add_co_u32_e64 v18, s[4:5], s35, v18
	v_mul_lo_u32 v16, v16, s40
	v_addc_co_u32_e64 v19, s[4:5], v17, v19, s[4:5]
	v_mov_b32_e32 v17, v3
	v_lshlrev_b64 v[16:17], 3, v[16:17]
	s_waitcnt vmcnt(0)
	global_store_short v[18:19], v5, off
	v_mov_b32_e32 v18, s38
	v_add_co_u32_e64 v16, s[4:5], s37, v16
	s_mov_b64 s[24:25], exec
	v_mov_b32_e32 v5, v3
	v_addc_co_u32_e64 v17, s[4:5], v18, v17, s[4:5]
	global_store_dwordx2 v[16:17], v[4:5], off
.LBB108_445:                            ;   in Loop: Header=BB108_434 Depth=1
	s_or_b64 exec, exec, s[28:29]
	s_mov_b64 s[28:29], -1
	s_orn2_b64 s[30:31], s[24:25], exec
.LBB108_446:                            ;   in Loop: Header=BB108_434 Depth=1
	s_or_b64 exec, exec, s[26:27]
	s_and_saveexec_b64 s[24:25], s[30:31]
	s_cbranch_execz .LBB108_433
; %bb.447:                              ;   in Loop: Header=BB108_434 Depth=1
	v_cmp_le_u32_e64 s[4:5], s34, v12
	v_add_u32_e32 v2, s6, v2
	s_andn2_b64 s[28:29], s[28:29], exec
	s_orn2_b64 s[8:9], s[4:5], exec
	s_branch .LBB108_433
.LBB108_448:
	s_or_b64 exec, exec, s[20:21]
	s_mov_b64 s[4:5], exec
	s_orn2_b64 s[20:21], s[22:23], exec
	s_or_b64 exec, exec, s[18:19]
	s_and_saveexec_b64 s[8:9], s[20:21]
	s_cbranch_execz .LBB108_423
.LBB108_449:
	v_mov_b32_e32 v1, 0
	s_waitcnt lgkmcnt(0)
	s_barrier
	s_mov_b64 s[2:3], exec
	v_readlane_b32 s18, v54, 29
	v_readlane_b32 s19, v54, 30
	s_and_b64 s[18:19], s[2:3], s[18:19]
	s_mov_b64 exec, s[18:19]
	s_cbranch_execz .LBB108_451
; %bb.450:
	global_load_ushort v1, v[8:9], off
.LBB108_451:
	s_or_b64 exec, exec, s[2:3]
	s_mov_b64 s[2:3], 0
	s_and_saveexec_b64 s[30:31], vcc
	s_cbranch_execz .LBB108_473
; %bb.452:
	v_add_u32_e32 v2, s72, v0
	v_readlane_b32 s2, v54, 4
	v_mul_lo_u32 v2, s2, v2
	s_mov_b64 s[18:19], 0
	v_mov_b32_e32 v3, 0
	v_mov_b32_e32 v4, 0xffff
	s_waitcnt vmcnt(0)
	v_mov_b32_e32 v5, 0x8000
                                        ; implicit-def: $sgpr20_sgpr21
                                        ; implicit-def: $vgpr8
	s_branch .LBB108_455
.LBB108_453:                            ;   in Loop: Header=BB108_455 Depth=1
	s_or_b64 exec, exec, s[24:25]
	s_orn2_b64 s[26:27], s[26:27], exec
	s_orn2_b64 s[24:25], s[22:23], exec
	s_waitcnt vmcnt(0)
	v_mov_b32_e32 v1, v11
	v_mov_b32_e32 v0, v9
.LBB108_454:                            ;   in Loop: Header=BB108_455 Depth=1
	s_or_b64 exec, exec, s[2:3]
	s_xor_b64 s[2:3], s[26:27], -1
	s_and_b64 s[22:23], exec, s[24:25]
	s_or_b64 s[18:19], s[22:23], s[18:19]
	s_andn2_b64 s[20:21], s[20:21], exec
	s_and_b64 s[2:3], s[2:3], exec
	s_or_b64 s[20:21], s[20:21], s[2:3]
	s_andn2_b64 exec, exec, s[18:19]
	s_cbranch_execz .LBB108_471
.LBB108_455:                            ; =>This Inner Loop Header: Depth=1
	v_add_u32_e32 v9, s72, v0
	v_cmp_gt_u32_e32 vcc, s60, v9
	s_waitcnt vmcnt(0)
	v_mov_b32_e32 v11, 0
	s_and_saveexec_b64 s[2:3], vcc
	s_cbranch_execz .LBB108_457
; %bb.456:                              ;   in Loop: Header=BB108_455 Depth=1
	v_lshlrev_b64 v[14:15], 1, v[2:3]
	v_mov_b32_e32 v11, s7
	v_add_co_u32_e32 v14, vcc, s33, v14
	v_addc_co_u32_e32 v15, vcc, v11, v15, vcc
	global_load_ushort v11, v[14:15], off
.LBB108_457:                            ;   in Loop: Header=BB108_455 Depth=1
	s_or_b64 exec, exec, s[2:3]
	v_cmp_gt_u32_e32 vcc, s60, v0
	s_mov_b64 s[22:23], 0
	s_and_saveexec_b64 s[2:3], vcc
; %bb.458:                              ;   in Loop: Header=BB108_455 Depth=1
	v_cmp_lt_i16_e32 vcc, -1, v1
	v_cndmask_b32_e32 v12, v4, v5, vcc
	v_lshlrev_b32_e32 v14, 16, v1
	v_xor_b32_sdwa v12, v12, v1 dst_sel:DWORD dst_unused:UNUSED_PAD src0_sel:DWORD src1_sel:WORD_0
	v_cmp_o_f32_e32 vcc, v14, v14
	v_cndmask_b32_e32 v12, v4, v12, vcc
	v_cmp_eq_u32_e32 vcc, v12, v10
	s_and_b64 s[22:23], vcc, exec
; %bb.459:                              ;   in Loop: Header=BB108_455 Depth=1
	s_or_b64 exec, exec, s[2:3]
	v_cndmask_b32_e64 v12, 0, 1, s[22:23]
	v_cmp_ne_u32_e32 vcc, 0, v12
	s_cmp_lg_u64 vcc, 0
	s_cselect_b64 s[2:3], -1, 0
	s_and_b64 s[2:3], s[0:1], s[2:3]
	s_and_saveexec_b64 s[24:25], s[2:3]
	s_cbranch_execz .LBB108_463
; %bb.460:                              ;   in Loop: Header=BB108_455 Depth=1
	s_mov_b64 s[28:29], exec
	v_mbcnt_lo_u32_b32 v8, s28, 0
	v_mbcnt_hi_u32_b32 v8, s29, v8
	s_bcnt1_i32_b64 s41, vcc
	v_cmp_eq_u32_e64 s[2:3], 0, v8
                                        ; implicit-def: $vgpr12
	s_and_saveexec_b64 s[26:27], s[2:3]
	s_cbranch_execz .LBB108_462
; %bb.461:                              ;   in Loop: Header=BB108_455 Depth=1
	s_bcnt1_i32_b64 s2, s[28:29]
	s_mul_i32 s2, s41, s2
	v_mov_b32_e32 v12, s2
	ds_add_rtn_u32 v12, v3, v12 offset:4108
.LBB108_462:                            ;   in Loop: Header=BB108_455 Depth=1
	s_or_b64 exec, exec, s[26:27]
	s_waitcnt lgkmcnt(0)
	v_readfirstlane_b32 s2, v12
	v_mov_b32_e32 v12, s2
	v_mad_u32_u24 v8, s41, v8, v12
.LBB108_463:                            ;   in Loop: Header=BB108_455 Depth=1
	s_or_b64 exec, exec, s[24:25]
	ds_bpermute_b32 v8, v13, v8
	s_cmp_eq_u64 vcc, 0
	s_cselect_b64 s[26:27], -1, 0
	s_mov_b64 s[24:25], -1
	s_waitcnt lgkmcnt(0)
	v_cmp_gt_u32_e64 s[2:3], s61, v8
	s_or_b64 s[28:29], s[26:27], s[2:3]
	s_mov_b64 s[26:27], -1
	s_and_saveexec_b64 s[2:3], s[28:29]
	s_cbranch_execz .LBB108_454
; %bb.464:                              ;   in Loop: Header=BB108_455 Depth=1
	v_and_b32_e32 v14, vcc_lo, v6
	v_and_b32_e32 v12, vcc_hi, v7
	v_bcnt_u32_b32 v14, v14, 0
	v_bcnt_u32_b32 v12, v12, v14
	v_sub_u32_e32 v14, s61, v8
	v_cmp_gt_u32_e32 vcc, v14, v12
	s_and_b64 s[42:43], s[22:23], vcc
	s_mov_b64 s[22:23], -1
	s_mov_b64 s[28:29], -1
	s_and_saveexec_b64 s[24:25], s[42:43]
	s_cbranch_execz .LBB108_468
; %bb.465:                              ;   in Loop: Header=BB108_455 Depth=1
	v_add_u32_e32 v12, v8, v12
	v_cmp_gt_u32_e32 vcc, s61, v12
	s_mov_b64 s[28:29], 0
	s_and_saveexec_b64 s[26:27], vcc
	s_cbranch_execz .LBB108_467
; %bb.466:                              ;   in Loop: Header=BB108_455 Depth=1
	v_mul_lo_u32 v14, v12, s39
	v_mov_b32_e32 v15, v3
	v_lshlrev_b64 v[14:15], 1, v[14:15]
	v_mul_lo_u32 v16, v12, s40
	v_mov_b32_e32 v12, s36
	v_add_co_u32_e32 v14, vcc, s35, v14
	v_addc_co_u32_e32 v15, vcc, v12, v15, vcc
	v_mov_b32_e32 v17, v3
	global_store_short v[14:15], v1, off
	v_lshlrev_b64 v[14:15], 3, v[16:17]
	v_mov_b32_e32 v12, s38
	v_add_co_u32_e32 v14, vcc, s37, v14
	s_mov_b64 s[28:29], exec
	v_mov_b32_e32 v1, v3
	v_addc_co_u32_e32 v15, vcc, v12, v15, vcc
	global_store_dwordx2 v[14:15], v[0:1], off
.LBB108_467:                            ;   in Loop: Header=BB108_455 Depth=1
	s_or_b64 exec, exec, s[26:27]
	s_xor_b64 s[26:27], exec, -1
	s_orn2_b64 s[28:29], s[28:29], exec
.LBB108_468:                            ;   in Loop: Header=BB108_455 Depth=1
	s_or_b64 exec, exec, s[24:25]
	s_and_saveexec_b64 s[24:25], s[28:29]
	s_cbranch_execz .LBB108_453
; %bb.469:                              ;   in Loop: Header=BB108_455 Depth=1
	v_cmp_le_u32_e32 vcc, s34, v9
	v_add_u32_e32 v2, s6, v2
	s_or_b64 s[26:27], s[26:27], exec
	s_orn2_b64 s[22:23], vcc, exec
	s_branch .LBB108_453
.LBB108_470:
	s_or_b64 s[14:15], s[14:15], exec
	s_trap 2
	s_branch .LBB108_430
.LBB108_471:
	s_or_b64 exec, exec, s[18:19]
	s_mov_b64 s[0:1], 0
	s_and_saveexec_b64 s[2:3], s[20:21]
	s_xor_b64 s[2:3], exec, s[2:3]
	s_cbranch_execnz .LBB108_477
.LBB108_472:
	s_or_b64 exec, exec, s[2:3]
	s_and_b64 s[2:3], s[0:1], exec
.LBB108_473:
	s_or_b64 exec, exec, s[30:31]
	s_and_b64 s[2:3], s[2:3], exec
	s_andn2_b64 s[4:5], s[4:5], exec
	s_or_b64 exec, exec, s[8:9]
	s_and_saveexec_b64 s[0:1], s[4:5]
	s_xor_b64 s[0:1], exec, s[0:1]
	s_cbranch_execz .LBB108_424
.LBB108_474:
	s_trap 2
	s_or_b64 s[2:3], s[2:3], exec
	s_branch .LBB108_424
.LBB108_475:
	s_or_b64 s[18:19], s[18:19], exec
	s_trap 2
	s_branch .LBB108_428
.LBB108_476:
	s_trap 2
	s_or_b64 s[18:19], s[18:19], exec
	s_branch .LBB108_426
.LBB108_477:
	s_mov_b64 s[0:1], exec
	s_trap 2
	s_branch .LBB108_472
	.section	.rodata,"a",@progbits
	.p2align	6, 0x0
	.amdhsa_kernel _ZN2at6native6sbtopk10gatherTopKIN3c108BFloat16EjLi1ELb0EEEvNS_4cuda6detail10TensorInfoIKT_T0_EESA_SA_bSA_SA_NS7_IS8_SA_EESA_NS7_IlSA_EESA_PS8_
		.amdhsa_group_segment_fixed_size 4112
		.amdhsa_private_segment_fixed_size 0
		.amdhsa_kernarg_size 952
		.amdhsa_user_sgpr_count 6
		.amdhsa_user_sgpr_private_segment_buffer 1
		.amdhsa_user_sgpr_dispatch_ptr 0
		.amdhsa_user_sgpr_queue_ptr 0
		.amdhsa_user_sgpr_kernarg_segment_ptr 1
		.amdhsa_user_sgpr_dispatch_id 0
		.amdhsa_user_sgpr_flat_scratch_init 0
		.amdhsa_user_sgpr_kernarg_preload_length 0
		.amdhsa_user_sgpr_kernarg_preload_offset 0
		.amdhsa_user_sgpr_private_segment_size 0
		.amdhsa_uses_dynamic_stack 0
		.amdhsa_system_sgpr_private_segment_wavefront_offset 0
		.amdhsa_system_sgpr_workgroup_id_x 1
		.amdhsa_system_sgpr_workgroup_id_y 1
		.amdhsa_system_sgpr_workgroup_id_z 1
		.amdhsa_system_sgpr_workgroup_info 0
		.amdhsa_system_vgpr_workitem_id 0
		.amdhsa_next_free_vgpr 55
		.amdhsa_next_free_sgpr 96
		.amdhsa_accum_offset 56
		.amdhsa_reserve_vcc 1
		.amdhsa_reserve_flat_scratch 0
		.amdhsa_float_round_mode_32 0
		.amdhsa_float_round_mode_16_64 0
		.amdhsa_float_denorm_mode_32 3
		.amdhsa_float_denorm_mode_16_64 3
		.amdhsa_dx10_clamp 1
		.amdhsa_ieee_mode 1
		.amdhsa_fp16_overflow 0
		.amdhsa_tg_split 0
		.amdhsa_exception_fp_ieee_invalid_op 0
		.amdhsa_exception_fp_denorm_src 0
		.amdhsa_exception_fp_ieee_div_zero 0
		.amdhsa_exception_fp_ieee_overflow 0
		.amdhsa_exception_fp_ieee_underflow 0
		.amdhsa_exception_fp_ieee_inexact 0
		.amdhsa_exception_int_div_zero 0
	.end_amdhsa_kernel
	.section	.text._ZN2at6native6sbtopk10gatherTopKIN3c108BFloat16EjLi1ELb0EEEvNS_4cuda6detail10TensorInfoIKT_T0_EESA_SA_bSA_SA_NS7_IS8_SA_EESA_NS7_IlSA_EESA_PS8_,"axG",@progbits,_ZN2at6native6sbtopk10gatherTopKIN3c108BFloat16EjLi1ELb0EEEvNS_4cuda6detail10TensorInfoIKT_T0_EESA_SA_bSA_SA_NS7_IS8_SA_EESA_NS7_IlSA_EESA_PS8_,comdat
.Lfunc_end108:
	.size	_ZN2at6native6sbtopk10gatherTopKIN3c108BFloat16EjLi1ELb0EEEvNS_4cuda6detail10TensorInfoIKT_T0_EESA_SA_bSA_SA_NS7_IS8_SA_EESA_NS7_IlSA_EESA_PS8_, .Lfunc_end108-_ZN2at6native6sbtopk10gatherTopKIN3c108BFloat16EjLi1ELb0EEEvNS_4cuda6detail10TensorInfoIKT_T0_EESA_SA_bSA_SA_NS7_IS8_SA_EESA_NS7_IlSA_EESA_PS8_
                                        ; -- End function
	.section	.AMDGPU.csdata,"",@progbits
; Kernel info:
; codeLenInByte = 16716
; NumSgprs: 100
; NumVgprs: 55
; NumAgprs: 0
; TotalNumVgprs: 55
; ScratchSize: 0
; MemoryBound: 0
; FloatMode: 240
; IeeeMode: 1
; LDSByteSize: 4112 bytes/workgroup (compile time only)
; SGPRBlocks: 12
; VGPRBlocks: 6
; NumSGPRsForWavesPerEU: 100
; NumVGPRsForWavesPerEU: 55
; AccumOffset: 56
; Occupancy: 8
; WaveLimiterHint : 1
; COMPUTE_PGM_RSRC2:SCRATCH_EN: 0
; COMPUTE_PGM_RSRC2:USER_SGPR: 6
; COMPUTE_PGM_RSRC2:TRAP_HANDLER: 0
; COMPUTE_PGM_RSRC2:TGID_X_EN: 1
; COMPUTE_PGM_RSRC2:TGID_Y_EN: 1
; COMPUTE_PGM_RSRC2:TGID_Z_EN: 1
; COMPUTE_PGM_RSRC2:TIDIG_COMP_CNT: 0
; COMPUTE_PGM_RSRC3_GFX90A:ACCUM_OFFSET: 13
; COMPUTE_PGM_RSRC3_GFX90A:TG_SPLIT: 0
	.section	.text._ZN2at6native6mbtopk23computeBlockDigitCountsIN3c108BFloat16EjjLi2EEEvNS_4cuda6detail10TensorInfoIKT_T0_EEjPjjSA_iijT1_PSD_Ps,"axG",@progbits,_ZN2at6native6mbtopk23computeBlockDigitCountsIN3c108BFloat16EjjLi2EEEvNS_4cuda6detail10TensorInfoIKT_T0_EEjPjjSA_iijT1_PSD_Ps,comdat
	.protected	_ZN2at6native6mbtopk23computeBlockDigitCountsIN3c108BFloat16EjjLi2EEEvNS_4cuda6detail10TensorInfoIKT_T0_EEjPjjSA_iijT1_PSD_Ps ; -- Begin function _ZN2at6native6mbtopk23computeBlockDigitCountsIN3c108BFloat16EjjLi2EEEvNS_4cuda6detail10TensorInfoIKT_T0_EEjPjjSA_iijT1_PSD_Ps
	.globl	_ZN2at6native6mbtopk23computeBlockDigitCountsIN3c108BFloat16EjjLi2EEEvNS_4cuda6detail10TensorInfoIKT_T0_EEjPjjSA_iijT1_PSD_Ps
	.p2align	8
	.type	_ZN2at6native6mbtopk23computeBlockDigitCountsIN3c108BFloat16EjjLi2EEEvNS_4cuda6detail10TensorInfoIKT_T0_EEjPjjSA_iijT1_PSD_Ps,@function
_ZN2at6native6mbtopk23computeBlockDigitCountsIN3c108BFloat16EjjLi2EEEvNS_4cuda6detail10TensorInfoIKT_T0_EEjPjjSA_iijT1_PSD_Ps: ; @_ZN2at6native6mbtopk23computeBlockDigitCountsIN3c108BFloat16EjjLi2EEEvNS_4cuda6detail10TensorInfoIKT_T0_EEjPjjSA_iijT1_PSD_Ps
; %bb.0:
	s_load_dwordx2 s[10:11], s[4:5], 0xf8
	s_load_dwordx4 s[12:15], s[4:5], 0xe8
	s_load_dwordx2 s[0:1], s[4:5], 0x110
	s_waitcnt lgkmcnt(0)
	v_cvt_f32_u32_e32 v1, s10
	s_sub_i32 s2, 0, s10
	s_mul_i32 s1, s1, s8
	s_add_i32 s1, s1, s7
	v_rcp_iflag_f32_e32 v1, v1
	s_mul_i32 s16, s1, s0
	s_add_i32 s16, s16, s6
	s_mov_b32 s7, 0
	v_mul_f32_e32 v1, 0x4f7ffffe, v1
	v_cvt_u32_f32_e32 v1, v1
	v_readfirstlane_b32 s0, v1
	s_mul_i32 s2, s2, s0
	s_mul_hi_u32 s1, s0, s2
	s_add_i32 s0, s0, s1
	s_mul_hi_u32 s0, s16, s0
	s_mul_i32 s1, s0, s10
	s_sub_i32 s1, s16, s1
	s_add_i32 s2, s0, 1
	s_sub_i32 s3, s1, s10
	s_cmp_ge_u32 s1, s10
	s_cselect_b32 s0, s2, s0
	s_cselect_b32 s1, s3, s1
	s_add_i32 s2, s0, 1
	s_cmp_ge_u32 s1, s10
	s_cselect_b32 s6, s2, s0
	s_cmp_ge_u32 s6, s12
	s_cbranch_scc1 .LBB109_29
; %bb.1:
	s_load_dword s12, s[4:5], 0xc
	s_load_dwordx4 s[0:3], s[4:5], 0x100
	s_lshl_b64 s[8:9], s[6:7], 2
	s_movk_i32 s7, 0x100
	v_cmp_gt_u32_e32 vcc, s7, v0
	s_waitcnt lgkmcnt(0)
	v_cvt_f32_u32_e32 v1, s12
	s_add_u32 s0, s0, s8
	s_addc_u32 s1, s1, s9
	v_rcp_iflag_f32_e32 v1, v1
	v_mul_f32_e32 v1, 0x4f7ffffe, v1
	v_cvt_u32_f32_e32 v1, v1
	v_readfirstlane_b32 s18, v1
	v_lshlrev_b32_e32 v1, 2, v0
	s_and_saveexec_b64 s[8:9], vcc
	s_cbranch_execz .LBB109_3
; %bb.2:
	v_mov_b32_e32 v2, 0
	ds_write_b32 v1, v2
.LBB109_3:
	s_or_b64 exec, exec, s[8:9]
	s_load_dword s8, s[4:5], 0xd8
	s_mul_i32 s7, s6, s10
	s_sub_i32 s7, s16, s7
	s_add_i32 s9, s7, 1
	s_mul_i32 s7, s15, s7
	s_lshl_b32 s17, s7, 8
	s_waitcnt lgkmcnt(0)
	s_sub_i32 s7, s8, s17
	s_add_u32 s7, s7, 0xff
	s_addc_u32 s19, 0, 0
	v_mov_b32_e32 v2, s7
	v_alignbit_b32 v2, s19, v2, 8
	s_cmp_lt_u32 s9, s10
	v_readfirstlane_b32 s7, v2
	s_cselect_b32 s15, s15, s7
	s_cmp_lt_i32 s15, 1
	s_mov_b32 s7, 0
	s_barrier
	s_cbranch_scc1 .LBB109_25
; %bb.4:
	s_sub_i32 s9, 0, s12
	s_mul_i32 s9, s9, s18
	s_mul_hi_u32 s9, s18, s9
	s_add_i32 s9, s18, s9
	s_load_dwordx2 s[18:19], s[4:5], 0x6c
	s_load_dwordx2 s[20:21], s[4:5], 0x0
	s_mul_hi_u32 s4, s6, s9
	s_load_dword s9, s[0:1], 0x0
	s_mul_i32 s0, s4, s12
	s_sub_i32 s0, s6, s0
	s_add_i32 s1, s4, 1
	s_sub_i32 s5, s0, s12
	s_cmp_ge_u32 s0, s12
	s_cselect_b32 s1, s1, s4
	s_cselect_b32 s0, s5, s0
	s_add_i32 s4, s1, 1
	s_cmp_ge_u32 s0, s12
	s_cselect_b32 s0, s4, s1
	s_mul_i32 s1, s0, s12
	s_sub_i32 s1, s6, s1
	s_waitcnt lgkmcnt(0)
	s_mul_i32 s1, s1, s19
	s_mul_i32 s0, s0, s18
	s_add_i32 s6, s0, s1
	s_lshl_b64 s[0:1], s[6:7], 1
	s_add_u32 s6, s20, s0
	s_addc_u32 s10, s21, s1
	s_and_b32 s12, s14, 0xff
	s_cmp_lt_u32 s15, 4
	s_cbranch_scc1 .LBB109_19
; %bb.5:
	v_add_u32_e32 v2, s17, v0
	v_add_u32_e32 v3, 0x200, v2
	;; [unrolled: 1-line block ×3, first 2 shown]
	v_mul_lo_u32 v6, s13, v3
	v_add_u32_e32 v3, 0x100, v2
	s_and_b32 s7, s15, 0x7ffffffc
	v_mul_lo_u32 v5, s13, v4
	s_lshl_b32 s14, s13, 10
	v_mul_lo_u32 v7, s13, v3
	v_mul_lo_u32 v8, s13, v2
	s_mov_b32 s18, 0
	v_mov_b32_e32 v3, 0
	v_mov_b32_e32 v9, 1
	;; [unrolled: 1-line block ×4, first 2 shown]
	s_mov_b32 s19, 0
	s_branch .LBB109_7
.LBB109_6:                              ;   in Loop: Header=BB109_7 Depth=1
	s_or_b64 exec, exec, s[4:5]
	s_add_i32 s19, s19, 4
	s_add_i32 s18, s18, s14
	s_cmp_eq_u32 s7, s19
	v_add_u32_e32 v4, 0x400, v4
	s_cbranch_scc1 .LBB109_19
.LBB109_7:                              ; =>This Inner Loop Header: Depth=1
	v_add_u32_e32 v2, 0xfffffd00, v4
	v_cmp_gt_u32_e64 s[0:1], s8, v2
	s_and_saveexec_b64 s[4:5], s[0:1]
	s_cbranch_execz .LBB109_10
; %bb.8:                                ;   in Loop: Header=BB109_7 Depth=1
	v_add_u32_e32 v2, s18, v8
	v_lshlrev_b64 v[12:13], 1, v[2:3]
	v_mov_b32_e32 v2, s10
	v_add_co_u32_e64 v12, s[0:1], s6, v12
	v_addc_co_u32_e64 v13, s[0:1], v2, v13, s[0:1]
	global_load_ushort v2, v[12:13], off
	s_waitcnt vmcnt(0)
	v_cmp_lt_i16_e64 s[0:1], -1, v2
	v_cndmask_b32_e64 v12, v10, v11, s[0:1]
	v_lshlrev_b32_e32 v13, 16, v2
	v_xor_b32_sdwa v2, v12, v2 dst_sel:DWORD dst_unused:UNUSED_PAD src0_sel:DWORD src1_sel:WORD_0
	v_cmp_o_f32_e64 s[0:1], v13, v13
	v_cndmask_b32_e64 v2, v10, v2, s[0:1]
	v_xor_b32_e32 v12, s9, v2
	v_and_b32_e32 v12, s11, v12
	v_cmp_eq_u32_e64 s[0:1], 0, v12
	s_and_b64 exec, exec, s[0:1]
	s_cbranch_execz .LBB109_10
; %bb.9:                                ;   in Loop: Header=BB109_7 Depth=1
	v_bfe_u32 v2, v2, s12, 8
	v_lshlrev_b32_e32 v2, 2, v2
	ds_add_u32 v2, v9
.LBB109_10:                             ;   in Loop: Header=BB109_7 Depth=1
	s_or_b64 exec, exec, s[4:5]
	v_add_u32_e32 v2, 0xfffffe00, v4
	v_cmp_gt_u32_e64 s[0:1], s8, v2
	s_and_saveexec_b64 s[4:5], s[0:1]
	s_cbranch_execz .LBB109_13
; %bb.11:                               ;   in Loop: Header=BB109_7 Depth=1
	v_add_u32_e32 v2, s18, v7
	v_lshlrev_b64 v[12:13], 1, v[2:3]
	v_mov_b32_e32 v2, s10
	v_add_co_u32_e64 v12, s[0:1], s6, v12
	v_addc_co_u32_e64 v13, s[0:1], v2, v13, s[0:1]
	global_load_ushort v2, v[12:13], off
	s_waitcnt vmcnt(0)
	v_cmp_lt_i16_e64 s[0:1], -1, v2
	v_cndmask_b32_e64 v12, v10, v11, s[0:1]
	v_lshlrev_b32_e32 v13, 16, v2
	v_xor_b32_sdwa v2, v12, v2 dst_sel:DWORD dst_unused:UNUSED_PAD src0_sel:DWORD src1_sel:WORD_0
	v_cmp_o_f32_e64 s[0:1], v13, v13
	v_cndmask_b32_e64 v2, v10, v2, s[0:1]
	v_xor_b32_e32 v12, s9, v2
	v_and_b32_e32 v12, s11, v12
	v_cmp_eq_u32_e64 s[0:1], 0, v12
	s_and_b64 exec, exec, s[0:1]
	s_cbranch_execz .LBB109_13
; %bb.12:                               ;   in Loop: Header=BB109_7 Depth=1
	v_bfe_u32 v2, v2, s12, 8
	v_lshlrev_b32_e32 v2, 2, v2
	ds_add_u32 v2, v9
.LBB109_13:                             ;   in Loop: Header=BB109_7 Depth=1
	s_or_b64 exec, exec, s[4:5]
	v_add_u32_e32 v2, 0xffffff00, v4
	v_cmp_gt_u32_e64 s[0:1], s8, v2
	s_and_saveexec_b64 s[4:5], s[0:1]
	s_cbranch_execz .LBB109_16
; %bb.14:                               ;   in Loop: Header=BB109_7 Depth=1
	v_add_u32_e32 v2, s18, v6
	v_lshlrev_b64 v[12:13], 1, v[2:3]
	v_mov_b32_e32 v2, s10
	v_add_co_u32_e64 v12, s[0:1], s6, v12
	v_addc_co_u32_e64 v13, s[0:1], v2, v13, s[0:1]
	global_load_ushort v2, v[12:13], off
	s_waitcnt vmcnt(0)
	v_cmp_lt_i16_e64 s[0:1], -1, v2
	v_cndmask_b32_e64 v12, v10, v11, s[0:1]
	v_lshlrev_b32_e32 v13, 16, v2
	v_xor_b32_sdwa v2, v12, v2 dst_sel:DWORD dst_unused:UNUSED_PAD src0_sel:DWORD src1_sel:WORD_0
	v_cmp_o_f32_e64 s[0:1], v13, v13
	v_cndmask_b32_e64 v2, v10, v2, s[0:1]
	v_xor_b32_e32 v12, s9, v2
	v_and_b32_e32 v12, s11, v12
	v_cmp_eq_u32_e64 s[0:1], 0, v12
	s_and_b64 exec, exec, s[0:1]
	s_cbranch_execz .LBB109_16
; %bb.15:                               ;   in Loop: Header=BB109_7 Depth=1
	v_bfe_u32 v2, v2, s12, 8
	v_lshlrev_b32_e32 v2, 2, v2
	ds_add_u32 v2, v9
.LBB109_16:                             ;   in Loop: Header=BB109_7 Depth=1
	s_or_b64 exec, exec, s[4:5]
	v_cmp_gt_u32_e64 s[0:1], s8, v4
	s_and_saveexec_b64 s[4:5], s[0:1]
	s_cbranch_execz .LBB109_6
; %bb.17:                               ;   in Loop: Header=BB109_7 Depth=1
	v_add_u32_e32 v2, s18, v5
	v_lshlrev_b64 v[12:13], 1, v[2:3]
	v_mov_b32_e32 v2, s10
	v_add_co_u32_e64 v12, s[0:1], s6, v12
	v_addc_co_u32_e64 v13, s[0:1], v2, v13, s[0:1]
	global_load_ushort v2, v[12:13], off
	s_waitcnt vmcnt(0)
	v_cmp_lt_i16_e64 s[0:1], -1, v2
	v_cndmask_b32_e64 v12, v10, v11, s[0:1]
	v_lshlrev_b32_e32 v13, 16, v2
	v_xor_b32_sdwa v2, v12, v2 dst_sel:DWORD dst_unused:UNUSED_PAD src0_sel:DWORD src1_sel:WORD_0
	v_cmp_o_f32_e64 s[0:1], v13, v13
	v_cndmask_b32_e64 v2, v10, v2, s[0:1]
	v_xor_b32_e32 v12, s9, v2
	v_and_b32_e32 v12, s11, v12
	v_cmp_eq_u32_e64 s[0:1], 0, v12
	s_and_b64 exec, exec, s[0:1]
	s_cbranch_execz .LBB109_6
; %bb.18:                               ;   in Loop: Header=BB109_7 Depth=1
	v_bfe_u32 v2, v2, s12, 8
	v_lshlrev_b32_e32 v2, 2, v2
	ds_add_u32 v2, v9
	s_branch .LBB109_6
.LBB109_19:
	s_and_b32 s14, s15, 3
	s_cmp_eq_u32 s14, 0
	s_cbranch_scc1 .LBB109_25
; %bb.20:
	s_lshl_b32 s0, s7, 8
	s_add_i32 s0, s0, s17
	v_add_u32_e32 v4, s0, v0
	v_mul_lo_u32 v2, s13, v4
	s_lshl_b32 s7, s13, 8
	v_mov_b32_e32 v3, 0
	v_mov_b32_e32 v5, 1
	;; [unrolled: 1-line block ×4, first 2 shown]
	s_branch .LBB109_22
.LBB109_21:                             ;   in Loop: Header=BB109_22 Depth=1
	s_or_b64 exec, exec, s[4:5]
	s_add_i32 s14, s14, -1
	v_add_u32_e32 v2, s7, v2
	s_cmp_lg_u32 s14, 0
	v_add_u32_e32 v4, 0x100, v4
	s_cbranch_scc0 .LBB109_25
.LBB109_22:                             ; =>This Inner Loop Header: Depth=1
	v_cmp_gt_u32_e64 s[0:1], s8, v4
	s_and_saveexec_b64 s[4:5], s[0:1]
	s_cbranch_execz .LBB109_21
; %bb.23:                               ;   in Loop: Header=BB109_22 Depth=1
	v_lshlrev_b64 v[8:9], 1, v[2:3]
	v_mov_b32_e32 v10, s10
	v_add_co_u32_e64 v8, s[0:1], s6, v8
	v_addc_co_u32_e64 v9, s[0:1], v10, v9, s[0:1]
	global_load_ushort v8, v[8:9], off
	s_waitcnt vmcnt(0)
	v_cmp_lt_i16_e64 s[0:1], -1, v8
	v_cndmask_b32_e64 v9, v6, v7, s[0:1]
	v_lshlrev_b32_e32 v10, 16, v8
	v_xor_b32_sdwa v8, v9, v8 dst_sel:DWORD dst_unused:UNUSED_PAD src0_sel:DWORD src1_sel:WORD_0
	v_cmp_o_f32_e64 s[0:1], v10, v10
	v_cndmask_b32_e64 v8, v6, v8, s[0:1]
	v_xor_b32_e32 v9, s9, v8
	v_and_b32_e32 v9, s11, v9
	v_cmp_eq_u32_e64 s[0:1], 0, v9
	s_and_b64 exec, exec, s[0:1]
	s_cbranch_execz .LBB109_21
; %bb.24:                               ;   in Loop: Header=BB109_22 Depth=1
	v_bfe_u32 v8, v8, s12, 8
	v_lshlrev_b32_e32 v8, 2, v8
	ds_add_u32 v8, v5
	s_branch .LBB109_21
.LBB109_25:
	v_mov_b32_e32 v2, 0
	s_waitcnt lgkmcnt(0)
	s_barrier
	s_and_saveexec_b64 s[0:1], vcc
	s_cbranch_execz .LBB109_27
; %bb.26:
	ds_read_b32 v2, v1
.LBB109_27:
	s_or_b64 exec, exec, s[0:1]
	s_and_saveexec_b64 s[0:1], vcc
	s_cbranch_execz .LBB109_29
; %bb.28:
	v_lshl_or_b32 v0, s16, 8, v0
	v_mov_b32_e32 v1, 0
	v_lshlrev_b64 v[0:1], 1, v[0:1]
	v_mov_b32_e32 v3, s3
	v_add_co_u32_e32 v0, vcc, s2, v0
	v_addc_co_u32_e32 v1, vcc, v3, v1, vcc
	s_waitcnt lgkmcnt(0)
	global_store_short v[0:1], v2, off
.LBB109_29:
	s_endpgm
	.section	.rodata,"a",@progbits
	.p2align	6, 0x0
	.amdhsa_kernel _ZN2at6native6mbtopk23computeBlockDigitCountsIN3c108BFloat16EjjLi2EEEvNS_4cuda6detail10TensorInfoIKT_T0_EEjPjjSA_iijT1_PSD_Ps
		.amdhsa_group_segment_fixed_size 1024
		.amdhsa_private_segment_fixed_size 0
		.amdhsa_kernarg_size 528
		.amdhsa_user_sgpr_count 6
		.amdhsa_user_sgpr_private_segment_buffer 1
		.amdhsa_user_sgpr_dispatch_ptr 0
		.amdhsa_user_sgpr_queue_ptr 0
		.amdhsa_user_sgpr_kernarg_segment_ptr 1
		.amdhsa_user_sgpr_dispatch_id 0
		.amdhsa_user_sgpr_flat_scratch_init 0
		.amdhsa_user_sgpr_kernarg_preload_length 0
		.amdhsa_user_sgpr_kernarg_preload_offset 0
		.amdhsa_user_sgpr_private_segment_size 0
		.amdhsa_uses_dynamic_stack 0
		.amdhsa_system_sgpr_private_segment_wavefront_offset 0
		.amdhsa_system_sgpr_workgroup_id_x 1
		.amdhsa_system_sgpr_workgroup_id_y 1
		.amdhsa_system_sgpr_workgroup_id_z 1
		.amdhsa_system_sgpr_workgroup_info 0
		.amdhsa_system_vgpr_workitem_id 0
		.amdhsa_next_free_vgpr 14
		.amdhsa_next_free_sgpr 22
		.amdhsa_accum_offset 16
		.amdhsa_reserve_vcc 1
		.amdhsa_reserve_flat_scratch 0
		.amdhsa_float_round_mode_32 0
		.amdhsa_float_round_mode_16_64 0
		.amdhsa_float_denorm_mode_32 3
		.amdhsa_float_denorm_mode_16_64 3
		.amdhsa_dx10_clamp 1
		.amdhsa_ieee_mode 1
		.amdhsa_fp16_overflow 0
		.amdhsa_tg_split 0
		.amdhsa_exception_fp_ieee_invalid_op 0
		.amdhsa_exception_fp_denorm_src 0
		.amdhsa_exception_fp_ieee_div_zero 0
		.amdhsa_exception_fp_ieee_overflow 0
		.amdhsa_exception_fp_ieee_underflow 0
		.amdhsa_exception_fp_ieee_inexact 0
		.amdhsa_exception_int_div_zero 0
	.end_amdhsa_kernel
	.section	.text._ZN2at6native6mbtopk23computeBlockDigitCountsIN3c108BFloat16EjjLi2EEEvNS_4cuda6detail10TensorInfoIKT_T0_EEjPjjSA_iijT1_PSD_Ps,"axG",@progbits,_ZN2at6native6mbtopk23computeBlockDigitCountsIN3c108BFloat16EjjLi2EEEvNS_4cuda6detail10TensorInfoIKT_T0_EEjPjjSA_iijT1_PSD_Ps,comdat
.Lfunc_end109:
	.size	_ZN2at6native6mbtopk23computeBlockDigitCountsIN3c108BFloat16EjjLi2EEEvNS_4cuda6detail10TensorInfoIKT_T0_EEjPjjSA_iijT1_PSD_Ps, .Lfunc_end109-_ZN2at6native6mbtopk23computeBlockDigitCountsIN3c108BFloat16EjjLi2EEEvNS_4cuda6detail10TensorInfoIKT_T0_EEjPjjSA_iijT1_PSD_Ps
                                        ; -- End function
	.section	.AMDGPU.csdata,"",@progbits
; Kernel info:
; codeLenInByte = 1552
; NumSgprs: 26
; NumVgprs: 14
; NumAgprs: 0
; TotalNumVgprs: 14
; ScratchSize: 0
; MemoryBound: 0
; FloatMode: 240
; IeeeMode: 1
; LDSByteSize: 1024 bytes/workgroup (compile time only)
; SGPRBlocks: 3
; VGPRBlocks: 1
; NumSGPRsForWavesPerEU: 26
; NumVGPRsForWavesPerEU: 14
; AccumOffset: 16
; Occupancy: 8
; WaveLimiterHint : 1
; COMPUTE_PGM_RSRC2:SCRATCH_EN: 0
; COMPUTE_PGM_RSRC2:USER_SGPR: 6
; COMPUTE_PGM_RSRC2:TRAP_HANDLER: 0
; COMPUTE_PGM_RSRC2:TGID_X_EN: 1
; COMPUTE_PGM_RSRC2:TGID_Y_EN: 1
; COMPUTE_PGM_RSRC2:TGID_Z_EN: 1
; COMPUTE_PGM_RSRC2:TIDIG_COMP_CNT: 0
; COMPUTE_PGM_RSRC3_GFX90A:ACCUM_OFFSET: 3
; COMPUTE_PGM_RSRC3_GFX90A:TG_SPLIT: 0
	.section	.text._ZN2at6native6mbtopk10gatherTopKIN3c108BFloat16EjLi2EEEvNS_4cuda6detail10TensorInfoIKT_T0_EESA_SA_bjSA_NS7_IS8_SA_EESA_NS7_IlSA_EESA_jjPS8_PjSF_j,"axG",@progbits,_ZN2at6native6mbtopk10gatherTopKIN3c108BFloat16EjLi2EEEvNS_4cuda6detail10TensorInfoIKT_T0_EESA_SA_bjSA_NS7_IS8_SA_EESA_NS7_IlSA_EESA_jjPS8_PjSF_j,comdat
	.protected	_ZN2at6native6mbtopk10gatherTopKIN3c108BFloat16EjLi2EEEvNS_4cuda6detail10TensorInfoIKT_T0_EESA_SA_bjSA_NS7_IS8_SA_EESA_NS7_IlSA_EESA_jjPS8_PjSF_j ; -- Begin function _ZN2at6native6mbtopk10gatherTopKIN3c108BFloat16EjLi2EEEvNS_4cuda6detail10TensorInfoIKT_T0_EESA_SA_bjSA_NS7_IS8_SA_EESA_NS7_IlSA_EESA_jjPS8_PjSF_j
	.globl	_ZN2at6native6mbtopk10gatherTopKIN3c108BFloat16EjLi2EEEvNS_4cuda6detail10TensorInfoIKT_T0_EESA_SA_bjSA_NS7_IS8_SA_EESA_NS7_IlSA_EESA_jjPS8_PjSF_j
	.p2align	8
	.type	_ZN2at6native6mbtopk10gatherTopKIN3c108BFloat16EjLi2EEEvNS_4cuda6detail10TensorInfoIKT_T0_EESA_SA_bjSA_NS7_IS8_SA_EESA_NS7_IlSA_EESA_jjPS8_PjSF_j,@function
_ZN2at6native6mbtopk10gatherTopKIN3c108BFloat16EjLi2EEEvNS_4cuda6detail10TensorInfoIKT_T0_EESA_SA_bjSA_NS7_IS8_SA_EESA_NS7_IlSA_EESA_jjPS8_PjSF_j: ; @_ZN2at6native6mbtopk10gatherTopKIN3c108BFloat16EjLi2EEEvNS_4cuda6detail10TensorInfoIKT_T0_EESA_SA_bjSA_NS7_IS8_SA_EESA_NS7_IlSA_EESA_jjPS8_PjSF_j
; %bb.0:
	s_load_dwordx2 s[0:1], s[4:5], 0x2d8
	s_load_dword s2, s[4:5], 0x2d0
	s_waitcnt lgkmcnt(0)
	s_mul_i32 s1, s1, s8
	s_add_i32 s1, s1, s7
	s_mul_i32 s0, s1, s0
	s_add_i32 s0, s0, s6
	s_cmp_ge_u32 s0, s2
	s_cbranch_scc1 .LBB110_40
; %bb.1:
	s_load_dwordx8 s[8:15], s[4:5], 0x2a8
	s_load_dword s33, s[4:5], 0xc
	s_load_dword s40, s[4:5], 0xfc
	s_load_dwordx2 s[20:21], s[4:5], 0x1d0
	s_load_dword s41, s[4:5], 0x1dc
	s_waitcnt lgkmcnt(0)
	v_cvt_f32_u32_e32 v1, s10
	v_cvt_f32_u32_e32 v2, s33
	s_sub_i32 s1, 0, s10
	v_cvt_f32_u32_e32 v3, s40
	v_rcp_iflag_f32_e32 v1, v1
	v_rcp_iflag_f32_e32 v2, v2
	s_mov_b32 s7, 0
	v_mul_f32_e32 v1, 0x4f7ffffe, v1
	v_cvt_u32_f32_e32 v1, v1
	v_mul_f32_e32 v2, 0x4f7ffffe, v2
	v_cvt_u32_f32_e32 v2, v2
	v_readfirstlane_b32 s2, v1
	s_mul_i32 s1, s1, s2
	s_mul_hi_u32 s1, s2, s1
	s_add_i32 s2, s2, s1
	s_mul_hi_u32 s1, s0, s2
	s_mul_i32 s2, s1, s10
	v_rcp_iflag_f32_e32 v1, v3
	v_readfirstlane_b32 s3, v2
	s_sub_i32 s2, s0, s2
	v_cvt_f32_u32_e32 v2, s41
	s_add_i32 s6, s1, 1
	s_sub_i32 s11, s2, s10
	s_cmp_ge_u32 s2, s10
	s_cselect_b32 s1, s6, s1
	v_mul_f32_e32 v1, 0x4f7ffffe, v1
	s_cselect_b32 s2, s11, s2
	s_add_i32 s6, s1, 1
	v_cvt_u32_f32_e32 v1, v1
	v_rcp_iflag_f32_e32 v2, v2
	s_cmp_ge_u32 s2, s10
	s_cselect_b32 s6, s6, s1
	s_sub_i32 s1, 0, s33
	s_mul_i32 s16, s6, s10
	s_mul_i32 s1, s1, s3
	s_sub_i32 s11, s0, s16
	s_mul_hi_u32 s0, s3, s1
	v_readfirstlane_b32 s1, v1
	v_mul_f32_e32 v1, 0x4f7ffffe, v2
	v_cvt_u32_f32_e32 v1, v1
	s_add_i32 s3, s3, s0
	s_sub_i32 s0, 0, s40
	s_mul_i32 s0, s0, s1
	s_mul_hi_u32 s0, s1, s0
	s_add_i32 s2, s1, s0
	s_sub_i32 s0, 0, s41
	v_readfirstlane_b32 s1, v1
	s_mul_i32 s0, s0, s1
	s_mul_hi_u32 s0, s1, s0
	s_add_i32 s17, s1, s0
	s_lshl_b64 s[0:1], s[6:7], 1
	s_add_u32 s0, s12, s0
	s_addc_u32 s1, s13, s1
	v_mov_b32_e32 v1, 0
	global_load_ushort v1, v1, s[0:1]
	s_load_dwordx2 s[28:29], s[4:5], 0x15c
	s_load_dwordx2 s[22:23], s[4:5], 0xf0
	;; [unrolled: 1-line block ×5, first 2 shown]
	v_cmp_ne_u32_e64 s[0:1], 0, v0
	s_mul_hi_u32 s45, s6, s3
	s_mul_hi_u32 s44, s6, s2
	;; [unrolled: 1-line block ×3, first 2 shown]
	v_cmp_eq_u32_e64 s[2:3], 0, v0
	s_waitcnt vmcnt(0)
	v_readfirstlane_b32 s42, v1
	s_and_saveexec_b64 s[12:13], s[2:3]
	s_cbranch_execz .LBB110_17
; %bb.2:
	s_load_dwordx2 s[34:35], s[4:5], 0x2c8
	s_mov_b32 s17, s7
	s_lshl_b64 s[36:37], s[16:17], 2
	s_add_u32 s16, s14, s36
	s_addc_u32 s17, s15, s37
	s_waitcnt lgkmcnt(0)
	s_add_u32 s18, s34, s36
	s_addc_u32 s19, s35, s37
	s_cmp_lt_u32 s10, 4
	s_cbranch_scc1 .LBB110_14
; %bb.3:
	s_mov_b32 s46, s7
	s_mov_b32 s47, s7
	;; [unrolled: 1-line block ×3, first 2 shown]
.LBB110_4:                              ; =>This Inner Loop Header: Depth=1
	s_add_u32 s16, s14, s36
	s_addc_u32 s17, s15, s37
	s_load_dwordx4 s[16:19], s[16:17], 0x0
	s_add_u32 s38, s34, s36
	s_addc_u32 s39, s35, s37
	s_cmp_ge_u32 s48, s11
	s_cbranch_scc0 .LBB110_11
; %bb.5:                                ;   in Loop: Header=BB110_4 Depth=1
	s_add_i32 s49, s48, 1
	s_cmp_ge_u32 s49, s11
	s_cbranch_scc0 .LBB110_12
.LBB110_6:                              ;   in Loop: Header=BB110_4 Depth=1
	s_add_i32 s49, s49, 1
	s_cmp_ge_u32 s49, s11
	s_cbranch_scc0 .LBB110_13
.LBB110_7:                              ;   in Loop: Header=BB110_4 Depth=1
	s_add_i32 s49, s49, 1
	s_cmp_ge_u32 s49, s11
	s_cbranch_scc1 .LBB110_9
.LBB110_8:                              ;   in Loop: Header=BB110_4 Depth=1
	s_load_dword s38, s[38:39], 0xc
	s_waitcnt lgkmcnt(0)
	s_add_i32 s7, s7, s19
	s_add_i32 s46, s38, s46
.LBB110_9:                              ;   in Loop: Header=BB110_4 Depth=1
	s_waitcnt lgkmcnt(0)
	s_add_i32 s16, s16, s47
	s_add_i32 s16, s16, s17
	;; [unrolled: 1-line block ×4, first 2 shown]
	s_add_u32 s14, s14, 16
	s_addc_u32 s15, s15, 0
	s_add_u32 s34, s34, 16
	s_addc_u32 s35, s35, 0
	s_add_i32 s39, s49, 4
	s_add_u32 s18, s34, s36
	s_addc_u32 s19, s35, s37
	s_add_u32 s16, s14, s36
	s_addc_u32 s17, s15, s37
	s_add_i32 s38, s49, 1
	s_cmp_ge_u32 s39, s10
	s_cbranch_scc1 .LBB110_15
; %bb.10:                               ;   in Loop: Header=BB110_4 Depth=1
	s_mov_b32 s48, s38
	s_branch .LBB110_4
.LBB110_11:                             ;   in Loop: Header=BB110_4 Depth=1
	s_load_dword s49, s[38:39], 0x0
	s_waitcnt lgkmcnt(0)
	s_add_i32 s7, s16, s7
	s_add_i32 s46, s49, s46
	;; [unrolled: 1-line block ×3, first 2 shown]
	s_cmp_ge_u32 s49, s11
	s_cbranch_scc1 .LBB110_6
.LBB110_12:                             ;   in Loop: Header=BB110_4 Depth=1
	s_load_dword s50, s[38:39], 0x4
	s_waitcnt lgkmcnt(0)
	s_add_i32 s7, s7, s17
	s_add_i32 s46, s50, s46
	;; [unrolled: 1-line block ×3, first 2 shown]
	s_cmp_ge_u32 s49, s11
	s_cbranch_scc1 .LBB110_7
.LBB110_13:                             ;   in Loop: Header=BB110_4 Depth=1
	s_load_dword s50, s[38:39], 0x8
	s_waitcnt lgkmcnt(0)
	s_add_i32 s7, s7, s18
	s_add_i32 s46, s50, s46
	s_add_i32 s49, s49, 1
	s_cmp_ge_u32 s49, s11
	s_cbranch_scc0 .LBB110_8
	s_branch .LBB110_9
.LBB110_14:
	s_mov_b32 s46, 0
	s_mov_b32 s47, 0
	;; [unrolled: 1-line block ×3, first 2 shown]
	s_cmp_ge_u32 s14, s10
	s_cbranch_scc0 .LBB110_38
	s_branch .LBB110_16
.LBB110_15:
	s_add_i32 s14, s48, 4
	s_cmp_ge_u32 s14, s10
	s_cbranch_scc0 .LBB110_38
.LBB110_16:
	v_mov_b32_e32 v2, s46
	v_mov_b32_e32 v3, s47
	;; [unrolled: 1-line block ×4, first 2 shown]
	ds_write_b96 v1, v[2:4] offset:1056
.LBB110_17:
	s_or_b64 exec, exec, s[12:13]
	s_load_dwordx4 s[12:15], s[4:5], 0xd8
	s_waitcnt lgkmcnt(0)
	s_mul_i32 s15, s9, s11
	s_lshl_b32 s34, s15, 8
	s_add_i32 s7, s11, 1
	s_mov_b32 s11, 0
	s_sub_i32 s15, s12, s34
	s_add_u32 s15, s15, 0xff
	s_addc_u32 s16, 0, 0
	v_mov_b32_e32 v1, s15
	v_alignbit_b32 v1, s16, v1, 8
	s_cmp_lt_u32 s7, s10
	v_readfirstlane_b32 s7, v1
	s_cselect_b32 s9, s9, s7
	s_cmp_eq_u32 s9, 0
	s_barrier
	s_cbranch_scc1 .LBB110_40
; %bb.18:
	s_mul_i32 s7, s45, s33
	s_sub_i32 s7, s6, s7
	s_add_i32 s10, s45, 1
	s_sub_i32 s15, s7, s33
	s_cmp_ge_u32 s7, s33
	s_cselect_b32 s10, s10, s45
	s_cselect_b32 s7, s15, s7
	s_add_i32 s15, s10, 1
	s_cmp_ge_u32 s7, s33
	s_cselect_b32 s7, s15, s10
	s_mul_i32 s10, s7, s33
	s_sub_i32 s10, s6, s10
	s_mul_i32 s10, s10, s31
	s_mul_i32 s7, s7, s30
	s_add_i32 s10, s7, s10
	s_mul_i32 s7, s44, s40
	s_sub_i32 s7, s6, s7
	s_add_i32 s15, s44, 1
	s_sub_i32 s16, s7, s40
	s_cmp_ge_u32 s7, s40
	s_cselect_b32 s15, s15, s44
	s_cselect_b32 s7, s16, s7
	s_add_i32 s16, s15, 1
	s_cmp_ge_u32 s7, s40
	s_cselect_b32 s7, s16, s15
	s_mul_i32 s15, s7, s40
	s_sub_i32 s15, s6, s15
	s_mul_i32 s15, s15, s29
	s_mul_i32 s7, s7, s28
	s_add_i32 s18, s7, s15
	;; [unrolled: 15-line block ×3, first 2 shown]
	s_lshl_b64 s[16:17], s[10:11], 1
	s_add_u32 s15, s24, s16
	s_mov_b32 s19, s11
	s_addc_u32 s16, s25, s17
	s_lshl_b64 s[18:19], s[18:19], 1
	s_add_u32 s17, s22, s18
	s_mov_b32 s7, s11
	v_mov_b32_e32 v1, 0
	s_addc_u32 s18, s23, s19
	s_lshl_b64 s[6:7], s[6:7], 3
	ds_read_b96 v[2:4], v1 offset:1056
	s_add_u32 s19, s20, s6
	s_addc_u32 s20, s21, s7
	s_and_b32 s10, 0xffff, s42
	s_sext_i32_i16 s6, s42
	s_cmp_gt_i32 s6, -1
	s_mov_b32 s6, 0x8000
	s_cselect_b32 s11, s6, 0xffff
	s_lshl_b32 s6, s42, 16
	v_cmp_o_f32_e64 s[6:7], s6, s6
	s_xor_b32 s10, s11, s10
	s_waitcnt lgkmcnt(0)
	v_add_u32_e32 v5, v2, v3
	v_lshrrev_b32_e32 v2, 5, v0
	s_and_b64 s[6:7], s[6:7], exec
	v_add_lshl_u32 v6, v2, v0, 2
	v_lshlrev_b32_e32 v2, 2, v0
	v_lshrrev_b32_e32 v3, 3, v0
	s_cselect_b32 s21, s10, 0xffff
	s_bitcmp1_b32 s14, 0
	s_load_dword s10, s[4:5], 0xe8
	s_load_dword s14, s[4:5], 0x1c8
	v_add_lshl_u32 v7, v3, v2, 2
	v_add_u32_e32 v2, -1, v0
	v_lshrrev_b32_e32 v3, 5, v2
	v_add_lshl_u32 v8, v3, v2, 2
	v_mbcnt_lo_u32_b32 v3, -1, 0
	v_add_u32_e32 v2, s34, v0
	v_mbcnt_hi_u32_b32 v11, -1, v3
	s_cselect_b64 s[6:7], -1, 0
	v_cmp_gt_u32_e64 s[4:5], 64, v0
	s_waitcnt lgkmcnt(0)
	v_mul_lo_u32 v0, s10, v2
	s_lshl_b32 s22, s10, 8
	v_mov_b32_e32 v9, 0xffff
	v_mov_b32_e32 v10, 0x8000
	v_and_b32_e32 v12, 15, v11
	v_bfe_i32 v13, v11, 4, 1
	v_add_u32_e32 v14, -1, v11
	v_and_b32_e32 v15, 64, v11
                                        ; implicit-def: $vgpr16
	s_branch .LBB110_21
.LBB110_19:                             ;   in Loop: Header=BB110_21 Depth=1
	s_or_b64 exec, exec, s[10:11]
	v_add_u32_e32 v5, v19, v5
.LBB110_20:                             ;   in Loop: Header=BB110_21 Depth=1
	s_add_i32 s9, s9, -1
	v_add_u32_e32 v4, v18, v4
	v_add_u32_e32 v0, s22, v0
	s_cmp_lg_u32 s9, 0
	v_add_u32_e32 v2, 0x100, v2
	s_cbranch_scc0 .LBB110_40
.LBB110_21:                             ; =>This Inner Loop Header: Depth=1
	v_cmp_gt_u32_e32 vcc, s12, v2
	v_mov_b32_e32 v3, 0
	v_mov_b32_e32 v17, 0
	s_and_saveexec_b64 s[10:11], vcc
	s_cbranch_execz .LBB110_23
; %bb.22:                               ;   in Loop: Header=BB110_21 Depth=1
	v_lshlrev_b64 v[16:17], 1, v[0:1]
	v_mov_b32_e32 v3, s16
	v_add_co_u32_e32 v16, vcc, s15, v16
	v_addc_co_u32_e32 v17, vcc, v3, v17, vcc
	global_load_ushort v16, v[16:17], off
	s_waitcnt vmcnt(0)
	v_cmp_lt_i16_e32 vcc, -1, v16
	v_cndmask_b32_e32 v3, v9, v10, vcc
	v_lshlrev_b32_e32 v17, 16, v16
	v_xor_b32_sdwa v3, v3, v16 dst_sel:DWORD dst_unused:UNUSED_PAD src0_sel:DWORD src1_sel:WORD_0
	v_cmp_o_f32_e32 vcc, v17, v17
	v_cndmask_b32_e32 v17, v9, v3, vcc
	v_cmp_lt_u32_e32 vcc, s21, v17
	v_cndmask_b32_e64 v3, 0, 1, vcc
	v_cmp_gt_u32_e32 vcc, s21, v17
	v_cndmask_b32_e64 v18, 0, 1, vcc
	v_cndmask_b32_e64 v3, v18, v3, s[6:7]
	v_cmp_eq_u32_e32 vcc, s21, v17
	v_and_b32_e32 v3, 1, v3
	v_cndmask_b32_e64 v17, 0, 1, vcc
.LBB110_23:                             ;   in Loop: Header=BB110_21 Depth=1
	s_or_b64 exec, exec, s[10:11]
	ds_write_b32 v6, v3
	s_waitcnt lgkmcnt(0)
	s_barrier
	s_and_saveexec_b64 s[10:11], s[4:5]
	s_cbranch_execz .LBB110_25
; %bb.24:                               ;   in Loop: Header=BB110_21 Depth=1
	ds_read2_b32 v[18:19], v7 offset1:1
	ds_read2_b32 v[20:21], v7 offset0:2 offset1:3
	v_cmp_ne_u32_e32 vcc, 0, v12
	; wave barrier
	s_waitcnt lgkmcnt(1)
	v_add_u32_e32 v19, v19, v18
	s_waitcnt lgkmcnt(0)
	v_add3_u32 v19, v19, v20, v21
	s_nop 1
	v_mov_b32_dpp v20, v19 row_shr:1 row_mask:0xf bank_mask:0xf
	v_cndmask_b32_e32 v20, 0, v20, vcc
	v_add_u32_e32 v19, v20, v19
	v_cmp_lt_u32_e32 vcc, 1, v12
	s_nop 0
	v_mov_b32_dpp v20, v19 row_shr:2 row_mask:0xf bank_mask:0xf
	v_cndmask_b32_e32 v20, 0, v20, vcc
	v_add_u32_e32 v19, v19, v20
	v_cmp_lt_u32_e32 vcc, 3, v12
	;; [unrolled: 5-line block ×4, first 2 shown]
	s_nop 0
	v_mov_b32_dpp v20, v19 row_bcast:15 row_mask:0xf bank_mask:0xf
	v_and_b32_e32 v20, v13, v20
	v_add_u32_e32 v19, v19, v20
	s_nop 1
	v_mov_b32_dpp v20, v19 row_bcast:31 row_mask:0xf bank_mask:0xf
	v_cndmask_b32_e32 v20, 0, v20, vcc
	v_cmp_lt_i32_e32 vcc, v14, v15
	v_add_u32_e32 v19, v19, v20
	v_cndmask_b32_e32 v20, v14, v11, vcc
	v_lshlrev_b32_e32 v20, 2, v20
	ds_bpermute_b32 v19, v20, v19
	s_waitcnt lgkmcnt(0)
	v_add_u32_e32 v18, v19, v18
	v_cndmask_b32_e64 v20, v18, v3, s[2:3]
	ds_write_b32 v7, v20
	; wave barrier
	ds_read2_b32 v[18:19], v7 offset0:1 offset1:2
	ds_read_b32 v21, v7 offset:12
	s_waitcnt lgkmcnt(1)
	v_add_u32_e32 v18, v18, v20
	v_add_u32_e32 v19, v19, v18
	ds_write2_b32 v7, v18, v19 offset0:1 offset1:2
	s_waitcnt lgkmcnt(1)
	v_add_u32_e32 v18, v21, v19
	ds_write_b32 v7, v18 offset:12
.LBB110_25:                             ;   in Loop: Header=BB110_21 Depth=1
	s_or_b64 exec, exec, s[10:11]
	v_mov_b32_e32 v19, 0
	s_waitcnt lgkmcnt(0)
	s_barrier
	s_and_saveexec_b64 s[10:11], s[0:1]
	s_cbranch_execz .LBB110_27
; %bb.26:                               ;   in Loop: Header=BB110_21 Depth=1
	ds_read_b32 v19, v8
.LBB110_27:                             ;   in Loop: Header=BB110_21 Depth=1
	s_or_b64 exec, exec, s[10:11]
	ds_read_b32 v18, v1 offset:1048
	v_cmp_ne_u32_e32 vcc, 0, v3
	s_waitcnt lgkmcnt(0)
	s_barrier
	s_and_saveexec_b64 s[10:11], vcc
	s_cbranch_execz .LBB110_29
; %bb.28:                               ;   in Loop: Header=BB110_21 Depth=1
	v_add_u32_e32 v19, v19, v4
	v_mul_lo_u32 v20, v19, s14
	v_mov_b32_e32 v21, v1
	v_lshlrev_b64 v[20:21], 1, v[20:21]
	v_mov_b32_e32 v3, s18
	v_add_co_u32_e32 v20, vcc, s17, v20
	v_addc_co_u32_e32 v21, vcc, v3, v21, vcc
	global_store_short v[20:21], v16, off
	v_mul_lo_u32 v20, v19, s8
	v_mov_b32_e32 v21, v1
	v_lshlrev_b64 v[20:21], 3, v[20:21]
	v_mov_b32_e32 v19, s20
	v_add_co_u32_e32 v20, vcc, s19, v20
	v_mov_b32_e32 v3, v1
	v_addc_co_u32_e32 v21, vcc, v19, v21, vcc
	global_store_dwordx2 v[20:21], v[2:3], off
.LBB110_29:                             ;   in Loop: Header=BB110_21 Depth=1
	s_or_b64 exec, exec, s[10:11]
	v_cmp_le_u32_e32 vcc, s13, v5
	s_cbranch_vccnz .LBB110_20
; %bb.30:                               ;   in Loop: Header=BB110_21 Depth=1
	ds_write_b32 v6, v17
	s_waitcnt lgkmcnt(0)
	s_barrier
	s_and_saveexec_b64 s[10:11], s[4:5]
	s_cbranch_execz .LBB110_32
; %bb.31:                               ;   in Loop: Header=BB110_21 Depth=1
	ds_read2_b32 v[20:21], v7 offset1:1
	ds_read2_b32 v[22:23], v7 offset0:2 offset1:3
	v_cmp_ne_u32_e32 vcc, 0, v12
	; wave barrier
	s_waitcnt lgkmcnt(1)
	v_add_u32_e32 v3, v21, v20
	s_waitcnt lgkmcnt(0)
	v_add3_u32 v3, v3, v22, v23
	s_nop 1
	v_mov_b32_dpp v19, v3 row_shr:1 row_mask:0xf bank_mask:0xf
	v_cndmask_b32_e32 v19, 0, v19, vcc
	v_add_u32_e32 v3, v19, v3
	v_cmp_lt_u32_e32 vcc, 1, v12
	s_nop 0
	v_mov_b32_dpp v19, v3 row_shr:2 row_mask:0xf bank_mask:0xf
	v_cndmask_b32_e32 v19, 0, v19, vcc
	v_add_u32_e32 v3, v3, v19
	v_cmp_lt_u32_e32 vcc, 3, v12
	;; [unrolled: 5-line block ×4, first 2 shown]
	s_nop 0
	v_mov_b32_dpp v19, v3 row_bcast:15 row_mask:0xf bank_mask:0xf
	v_and_b32_e32 v19, v13, v19
	v_add_u32_e32 v3, v3, v19
	s_nop 1
	v_mov_b32_dpp v19, v3 row_bcast:31 row_mask:0xf bank_mask:0xf
	v_cndmask_b32_e32 v19, 0, v19, vcc
	v_cmp_lt_i32_e32 vcc, v14, v15
	v_add_u32_e32 v3, v3, v19
	v_cndmask_b32_e32 v19, v14, v11, vcc
	v_lshlrev_b32_e32 v19, 2, v19
	ds_bpermute_b32 v3, v19, v3
	s_waitcnt lgkmcnt(0)
	v_add_u32_e32 v3, v3, v20
	v_cndmask_b32_e64 v3, v3, v17, s[2:3]
	ds_write_b32 v7, v3
	; wave barrier
	ds_read2_b32 v[20:21], v7 offset0:1 offset1:2
	ds_read_b32 v19, v7 offset:12
	s_waitcnt lgkmcnt(1)
	v_add_u32_e32 v3, v20, v3
	v_add_u32_e32 v20, v21, v3
	ds_write2_b32 v7, v3, v20 offset0:1 offset1:2
	s_waitcnt lgkmcnt(1)
	v_add_u32_e32 v3, v19, v20
	ds_write_b32 v7, v3 offset:12
.LBB110_32:                             ;   in Loop: Header=BB110_21 Depth=1
	s_or_b64 exec, exec, s[10:11]
	v_mov_b32_e32 v3, 0
	s_waitcnt lgkmcnt(0)
	s_barrier
	s_and_saveexec_b64 s[10:11], s[0:1]
	s_cbranch_execz .LBB110_34
; %bb.33:                               ;   in Loop: Header=BB110_21 Depth=1
	ds_read_b32 v3, v8
.LBB110_34:                             ;   in Loop: Header=BB110_21 Depth=1
	s_or_b64 exec, exec, s[10:11]
	ds_read_b32 v19, v1 offset:1048
	v_cmp_ne_u32_e32 vcc, 0, v17
	s_waitcnt lgkmcnt(0)
	s_barrier
	s_and_saveexec_b64 s[10:11], vcc
	s_cbranch_execz .LBB110_19
; %bb.35:                               ;   in Loop: Header=BB110_21 Depth=1
	v_add_u32_e32 v17, v3, v5
	v_cmp_gt_u32_e32 vcc, s13, v17
	s_and_b64 exec, exec, vcc
	s_cbranch_execz .LBB110_19
; %bb.36:                               ;   in Loop: Header=BB110_21 Depth=1
	v_mul_lo_u32 v20, v17, s14
	v_mov_b32_e32 v21, v1
	v_lshlrev_b64 v[20:21], 1, v[20:21]
	v_mov_b32_e32 v3, s18
	v_add_co_u32_e32 v20, vcc, s17, v20
	v_addc_co_u32_e32 v21, vcc, v3, v21, vcc
	global_store_short v[20:21], v16, off
	v_mul_lo_u32 v20, v17, s8
	v_mov_b32_e32 v21, v1
	v_lshlrev_b64 v[20:21], 3, v[20:21]
	v_mov_b32_e32 v17, s20
	v_add_co_u32_e32 v20, vcc, s19, v20
	v_mov_b32_e32 v3, v1
	v_addc_co_u32_e32 v21, vcc, v17, v21, vcc
	global_store_dwordx2 v[20:21], v[2:3], off
	s_branch .LBB110_19
.LBB110_37:                             ;   in Loop: Header=BB110_38 Depth=1
	s_add_u32 s16, s16, 4
	s_addc_u32 s17, s17, 0
	s_waitcnt lgkmcnt(0)
	s_add_i32 s47, s15, s47
	s_add_u32 s18, s18, 4
	s_addc_u32 s19, s19, 0
	s_add_i32 s14, s14, 1
	s_cmp_lt_u32 s14, s10
	s_cbranch_scc0 .LBB110_16
.LBB110_38:                             ; =>This Inner Loop Header: Depth=1
	s_load_dword s15, s[16:17], 0x0
	s_cmp_ge_u32 s14, s11
	s_cbranch_scc1 .LBB110_37
; %bb.39:                               ;   in Loop: Header=BB110_38 Depth=1
	s_load_dword s34, s[18:19], 0x0
	s_waitcnt lgkmcnt(0)
	s_add_i32 s7, s15, s7
	s_add_i32 s46, s34, s46
	s_branch .LBB110_37
.LBB110_40:
	s_endpgm
	.section	.rodata,"a",@progbits
	.p2align	6, 0x0
	.amdhsa_kernel _ZN2at6native6mbtopk10gatherTopKIN3c108BFloat16EjLi2EEEvNS_4cuda6detail10TensorInfoIKT_T0_EESA_SA_bjSA_NS7_IS8_SA_EESA_NS7_IlSA_EESA_jjPS8_PjSF_j
		.amdhsa_group_segment_fixed_size 1068
		.amdhsa_private_segment_fixed_size 0
		.amdhsa_kernarg_size 984
		.amdhsa_user_sgpr_count 6
		.amdhsa_user_sgpr_private_segment_buffer 1
		.amdhsa_user_sgpr_dispatch_ptr 0
		.amdhsa_user_sgpr_queue_ptr 0
		.amdhsa_user_sgpr_kernarg_segment_ptr 1
		.amdhsa_user_sgpr_dispatch_id 0
		.amdhsa_user_sgpr_flat_scratch_init 0
		.amdhsa_user_sgpr_kernarg_preload_length 0
		.amdhsa_user_sgpr_kernarg_preload_offset 0
		.amdhsa_user_sgpr_private_segment_size 0
		.amdhsa_uses_dynamic_stack 0
		.amdhsa_system_sgpr_private_segment_wavefront_offset 0
		.amdhsa_system_sgpr_workgroup_id_x 1
		.amdhsa_system_sgpr_workgroup_id_y 1
		.amdhsa_system_sgpr_workgroup_id_z 1
		.amdhsa_system_sgpr_workgroup_info 0
		.amdhsa_system_vgpr_workitem_id 0
		.amdhsa_next_free_vgpr 24
		.amdhsa_next_free_sgpr 51
		.amdhsa_accum_offset 24
		.amdhsa_reserve_vcc 1
		.amdhsa_reserve_flat_scratch 0
		.amdhsa_float_round_mode_32 0
		.amdhsa_float_round_mode_16_64 0
		.amdhsa_float_denorm_mode_32 3
		.amdhsa_float_denorm_mode_16_64 3
		.amdhsa_dx10_clamp 1
		.amdhsa_ieee_mode 1
		.amdhsa_fp16_overflow 0
		.amdhsa_tg_split 0
		.amdhsa_exception_fp_ieee_invalid_op 0
		.amdhsa_exception_fp_denorm_src 0
		.amdhsa_exception_fp_ieee_div_zero 0
		.amdhsa_exception_fp_ieee_overflow 0
		.amdhsa_exception_fp_ieee_underflow 0
		.amdhsa_exception_fp_ieee_inexact 0
		.amdhsa_exception_int_div_zero 0
	.end_amdhsa_kernel
	.section	.text._ZN2at6native6mbtopk10gatherTopKIN3c108BFloat16EjLi2EEEvNS_4cuda6detail10TensorInfoIKT_T0_EESA_SA_bjSA_NS7_IS8_SA_EESA_NS7_IlSA_EESA_jjPS8_PjSF_j,"axG",@progbits,_ZN2at6native6mbtopk10gatherTopKIN3c108BFloat16EjLi2EEEvNS_4cuda6detail10TensorInfoIKT_T0_EESA_SA_bjSA_NS7_IS8_SA_EESA_NS7_IlSA_EESA_jjPS8_PjSF_j,comdat
.Lfunc_end110:
	.size	_ZN2at6native6mbtopk10gatherTopKIN3c108BFloat16EjLi2EEEvNS_4cuda6detail10TensorInfoIKT_T0_EESA_SA_bjSA_NS7_IS8_SA_EESA_NS7_IlSA_EESA_jjPS8_PjSF_j, .Lfunc_end110-_ZN2at6native6mbtopk10gatherTopKIN3c108BFloat16EjLi2EEEvNS_4cuda6detail10TensorInfoIKT_T0_EESA_SA_bjSA_NS7_IS8_SA_EESA_NS7_IlSA_EESA_jjPS8_PjSF_j
                                        ; -- End function
	.section	.AMDGPU.csdata,"",@progbits
; Kernel info:
; codeLenInByte = 2504
; NumSgprs: 55
; NumVgprs: 24
; NumAgprs: 0
; TotalNumVgprs: 24
; ScratchSize: 0
; MemoryBound: 0
; FloatMode: 240
; IeeeMode: 1
; LDSByteSize: 1068 bytes/workgroup (compile time only)
; SGPRBlocks: 6
; VGPRBlocks: 2
; NumSGPRsForWavesPerEU: 55
; NumVGPRsForWavesPerEU: 24
; AccumOffset: 24
; Occupancy: 8
; WaveLimiterHint : 1
; COMPUTE_PGM_RSRC2:SCRATCH_EN: 0
; COMPUTE_PGM_RSRC2:USER_SGPR: 6
; COMPUTE_PGM_RSRC2:TRAP_HANDLER: 0
; COMPUTE_PGM_RSRC2:TGID_X_EN: 1
; COMPUTE_PGM_RSRC2:TGID_Y_EN: 1
; COMPUTE_PGM_RSRC2:TGID_Z_EN: 1
; COMPUTE_PGM_RSRC2:TIDIG_COMP_CNT: 0
; COMPUTE_PGM_RSRC3_GFX90A:ACCUM_OFFSET: 5
; COMPUTE_PGM_RSRC3_GFX90A:TG_SPLIT: 0
	.section	.text._ZN2at6native6sbtopk10gatherTopKIN3c108BFloat16EjLi2ELb0EEEvNS_4cuda6detail10TensorInfoIKT_T0_EESA_SA_bSA_SA_NS7_IS8_SA_EESA_NS7_IlSA_EESA_PS8_,"axG",@progbits,_ZN2at6native6sbtopk10gatherTopKIN3c108BFloat16EjLi2ELb0EEEvNS_4cuda6detail10TensorInfoIKT_T0_EESA_SA_bSA_SA_NS7_IS8_SA_EESA_NS7_IlSA_EESA_PS8_,comdat
	.protected	_ZN2at6native6sbtopk10gatherTopKIN3c108BFloat16EjLi2ELb0EEEvNS_4cuda6detail10TensorInfoIKT_T0_EESA_SA_bSA_SA_NS7_IS8_SA_EESA_NS7_IlSA_EESA_PS8_ ; -- Begin function _ZN2at6native6sbtopk10gatherTopKIN3c108BFloat16EjLi2ELb0EEEvNS_4cuda6detail10TensorInfoIKT_T0_EESA_SA_bSA_SA_NS7_IS8_SA_EESA_NS7_IlSA_EESA_PS8_
	.globl	_ZN2at6native6sbtopk10gatherTopKIN3c108BFloat16EjLi2ELb0EEEvNS_4cuda6detail10TensorInfoIKT_T0_EESA_SA_bSA_SA_NS7_IS8_SA_EESA_NS7_IlSA_EESA_PS8_
	.p2align	8
	.type	_ZN2at6native6sbtopk10gatherTopKIN3c108BFloat16EjLi2ELb0EEEvNS_4cuda6detail10TensorInfoIKT_T0_EESA_SA_bSA_SA_NS7_IS8_SA_EESA_NS7_IlSA_EESA_PS8_,@function
_ZN2at6native6sbtopk10gatherTopKIN3c108BFloat16EjLi2ELb0EEEvNS_4cuda6detail10TensorInfoIKT_T0_EESA_SA_bSA_SA_NS7_IS8_SA_EESA_NS7_IlSA_EESA_PS8_: ; @_ZN2at6native6sbtopk10gatherTopKIN3c108BFloat16EjLi2ELb0EEEvNS_4cuda6detail10TensorInfoIKT_T0_EESA_SA_bSA_SA_NS7_IS8_SA_EESA_NS7_IlSA_EESA_PS8_
; %bb.0:
	s_load_dwordx2 s[10:11], s[4:5], 0x2b8
	s_load_dwordx4 s[60:63], s[4:5], 0xd8
	s_mov_b64 s[16:17], s[4:5]
	s_add_u32 s2, s16, 0x2b8
	s_addc_u32 s3, s17, 0
	s_waitcnt lgkmcnt(0)
	s_mul_i32 s0, s11, s8
	s_add_i32 s0, s0, s7
	s_mul_i32 s0, s0, s10
	s_add_i32 s11, s0, s6
	s_cmp_ge_u32 s11, s63
	s_cbranch_scc1 .LBB111_411
; %bb.1:
	s_load_dword s4, s[16:17], 0xc
	s_load_dword s0, s[16:17], 0xe8
	s_load_dwordx2 s[8:9], s[16:17], 0x1d0
                                        ; implicit-def: $vgpr55 : SGPR spill to VGPR lane
	s_mov_b32 s18, 0
	s_load_dword s15, s[16:17], 0xfc
	s_waitcnt lgkmcnt(0)
	v_cvt_f32_u32_e32 v1, s4
	v_writelane_b32 v55, s0, 0
	v_writelane_b32 v55, s8, 1
	;; [unrolled: 1-line block ×3, first 2 shown]
	s_load_dwordx2 s[8:9], s[16:17], 0x15c
	v_rcp_iflag_f32_e32 v1, v1
	s_load_dwordx2 s[12:13], s[16:17], 0x6c
	s_load_dwordx2 s[0:1], s[16:17], 0x0
	s_sub_i32 s5, 0, s4
	v_cvt_f32_u32_e32 v2, s15
	s_waitcnt lgkmcnt(0)
	v_writelane_b32 v55, s8, 3
	v_writelane_b32 v55, s9, 4
	s_load_dwordx2 s[8:9], s[16:17], 0x23c
	v_mul_f32_e32 v1, 0x4f7ffffe, v1
	v_cvt_u32_f32_e32 v1, v1
	v_rcp_iflag_f32_e32 v2, v2
	s_waitcnt lgkmcnt(0)
	v_writelane_b32 v55, s8, 5
	v_writelane_b32 v55, s9, 6
	s_load_dword s14, s[16:17], 0x1dc
	s_load_dwordx2 s[8:9], s[16:17], 0xf0
	v_readfirstlane_b32 s7, v1
	v_mul_f32_e32 v1, 0x4f7ffffe, v2
	v_cvt_u32_f32_e32 v1, v1
	s_waitcnt lgkmcnt(0)
	v_cvt_f32_u32_e32 v2, s14
	s_mul_i32 s5, s5, s7
	s_mul_hi_u32 s5, s7, s5
	v_writelane_b32 v55, s8, 7
	v_rcp_iflag_f32_e32 v2, v2
	s_add_i32 s7, s7, s5
	v_writelane_b32 v55, s9, 8
	s_mul_hi_u32 s5, s11, s7
	s_sub_i32 s7, 0, s15
	v_readfirstlane_b32 s8, v1
	v_mul_f32_e32 v1, 0x4f7ffffe, v2
	s_mul_i32 s7, s7, s8
	v_cvt_u32_f32_e32 v1, v1
	s_mul_hi_u32 s7, s8, s7
	s_add_i32 s8, s8, s7
	v_writelane_b32 v55, s15, 9
	s_mul_hi_u32 s7, s11, s8
	v_writelane_b32 v55, s7, 10
	s_sub_i32 s7, 0, s14
	v_readfirstlane_b32 s8, v1
	s_mul_i32 s7, s7, s8
	s_mul_hi_u32 s7, s8, s7
	s_add_i32 s8, s8, s7
	v_writelane_b32 v55, s14, 11
	s_mul_hi_u32 s7, s11, s8
	v_writelane_b32 v55, s7, 12
	v_cmp_eq_u32_e64 s[8:9], 0, v0
	s_mov_b64 s[14:15], exec
	v_writelane_b32 v55, s8, 13
	v_writelane_b32 v55, s9, 14
	s_and_b64 s[8:9], s[14:15], s[8:9]
	s_mov_b64 exec, s[8:9]
	s_cbranch_execz .LBB111_3
; %bb.2:
	v_mov_b32_e32 v2, 0
	v_mov_b32_e32 v3, s60
	;; [unrolled: 1-line block ×3, first 2 shown]
	ds_write_b96 v2, v[2:4] offset:4096
.LBB111_3:
	s_or_b64 exec, exec, s[14:15]
	s_mul_i32 s7, s5, s4
	s_sub_i32 s7, s11, s7
	s_add_i32 s8, s5, 1
	s_sub_i32 s9, s7, s4
	s_cmp_ge_u32 s7, s4
	s_cselect_b32 s5, s8, s5
	s_cselect_b32 s7, s9, s7
	s_add_i32 s8, s5, 1
	s_cmp_ge_u32 s7, s4
	s_cselect_b32 s5, s8, s5
	s_mul_i32 s4, s5, s4
	s_sub_i32 s4, s11, s4
	s_mul_i32 s4, s4, s13
	s_mul_i32 s5, s5, s12
	s_add_i32 s4, s5, s4
	s_mov_b32 s5, s18
	s_lshl_b64 s[4:5], s[4:5], 1
	s_add_u32 s33, s0, s4
	v_writelane_b32 v55, s11, 15
	s_mov_b32 s8, 0
	s_waitcnt lgkmcnt(0)
	s_barrier
	s_load_dword s0, s[2:3], 0xc
	s_addc_u32 s7, s1, s5
	v_writelane_b32 v55, s8, 16
	s_bitcmp1_b32 s62, 0
	v_writelane_b32 v55, s9, 17
	s_cselect_b64 s[4:5], -1, 0
	v_writelane_b32 v55, s4, 18
	v_mbcnt_lo_u32_b32 v1, -1, 0
	v_writelane_b32 v55, s5, 19
	s_xor_b64 s[4:5], s[4:5], -1
	v_mbcnt_hi_u32_b32 v1, -1, v1
	v_writelane_b32 v55, s4, 20
	s_waitcnt lgkmcnt(0)
	s_and_b32 s76, s0, 0xffff
	s_bfe_u32 s8, s0, 0xa0006
	v_cmp_gt_u32_e32 vcc, 64, v0
	v_cmp_gt_i32_e64 s[0:1], 4, v1
	v_writelane_b32 v55, s5, 21
	s_lshl_b32 s77, s76, 2
	s_and_b64 s[0:1], vcc, s[0:1]
	v_writelane_b32 v55, s0, 22
	s_cmpk_gt_u32 s60, 0x600
	v_writelane_b32 v55, s1, 23
	s_cselect_b64 s[0:1], -1, 0
	v_writelane_b32 v55, s0, 24
	s_cmp_gt_u32 s76, 63
	v_writelane_b32 v55, s1, 25
	s_cselect_b64 s[0:1], -1, 0
	v_writelane_b32 v55, s0, 26
	v_writelane_b32 v55, s1, 27
	s_add_i32 s0, s76, -1
	s_add_i32 s4, s0, s60
	s_cmp_lt_u32 s6, s10
	v_writelane_b32 v55, s0, 28
	s_cselect_b32 s0, 12, 18
	s_add_u32 s0, s2, s0
	s_addc_u32 s1, s3, 0
	v_writelane_b32 v55, s0, 29
	s_add_i32 s2, s8, -2
	v_writelane_b32 v55, s1, 30
	s_lshr_b32 s0, s2, 1
	s_add_i32 s3, s0, 1
	s_cmpk_gt_u32 s76, 0x7f
	s_cselect_b64 s[0:1], -1, 0
	v_writelane_b32 v55, s0, 31
	v_writelane_b32 v55, s1, 32
	;; [unrolled: 1-line block ×3, first 2 shown]
	s_load_dword s9, s[16:17], 0xe8
	v_mov_b32_e32 v11, 0
	v_mov_b32_e32 v13, v11
	;; [unrolled: 1-line block ×3, first 2 shown]
	v_writelane_b32 v55, s17, 34
	s_waitcnt lgkmcnt(0)
	v_mul_lo_u32 v12, v0, s9
	v_lshlrev_b64 v[2:3], 1, v[12:13]
	v_add_co_u32_e32 v8, vcc, s33, v2
	v_lshrrev_b32_e32 v2, 4, v0
	v_addc_co_u32_e32 v9, vcc, v17, v3, vcc
	v_cmp_gt_u32_e64 s[10:11], s60, v0
	v_and_b32_e32 v18, 60, v2
	v_lshlrev_b64 v[2:3], v1, -1
	v_writelane_b32 v55, s10, 35
	v_not_b32_e32 v6, v2
	v_cvt_f32_u32_e32 v2, s77
	v_writelane_b32 v55, s11, 36
	v_cmp_gt_u32_e64 s[10:11], 2, v0
	s_and_b32 s5, s8, 0x3fe
	s_and_b32 s6, s3, 7
	v_writelane_b32 v55, s10, 37
	s_cmp_gt_u32 s2, 13
	v_writelane_b32 v55, s11, 38
	s_cselect_b64 s[10:11], -1, 0
	v_writelane_b32 v55, s10, 39
	v_rcp_iflag_f32_e32 v2, v2
	v_writelane_b32 v55, s11, 40
	s_and_b32 s2, s3, -8
	v_writelane_b32 v55, s2, 41
	s_cmp_lg_u32 s6, 0
	v_writelane_b32 v55, s6, 42
	s_cselect_b64 s[2:3], -1, 0
	v_writelane_b32 v55, s2, 43
	v_mul_f32_e32 v2, 0x4f7ffffe, v2
	v_writelane_b32 v55, s3, 44
	v_cvt_u32_f32_e32 v2, v2
	v_writelane_b32 v55, s8, 45
	s_cmp_lg_u32 s5, s8
	v_writelane_b32 v55, s5, 46
	s_cselect_b64 s[2:3], -1, 0
	v_writelane_b32 v55, s2, 47
	v_writelane_b32 v55, s3, 48
	s_sub_i32 s2, 0, s77
	v_readfirstlane_b32 s3, v2
	v_cvt_f32_u32_e32 v2, s76
	s_mul_i32 s2, s2, s3
	s_mul_hi_u32 s2, s3, s2
	s_add_i32 s2, s3, s2
	v_writelane_b32 v55, s2, 49
	s_mul_hi_u32 s2, s60, s2
	v_rcp_iflag_f32_e32 v5, v2
	s_mul_i32 s2, s2, s77
	s_sub_i32 s2, s60, s2
	s_sub_i32 s3, s2, s77
	s_cmp_ge_u32 s2, s77
	v_mul_f32_e32 v5, 0x4f7ffffe, v5
	s_cselect_b32 s2, s3, s2
	v_cvt_u32_f32_e32 v5, v5
	s_sub_i32 s3, s2, s77
	s_cmp_ge_u32 s2, s77
	s_cselect_b32 s2, s3, s2
	v_lshlrev_b32_e32 v16, 2, v0
	s_sub_i32 s8, s60, s2
	s_sub_i32 s3, 0, s76
	v_readfirstlane_b32 s5, v5
	v_cmp_gt_u32_e64 s[10:11], s8, v16
	s_mul_i32 s3, s3, s5
	v_writelane_b32 v55, s10, 50
	s_mul_hi_u32 s3, s5, s3
	v_writelane_b32 v55, s11, 51
	s_add_i32 s3, s5, s3
	v_writelane_b32 v55, s3, 52
	s_mul_hi_u32 s3, s4, s3
	s_mul_i32 s3, s3, s76
	s_sub_i32 s3, s4, s3
	s_sub_i32 s5, s3, s76
	v_add_u32_e32 v21, s8, v0
	s_cmp_ge_u32 s3, s76
	v_mul_lo_u32 v10, v21, s9
	s_cselect_b32 s3, s5, s3
	v_not_b32_e32 v7, v3
	v_lshlrev_b64 v[2:3], 1, v[10:11]
	s_sub_i32 s5, s3, s76
	v_add_co_u32_e32 v14, vcc, s33, v2
	s_cmp_ge_u32 s3, s76
	v_mul_lo_u32 v2, s9, v16
	s_cselect_b32 s3, s5, s3
	v_add_u32_e32 v22, s9, v2
	v_or_b32_e32 v2, 2, v16
	s_sub_i32 s78, s4, s3
	v_mul_lo_u32 v23, s9, v2
	v_or_b32_e32 v2, 3, v16
	s_add_i32 s3, s76, s60
	v_mul_lo_u32 v24, s9, v2
	v_add_u32_e32 v2, s3, v0
	v_lshlrev_b32_e32 v19, 1, v0
	v_lshlrev_b32_e32 v4, 2, v1
	v_mov_b32_e32 v10, s7
	v_cmp_gt_u32_e64 s[4:5], s78, v0
	s_mul_i32 s6, s9, s76
	v_subrev_u32_e32 v2, s2, v2
	v_cmp_eq_u32_e64 s[0:1], 0, v1
	v_add_u32_e32 v20, 0xc00, v19
	v_and_b32_e32 v13, 0x100, v4
	v_cmp_gt_u32_e64 s[14:15], s60, v21
	v_addc_co_u32_e32 v15, vcc, v10, v3, vcc
	v_writelane_b32 v55, s4, 53
	s_lshl_b32 s79, s6, 2
	v_lshlrev_b32_e32 v25, 2, v12
	v_mul_lo_u32 v26, s9, v2
	v_lshlrev_b32_e32 v27, 3, v0
	s_lshl_b32 s12, s76, 3
	s_lshl_b32 s13, s76, 1
	v_or_b32_e32 v28, 0xc00, v4
	s_mov_b32 s72, 14
	s_mov_b64 s[90:91], 0
	v_mov_b32_e32 v37, s61
	s_movk_i32 s9, 0x3f80
	v_mov_b32_e32 v29, 0xffff
	v_mov_b32_e32 v30, 0x8000
	v_mov_b32_e32 v31, -1
	v_mov_b32_e32 v32, 0xc00
	v_mov_b32_e32 v33, 0x5040100
	;; [unrolled: 1-line block ×3, first 2 shown]
	s_mov_b32 s73, 0
	v_mov_b32_e32 v35, 0
	v_mov_b32_e32 v34, 0
	v_writelane_b32 v55, s5, 54
                                        ; implicit-def: $sgpr92_sgpr93
                                        ; implicit-def: $sgpr94_sgpr95
                                        ; implicit-def: $sgpr66_sgpr67
                                        ; implicit-def: $sgpr68_sgpr69
                                        ; implicit-def: $sgpr64_sgpr65
                                        ; implicit-def: $sgpr70_sgpr71
                                        ; implicit-def: $sgpr2_sgpr3
                                        ; implicit-def: $sgpr84_sgpr85
                                        ; implicit-def: $sgpr86_sgpr87
                                        ; implicit-def: $sgpr88_sgpr89
	s_branch .LBB111_6
.LBB111_4:                              ;   in Loop: Header=BB111_6 Depth=1
	s_or_b64 exec, exec, s[22:23]
	s_andn2_b64 s[4:5], s[88:89], exec
	s_and_b64 s[10:11], s[20:21], exec
	s_or_b64 s[88:89], s[4:5], s[10:11]
	s_andn2_b64 s[86:87], s[86:87], exec
	s_andn2_b64 s[84:85], s[84:85], exec
	;; [unrolled: 1-line block ×4, first 2 shown]
	s_orn2_b64 s[18:19], s[18:19], exec
	v_mov_b32_e32 v34, v3
	v_mov_b32_e32 v35, v2
	;; [unrolled: 1-line block ×4, first 2 shown]
.LBB111_5:                              ;   in Loop: Header=BB111_6 Depth=1
	s_or_b64 exec, exec, s[16:17]
	s_and_b64 s[4:5], exec, s[18:19]
	s_or_b64 s[90:91], s[4:5], s[90:91]
	s_andn2_b64 s[4:5], s[64:65], exec
	s_and_b64 s[10:11], s[88:89], exec
	s_or_b64 s[64:65], s[4:5], s[10:11]
	s_andn2_b64 s[4:5], s[68:69], exec
	s_and_b64 s[10:11], s[86:87], exec
	s_or_b64 s[68:69], s[4:5], s[10:11]
	s_andn2_b64 s[4:5], s[66:67], exec
	s_and_b64 s[10:11], s[84:85], exec
	s_or_b64 s[66:67], s[4:5], s[10:11]
	s_andn2_b64 s[4:5], s[94:95], exec
	s_and_b64 s[10:11], s[2:3], exec
	s_or_b64 s[94:95], s[4:5], s[10:11]
	s_andn2_b64 s[4:5], s[92:93], exec
	s_and_b64 s[10:11], s[70:71], exec
	s_or_b64 s[92:93], s[4:5], s[10:11]
	s_andn2_b64 exec, exec, s[90:91]
	s_cbranch_execz .LBB111_407
.LBB111_6:                              ; =>This Loop Header: Depth=1
                                        ;     Child Loop BB111_11 Depth 2
                                        ;     Child Loop BB111_29 Depth 2
	;; [unrolled: 1-line block ×25, first 2 shown]
	ds_read_b64 v[2:3], v11 offset:4096
	s_waitcnt lgkmcnt(0)
	v_readfirstlane_b32 s4, v2
	s_cmp_lg_u32 s4, 0
	s_cbranch_scc1 .LBB111_36
; %bb.7:                                ;   in Loop: Header=BB111_6 Depth=1
	v_readlane_b32 s4, v55, 24
	v_readlane_b32 s5, v55, 25
	s_and_b64 vcc, exec, s[4:5]
	s_cbranch_vccz .LBB111_19
; %bb.8:                                ;   in Loop: Header=BB111_6 Depth=1
	s_movk_i32 s4, 0x601
	v_cmp_gt_u32_e32 vcc, s4, v3
	s_mov_b64 s[16:17], 0
	s_mov_b64 s[18:19], 0
	s_cbranch_vccz .LBB111_20
; %bb.9:                                ;   in Loop: Header=BB111_6 Depth=1
	v_readlane_b32 s4, v55, 29
	v_readlane_b32 s5, v55, 30
	s_nop 4
	global_load_ushort v2, v11, s[4:5]
	global_load_ushort v3, v[8:9], off
	v_readlane_b32 s4, v55, 33
	v_readlane_b32 s5, v55, 34
	s_load_dword s4, s[4:5], 0xe8
	s_mov_b64 s[22:23], 0
	s_waitcnt vmcnt(1)
	v_add_u32_e32 v5, v0, v2
	s_waitcnt lgkmcnt(0)
	v_mul_lo_u32 v4, s4, v2
	v_mul_lo_u32 v10, s4, v5
	v_mov_b32_e32 v5, v0
	s_branch .LBB111_11
.LBB111_10:                             ;   in Loop: Header=BB111_11 Depth=2
	s_or_b64 exec, exec, s[20:21]
	v_add_u32_e32 v10, v10, v4
	v_mov_b32_e32 v3, v38
	s_andn2_b64 exec, exec, s[22:23]
	s_cbranch_execz .LBB111_21
.LBB111_11:                             ;   Parent Loop BB111_6 Depth=1
                                        ; =>  This Inner Loop Header: Depth=2
	v_add_u32_e32 v5, v5, v2
	v_cmp_gt_u32_e64 s[18:19], s60, v5
	v_cmp_le_u32_e32 vcc, s60, v5
	s_waitcnt lgkmcnt(0)
	v_mov_b32_e32 v39, 0
	v_mov_b32_e32 v38, 0
	s_and_saveexec_b64 s[20:21], s[18:19]
	s_cbranch_execz .LBB111_13
; %bb.12:                               ;   in Loop: Header=BB111_11 Depth=2
	v_lshlrev_b64 v[40:41], 1, v[10:11]
	v_add_co_u32_e64 v40, s[18:19], s33, v40
	v_addc_co_u32_e64 v41, s[18:19], v17, v41, s[18:19]
	global_load_ushort v38, v[40:41], off
.LBB111_13:                             ;   in Loop: Header=BB111_11 Depth=2
	s_or_b64 exec, exec, s[20:21]
	s_waitcnt vmcnt(0)
	v_cmp_lt_i16_e64 s[18:19], -1, v3
	v_cndmask_b32_e64 v40, v29, v30, s[18:19]
	v_lshlrev_b32_e32 v41, 16, v3
	v_xor_b32_sdwa v40, v40, v3 dst_sel:DWORD dst_unused:UNUSED_PAD src0_sel:DWORD src1_sel:WORD_0
	v_cmp_o_f32_e64 s[18:19], v41, v41
	v_cndmask_b32_e64 v40, v29, v40, s[18:19]
	v_and_b32_e32 v40, v40, v34
	v_cmp_eq_u32_e64 s[18:19], v40, v35
	s_cmp_lg_u64 s[18:19], 0
	s_cselect_b64 s[4:5], -1, 0
	s_and_b64 s[4:5], s[0:1], s[4:5]
	s_and_saveexec_b64 s[24:25], s[4:5]
	s_cbranch_execz .LBB111_17
; %bb.14:                               ;   in Loop: Header=BB111_11 Depth=2
	s_mov_b64 s[28:29], exec
	v_mbcnt_lo_u32_b32 v39, s28, 0
	v_mbcnt_hi_u32_b32 v39, s29, v39
	s_bcnt1_i32_b64 s4, s[18:19]
	v_cmp_eq_u32_e64 s[20:21], 0, v39
                                        ; implicit-def: $vgpr40
	s_and_saveexec_b64 s[26:27], s[20:21]
	s_cbranch_execz .LBB111_16
; %bb.15:                               ;   in Loop: Header=BB111_11 Depth=2
	s_bcnt1_i32_b64 s5, s[28:29]
	s_mul_i32 s5, s4, s5
	v_mov_b32_e32 v40, s5
	ds_add_rtn_u32 v40, v11, v40 offset:4104
.LBB111_16:                             ;   in Loop: Header=BB111_11 Depth=2
	s_or_b64 exec, exec, s[26:27]
	s_waitcnt lgkmcnt(0)
	v_readfirstlane_b32 s5, v40
	v_mov_b32_e32 v40, s5
	v_mad_u32_u24 v39, s4, v39, v40
.LBB111_17:                             ;   in Loop: Header=BB111_11 Depth=2
	s_or_b64 exec, exec, s[24:25]
	ds_bpermute_b32 v39, v13, v39
	s_and_b64 s[4:5], exec, vcc
	s_or_b64 s[22:23], s[4:5], s[22:23]
	s_and_saveexec_b64 s[20:21], s[18:19]
	s_cbranch_execz .LBB111_10
; %bb.18:                               ;   in Loop: Header=BB111_11 Depth=2
	v_and_b32_e32 v41, s18, v6
	v_and_b32_e32 v40, s19, v7
	v_bcnt_u32_b32 v41, v41, 0
	v_bcnt_u32_b32 v40, v40, v41
	v_lshlrev_b32_e32 v40, 1, v40
	s_waitcnt lgkmcnt(0)
	v_lshl_add_u32 v39, v39, 1, v40
	ds_write_b16 v39, v3
	s_branch .LBB111_10
.LBB111_19:                             ;   in Loop: Header=BB111_6 Depth=1
	s_mov_b64 s[18:19], 0
                                        ; implicit-def: $sgpr4
	s_cbranch_execnz .LBB111_24
	s_branch .LBB111_34
.LBB111_20:                             ;   in Loop: Header=BB111_6 Depth=1
	s_mov_b32 s4, 0
	s_and_b64 vcc, exec, s[16:17]
	s_cbranch_vccnz .LBB111_24
	s_branch .LBB111_34
.LBB111_21:                             ;   in Loop: Header=BB111_6 Depth=1
	s_or_b64 exec, exec, s[22:23]
	s_waitcnt lgkmcnt(0)
	s_barrier
	s_mov_b64 s[18:19], exec
	v_readlane_b32 s4, v55, 13
	v_readlane_b32 s5, v55, 14
	s_and_b64 s[4:5], s[18:19], s[4:5]
	s_mov_b64 exec, s[4:5]
	s_cbranch_execz .LBB111_23
; %bb.22:                               ;   in Loop: Header=BB111_6 Depth=1
	ds_read_b32 v2, v11 offset:4104
	s_waitcnt lgkmcnt(0)
	ds_write_b32 v11, v2 offset:4096
.LBB111_23:                             ;   in Loop: Header=BB111_6 Depth=1
	s_or_b64 exec, exec, s[18:19]
	s_waitcnt lgkmcnt(0)
	s_barrier
	s_mov_b64 s[18:19], -1
	s_mov_b32 s4, 0
	s_and_b64 vcc, exec, s[16:17]
	s_cbranch_vccz .LBB111_34
.LBB111_24:                             ;   in Loop: Header=BB111_6 Depth=1
	v_mov_b32_e32 v2, 0
	s_mov_b64 s[16:17], exec
	v_readlane_b32 s4, v55, 35
	v_readlane_b32 s5, v55, 36
	s_and_b64 s[4:5], s[16:17], s[4:5]
	s_mov_b64 exec, s[4:5]
	s_cbranch_execz .LBB111_26
; %bb.25:                               ;   in Loop: Header=BB111_6 Depth=1
	global_load_ushort v2, v[8:9], off
.LBB111_26:                             ;   in Loop: Header=BB111_6 Depth=1
	s_or_b64 exec, exec, s[16:17]
	s_mov_b64 s[16:17], exec
	v_readlane_b32 s4, v55, 35
	v_readlane_b32 s5, v55, 36
	s_and_b64 s[4:5], s[16:17], s[4:5]
	s_mov_b64 exec, s[4:5]
	s_cbranch_execz .LBB111_31
; %bb.27:                               ;   in Loop: Header=BB111_6 Depth=1
	v_readlane_b32 s4, v55, 29
	v_readlane_b32 s5, v55, 30
	s_mov_b64 s[20:21], 0
	v_mov_b32_e32 v4, v19
	v_mov_b32_e32 v39, v0
	s_nop 1
	global_load_ushort v3, v11, s[4:5]
	v_readlane_b32 s4, v55, 33
	v_readlane_b32 s5, v55, 34
	s_load_dword s4, s[4:5], 0xe8
	s_waitcnt vmcnt(0)
	v_add_u32_e32 v10, v0, v3
	v_lshlrev_b32_e32 v5, 1, v3
	s_waitcnt lgkmcnt(0)
	v_mul_lo_u32 v38, s4, v3
	v_mul_lo_u32 v10, s4, v10
	s_branch .LBB111_29
.LBB111_28:                             ;   in Loop: Header=BB111_29 Depth=2
	s_or_b64 exec, exec, s[22:23]
	s_and_b64 s[4:5], exec, vcc
	s_or_b64 s[20:21], s[4:5], s[20:21]
	ds_write_b16 v4, v2
	v_add_u32_e32 v4, v4, v5
	v_add_u32_e32 v10, v10, v38
	s_waitcnt vmcnt(0)
	v_mov_b32_e32 v2, v40
	s_andn2_b64 exec, exec, s[20:21]
	s_cbranch_execz .LBB111_31
.LBB111_29:                             ;   Parent Loop BB111_6 Depth=1
                                        ; =>  This Inner Loop Header: Depth=2
	v_add_u32_e32 v39, v39, v3
	v_cmp_gt_u32_e64 s[18:19], s60, v39
	v_cmp_le_u32_e32 vcc, s60, v39
	v_mov_b32_e32 v40, 0
	s_and_saveexec_b64 s[22:23], s[18:19]
	s_cbranch_execz .LBB111_28
; %bb.30:                               ;   in Loop: Header=BB111_29 Depth=2
	v_lshlrev_b64 v[40:41], 1, v[10:11]
	v_mov_b32_e32 v42, s7
	v_add_co_u32_e64 v40, s[18:19], s33, v40
	v_addc_co_u32_e64 v41, s[18:19], v42, v41, s[18:19]
	global_load_ushort v40, v[40:41], off
	s_branch .LBB111_28
.LBB111_31:                             ;   in Loop: Header=BB111_6 Depth=1
	s_or_b64 exec, exec, s[16:17]
	s_waitcnt lgkmcnt(0)
	s_barrier
	s_mov_b64 s[16:17], exec
	v_readlane_b32 s4, v55, 13
	v_readlane_b32 s5, v55, 14
	s_and_b64 s[4:5], s[16:17], s[4:5]
	s_mov_b64 exec, s[4:5]
	s_cbranch_execz .LBB111_33
; %bb.32:                               ;   in Loop: Header=BB111_6 Depth=1
	s_waitcnt vmcnt(0)
	v_mov_b32_e32 v2, s60
	ds_write_b32 v11, v2 offset:4096
.LBB111_33:                             ;   in Loop: Header=BB111_6 Depth=1
	s_or_b64 exec, exec, s[16:17]
	s_mov_b64 s[18:19], -1
	s_waitcnt lgkmcnt(0)
	s_barrier
                                        ; implicit-def: $sgpr4
.LBB111_34:                             ;   in Loop: Header=BB111_6 Depth=1
	s_and_b64 vcc, exec, s[18:19]
	s_cbranch_vccz .LBB111_36
; %bb.35:                               ;   in Loop: Header=BB111_6 Depth=1
	s_waitcnt vmcnt(0)
	ds_read_b32 v2, v11 offset:4096
	s_waitcnt lgkmcnt(0)
	v_readfirstlane_b32 s4, v2
.LBB111_36:                             ;   in Loop: Header=BB111_6 Depth=1
	s_cmp_lt_i32 s4, 1
	s_cbranch_scc0 .LBB111_48
; %bb.37:                               ;   in Loop: Header=BB111_6 Depth=1
	s_waitcnt vmcnt(0)
	v_mov_b32_e32 v2, 0
	s_mov_b32 s5, 0
	v_mov_b32_e32 v3, 0
	v_mov_b32_e32 v4, v2
	v_mov_b32_e32 v5, 0
	s_mov_b64 s[48:49], exec
	v_readlane_b32 s10, v55, 50
	v_readlane_b32 s11, v55, 51
	s_and_b64 s[10:11], s[48:49], s[10:11]
	s_mov_b64 exec, s[10:11]
	s_cbranch_execz .LBB111_41
; %bb.38:                               ;   in Loop: Header=BB111_6 Depth=1
	s_and_b32 s10, s72, 0xfe
	s_mov_b64 s[50:51], 0
	s_mov_b32 s11, 0
	s_mov_b32 s16, 0
	;; [unrolled: 1-line block ×4, first 2 shown]
	v_mov_b32_e32 v38, v16
.LBB111_39:                             ;   Parent Loop BB111_6 Depth=1
                                        ; =>  This Inner Loop Header: Depth=2
	v_add_u32_e32 v10, s5, v25
	v_lshlrev_b64 v[2:3], 1, v[10:11]
	v_mov_b32_e32 v39, s7
	v_add_u32_e32 v10, s5, v22
	v_add_co_u32_e64 v2, s[18:19], s33, v2
	v_lshlrev_b64 v[4:5], 1, v[10:11]
	v_addc_co_u32_e64 v3, s[18:19], v39, v3, s[18:19]
	v_add_u32_e32 v10, s5, v23
	global_load_ushort v42, v[2:3], off
	v_add_co_u32_e64 v2, s[18:19], s33, v4
	v_lshlrev_b64 v[40:41], 1, v[10:11]
	v_add_u32_e32 v10, s5, v24
	v_addc_co_u32_e64 v3, s[18:19], v39, v5, s[18:19]
	v_lshlrev_b64 v[4:5], 1, v[10:11]
	global_load_ushort v10, v[2:3], off
	v_add_co_u32_e64 v2, s[18:19], s33, v40
	v_addc_co_u32_e64 v3, s[18:19], v39, v41, s[18:19]
	global_load_ushort v40, v[2:3], off
	v_add_co_u32_e64 v2, s[18:19], s33, v4
	v_addc_co_u32_e64 v3, s[18:19], v39, v5, s[18:19]
	global_load_ushort v2, v[2:3], off
	v_add_u32_e32 v38, s77, v38
	v_cmp_le_u32_e32 vcc, s8, v38
	s_add_i32 s5, s5, s79
	s_waitcnt vmcnt(3)
	v_cmp_lt_i16_e64 s[18:19], -1, v42
	v_lshlrev_b32_e32 v3, 16, v42
	v_cndmask_b32_e64 v4, v29, v30, s[18:19]
	v_xor_b32_sdwa v4, v4, v42 dst_sel:DWORD dst_unused:UNUSED_PAD src0_sel:DWORD src1_sel:WORD_0
	s_waitcnt vmcnt(2)
	v_cmp_lt_i16_e64 s[18:19], -1, v10
	v_cndmask_b32_e64 v39, v29, v30, s[18:19]
	v_cmp_o_f32_e64 s[18:19], v3, v3
	v_lshlrev_b32_e32 v5, 16, v10
	v_cndmask_b32_e64 v4, v29, v4, s[18:19]
	s_waitcnt vmcnt(1)
	v_cmp_lt_i16_e64 s[18:19], -1, v40
	v_xor_b32_sdwa v10, v39, v10 dst_sel:DWORD dst_unused:UNUSED_PAD src0_sel:DWORD src1_sel:WORD_0
	v_cndmask_b32_e64 v39, v29, v30, s[18:19]
	v_cmp_o_f32_e64 s[18:19], v5, v5
	v_lshlrev_b32_e32 v3, 16, v40
	v_cndmask_b32_e64 v10, v29, v10, s[18:19]
	s_waitcnt vmcnt(0)
	v_cmp_lt_i16_e64 s[18:19], -1, v2
	v_xor_b32_sdwa v39, v39, v40 dst_sel:DWORD dst_unused:UNUSED_PAD src0_sel:DWORD src1_sel:WORD_0
	v_cndmask_b32_e64 v40, v29, v30, s[18:19]
	v_and_b32_e32 v41, v4, v34
	v_bfe_u32 v4, v4, s10, 2
	v_cmp_o_f32_e64 s[18:19], v3, v3
	v_cndmask_b32_e64 v3, v29, v39, s[18:19]
	v_cmp_eq_u32_e64 s[18:19], v41, v35
	v_cmp_eq_u32_e64 s[20:21], 0, v4
	v_lshlrev_b32_e32 v5, 16, v2
	v_cmp_eq_u32_e64 s[22:23], 1, v4
	s_and_b64 s[20:21], s[18:19], s[20:21]
	v_xor_b32_sdwa v2, v40, v2 dst_sel:DWORD dst_unused:UNUSED_PAD src0_sel:DWORD src1_sel:WORD_0
	v_and_b32_e32 v39, v10, v34
	v_bfe_u32 v10, v10, s10, 2
	v_cmp_eq_u32_e64 s[24:25], 2, v4
	v_cmp_eq_u32_e64 s[26:27], 3, v4
	v_cmp_o_f32_e64 s[28:29], v5, v5
	v_cndmask_b32_e64 v5, 0, 1, s[20:21]
	s_and_b64 s[20:21], s[18:19], s[22:23]
	v_cndmask_b32_e64 v2, v29, v2, s[28:29]
	v_cmp_eq_u32_e64 s[28:29], v39, v35
	v_and_b32_e32 v4, v3, v34
	v_bfe_u32 v3, v3, s10, 2
	v_cmp_eq_u32_e64 s[30:31], 0, v10
	v_cmp_eq_u32_e64 s[34:35], 1, v10
	;; [unrolled: 1-line block ×4, first 2 shown]
	v_cndmask_b32_e64 v10, 0, 1, s[20:21]
	s_and_b64 s[20:21], s[18:19], s[24:25]
	s_and_b64 s[18:19], s[18:19], s[26:27]
	v_cndmask_b32_e64 v39, 0, 1, s[20:21]
	v_cndmask_b32_e64 v40, 0, 1, s[18:19]
	v_cmp_eq_u32_e64 s[18:19], v4, v35
	v_and_b32_e32 v4, v2, v34
	v_bfe_u32 v2, v2, s10, 2
	v_cmp_eq_u32_e64 s[20:21], 0, v3
	s_and_b64 s[30:31], s[28:29], s[30:31]
	s_and_b64 s[34:35], s[28:29], s[34:35]
	;; [unrolled: 1-line block ×4, first 2 shown]
	v_cmp_eq_u32_e64 s[22:23], 1, v3
	v_cmp_eq_u32_e64 s[24:25], 2, v3
	;; [unrolled: 1-line block ×3, first 2 shown]
	v_cmp_ne_u32_e64 s[40:41], 0, v5
	v_cndmask_b32_e64 v5, 0, 1, s[34:35]
	v_cmp_ne_u32_e64 s[34:35], 0, v39
	v_cndmask_b32_e64 v39, 0, 1, s[28:29]
	v_cmp_eq_u32_e64 s[28:29], v4, v35
	v_cmp_eq_u32_e64 s[38:39], 0, v2
	s_and_b64 s[20:21], s[18:19], s[20:21]
	v_cndmask_b32_e64 v3, 0, 1, s[30:31]
	v_cmp_eq_u32_e64 s[42:43], 1, v2
	v_cmp_eq_u32_e64 s[44:45], 2, v2
	;; [unrolled: 1-line block ×3, first 2 shown]
	v_cndmask_b32_e64 v2, 0, 1, s[20:21]
	s_and_b64 s[22:23], s[18:19], s[22:23]
	s_and_b64 s[24:25], s[18:19], s[24:25]
	;; [unrolled: 1-line block ×4, first 2 shown]
	v_cmp_ne_u32_e64 s[30:31], 0, v10
	v_cndmask_b32_e64 v10, 0, 1, s[36:37]
	v_cmp_ne_u32_e64 s[36:37], 0, v40
	s_bcnt1_i32_b64 s53, s[40:41]
	v_cmp_ne_u32_e64 s[40:41], 0, v3
	v_cmp_ne_u32_e64 s[20:21], 0, v5
	v_cndmask_b32_e64 v3, 0, 1, s[22:23]
	v_cndmask_b32_e64 v5, 0, 1, s[18:19]
	v_cmp_ne_u32_e64 s[18:19], 0, v2
	v_cndmask_b32_e64 v2, 0, 1, s[26:27]
	s_and_b64 s[26:27], s[28:29], s[42:43]
	s_bcnt1_i32_b64 s30, s[30:31]
	s_bcnt1_i32_b64 s31, s[34:35]
	v_cmp_ne_u32_e64 s[22:23], 0, v10
	v_cndmask_b32_e64 v4, 0, 1, s[24:25]
	s_bcnt1_i32_b64 s34, s[36:37]
	s_bcnt1_i32_b64 s37, s[20:21]
	v_cmp_ne_u32_e64 s[20:21], 0, v3
	v_cndmask_b32_e64 v3, 0, 1, s[26:27]
	s_and_b64 s[26:27], s[28:29], s[44:45]
	v_cmp_ne_u32_e64 s[24:25], 0, v39
	s_add_i32 s30, s17, s30
	s_bcnt1_i32_b64 s38, s[22:23]
	v_cmp_ne_u32_e64 s[22:23], 0, v4
	v_cndmask_b32_e64 v4, 0, 1, s[26:27]
	s_add_i32 s26, s16, s31
	s_and_b64 s[16:17], s[28:29], s[46:47]
	s_bcnt1_i32_b64 s35, s[40:41]
	s_add_i32 s36, s52, s53
	s_bcnt1_i32_b64 s27, s[24:25]
	v_cmp_ne_u32_e64 s[24:25], 0, v5
	v_cndmask_b32_e64 v5, 0, 1, s[16:17]
	s_add_i32 s11, s11, s34
	s_bcnt1_i32_b64 s16, s[18:19]
	v_cmp_ne_u32_e64 s[18:19], 0, v2
	s_add_i32 s17, s36, s35
	s_bcnt1_i32_b64 s28, s[20:21]
	v_cmp_ne_u32_e64 s[20:21], 0, v3
	;; [unrolled: 3-line block ×4, first 2 shown]
	s_add_i32 s11, s11, s27
	s_bcnt1_i32_b64 s18, s[18:19]
	s_add_i32 s16, s17, s16
	s_bcnt1_i32_b64 s17, s[20:21]
	;; [unrolled: 2-line block ×4, first 2 shown]
	s_add_i32 s11, s11, s31
	s_add_i32 s52, s16, s18
	;; [unrolled: 1-line block ×5, first 2 shown]
	s_or_b64 s[50:51], vcc, s[50:51]
	v_mov_b32_e32 v2, s52
	v_mov_b32_e32 v3, s17
	;; [unrolled: 1-line block ×4, first 2 shown]
	s_andn2_b64 exec, exec, s[50:51]
	s_cbranch_execnz .LBB111_39
; %bb.40:                               ;   in Loop: Header=BB111_6 Depth=1
	s_or_b64 exec, exec, s[50:51]
.LBB111_41:                             ;   in Loop: Header=BB111_6 Depth=1
	s_or_b64 exec, exec, s[48:49]
	v_mov_b32_e32 v38, 0
	s_and_saveexec_b64 s[16:17], s[14:15]
	s_cbranch_execz .LBB111_43
; %bb.42:                               ;   in Loop: Header=BB111_6 Depth=1
	global_load_ushort v38, v[14:15], off
.LBB111_43:                             ;   in Loop: Header=BB111_6 Depth=1
	s_or_b64 exec, exec, s[16:17]
	s_mov_b64 s[16:17], 0
	s_mov_b64 s[80:81], 0
	s_and_saveexec_b64 s[20:21], s[14:15]
	s_cbranch_execz .LBB111_50
; %bb.44:                               ;   in Loop: Header=BB111_6 Depth=1
	s_and_b32 s5, s72, 0xfe
	s_mov_b64 s[22:23], 0
	v_mov_b32_e32 v10, v26
	v_mov_b32_e32 v39, v21
	s_branch .LBB111_46
.LBB111_45:                             ;   in Loop: Header=BB111_46 Depth=2
	s_or_b64 exec, exec, s[24:25]
	s_and_b64 s[10:11], exec, vcc
	s_waitcnt vmcnt(0)
	v_cmp_lt_i16_e32 vcc, -1, v38
	v_cndmask_b32_e32 v41, v29, v30, vcc
	v_lshlrev_b32_e32 v42, 16, v38
	v_xor_b32_sdwa v38, v41, v38 dst_sel:DWORD dst_unused:UNUSED_PAD src0_sel:DWORD src1_sel:WORD_0
	v_cmp_o_f32_e32 vcc, v42, v42
	v_cndmask_b32_e32 v38, v29, v38, vcc
	v_and_b32_e32 v41, v38, v34
	v_bfe_u32 v38, v38, s5, 2
	s_or_b64 s[22:23], s[10:11], s[22:23]
	v_cmp_eq_u32_e32 vcc, v41, v35
	v_cmp_eq_u32_e64 s[18:19], 0, v38
	s_and_b64 s[10:11], vcc, s[18:19]
	v_cndmask_b32_e64 v41, 0, 1, s[10:11]
	v_cmp_ne_u32_e64 s[18:19], 0, v41
	s_bcnt1_i32_b64 s10, s[18:19]
	v_cmp_eq_u32_e64 s[18:19], 1, v38
	v_add_u32_e32 v2, s10, v2
	s_and_b64 s[10:11], vcc, s[18:19]
	v_cndmask_b32_e64 v41, 0, 1, s[10:11]
	v_cmp_ne_u32_e64 s[18:19], 0, v41
	s_bcnt1_i32_b64 s10, s[18:19]
	v_cmp_eq_u32_e64 s[18:19], 2, v38
	v_add_u32_e32 v3, s10, v3
	;; [unrolled: 6-line block ×3, first 2 shown]
	s_and_b64 s[10:11], vcc, s[18:19]
	v_cndmask_b32_e64 v38, 0, 1, s[10:11]
	v_cmp_ne_u32_e32 vcc, 0, v38
	s_bcnt1_i32_b64 s10, vcc
	v_add_u32_e32 v5, s10, v5
	v_add_u32_e32 v10, s6, v10
	v_mov_b32_e32 v38, v40
	s_andn2_b64 exec, exec, s[22:23]
	s_cbranch_execz .LBB111_49
.LBB111_46:                             ;   Parent Loop BB111_6 Depth=1
                                        ; =>  This Inner Loop Header: Depth=2
	v_add_u32_e32 v39, s76, v39
	v_cmp_gt_u32_e64 s[18:19], s60, v39
	v_cmp_le_u32_e32 vcc, s60, v39
	v_mov_b32_e32 v40, 0
	s_and_saveexec_b64 s[24:25], s[18:19]
	s_cbranch_execz .LBB111_45
; %bb.47:                               ;   in Loop: Header=BB111_46 Depth=2
	v_lshlrev_b64 v[40:41], 1, v[10:11]
	v_mov_b32_e32 v42, s7
	v_add_co_u32_e64 v40, s[18:19], s33, v40
	v_addc_co_u32_e64 v41, s[18:19], v42, v41, s[18:19]
	global_load_ushort v40, v[40:41], off
	s_branch .LBB111_45
.LBB111_48:                             ;   in Loop: Header=BB111_6 Depth=1
	s_mov_b64 s[80:81], 0
                                        ; implicit-def: $vgpr5
	s_cbranch_execnz .LBB111_51
	s_branch .LBB111_60
.LBB111_49:                             ;   in Loop: Header=BB111_6 Depth=1
	s_or_b64 exec, exec, s[22:23]
	s_mov_b64 s[80:81], exec
.LBB111_50:                             ;   in Loop: Header=BB111_6 Depth=1
	s_or_b64 exec, exec, s[20:21]
	s_and_b64 vcc, exec, s[16:17]
	s_cbranch_vccz .LBB111_60
.LBB111_51:                             ;   in Loop: Header=BB111_6 Depth=1
	v_readlane_b32 s5, v55, 49
	s_mul_hi_u32 s5, s4, s5
	s_mul_i32 s5, s5, s77
	s_sub_i32 s5, s4, s5
	s_sub_i32 s10, s5, s77
	s_cmp_ge_u32 s5, s77
	s_cselect_b32 s5, s10, s5
	s_sub_i32 s10, s5, s77
	s_cmp_ge_u32 s5, s77
	s_cselect_b32 s5, s10, s5
	s_sub_i32 s5, s4, s5
	v_cmp_gt_u32_e32 vcc, s5, v16
	s_mov_b32 s11, 0
	s_waitcnt vmcnt(0)
	v_mov_b32_e32 v2, 0
	v_mov_b32_e32 v3, 0
	;; [unrolled: 1-line block ×4, first 2 shown]
	s_and_saveexec_b64 s[82:83], vcc
	s_cbranch_execz .LBB111_55
; %bb.52:                               ;   in Loop: Header=BB111_6 Depth=1
	s_and_b32 s10, s72, 0xfe
	s_mov_b64 s[16:17], 0
	v_mov_b32_e32 v10, v27
	s_mov_b32 s62, 0
	s_mov_b32 s63, 0
	s_mov_b32 s74, 0
	v_mov_b32_e32 v38, v16
.LBB111_53:                             ;   Parent Loop BB111_6 Depth=1
                                        ; =>  This Inner Loop Header: Depth=2
	ds_read_b64 v[2:3], v10
	v_add_u32_e32 v38, s77, v38
	v_cmp_le_u32_e32 vcc, s5, v38
	v_add_u32_e32 v10, s12, v10
	s_waitcnt lgkmcnt(0)
	v_cmp_lt_i16_e64 s[18:19], -1, v2
	v_cndmask_b32_e64 v41, v29, v30, s[18:19]
	v_cmp_gt_i16_sdwa s[18:19], v2, v31 src0_sel:WORD_1 src1_sel:DWORD
	v_lshlrev_b32_e32 v4, 16, v2
	v_cndmask_b32_e64 v42, v29, v30, s[18:19]
	v_cmp_lt_i16_e64 s[18:19], -1, v3
	v_and_b32_e32 v5, 0xffff0000, v2
	v_cndmask_b32_e64 v43, v29, v30, s[18:19]
	v_cmp_gt_i16_sdwa s[18:19], v3, v31 src0_sel:WORD_1 src1_sel:DWORD
	v_xor_b32_sdwa v42, v42, v2 dst_sel:DWORD dst_unused:UNUSED_PAD src0_sel:DWORD src1_sel:WORD_1
	v_xor_b32_sdwa v2, v41, v2 dst_sel:DWORD dst_unused:UNUSED_PAD src0_sel:DWORD src1_sel:WORD_0
	v_cmp_o_f32_e64 s[24:25], v4, v4
	v_lshlrev_b32_e32 v39, 16, v3
	v_cndmask_b32_e64 v44, v29, v30, s[18:19]
	v_cmp_o_f32_e64 s[18:19], v5, v5
	v_cndmask_b32_e64 v2, v29, v2, s[24:25]
	v_and_b32_e32 v40, 0xffff0000, v3
	v_xor_b32_sdwa v5, v43, v3 dst_sel:DWORD dst_unused:UNUSED_PAD src0_sel:DWORD src1_sel:WORD_0
	v_cmp_o_f32_e64 s[20:21], v39, v39
	v_cndmask_b32_e64 v4, v29, v42, s[18:19]
	v_and_b32_e32 v39, v2, v34
	v_bfe_u32 v2, v2, s10, 2
	v_xor_b32_sdwa v3, v44, v3 dst_sel:DWORD dst_unused:UNUSED_PAD src0_sel:DWORD src1_sel:WORD_1
	v_cmp_o_f32_e64 s[22:23], v40, v40
	v_cndmask_b32_e64 v5, v29, v5, s[20:21]
	v_and_b32_e32 v40, v4, v34
	v_bfe_u32 v4, v4, s10, 2
	v_cmp_eq_u32_e64 s[18:19], v39, v35
	v_cmp_eq_u32_e64 s[26:27], 0, v2
	v_cndmask_b32_e64 v3, v29, v3, s[22:23]
	v_and_b32_e32 v41, v5, v34
	v_bfe_u32 v5, v5, s10, 2
	v_cmp_eq_u32_e64 s[20:21], v40, v35
	v_cmp_eq_u32_e64 s[28:29], 0, v4
	s_and_b64 s[26:27], s[18:19], s[26:27]
	v_and_b32_e32 v42, v3, v34
	v_bfe_u32 v3, v3, s10, 2
	v_cmp_eq_u32_e64 s[22:23], v41, v35
	v_cmp_eq_u32_e64 s[30:31], 0, v5
	v_cmp_eq_u32_e64 s[36:37], 1, v2
	v_cmp_eq_u32_e64 s[44:45], 2, v2
	v_cmp_eq_u32_e64 s[52:53], 3, v2
	v_cndmask_b32_e64 v2, 0, 1, s[26:27]
	s_and_b64 s[26:27], s[20:21], s[28:29]
	v_cmp_eq_u32_e64 s[24:25], v42, v35
	v_cmp_eq_u32_e64 s[34:35], 0, v3
	;; [unrolled: 1-line block ×5, first 2 shown]
	v_cndmask_b32_e64 v3, 0, 1, s[26:27]
	s_and_b64 s[26:27], s[22:23], s[30:31]
	v_cmp_eq_u32_e64 s[38:39], 1, v4
	v_cmp_eq_u32_e64 s[46:47], 2, v4
	;; [unrolled: 1-line block ×3, first 2 shown]
	v_cndmask_b32_e64 v4, 0, 1, s[26:27]
	s_and_b64 s[26:27], s[24:25], s[34:35]
	v_cmp_eq_u32_e64 s[40:41], 1, v5
	v_cmp_eq_u32_e64 s[48:49], 2, v5
	;; [unrolled: 1-line block ×3, first 2 shown]
	v_cndmask_b32_e64 v5, 0, 1, s[26:27]
	s_and_b64 s[26:27], s[18:19], s[36:37]
	v_cndmask_b32_e64 v39, 0, 1, s[26:27]
	s_and_b64 s[26:27], s[20:21], s[38:39]
	;; [unrolled: 2-line block ×5, first 2 shown]
	s_and_b64 s[18:19], s[18:19], s[52:53]
	v_cndmask_b32_e64 v43, 0, 1, s[26:27]
	s_and_b64 s[26:27], s[20:21], s[46:47]
	v_cndmask_b32_e64 v47, 0, 1, s[18:19]
	;; [unrolled: 2-line block ×7, first 2 shown]
	v_cndmask_b32_e64 v50, 0, 1, s[18:19]
	v_cmp_ne_u32_e64 s[18:19], 0, v2
	v_cmp_ne_u32_e64 s[20:21], 0, v3
	;; [unrolled: 1-line block ×11, first 2 shown]
	s_bcnt1_i32_b64 s18, s[18:19]
	s_bcnt1_i32_b64 s19, s[20:21]
	;; [unrolled: 1-line block ×8, first 2 shown]
	v_cmp_ne_u32_e64 s[34:35], 0, v42
	v_cmp_ne_u32_e64 s[40:41], 0, v45
	;; [unrolled: 1-line block ×3, first 2 shown]
	s_bcnt1_i32_b64 s23, s[28:29]
	s_bcnt1_i32_b64 s27, s[38:39]
	;; [unrolled: 1-line block ×3, first 2 shown]
	s_add_i32 s18, s74, s18
	s_add_i32 s22, s63, s22
	;; [unrolled: 1-line block ×4, first 2 shown]
	v_cmp_ne_u32_e64 s[42:43], 0, v46
	v_cmp_ne_u32_e64 s[50:51], 0, v50
	s_bcnt1_i32_b64 s25, s[34:35]
	s_bcnt1_i32_b64 s28, s[40:41]
	;; [unrolled: 1-line block ×3, first 2 shown]
	s_add_i32 s18, s18, s19
	s_add_i32 s19, s22, s23
	;; [unrolled: 1-line block ×4, first 2 shown]
	s_bcnt1_i32_b64 s29, s[42:43]
	s_bcnt1_i32_b64 s35, s[50:51]
	s_add_i32 s18, s18, s20
	s_add_i32 s19, s19, s24
	;; [unrolled: 1-line block ×8, first 2 shown]
	s_or_b64 s[16:17], vcc, s[16:17]
	v_mov_b32_e32 v2, s74
	v_mov_b32_e32 v3, s63
	;; [unrolled: 1-line block ×4, first 2 shown]
	s_andn2_b64 exec, exec, s[16:17]
	s_cbranch_execnz .LBB111_53
; %bb.54:                               ;   in Loop: Header=BB111_6 Depth=1
	s_or_b64 exec, exec, s[16:17]
.LBB111_55:                             ;   in Loop: Header=BB111_6 Depth=1
	s_or_b64 exec, exec, s[82:83]
	v_add_u32_e32 v10, s5, v0
	v_cmp_gt_u32_e32 vcc, s4, v10
	s_and_saveexec_b64 s[16:17], vcc
	s_cbranch_execz .LBB111_59
; %bb.56:                               ;   in Loop: Header=BB111_6 Depth=1
	s_and_b32 s5, s72, 0xfe
	v_lshlrev_b32_e32 v38, 1, v10
	s_mov_b64 s[28:29], 0
.LBB111_57:                             ;   Parent Loop BB111_6 Depth=1
                                        ; =>  This Inner Loop Header: Depth=2
	ds_read_u16 v39, v38
	v_add_u32_e32 v10, s76, v10
	v_cmp_le_u32_e32 vcc, s4, v10
	v_add_u32_e32 v38, s13, v38
	s_waitcnt lgkmcnt(0)
	v_cmp_lt_i16_e64 s[18:19], -1, v39
	v_lshlrev_b32_e32 v40, 16, v39
	v_cndmask_b32_e64 v41, v29, v30, s[18:19]
	v_xor_b32_sdwa v39, v41, v39 dst_sel:DWORD dst_unused:UNUSED_PAD src0_sel:DWORD src1_sel:WORD_0
	v_cmp_o_f32_e64 s[18:19], v40, v40
	v_cndmask_b32_e64 v39, v29, v39, s[18:19]
	v_and_b32_e32 v40, v39, v34
	v_bfe_u32 v39, v39, s5, 2
	v_cmp_eq_u32_e64 s[18:19], v40, v35
	v_cmp_eq_u32_e64 s[20:21], 0, v39
	;; [unrolled: 1-line block ×3, first 2 shown]
	s_and_b64 s[10:11], s[18:19], s[20:21]
	v_cmp_eq_u32_e64 s[24:25], 2, v39
	v_cmp_eq_u32_e64 s[26:27], 3, v39
	v_cndmask_b32_e64 v39, 0, 1, s[10:11]
	s_and_b64 s[10:11], s[18:19], s[22:23]
	v_cndmask_b32_e64 v40, 0, 1, s[10:11]
	s_and_b64 s[10:11], s[18:19], s[24:25]
	;; [unrolled: 2-line block ×3, first 2 shown]
	v_cndmask_b32_e64 v42, 0, 1, s[10:11]
	v_cmp_ne_u32_e64 s[18:19], 0, v39
	v_cmp_ne_u32_e64 s[20:21], 0, v40
	;; [unrolled: 1-line block ×4, first 2 shown]
	s_bcnt1_i32_b64 s10, s[18:19]
	s_bcnt1_i32_b64 s11, s[20:21]
	;; [unrolled: 1-line block ×4, first 2 shown]
	v_add_u32_e32 v2, s10, v2
	v_add_u32_e32 v3, s11, v3
	;; [unrolled: 1-line block ×3, first 2 shown]
	s_or_b64 s[28:29], vcc, s[28:29]
	v_add_u32_e32 v5, s19, v5
	s_andn2_b64 exec, exec, s[28:29]
	s_cbranch_execnz .LBB111_57
; %bb.58:                               ;   in Loop: Header=BB111_6 Depth=1
	s_or_b64 exec, exec, s[28:29]
	s_or_b64 s[80:81], s[80:81], exec
.LBB111_59:                             ;   in Loop: Header=BB111_6 Depth=1
	s_or_b64 exec, exec, s[16:17]
.LBB111_60:                             ;   in Loop: Header=BB111_6 Depth=1
	s_and_saveexec_b64 s[16:17], s[80:81]
	s_or_b64 exec, exec, s[16:17]
	s_lshl_b32 s4, s73, 6
	s_and_saveexec_b64 s[16:17], s[0:1]
	s_cbranch_execz .LBB111_62
; %bb.61:                               ;   in Loop: Header=BB111_6 Depth=1
	v_or_b32_e32 v10, s4, v18
	v_lshlrev_b32_e32 v10, 2, v10
	s_waitcnt vmcnt(0)
	ds_write_b128 v10, v[2:5] offset:3072
.LBB111_62:                             ;   in Loop: Header=BB111_6 Depth=1
	s_or_b64 exec, exec, s[16:17]
	s_waitcnt lgkmcnt(0)
	s_barrier
	s_mov_b64 s[16:17], exec
	v_readlane_b32 s10, v55, 22
	v_readlane_b32 s11, v55, 23
	s_and_b64 s[10:11], s[16:17], s[10:11]
	s_mov_b64 exec, s[10:11]
	s_cbranch_execz .LBB111_76
; %bb.63:                               ;   in Loop: Header=BB111_6 Depth=1
	v_readlane_b32 s10, v55, 26
	v_readlane_b32 s11, v55, 27
	v_add_u32_e32 v4, s4, v1
	s_andn2_b64 vcc, exec, s[10:11]
	s_waitcnt vmcnt(0)
	v_mov_b32_e32 v2, 0
	s_cbranch_vccnz .LBB111_75
; %bb.64:                               ;   in Loop: Header=BB111_6 Depth=1
	v_readlane_b32 s10, v55, 31
	v_readlane_b32 s11, v55, 32
	s_mov_b32 s5, 0
	s_and_b64 vcc, exec, s[10:11]
	v_mov_b32_e32 v2, 0
	s_cbranch_vccz .LBB111_68
; %bb.65:                               ;   in Loop: Header=BB111_6 Depth=1
	v_readlane_b32 s10, v55, 39
	v_readlane_b32 s18, v55, 16
	;; [unrolled: 1-line block ×3, first 2 shown]
	v_lshl_add_u32 v5, v4, 2, v32
	v_readlane_b32 s19, v55, 17
	s_andn2_b64 vcc, exec, s[10:11]
	s_cbranch_vccnz .LBB111_69
; %bb.66:                               ;   in Loop: Header=BB111_6 Depth=1
	v_writelane_b32 v55, s18, 16
	v_writelane_b32 v55, s19, 17
	s_mov_b32 s19, 1
	s_mov_b32 s18, 0
	v_mov_b32_e32 v2, 0
	v_readlane_b32 s5, v55, 41
	v_mov_b32_e32 v3, 0
.LBB111_67:                             ;   Parent Loop BB111_6 Depth=1
                                        ; =>  This Inner Loop Header: Depth=2
	v_lshl_add_u32 v10, s18, 4, v5
	v_lshl_add_u32 v52, s19, 4, v5
	ds_read2_b32 v[38:39], v10 offset1:8
	ds_read2_b32 v[40:41], v52 offset1:8
	ds_read2_b32 v[42:43], v10 offset0:16 offset1:24
	ds_read2_b32 v[44:45], v52 offset0:16 offset1:24
	;; [unrolled: 1-line block ×6, first 2 shown]
	s_waitcnt lgkmcnt(7)
	v_add3_u32 v2, v38, v2, v39
	s_waitcnt lgkmcnt(6)
	v_add3_u32 v3, v40, v3, v41
	;; [unrolled: 2-line block ×3, first 2 shown]
	v_add3_u32 v2, v42, v2, v43
	s_add_i32 s19, s19, 16
	s_add_i32 s18, s18, 16
	s_add_i32 s5, s5, -8
	s_waitcnt lgkmcnt(3)
	v_add3_u32 v2, v46, v2, v47
	s_waitcnt lgkmcnt(2)
	v_add3_u32 v3, v48, v3, v49
	s_cmp_lg_u32 s5, 0
	s_waitcnt lgkmcnt(0)
	v_add3_u32 v3, v52, v3, v53
	v_add3_u32 v2, v50, v2, v51
	s_cbranch_scc1 .LBB111_67
	s_branch .LBB111_70
.LBB111_68:                             ;   in Loop: Header=BB111_6 Depth=1
	s_cbranch_execnz .LBB111_73
	s_branch .LBB111_75
.LBB111_69:                             ;   in Loop: Header=BB111_6 Depth=1
	s_mov_b32 s10, s18
	s_mov_b32 s19, s18
	v_writelane_b32 v55, s10, 16
	v_pk_mov_b32 v[2:3], s[18:19], s[18:19] op_sel:[0,1]
	s_mov_b32 s19, 1
	v_writelane_b32 v55, s11, 17
.LBB111_70:                             ;   in Loop: Header=BB111_6 Depth=1
	v_readlane_b32 s10, v55, 43
	v_readlane_b32 s11, v55, 44
	s_andn2_b64 vcc, exec, s[10:11]
	v_readlane_b32 s5, v55, 42
	s_cbranch_vccnz .LBB111_72
.LBB111_71:                             ;   Parent Loop BB111_6 Depth=1
                                        ; =>  This Inner Loop Header: Depth=2
	v_lshl_add_u32 v10, s18, 4, v5
	v_lshl_add_u32 v38, s19, 4, v5
	ds_read_b32 v38, v38
	ds_read_b32 v10, v10
	s_add_i32 s19, s19, 2
	s_add_i32 s18, s18, 2
	s_add_i32 s5, s5, -1
	s_cmp_lg_u32 s5, 0
	s_waitcnt lgkmcnt(1)
	v_add_u32_e32 v3, v38, v3
	s_waitcnt lgkmcnt(0)
	v_add_u32_e32 v2, v10, v2
	s_cbranch_scc1 .LBB111_71
.LBB111_72:                             ;   in Loop: Header=BB111_6 Depth=1
	v_readlane_b32 s18, v55, 47
	v_add_u32_e32 v2, v2, v3
	v_readlane_b32 s5, v55, 46
	v_readlane_b32 s19, v55, 48
	s_and_b64 vcc, exec, s[18:19]
	s_cbranch_vccz .LBB111_75
.LBB111_73:                             ;   in Loop: Header=BB111_6 Depth=1
	s_lshl_b32 s10, s73, 8
	s_lshl_b32 s11, s5, 4
	s_add_i32 s10, s10, s11
	v_add_u32_e32 v3, s10, v28
	v_readlane_b32 s10, v55, 45
	s_sub_i32 s5, s10, s5
.LBB111_74:                             ;   Parent Loop BB111_6 Depth=1
                                        ; =>  This Inner Loop Header: Depth=2
	ds_read_b32 v5, v3
	s_add_i32 s5, s5, -1
	v_add_u32_e32 v3, 16, v3
	s_cmp_eq_u32 s5, 0
	s_waitcnt lgkmcnt(0)
	v_add_u32_e32 v2, v5, v2
	s_cbranch_scc0 .LBB111_74
.LBB111_75:                             ;   in Loop: Header=BB111_6 Depth=1
	v_lshlrev_b32_e32 v3, 2, v4
	ds_write_b32 v3, v2 offset:3072
.LBB111_76:                             ;   in Loop: Header=BB111_6 Depth=1
	s_or_b64 exec, exec, s[16:17]
	s_lshl_b32 s4, s4, 2
	s_waitcnt vmcnt(0)
	v_mov_b32_e32 v2, s4
	s_waitcnt lgkmcnt(0)
	s_barrier
	ds_read_b128 v[2:5], v2 offset:3072
	s_and_b32 s62, s72, 0xfe
	v_readlane_b32 s16, v55, 20
	s_lshl_b32 s4, 3, s62
	v_readlane_b32 s17, v55, 21
	s_waitcnt lgkmcnt(0)
	v_readfirstlane_b32 s5, v2
	v_readfirstlane_b32 s11, v3
	v_readfirstlane_b32 s63, v4
	v_readfirstlane_b32 s74, v5
	s_not_b32 s10, s4
	s_andn2_b64 vcc, exec, s[16:17]
	v_cmp_eq_u32_e64 s[18:19], 1, v37
	s_cbranch_vccnz .LBB111_89
; %bb.77:                               ;   in Loop: Header=BB111_6 Depth=1
	s_cmp_eq_u32 s5, 1
	s_cselect_b64 s[16:17], -1, 0
	s_and_b64 s[36:37], s[16:17], s[18:19]
	s_mov_b64 s[38:39], -1
	v_mov_b32_e32 v2, v35
	v_mov_b32_e32 v3, v34
	v_mov_b32_e32 v4, v36
                                        ; implicit-def: $sgpr22_sgpr23
                                        ; implicit-def: $sgpr28_sgpr29
                                        ; implicit-def: $sgpr26_sgpr27
	s_and_saveexec_b64 s[16:17], s[36:37]
	s_cbranch_execz .LBB111_105
; %bb.78:                               ;   in Loop: Header=BB111_6 Depth=1
	ds_read_b32 v2, v11 offset:4096
	s_waitcnt lgkmcnt(0)
	s_barrier
	v_readfirstlane_b32 s28, v2
	s_mov_b64 s[20:21], exec
	v_readlane_b32 s22, v55, 37
	v_readlane_b32 s23, v55, 38
	s_and_b64 s[22:23], s[20:21], s[22:23]
	s_mov_b64 exec, s[22:23]
	s_cbranch_execz .LBB111_80
; %bb.79:                               ;   in Loop: Header=BB111_6 Depth=1
	ds_write_b16 v20, v11
.LBB111_80:                             ;   in Loop: Header=BB111_6 Depth=1
	s_or_b64 exec, exec, s[20:21]
	v_and_b32_e32 v2, s10, v35
	v_or_b32_e32 v3, s4, v34
	s_cmp_eq_u32 s28, 0
	s_waitcnt lgkmcnt(0)
	s_barrier
	s_cbranch_scc1 .LBB111_91
; %bb.81:                               ;   in Loop: Header=BB111_6 Depth=1
	v_readlane_b32 s20, v55, 28
	s_add_i32 s20, s28, s20
	v_readlane_b32 s21, v55, 52
	s_mul_hi_u32 s21, s20, s21
	s_mul_i32 s21, s21, s76
	s_sub_i32 s21, s20, s21
	s_sub_i32 s22, s21, s76
	s_cmp_ge_u32 s21, s76
	s_cselect_b32 s21, s22, s21
	s_sub_i32 s22, s21, s76
	s_cmp_ge_u32 s21, s76
	s_cselect_b32 s21, s22, s21
	s_sub_i32 s29, s20, s21
	v_cmp_gt_u32_e32 vcc, s29, v0
	s_mov_b64 s[20:21], 0
                                        ; implicit-def: $vgpr4
	s_and_saveexec_b64 s[22:23], vcc
	s_cbranch_execz .LBB111_93
; %bb.82:                               ;   in Loop: Header=BB111_6 Depth=1
	s_mov_b64 s[24:25], 0
	v_mov_b32_e32 v4, v19
	v_mov_b32_e32 v5, v0
                                        ; implicit-def: $sgpr26_sgpr27
	s_branch .LBB111_84
.LBB111_83:                             ;   in Loop: Header=BB111_84 Depth=2
	s_or_b64 exec, exec, s[20:21]
	s_waitcnt lgkmcnt(0)
	s_barrier
	ds_read_b32 v10, v11 offset:3072
	v_add_u32_e32 v5, s76, v5
	v_cmp_le_u32_e64 s[20:21], s29, v5
	v_add_u32_e32 v4, s13, v4
	s_waitcnt lgkmcnt(0)
	v_and_b32_e32 v38, 0x7fff, v10
	v_cmp_ne_u16_e32 vcc, 0, v38
	s_or_b64 s[20:21], s[20:21], vcc
	s_and_b64 s[20:21], exec, s[20:21]
	s_or_b64 s[24:25], s[20:21], s[24:25]
	s_andn2_b64 s[20:21], s[26:27], exec
	s_and_b64 s[26:27], vcc, exec
	s_or_b64 s[26:27], s[20:21], s[26:27]
	s_barrier
	s_andn2_b64 exec, exec, s[24:25]
	s_cbranch_execz .LBB111_92
.LBB111_84:                             ;   Parent Loop BB111_6 Depth=1
                                        ; =>  This Inner Loop Header: Depth=2
	v_cmp_gt_u32_e32 vcc, s28, v5
	v_mov_b32_e32 v10, 0
	s_and_saveexec_b64 s[20:21], vcc
	s_cbranch_execz .LBB111_86
; %bb.85:                               ;   in Loop: Header=BB111_84 Depth=2
	ds_read_u16 v10, v4
.LBB111_86:                             ;   in Loop: Header=BB111_84 Depth=2
	s_or_b64 exec, exec, s[20:21]
	s_and_saveexec_b64 s[20:21], vcc
	s_cbranch_execz .LBB111_83
; %bb.87:                               ;   in Loop: Header=BB111_84 Depth=2
	s_waitcnt lgkmcnt(0)
	v_cmp_lt_i16_e32 vcc, -1, v10
	v_cndmask_b32_e32 v38, v29, v30, vcc
	v_lshlrev_b32_e32 v39, 16, v10
	v_xor_b32_sdwa v38, v38, v10 dst_sel:DWORD dst_unused:UNUSED_PAD src0_sel:DWORD src1_sel:WORD_0
	v_cmp_o_f32_e32 vcc, v39, v39
	v_cndmask_b32_e32 v38, v29, v38, vcc
	v_and_b32_e32 v38, v38, v3
	v_cmp_eq_u32_e32 vcc, v38, v2
	s_and_b64 exec, exec, vcc
	s_cbranch_execz .LBB111_83
; %bb.88:                               ;   in Loop: Header=BB111_84 Depth=2
	v_perm_b32 v10, v10, s9, v33
	ds_write_b32 v11, v10 offset:3072
	s_branch .LBB111_83
.LBB111_89:                             ;   in Loop: Header=BB111_6 Depth=1
	s_mov_b64 s[24:25], 0
	s_mov_b64 s[20:21], 0
                                        ; implicit-def: $sgpr26_sgpr27
                                        ; implicit-def: $sgpr28_sgpr29
                                        ; implicit-def: $sgpr22_sgpr23
                                        ; implicit-def: $vgpr10
                                        ; implicit-def: $vgpr5
                                        ; implicit-def: $vgpr2
                                        ; implicit-def: $vgpr3
                                        ; implicit-def: $vgpr4
	s_cbranch_execnz .LBB111_241
.LBB111_90:                             ;   in Loop: Header=BB111_6 Depth=1
	s_mov_b64 s[30:31], s[22:23]
	s_mov_b64 s[34:35], s[22:23]
	s_and_saveexec_b64 s[16:17], s[24:25]
	s_cbranch_execnz .LBB111_403
	s_branch .LBB111_404
.LBB111_91:                             ;   in Loop: Header=BB111_6 Depth=1
	s_mov_b64 s[22:23], -1
	s_mov_b64 s[20:21], 0
                                        ; implicit-def: $sgpr26_sgpr27
                                        ; implicit-def: $vgpr4
	s_mov_b64 s[28:29], s[22:23]
	s_cbranch_execnz .LBB111_94
	s_branch .LBB111_104
.LBB111_92:                             ;   in Loop: Header=BB111_6 Depth=1
	s_or_b64 exec, exec, s[24:25]
	v_lshrrev_b32_e32 v4, 16, v10
	s_and_b64 s[20:21], s[26:27], exec
.LBB111_93:                             ;   in Loop: Header=BB111_6 Depth=1
	s_or_b64 exec, exec, s[22:23]
	s_mov_b64 s[26:27], -1
	s_mov_b64 s[22:23], 0
	s_mov_b64 s[28:29], s[22:23]
	s_branch .LBB111_104
.LBB111_94:                             ;   in Loop: Header=BB111_6 Depth=1
	s_mov_b64 s[20:21], 0
                                        ; implicit-def: $vgpr4
	s_mov_b64 s[22:23], exec
	v_readlane_b32 s24, v55, 53
	v_readlane_b32 s25, v55, 54
	s_and_b64 s[24:25], s[22:23], s[24:25]
	s_mov_b64 exec, s[24:25]
	s_cbranch_execz .LBB111_103
; %bb.95:                               ;   in Loop: Header=BB111_6 Depth=1
	s_mov_b64 s[24:25], 0
	v_mov_b32_e32 v10, v12
	v_mov_b32_e32 v4, v0
                                        ; implicit-def: $sgpr26_sgpr27
	s_branch .LBB111_97
.LBB111_96:                             ;   in Loop: Header=BB111_97 Depth=2
	s_or_b64 exec, exec, s[20:21]
	s_waitcnt lgkmcnt(0)
	s_barrier
	s_waitcnt vmcnt(0)
	ds_read_b32 v5, v11 offset:3072
	v_add_u32_e32 v4, s76, v4
	v_cmp_le_u32_e64 s[20:21], s78, v4
	v_add_u32_e32 v10, s6, v10
	s_waitcnt lgkmcnt(0)
	v_and_b32_e32 v38, 0x7fff, v5
	v_cmp_ne_u16_e32 vcc, 0, v38
	s_or_b64 s[20:21], s[20:21], vcc
	s_and_b64 s[20:21], exec, s[20:21]
	s_or_b64 s[24:25], s[20:21], s[24:25]
	s_andn2_b64 s[20:21], s[26:27], exec
	s_and_b64 s[26:27], vcc, exec
	s_or_b64 s[26:27], s[20:21], s[26:27]
	s_barrier
	s_andn2_b64 exec, exec, s[24:25]
	s_cbranch_execz .LBB111_102
.LBB111_97:                             ;   Parent Loop BB111_6 Depth=1
                                        ; =>  This Inner Loop Header: Depth=2
	v_cmp_gt_u32_e32 vcc, s60, v4
	v_mov_b32_e32 v5, 0
	s_and_saveexec_b64 s[28:29], vcc
	s_cbranch_execz .LBB111_99
; %bb.98:                               ;   in Loop: Header=BB111_97 Depth=2
	v_lshlrev_b64 v[38:39], 1, v[10:11]
	v_mov_b32_e32 v5, s7
	v_add_co_u32_e64 v38, s[20:21], s33, v38
	v_addc_co_u32_e64 v39, s[20:21], v5, v39, s[20:21]
	global_load_ushort v5, v[38:39], off
.LBB111_99:                             ;   in Loop: Header=BB111_97 Depth=2
	s_or_b64 exec, exec, s[28:29]
	s_and_saveexec_b64 s[20:21], vcc
	s_cbranch_execz .LBB111_96
; %bb.100:                              ;   in Loop: Header=BB111_97 Depth=2
	s_waitcnt vmcnt(0)
	v_cmp_lt_i16_e32 vcc, -1, v5
	v_cndmask_b32_e32 v38, v29, v30, vcc
	v_lshlrev_b32_e32 v39, 16, v5
	v_xor_b32_sdwa v38, v38, v5 dst_sel:DWORD dst_unused:UNUSED_PAD src0_sel:DWORD src1_sel:WORD_0
	v_cmp_o_f32_e32 vcc, v39, v39
	v_cndmask_b32_e32 v38, v29, v38, vcc
	v_and_b32_e32 v38, v38, v3
	v_cmp_eq_u32_e32 vcc, v38, v2
	s_and_b64 exec, exec, vcc
	s_cbranch_execz .LBB111_96
; %bb.101:                              ;   in Loop: Header=BB111_97 Depth=2
	v_perm_b32 v5, v5, s9, v33
	ds_write_b32 v11, v5 offset:3072
	s_branch .LBB111_96
.LBB111_102:                            ;   in Loop: Header=BB111_6 Depth=1
	s_or_b64 exec, exec, s[24:25]
	v_lshrrev_b32_e32 v4, 16, v5
	s_and_b64 s[20:21], s[26:27], exec
.LBB111_103:                            ;   in Loop: Header=BB111_6 Depth=1
	s_or_b64 exec, exec, s[22:23]
	s_mov_b64 s[28:29], -1
	s_mov_b64 s[22:23], 0
	s_mov_b64 s[26:27], 0
.LBB111_104:                            ;   in Loop: Header=BB111_6 Depth=1
	s_orn2_b64 s[38:39], s[20:21], exec
.LBB111_105:                            ;   in Loop: Header=BB111_6 Depth=1
	s_or_b64 exec, exec, s[16:17]
	s_mov_b64 s[30:31], 0
	s_mov_b64 s[24:25], 0
	;; [unrolled: 1-line block ×3, first 2 shown]
                                        ; implicit-def: $vgpr10
                                        ; implicit-def: $vgpr5
	s_and_saveexec_b64 s[34:35], s[38:39]
	s_cbranch_execz .LBB111_240
; %bb.106:                              ;   in Loop: Header=BB111_6 Depth=1
	s_xor_b64 s[24:25], s[36:37], -1
	v_mov_b32_e32 v5, 1
	v_mov_b32_e32 v10, 1
	s_and_saveexec_b64 s[16:17], s[24:25]
	s_cbranch_execz .LBB111_116
; %bb.107:                              ;   in Loop: Header=BB111_6 Depth=1
	v_cmp_ge_u32_e32 vcc, s5, v37
                                        ; implicit-def: $sgpr36
                                        ; implicit-def: $sgpr20_sgpr21
	s_and_saveexec_b64 s[24:25], vcc
	s_xor_b64 s[24:25], exec, s[24:25]
	s_cbranch_execz .LBB111_113
; %bb.108:                              ;   in Loop: Header=BB111_6 Depth=1
	ds_read_b32 v5, v11 offset:4096
	s_waitcnt lgkmcnt(0)
	v_cmp_ne_u32_e32 vcc, 0, v5
	s_cbranch_vccnz .LBB111_112
; %bb.109:                              ;   in Loop: Header=BB111_6 Depth=1
	s_mov_b64 s[20:21], exec
	v_readlane_b32 s36, v55, 13
	v_readlane_b32 s37, v55, 14
	s_and_b64 s[36:37], s[20:21], s[36:37]
	s_mov_b64 exec, s[36:37]
	s_cbranch_execz .LBB111_111
; %bb.110:                              ;   in Loop: Header=BB111_6 Depth=1
	v_mov_b32_e32 v5, s5
	ds_write_b32 v11, v5 offset:4100
.LBB111_111:                            ;   in Loop: Header=BB111_6 Depth=1
	s_or_b64 exec, exec, s[20:21]
	s_waitcnt lgkmcnt(0)
	s_barrier
.LBB111_112:                            ;   in Loop: Header=BB111_6 Depth=1
	v_and_b32_e32 v2, s10, v2
	v_or_b32_e32 v3, s4, v3
	s_mov_b64 s[20:21], 0
	s_mov_b32 s36, 8
.LBB111_113:                            ;   in Loop: Header=BB111_6 Depth=1
	s_or_saveexec_b64 s[24:25], s[24:25]
	v_mov_b32_e32 v10, s36
	v_mov_b32_e32 v5, v37
	s_xor_b64 exec, exec, s[24:25]
; %bb.114:                              ;   in Loop: Header=BB111_6 Depth=1
	v_subrev_u32_e32 v5, s5, v37
	v_mov_b32_e32 v10, 0
	s_or_b64 s[20:21], s[20:21], exec
; %bb.115:                              ;   in Loop: Header=BB111_6 Depth=1
	s_or_b64 exec, exec, s[24:25]
	s_and_b64 s[20:21], s[20:21], exec
.LBB111_116:                            ;   in Loop: Header=BB111_6 Depth=1
	s_or_b64 exec, exec, s[16:17]
	s_mov_b64 s[38:39], -1
                                        ; implicit-def: $sgpr16_sgpr17
                                        ; implicit-def: $sgpr36_sgpr37
                                        ; implicit-def: $sgpr42_sgpr43
	s_and_saveexec_b64 s[24:25], s[20:21]
	s_xor_b64 s[24:25], exec, s[24:25]
	s_cbranch_execz .LBB111_237
; %bb.117:                              ;   in Loop: Header=BB111_6 Depth=1
	s_cmp_eq_u32 s11, 1
	s_cselect_b64 s[16:17], -1, 0
	v_cmp_eq_u32_e32 vcc, 1, v5
	s_and_b64 s[44:45], s[16:17], vcc
	s_mov_b64 s[46:47], -1
                                        ; implicit-def: $sgpr36_sgpr37
                                        ; implicit-def: $sgpr40_sgpr41
                                        ; implicit-def: $sgpr38_sgpr39
	s_and_saveexec_b64 s[16:17], s[44:45]
	s_cbranch_execz .LBB111_143
; %bb.118:                              ;   in Loop: Header=BB111_6 Depth=1
	ds_read_b32 v4, v11 offset:4096
	s_waitcnt lgkmcnt(0)
	s_barrier
	v_readfirstlane_b32 s42, v4
	s_mov_b64 s[20:21], exec
	v_readlane_b32 s36, v55, 37
	v_readlane_b32 s37, v55, 38
	s_and_b64 s[36:37], s[20:21], s[36:37]
	s_mov_b64 exec, s[36:37]
	s_cbranch_execz .LBB111_120
; %bb.119:                              ;   in Loop: Header=BB111_6 Depth=1
	ds_write_b16 v20, v11
.LBB111_120:                            ;   in Loop: Header=BB111_6 Depth=1
	s_or_b64 exec, exec, s[20:21]
	v_and_b32_e32 v2, s10, v2
	v_lshl_or_b32 v2, 1, s62, v2
	v_or_b32_e32 v3, s4, v3
	s_cmp_eq_u32 s42, 0
	s_waitcnt lgkmcnt(0)
	s_barrier
	s_cbranch_scc1 .LBB111_129
; %bb.121:                              ;   in Loop: Header=BB111_6 Depth=1
	v_readlane_b32 s20, v55, 28
	s_add_i32 s20, s42, s20
	v_readlane_b32 s21, v55, 52
	s_mul_hi_u32 s21, s20, s21
	s_mul_i32 s21, s21, s76
	s_sub_i32 s21, s20, s21
	s_sub_i32 s36, s21, s76
	s_cmp_ge_u32 s21, s76
	s_cselect_b32 s21, s36, s21
	s_sub_i32 s36, s21, s76
	s_cmp_ge_u32 s21, s76
	s_cselect_b32 s21, s36, s21
	s_sub_i32 s43, s20, s21
	v_cmp_gt_u32_e32 vcc, s43, v0
	s_mov_b64 s[20:21], 0
                                        ; implicit-def: $vgpr4
	s_and_saveexec_b64 s[36:37], vcc
	s_cbranch_execz .LBB111_131
; %bb.122:                              ;   in Loop: Header=BB111_6 Depth=1
	s_mov_b64 s[38:39], 0
	v_mov_b32_e32 v4, v19
	v_mov_b32_e32 v10, v0
                                        ; implicit-def: $sgpr40_sgpr41
	s_branch .LBB111_124
.LBB111_123:                            ;   in Loop: Header=BB111_124 Depth=2
	s_or_b64 exec, exec, s[20:21]
	s_waitcnt lgkmcnt(0)
	s_barrier
	ds_read_b32 v38, v11 offset:3072
	v_add_u32_e32 v10, s76, v10
	v_cmp_le_u32_e64 s[20:21], s43, v10
	v_add_u32_e32 v4, s13, v4
	s_waitcnt lgkmcnt(0)
	v_and_b32_e32 v39, 0x7fff, v38
	v_cmp_ne_u16_e32 vcc, 0, v39
	s_or_b64 s[20:21], s[20:21], vcc
	s_and_b64 s[20:21], exec, s[20:21]
	s_or_b64 s[38:39], s[20:21], s[38:39]
	s_andn2_b64 s[20:21], s[40:41], exec
	s_and_b64 s[40:41], vcc, exec
	s_or_b64 s[40:41], s[20:21], s[40:41]
	s_barrier
	s_andn2_b64 exec, exec, s[38:39]
	s_cbranch_execz .LBB111_130
.LBB111_124:                            ;   Parent Loop BB111_6 Depth=1
                                        ; =>  This Inner Loop Header: Depth=2
	v_cmp_gt_u32_e32 vcc, s42, v10
	v_mov_b32_e32 v38, 0
	s_and_saveexec_b64 s[20:21], vcc
	s_cbranch_execz .LBB111_126
; %bb.125:                              ;   in Loop: Header=BB111_124 Depth=2
	ds_read_u16 v38, v4
.LBB111_126:                            ;   in Loop: Header=BB111_124 Depth=2
	s_or_b64 exec, exec, s[20:21]
	s_and_saveexec_b64 s[20:21], vcc
	s_cbranch_execz .LBB111_123
; %bb.127:                              ;   in Loop: Header=BB111_124 Depth=2
	s_waitcnt lgkmcnt(0)
	v_cmp_lt_i16_e32 vcc, -1, v38
	v_cndmask_b32_e32 v39, v29, v30, vcc
	v_lshlrev_b32_e32 v40, 16, v38
	v_xor_b32_sdwa v39, v39, v38 dst_sel:DWORD dst_unused:UNUSED_PAD src0_sel:DWORD src1_sel:WORD_0
	v_cmp_o_f32_e32 vcc, v40, v40
	v_cndmask_b32_e32 v39, v29, v39, vcc
	v_and_b32_e32 v39, v39, v3
	v_cmp_eq_u32_e32 vcc, v39, v2
	s_and_b64 exec, exec, vcc
	s_cbranch_execz .LBB111_123
; %bb.128:                              ;   in Loop: Header=BB111_124 Depth=2
	v_perm_b32 v38, v38, s9, v33
	ds_write_b32 v11, v38 offset:3072
	s_branch .LBB111_123
.LBB111_129:                            ;   in Loop: Header=BB111_6 Depth=1
	s_mov_b64 s[36:37], -1
	s_mov_b64 s[20:21], 0
                                        ; implicit-def: $sgpr38_sgpr39
                                        ; implicit-def: $vgpr4
	s_mov_b64 s[40:41], s[36:37]
	s_cbranch_execnz .LBB111_132
	s_branch .LBB111_142
.LBB111_130:                            ;   in Loop: Header=BB111_6 Depth=1
	s_or_b64 exec, exec, s[38:39]
	v_lshrrev_b32_e32 v4, 16, v38
	s_and_b64 s[20:21], s[40:41], exec
.LBB111_131:                            ;   in Loop: Header=BB111_6 Depth=1
	s_or_b64 exec, exec, s[36:37]
	s_mov_b64 s[38:39], -1
	s_mov_b64 s[36:37], 0
	s_mov_b64 s[40:41], s[36:37]
	s_branch .LBB111_142
.LBB111_132:                            ;   in Loop: Header=BB111_6 Depth=1
	s_mov_b64 s[20:21], 0
                                        ; implicit-def: $vgpr4
	s_mov_b64 s[36:37], exec
	v_readlane_b32 s38, v55, 53
	v_readlane_b32 s39, v55, 54
	s_and_b64 s[38:39], s[36:37], s[38:39]
	s_mov_b64 exec, s[38:39]
	s_cbranch_execz .LBB111_141
; %bb.133:                              ;   in Loop: Header=BB111_6 Depth=1
	s_mov_b64 s[38:39], 0
	v_mov_b32_e32 v10, v12
	v_mov_b32_e32 v4, v0
                                        ; implicit-def: $sgpr40_sgpr41
	s_branch .LBB111_135
.LBB111_134:                            ;   in Loop: Header=BB111_135 Depth=2
	s_or_b64 exec, exec, s[20:21]
	s_waitcnt lgkmcnt(0)
	s_barrier
	s_waitcnt vmcnt(0)
	ds_read_b32 v38, v11 offset:3072
	v_add_u32_e32 v4, s76, v4
	v_cmp_le_u32_e64 s[20:21], s78, v4
	v_add_u32_e32 v10, s6, v10
	s_waitcnt lgkmcnt(0)
	v_and_b32_e32 v39, 0x7fff, v38
	v_cmp_ne_u16_e32 vcc, 0, v39
	s_or_b64 s[20:21], s[20:21], vcc
	s_and_b64 s[20:21], exec, s[20:21]
	s_or_b64 s[38:39], s[20:21], s[38:39]
	s_andn2_b64 s[20:21], s[40:41], exec
	s_and_b64 s[40:41], vcc, exec
	s_or_b64 s[40:41], s[20:21], s[40:41]
	s_barrier
	s_andn2_b64 exec, exec, s[38:39]
	s_cbranch_execz .LBB111_140
.LBB111_135:                            ;   Parent Loop BB111_6 Depth=1
                                        ; =>  This Inner Loop Header: Depth=2
	v_cmp_gt_u32_e32 vcc, s60, v4
	v_mov_b32_e32 v38, 0
	s_and_saveexec_b64 s[42:43], vcc
	s_cbranch_execz .LBB111_137
; %bb.136:                              ;   in Loop: Header=BB111_135 Depth=2
	v_lshlrev_b64 v[38:39], 1, v[10:11]
	v_mov_b32_e32 v40, s7
	v_add_co_u32_e64 v38, s[20:21], s33, v38
	v_addc_co_u32_e64 v39, s[20:21], v40, v39, s[20:21]
	global_load_ushort v38, v[38:39], off
.LBB111_137:                            ;   in Loop: Header=BB111_135 Depth=2
	s_or_b64 exec, exec, s[42:43]
	s_and_saveexec_b64 s[20:21], vcc
	s_cbranch_execz .LBB111_134
; %bb.138:                              ;   in Loop: Header=BB111_135 Depth=2
	s_waitcnt vmcnt(0)
	v_cmp_lt_i16_e32 vcc, -1, v38
	v_cndmask_b32_e32 v39, v29, v30, vcc
	v_lshlrev_b32_e32 v40, 16, v38
	v_xor_b32_sdwa v39, v39, v38 dst_sel:DWORD dst_unused:UNUSED_PAD src0_sel:DWORD src1_sel:WORD_0
	v_cmp_o_f32_e32 vcc, v40, v40
	v_cndmask_b32_e32 v39, v29, v39, vcc
	v_and_b32_e32 v39, v39, v3
	v_cmp_eq_u32_e32 vcc, v39, v2
	s_and_b64 exec, exec, vcc
	s_cbranch_execz .LBB111_134
; %bb.139:                              ;   in Loop: Header=BB111_135 Depth=2
	v_perm_b32 v38, v38, s9, v33
	ds_write_b32 v11, v38 offset:3072
	s_branch .LBB111_134
.LBB111_140:                            ;   in Loop: Header=BB111_6 Depth=1
	s_or_b64 exec, exec, s[38:39]
	v_lshrrev_b32_e32 v4, 16, v38
	s_and_b64 s[20:21], s[40:41], exec
.LBB111_141:                            ;   in Loop: Header=BB111_6 Depth=1
	s_or_b64 exec, exec, s[36:37]
	s_mov_b64 s[40:41], -1
	s_mov_b64 s[36:37], 0
	s_mov_b64 s[38:39], 0
.LBB111_142:                            ;   in Loop: Header=BB111_6 Depth=1
	s_orn2_b64 s[46:47], s[20:21], exec
.LBB111_143:                            ;   in Loop: Header=BB111_6 Depth=1
	s_or_b64 exec, exec, s[16:17]
	s_mov_b64 s[20:21], 0
                                        ; implicit-def: $vgpr10
	s_and_saveexec_b64 s[42:43], s[46:47]
	s_cbranch_execz .LBB111_236
; %bb.144:                              ;   in Loop: Header=BB111_6 Depth=1
	s_xor_b64 s[20:21], s[44:45], -1
	s_mov_b64 s[48:49], 0
	v_mov_b32_e32 v38, 1
	v_mov_b32_e32 v10, 1
	s_and_saveexec_b64 s[16:17], s[20:21]
	s_cbranch_execz .LBB111_154
; %bb.145:                              ;   in Loop: Header=BB111_6 Depth=1
	v_cmp_ge_u32_e32 vcc, s11, v5
                                        ; implicit-def: $sgpr46
                                        ; implicit-def: $sgpr20_sgpr21
	s_and_saveexec_b64 s[44:45], vcc
	s_xor_b64 s[44:45], exec, s[44:45]
	s_cbranch_execz .LBB111_151
; %bb.146:                              ;   in Loop: Header=BB111_6 Depth=1
	ds_read_b32 v10, v11 offset:4096
	s_waitcnt lgkmcnt(0)
	v_cmp_ne_u32_e32 vcc, 0, v10
	s_cbranch_vccnz .LBB111_150
; %bb.147:                              ;   in Loop: Header=BB111_6 Depth=1
	s_mov_b64 s[20:21], exec
	v_readlane_b32 s46, v55, 13
	v_readlane_b32 s47, v55, 14
	s_and_b64 s[46:47], s[20:21], s[46:47]
	s_mov_b64 exec, s[46:47]
	s_cbranch_execz .LBB111_149
; %bb.148:                              ;   in Loop: Header=BB111_6 Depth=1
	v_mov_b32_e32 v10, s11
	ds_write_b32 v11, v10 offset:4100
.LBB111_149:                            ;   in Loop: Header=BB111_6 Depth=1
	s_or_b64 exec, exec, s[20:21]
	s_waitcnt lgkmcnt(0)
	s_barrier
.LBB111_150:                            ;   in Loop: Header=BB111_6 Depth=1
	v_and_b32_e32 v2, s10, v2
	v_lshl_or_b32 v2, 1, s62, v2
	v_or_b32_e32 v3, s4, v3
	s_mov_b64 s[20:21], 0
	s_mov_b32 s46, 8
.LBB111_151:                            ;   in Loop: Header=BB111_6 Depth=1
	s_or_saveexec_b64 s[44:45], s[44:45]
	v_mov_b32_e32 v10, s46
	s_xor_b64 exec, exec, s[44:45]
; %bb.152:                              ;   in Loop: Header=BB111_6 Depth=1
	v_subrev_u32_e32 v5, s11, v5
	v_mov_b32_e32 v10, 0
	s_or_b64 s[20:21], s[20:21], exec
; %bb.153:                              ;   in Loop: Header=BB111_6 Depth=1
	s_or_b64 exec, exec, s[44:45]
	s_and_b64 s[48:49], s[20:21], exec
	v_mov_b32_e32 v38, v5
.LBB111_154:                            ;   in Loop: Header=BB111_6 Depth=1
	s_or_b64 exec, exec, s[16:17]
	s_mov_b64 s[16:17], -1
                                        ; implicit-def: $sgpr20_sgpr21
                                        ; implicit-def: $sgpr46_sgpr47
                                        ; implicit-def: $sgpr52_sgpr53
	s_and_saveexec_b64 s[44:45], s[48:49]
	s_cbranch_execz .LBB111_235
; %bb.155:                              ;   in Loop: Header=BB111_6 Depth=1
	s_cmp_eq_u32 s63, 1
	s_cselect_b64 s[16:17], -1, 0
	v_cmp_eq_u32_e32 vcc, 1, v38
	s_and_b64 s[54:55], s[16:17], vcc
	s_mov_b64 s[20:21], -1
                                        ; implicit-def: $sgpr46_sgpr47
                                        ; implicit-def: $sgpr50_sgpr51
                                        ; implicit-def: $sgpr48_sgpr49
	s_and_saveexec_b64 s[16:17], s[54:55]
	s_cbranch_execz .LBB111_181
; %bb.156:                              ;   in Loop: Header=BB111_6 Depth=1
	ds_read_b32 v4, v11 offset:4096
	s_waitcnt lgkmcnt(0)
	s_barrier
	v_readfirstlane_b32 s52, v4
	s_mov_b64 s[20:21], exec
	v_readlane_b32 s46, v55, 37
	v_readlane_b32 s47, v55, 38
	s_and_b64 s[46:47], s[20:21], s[46:47]
	s_mov_b64 exec, s[46:47]
	s_cbranch_execz .LBB111_158
; %bb.157:                              ;   in Loop: Header=BB111_6 Depth=1
	ds_write_b16 v20, v11
.LBB111_158:                            ;   in Loop: Header=BB111_6 Depth=1
	s_or_b64 exec, exec, s[20:21]
	v_and_b32_e32 v2, s10, v2
	v_lshl_or_b32 v2, 2, s62, v2
	v_or_b32_e32 v3, s4, v3
	s_cmp_eq_u32 s52, 0
	s_waitcnt lgkmcnt(0)
	s_barrier
	s_cbranch_scc1 .LBB111_167
; %bb.159:                              ;   in Loop: Header=BB111_6 Depth=1
	v_readlane_b32 s20, v55, 28
	s_add_i32 s20, s52, s20
	v_readlane_b32 s21, v55, 52
	s_mul_hi_u32 s21, s20, s21
	s_mul_i32 s21, s21, s76
	s_sub_i32 s21, s20, s21
	s_sub_i32 s46, s21, s76
	s_cmp_ge_u32 s21, s76
	s_cselect_b32 s21, s46, s21
	s_sub_i32 s46, s21, s76
	s_cmp_ge_u32 s21, s76
	s_cselect_b32 s21, s46, s21
	s_sub_i32 s53, s20, s21
	v_cmp_gt_u32_e32 vcc, s53, v0
	s_mov_b64 s[20:21], 0
                                        ; implicit-def: $vgpr4
	s_and_saveexec_b64 s[46:47], vcc
	s_cbranch_execz .LBB111_169
; %bb.160:                              ;   in Loop: Header=BB111_6 Depth=1
	s_mov_b64 s[48:49], 0
	v_mov_b32_e32 v4, v19
	v_mov_b32_e32 v5, v0
                                        ; implicit-def: $sgpr50_sgpr51
	s_branch .LBB111_162
.LBB111_161:                            ;   in Loop: Header=BB111_162 Depth=2
	s_or_b64 exec, exec, s[20:21]
	s_waitcnt lgkmcnt(0)
	s_barrier
	ds_read_b32 v10, v11 offset:3072
	v_add_u32_e32 v5, s76, v5
	v_cmp_le_u32_e64 s[20:21], s53, v5
	v_add_u32_e32 v4, s13, v4
	s_waitcnt lgkmcnt(0)
	v_and_b32_e32 v39, 0x7fff, v10
	v_cmp_ne_u16_e32 vcc, 0, v39
	s_or_b64 s[20:21], s[20:21], vcc
	s_and_b64 s[20:21], exec, s[20:21]
	s_or_b64 s[48:49], s[20:21], s[48:49]
	s_andn2_b64 s[20:21], s[50:51], exec
	s_and_b64 s[50:51], vcc, exec
	s_or_b64 s[50:51], s[20:21], s[50:51]
	s_barrier
	s_andn2_b64 exec, exec, s[48:49]
	s_cbranch_execz .LBB111_168
.LBB111_162:                            ;   Parent Loop BB111_6 Depth=1
                                        ; =>  This Inner Loop Header: Depth=2
	v_cmp_gt_u32_e32 vcc, s52, v5
	v_mov_b32_e32 v10, 0
	s_and_saveexec_b64 s[20:21], vcc
	s_cbranch_execz .LBB111_164
; %bb.163:                              ;   in Loop: Header=BB111_162 Depth=2
	ds_read_u16 v10, v4
.LBB111_164:                            ;   in Loop: Header=BB111_162 Depth=2
	s_or_b64 exec, exec, s[20:21]
	s_and_saveexec_b64 s[20:21], vcc
	s_cbranch_execz .LBB111_161
; %bb.165:                              ;   in Loop: Header=BB111_162 Depth=2
	s_waitcnt lgkmcnt(0)
	v_cmp_lt_i16_e32 vcc, -1, v10
	v_cndmask_b32_e32 v39, v29, v30, vcc
	v_lshlrev_b32_e32 v40, 16, v10
	v_xor_b32_sdwa v39, v39, v10 dst_sel:DWORD dst_unused:UNUSED_PAD src0_sel:DWORD src1_sel:WORD_0
	v_cmp_o_f32_e32 vcc, v40, v40
	v_cndmask_b32_e32 v39, v29, v39, vcc
	v_and_b32_e32 v39, v39, v3
	v_cmp_eq_u32_e32 vcc, v39, v2
	s_and_b64 exec, exec, vcc
	s_cbranch_execz .LBB111_161
; %bb.166:                              ;   in Loop: Header=BB111_162 Depth=2
	v_perm_b32 v10, v10, s9, v33
	ds_write_b32 v11, v10 offset:3072
	s_branch .LBB111_161
.LBB111_167:                            ;   in Loop: Header=BB111_6 Depth=1
	s_mov_b64 s[46:47], -1
	s_mov_b64 s[20:21], 0
                                        ; implicit-def: $sgpr48_sgpr49
                                        ; implicit-def: $vgpr4
	s_mov_b64 s[50:51], s[46:47]
	s_cbranch_execnz .LBB111_170
	s_branch .LBB111_180
.LBB111_168:                            ;   in Loop: Header=BB111_6 Depth=1
	s_or_b64 exec, exec, s[48:49]
	v_lshrrev_b32_e32 v4, 16, v10
	s_and_b64 s[20:21], s[50:51], exec
.LBB111_169:                            ;   in Loop: Header=BB111_6 Depth=1
	s_or_b64 exec, exec, s[46:47]
	s_mov_b64 s[48:49], -1
	s_mov_b64 s[46:47], 0
	s_mov_b64 s[50:51], s[46:47]
	s_branch .LBB111_180
.LBB111_170:                            ;   in Loop: Header=BB111_6 Depth=1
	s_mov_b64 s[20:21], 0
                                        ; implicit-def: $vgpr4
	s_mov_b64 s[46:47], exec
	v_readlane_b32 s48, v55, 53
	v_readlane_b32 s49, v55, 54
	s_and_b64 s[48:49], s[46:47], s[48:49]
	s_mov_b64 exec, s[48:49]
	s_cbranch_execz .LBB111_179
; %bb.171:                              ;   in Loop: Header=BB111_6 Depth=1
	s_mov_b64 s[48:49], 0
	v_mov_b32_e32 v10, v12
	v_mov_b32_e32 v4, v0
                                        ; implicit-def: $sgpr50_sgpr51
	s_branch .LBB111_173
.LBB111_172:                            ;   in Loop: Header=BB111_173 Depth=2
	s_or_b64 exec, exec, s[20:21]
	s_waitcnt lgkmcnt(0)
	s_barrier
	s_waitcnt vmcnt(0)
	ds_read_b32 v5, v11 offset:3072
	v_add_u32_e32 v4, s76, v4
	v_cmp_le_u32_e64 s[20:21], s78, v4
	v_add_u32_e32 v10, s6, v10
	s_waitcnt lgkmcnt(0)
	v_and_b32_e32 v39, 0x7fff, v5
	v_cmp_ne_u16_e32 vcc, 0, v39
	s_or_b64 s[20:21], s[20:21], vcc
	s_and_b64 s[20:21], exec, s[20:21]
	s_or_b64 s[48:49], s[20:21], s[48:49]
	s_andn2_b64 s[20:21], s[50:51], exec
	s_and_b64 s[50:51], vcc, exec
	s_or_b64 s[50:51], s[20:21], s[50:51]
	s_barrier
	s_andn2_b64 exec, exec, s[48:49]
	s_cbranch_execz .LBB111_178
.LBB111_173:                            ;   Parent Loop BB111_6 Depth=1
                                        ; =>  This Inner Loop Header: Depth=2
	v_cmp_gt_u32_e32 vcc, s60, v4
	v_mov_b32_e32 v5, 0
	s_and_saveexec_b64 s[52:53], vcc
	s_cbranch_execz .LBB111_175
; %bb.174:                              ;   in Loop: Header=BB111_173 Depth=2
	v_lshlrev_b64 v[40:41], 1, v[10:11]
	v_mov_b32_e32 v5, s7
	v_add_co_u32_e64 v40, s[20:21], s33, v40
	v_addc_co_u32_e64 v41, s[20:21], v5, v41, s[20:21]
	global_load_ushort v5, v[40:41], off
.LBB111_175:                            ;   in Loop: Header=BB111_173 Depth=2
	s_or_b64 exec, exec, s[52:53]
	s_and_saveexec_b64 s[20:21], vcc
	s_cbranch_execz .LBB111_172
; %bb.176:                              ;   in Loop: Header=BB111_173 Depth=2
	s_waitcnt vmcnt(0)
	v_cmp_lt_i16_e32 vcc, -1, v5
	v_cndmask_b32_e32 v39, v29, v30, vcc
	v_lshlrev_b32_e32 v40, 16, v5
	v_xor_b32_sdwa v39, v39, v5 dst_sel:DWORD dst_unused:UNUSED_PAD src0_sel:DWORD src1_sel:WORD_0
	v_cmp_o_f32_e32 vcc, v40, v40
	v_cndmask_b32_e32 v39, v29, v39, vcc
	v_and_b32_e32 v39, v39, v3
	v_cmp_eq_u32_e32 vcc, v39, v2
	s_and_b64 exec, exec, vcc
	s_cbranch_execz .LBB111_172
; %bb.177:                              ;   in Loop: Header=BB111_173 Depth=2
	v_perm_b32 v5, v5, s9, v33
	ds_write_b32 v11, v5 offset:3072
	s_branch .LBB111_172
.LBB111_178:                            ;   in Loop: Header=BB111_6 Depth=1
	s_or_b64 exec, exec, s[48:49]
	v_lshrrev_b32_e32 v4, 16, v5
	s_and_b64 s[20:21], s[50:51], exec
.LBB111_179:                            ;   in Loop: Header=BB111_6 Depth=1
	s_or_b64 exec, exec, s[46:47]
	s_mov_b64 s[50:51], -1
	s_mov_b64 s[46:47], 0
	s_mov_b64 s[48:49], 0
.LBB111_180:                            ;   in Loop: Header=BB111_6 Depth=1
	s_orn2_b64 s[20:21], s[20:21], exec
.LBB111_181:                            ;   in Loop: Header=BB111_6 Depth=1
	s_or_b64 exec, exec, s[16:17]
	s_mov_b64 s[16:17], 0
                                        ; implicit-def: $vgpr10
	s_and_saveexec_b64 s[52:53], s[20:21]
	s_cbranch_execz .LBB111_234
; %bb.182:                              ;   in Loop: Header=BB111_6 Depth=1
	s_xor_b64 s[20:21], s[54:55], -1
	s_mov_b64 s[56:57], 0
	v_mov_b32_e32 v5, 1
	v_mov_b32_e32 v10, 1
	s_and_saveexec_b64 s[16:17], s[20:21]
	s_cbranch_execz .LBB111_192
; %bb.183:                              ;   in Loop: Header=BB111_6 Depth=1
	v_cmp_ge_u32_e32 vcc, s63, v38
                                        ; implicit-def: $sgpr56
                                        ; implicit-def: $sgpr20_sgpr21
	s_and_saveexec_b64 s[54:55], vcc
	s_xor_b64 s[54:55], exec, s[54:55]
	s_cbranch_execz .LBB111_189
; %bb.184:                              ;   in Loop: Header=BB111_6 Depth=1
	ds_read_b32 v5, v11 offset:4096
	s_waitcnt lgkmcnt(0)
	v_cmp_ne_u32_e32 vcc, 0, v5
	s_cbranch_vccnz .LBB111_188
; %bb.185:                              ;   in Loop: Header=BB111_6 Depth=1
	s_mov_b64 s[20:21], exec
	v_readlane_b32 s56, v55, 13
	v_readlane_b32 s57, v55, 14
	s_and_b64 s[56:57], s[20:21], s[56:57]
	s_mov_b64 exec, s[56:57]
	s_cbranch_execz .LBB111_187
; %bb.186:                              ;   in Loop: Header=BB111_6 Depth=1
	v_mov_b32_e32 v5, s63
	ds_write_b32 v11, v5 offset:4100
.LBB111_187:                            ;   in Loop: Header=BB111_6 Depth=1
	s_or_b64 exec, exec, s[20:21]
	s_waitcnt lgkmcnt(0)
	s_barrier
.LBB111_188:                            ;   in Loop: Header=BB111_6 Depth=1
	v_and_b32_e32 v2, s10, v2
	v_lshl_or_b32 v2, 2, s62, v2
	v_or_b32_e32 v3, s4, v3
	s_mov_b64 s[20:21], 0
	s_mov_b32 s56, 8
.LBB111_189:                            ;   in Loop: Header=BB111_6 Depth=1
	s_or_saveexec_b64 s[54:55], s[54:55]
	v_mov_b32_e32 v10, s56
	s_xor_b64 exec, exec, s[54:55]
; %bb.190:                              ;   in Loop: Header=BB111_6 Depth=1
	v_subrev_u32_e32 v38, s63, v38
	v_mov_b32_e32 v10, 0
	s_or_b64 s[20:21], s[20:21], exec
; %bb.191:                              ;   in Loop: Header=BB111_6 Depth=1
	s_or_b64 exec, exec, s[54:55]
	s_and_b64 s[56:57], s[20:21], exec
	v_mov_b32_e32 v5, v38
.LBB111_192:                            ;   in Loop: Header=BB111_6 Depth=1
	s_or_b64 exec, exec, s[16:17]
	s_mov_b64 s[16:17], -1
                                        ; implicit-def: $sgpr20_sgpr21
                                        ; implicit-def: $sgpr80_sgpr81
                                        ; implicit-def: $sgpr58_sgpr59
	s_and_saveexec_b64 s[54:55], s[56:57]
	s_cbranch_execz .LBB111_233
; %bb.193:                              ;   in Loop: Header=BB111_6 Depth=1
	s_cmp_eq_u32 s74, 1
	s_cselect_b64 s[16:17], -1, 0
	v_cmp_eq_u32_e32 vcc, 1, v5
	s_mov_b64 s[82:83], -1
	s_and_b64 s[56:57], s[16:17], vcc
                                        ; implicit-def: $sgpr20_sgpr21
                                        ; implicit-def: $sgpr80_sgpr81
                                        ; implicit-def: $sgpr58_sgpr59
	s_mov_b64 s[16:17], exec
	v_writelane_b32 v55, s56, 55
	v_writelane_b32 v55, s57, 56
	s_and_b64 s[56:57], s[16:17], s[56:57]
	s_mov_b64 exec, s[56:57]
	s_cbranch_execz .LBB111_220
; %bb.194:                              ;   in Loop: Header=BB111_6 Depth=1
	ds_read_b32 v4, v11 offset:4096
	s_waitcnt lgkmcnt(0)
	s_barrier
	v_readfirstlane_b32 s75, v4
	s_mov_b64 s[20:21], exec
	v_readlane_b32 s56, v55, 37
	v_readlane_b32 s57, v55, 38
	s_and_b64 s[56:57], s[20:21], s[56:57]
	s_mov_b64 exec, s[56:57]
	s_cbranch_execz .LBB111_196
; %bb.195:                              ;   in Loop: Header=BB111_6 Depth=1
	ds_write_b16 v20, v11
.LBB111_196:                            ;   in Loop: Header=BB111_6 Depth=1
	s_or_b64 exec, exec, s[20:21]
	v_or_b32_e32 v2, s4, v2
	v_or_b32_e32 v3, s4, v3
	s_cmp_eq_u32 s75, 0
	s_waitcnt lgkmcnt(0)
	s_barrier
	s_cbranch_scc1 .LBB111_205
; %bb.197:                              ;   in Loop: Header=BB111_6 Depth=1
	v_readlane_b32 s20, v55, 28
	s_add_i32 s20, s75, s20
	v_readlane_b32 s21, v55, 52
	s_mul_hi_u32 s21, s20, s21
	s_mul_i32 s21, s21, s76
	s_sub_i32 s21, s20, s21
	s_sub_i32 s56, s21, s76
	s_cmp_ge_u32 s21, s76
	s_cselect_b32 s21, s56, s21
	s_sub_i32 s56, s21, s76
	s_cmp_ge_u32 s21, s76
	s_cselect_b32 s21, s56, s21
	s_sub_i32 s56, s20, s21
	s_mov_b64 s[82:83], 0
	v_cmp_gt_u32_e32 vcc, s56, v0
                                        ; implicit-def: $vgpr4
	s_mov_b64 s[20:21], exec
	v_writelane_b32 v55, s20, 57
	v_writelane_b32 v55, s21, 58
	s_and_b64 s[20:21], s[20:21], vcc
	s_mov_b64 exec, s[20:21]
	s_cbranch_execz .LBB111_207
; %bb.198:                              ;   in Loop: Header=BB111_6 Depth=1
	s_mov_b64 s[80:81], 0
	v_mov_b32_e32 v4, v19
	v_mov_b32_e32 v10, v0
                                        ; implicit-def: $sgpr82_sgpr83
	s_branch .LBB111_200
.LBB111_199:                            ;   in Loop: Header=BB111_200 Depth=2
	s_or_b64 exec, exec, s[20:21]
	s_waitcnt lgkmcnt(0)
	s_barrier
	ds_read_b32 v38, v11 offset:3072
	v_add_u32_e32 v10, s76, v10
	v_cmp_le_u32_e64 s[20:21], s56, v10
	v_add_u32_e32 v4, s13, v4
	s_waitcnt lgkmcnt(0)
	v_and_b32_e32 v39, 0x7fff, v38
	v_cmp_ne_u16_e32 vcc, 0, v39
	s_or_b64 s[20:21], s[20:21], vcc
	s_and_b64 s[20:21], exec, s[20:21]
	s_or_b64 s[80:81], s[20:21], s[80:81]
	s_andn2_b64 s[20:21], s[82:83], exec
	s_and_b64 s[58:59], vcc, exec
	s_or_b64 s[82:83], s[20:21], s[58:59]
	s_barrier
	s_andn2_b64 exec, exec, s[80:81]
	s_cbranch_execz .LBB111_206
.LBB111_200:                            ;   Parent Loop BB111_6 Depth=1
                                        ; =>  This Inner Loop Header: Depth=2
	v_cmp_gt_u32_e32 vcc, s75, v10
	v_mov_b32_e32 v38, 0
	s_and_saveexec_b64 s[20:21], vcc
	s_cbranch_execz .LBB111_202
; %bb.201:                              ;   in Loop: Header=BB111_200 Depth=2
	ds_read_u16 v38, v4
.LBB111_202:                            ;   in Loop: Header=BB111_200 Depth=2
	s_or_b64 exec, exec, s[20:21]
	s_and_saveexec_b64 s[20:21], vcc
	s_cbranch_execz .LBB111_199
; %bb.203:                              ;   in Loop: Header=BB111_200 Depth=2
	s_waitcnt lgkmcnt(0)
	v_cmp_lt_i16_e32 vcc, -1, v38
	v_cndmask_b32_e32 v39, v29, v30, vcc
	v_lshlrev_b32_e32 v40, 16, v38
	v_xor_b32_sdwa v39, v39, v38 dst_sel:DWORD dst_unused:UNUSED_PAD src0_sel:DWORD src1_sel:WORD_0
	v_cmp_o_f32_e32 vcc, v40, v40
	v_cndmask_b32_e32 v39, v29, v39, vcc
	v_and_b32_e32 v39, v39, v3
	v_cmp_eq_u32_e32 vcc, v39, v2
	s_and_b64 exec, exec, vcc
	s_cbranch_execz .LBB111_199
; %bb.204:                              ;   in Loop: Header=BB111_200 Depth=2
	v_perm_b32 v38, v38, s9, v33
	ds_write_b32 v11, v38 offset:3072
	s_branch .LBB111_199
.LBB111_205:                            ;   in Loop: Header=BB111_6 Depth=1
	s_mov_b64 s[20:21], -1
	s_mov_b64 s[82:83], 0
                                        ; implicit-def: $sgpr58_sgpr59
                                        ; implicit-def: $vgpr4
	s_branch .LBB111_208
.LBB111_206:                            ;   in Loop: Header=BB111_6 Depth=1
	s_or_b64 exec, exec, s[80:81]
	v_lshrrev_b32_e32 v4, 16, v38
	s_and_b64 s[82:83], s[82:83], exec
.LBB111_207:                            ;   in Loop: Header=BB111_6 Depth=1
	v_readlane_b32 s20, v55, 57
	v_readlane_b32 s21, v55, 58
	s_or_b64 exec, exec, s[20:21]
	s_mov_b64 s[58:59], -1
	s_mov_b64 s[20:21], 0
.LBB111_208:                            ;   in Loop: Header=BB111_6 Depth=1
	s_and_b64 vcc, exec, s[20:21]
	s_mov_b64 s[80:81], s[20:21]
	s_cbranch_vccz .LBB111_219
; %bb.209:                              ;   in Loop: Header=BB111_6 Depth=1
	s_mov_b64 s[82:83], 0
                                        ; implicit-def: $vgpr4
	s_mov_b64 s[56:57], exec
	v_readlane_b32 s20, v55, 53
	v_readlane_b32 s21, v55, 54
	v_writelane_b32 v55, s56, 59
	s_and_b64 s[20:21], s[56:57], s[20:21]
	v_writelane_b32 v55, s57, 60
	s_mov_b64 exec, s[20:21]
	s_cbranch_execz .LBB111_218
; %bb.210:                              ;   in Loop: Header=BB111_6 Depth=1
	s_mov_b64 s[80:81], 0
	v_mov_b32_e32 v10, v12
	v_mov_b32_e32 v4, v0
                                        ; implicit-def: $sgpr82_sgpr83
	s_branch .LBB111_212
.LBB111_211:                            ;   in Loop: Header=BB111_212 Depth=2
	s_or_b64 exec, exec, s[20:21]
	s_waitcnt lgkmcnt(0)
	s_barrier
	s_waitcnt vmcnt(0)
	ds_read_b32 v38, v11 offset:3072
	v_add_u32_e32 v4, s76, v4
	v_cmp_le_u32_e64 s[20:21], s78, v4
	v_add_u32_e32 v10, s6, v10
	s_waitcnt lgkmcnt(0)
	v_and_b32_e32 v39, 0x7fff, v38
	v_cmp_ne_u16_e32 vcc, 0, v39
	s_or_b64 s[20:21], s[20:21], vcc
	s_and_b64 s[20:21], exec, s[20:21]
	s_or_b64 s[80:81], s[20:21], s[80:81]
	s_andn2_b64 s[20:21], s[82:83], exec
	s_and_b64 s[56:57], vcc, exec
	s_or_b64 s[82:83], s[20:21], s[56:57]
	s_barrier
	s_andn2_b64 exec, exec, s[80:81]
	s_cbranch_execz .LBB111_217
.LBB111_212:                            ;   Parent Loop BB111_6 Depth=1
                                        ; =>  This Inner Loop Header: Depth=2
	v_cmp_gt_u32_e32 vcc, s60, v4
	v_mov_b32_e32 v38, 0
	s_and_saveexec_b64 s[58:59], vcc
	s_cbranch_execz .LBB111_214
; %bb.213:                              ;   in Loop: Header=BB111_212 Depth=2
	v_lshlrev_b64 v[38:39], 1, v[10:11]
	v_mov_b32_e32 v40, s7
	v_add_co_u32_e64 v38, s[20:21], s33, v38
	v_addc_co_u32_e64 v39, s[20:21], v40, v39, s[20:21]
	global_load_ushort v38, v[38:39], off
.LBB111_214:                            ;   in Loop: Header=BB111_212 Depth=2
	s_or_b64 exec, exec, s[58:59]
	s_and_saveexec_b64 s[20:21], vcc
	s_cbranch_execz .LBB111_211
; %bb.215:                              ;   in Loop: Header=BB111_212 Depth=2
	s_waitcnt vmcnt(0)
	v_cmp_lt_i16_e32 vcc, -1, v38
	v_cndmask_b32_e32 v39, v29, v30, vcc
	v_lshlrev_b32_e32 v40, 16, v38
	v_xor_b32_sdwa v39, v39, v38 dst_sel:DWORD dst_unused:UNUSED_PAD src0_sel:DWORD src1_sel:WORD_0
	v_cmp_o_f32_e32 vcc, v40, v40
	v_cndmask_b32_e32 v39, v29, v39, vcc
	v_and_b32_e32 v39, v39, v3
	v_cmp_eq_u32_e32 vcc, v39, v2
	s_and_b64 exec, exec, vcc
	s_cbranch_execz .LBB111_211
; %bb.216:                              ;   in Loop: Header=BB111_212 Depth=2
	v_perm_b32 v38, v38, s9, v33
	ds_write_b32 v11, v38 offset:3072
	s_branch .LBB111_211
.LBB111_217:                            ;   in Loop: Header=BB111_6 Depth=1
	s_or_b64 exec, exec, s[80:81]
	v_lshrrev_b32_e32 v4, 16, v38
	s_and_b64 s[82:83], s[82:83], exec
.LBB111_218:                            ;   in Loop: Header=BB111_6 Depth=1
	v_readlane_b32 s20, v55, 59
	v_readlane_b32 s21, v55, 60
	s_or_b64 exec, exec, s[20:21]
	s_mov_b64 s[80:81], -1
	s_mov_b64 s[20:21], 0
	s_mov_b64 s[58:59], 0
.LBB111_219:                            ;   in Loop: Header=BB111_6 Depth=1
	s_orn2_b64 s[82:83], s[82:83], exec
.LBB111_220:                            ;   in Loop: Header=BB111_6 Depth=1
	s_or_b64 exec, exec, s[16:17]
	s_mov_b64 vcc, 0
                                        ; implicit-def: $vgpr10
                                        ; implicit-def: $vgpr38
	s_and_saveexec_b64 s[16:17], s[82:83]
	s_cbranch_execz .LBB111_232
; %bb.221:                              ;   in Loop: Header=BB111_6 Depth=1
	v_readlane_b32 s56, v55, 55
	v_readlane_b32 s57, v55, 56
	s_xor_b64 s[82:83], s[56:57], -1
	v_mov_b32_e32 v10, 1
	v_mov_b32_e32 v38, 1
	s_and_saveexec_b64 s[56:57], s[82:83]
	s_cbranch_execz .LBB111_231
; %bb.222:                              ;   in Loop: Header=BB111_6 Depth=1
	v_cmp_ge_u32_e32 vcc, s74, v5
                                        ; implicit-def: $sgpr75
	s_and_saveexec_b64 s[82:83], vcc
	s_xor_b64 s[82:83], exec, s[82:83]
	s_cbranch_execz .LBB111_228
; %bb.223:                              ;   in Loop: Header=BB111_6 Depth=1
	ds_read_b32 v10, v11 offset:4096
	s_waitcnt lgkmcnt(0)
	v_cmp_ne_u32_e32 vcc, 0, v10
	s_cbranch_vccnz .LBB111_227
; %bb.224:                              ;   in Loop: Header=BB111_6 Depth=1
	v_writelane_b32 v55, s82, 61
	v_writelane_b32 v55, s83, 62
	s_mov_b64 s[82:83], exec
                                        ; implicit-def: $vgpr54 : SGPR spill to VGPR lane
	v_writelane_b32 v55, s82, 63
	v_writelane_b32 v54, s83, 0
	v_readlane_b32 vcc_lo, v55, 13
	v_readlane_b32 s82, v55, 63
	v_readlane_b32 vcc_hi, v55, 14
	v_readlane_b32 s83, v54, 0
	s_and_b64 vcc, s[82:83], vcc
	s_mov_b64 exec, vcc
	s_cbranch_execz .LBB111_226
; %bb.225:                              ;   in Loop: Header=BB111_6 Depth=1
	v_mov_b32_e32 v10, s74
	ds_write_b32 v11, v10 offset:4100
.LBB111_226:                            ;   in Loop: Header=BB111_6 Depth=1
	v_readlane_b32 vcc_lo, v55, 63
	v_readlane_b32 vcc_hi, v54, 0
	s_or_b64 exec, exec, vcc
	v_readlane_b32 s82, v55, 61
	v_readlane_b32 s83, v55, 62
	s_waitcnt lgkmcnt(0)
	s_barrier
.LBB111_227:                            ;   in Loop: Header=BB111_6 Depth=1
	v_or_b32_e32 v2, s4, v2
	v_or_b32_e32 v3, s4, v3
	s_mov_b32 s75, 8
.LBB111_228:                            ;   in Loop: Header=BB111_6 Depth=1
	s_or_saveexec_b64 s[82:83], s[82:83]
	v_mov_b32_e32 v10, s75
	s_xor_b64 exec, exec, s[82:83]
; %bb.229:                              ;   in Loop: Header=BB111_6 Depth=1
	v_subrev_u32_e32 v5, s74, v5
	v_mov_b32_e32 v10, 8
; %bb.230:                              ;   in Loop: Header=BB111_6 Depth=1
	s_or_b64 exec, exec, s[82:83]
	v_mov_b32_e32 v38, v5
.LBB111_231:                            ;   in Loop: Header=BB111_6 Depth=1
	s_or_b64 exec, exec, s[56:57]
	s_mov_b64 vcc, exec
.LBB111_232:                            ;   in Loop: Header=BB111_6 Depth=1
	s_or_b64 exec, exec, s[16:17]
	s_orn2_b64 s[16:17], vcc, exec
	v_mov_b32_e32 v5, v38
.LBB111_233:                            ;   in Loop: Header=BB111_6 Depth=1
	s_or_b64 exec, exec, s[54:55]
	s_andn2_b64 s[46:47], s[46:47], exec
	s_and_b64 s[20:21], s[20:21], exec
	s_or_b64 s[46:47], s[46:47], s[20:21]
	s_andn2_b64 s[20:21], s[50:51], exec
	s_and_b64 s[50:51], s[80:81], exec
	s_or_b64 s[50:51], s[20:21], s[50:51]
	s_andn2_b64 s[20:21], s[48:49], exec
	s_and_b64 s[48:49], s[58:59], exec
	s_or_b64 s[48:49], s[20:21], s[48:49]
	s_and_b64 s[16:17], s[16:17], exec
	v_mov_b32_e32 v38, v5
.LBB111_234:                            ;   in Loop: Header=BB111_6 Depth=1
	s_or_b64 exec, exec, s[52:53]
	s_and_b64 s[52:53], s[46:47], exec
	s_and_b64 s[46:47], s[50:51], exec
	;; [unrolled: 1-line block ×3, first 2 shown]
	s_orn2_b64 s[16:17], s[16:17], exec
.LBB111_235:                            ;   in Loop: Header=BB111_6 Depth=1
	s_or_b64 exec, exec, s[44:45]
	s_andn2_b64 s[36:37], s[36:37], exec
	s_and_b64 s[44:45], s[52:53], exec
	s_or_b64 s[36:37], s[36:37], s[44:45]
	s_andn2_b64 s[40:41], s[40:41], exec
	s_and_b64 s[44:45], s[46:47], exec
	s_andn2_b64 s[38:39], s[38:39], exec
	s_and_b64 s[20:21], s[20:21], exec
	s_or_b64 s[40:41], s[40:41], s[44:45]
	s_or_b64 s[38:39], s[38:39], s[20:21]
	s_and_b64 s[20:21], s[16:17], exec
	v_mov_b32_e32 v5, v38
.LBB111_236:                            ;   in Loop: Header=BB111_6 Depth=1
	s_or_b64 exec, exec, s[42:43]
	s_and_b64 s[42:43], s[36:37], exec
	s_and_b64 s[36:37], s[40:41], exec
	;; [unrolled: 1-line block ×3, first 2 shown]
	s_orn2_b64 s[38:39], s[20:21], exec
.LBB111_237:                            ;   in Loop: Header=BB111_6 Depth=1
	s_or_b64 exec, exec, s[24:25]
	s_mov_b64 s[24:25], 0
	s_mov_b64 s[20:21], 0
	s_and_saveexec_b64 s[40:41], s[38:39]
	s_xor_b64 s[38:39], exec, s[40:41]
; %bb.238:                              ;   in Loop: Header=BB111_6 Depth=1
	v_cmp_eq_u32_e32 vcc, 8, v10
	v_cmp_ne_u32_e64 s[20:21], 8, v10
	s_andn2_b64 s[42:43], s[42:43], exec
	s_andn2_b64 s[36:37], s[36:37], exec
	;; [unrolled: 1-line block ×3, first 2 shown]
	s_and_b64 s[20:21], s[20:21], exec
	s_and_b64 s[24:25], vcc, exec
; %bb.239:                              ;   in Loop: Header=BB111_6 Depth=1
	s_or_b64 exec, exec, s[38:39]
	s_andn2_b64 s[22:23], s[22:23], exec
	s_and_b64 s[38:39], s[42:43], exec
	s_andn2_b64 s[28:29], s[28:29], exec
	s_and_b64 s[36:37], s[36:37], exec
	;; [unrolled: 2-line block ×3, first 2 shown]
	s_or_b64 s[22:23], s[22:23], s[38:39]
	s_or_b64 s[28:29], s[28:29], s[36:37]
	;; [unrolled: 1-line block ×3, first 2 shown]
	s_and_b64 s[20:21], s[20:21], exec
	s_and_b64 s[24:25], s[24:25], exec
.LBB111_240:                            ;   in Loop: Header=BB111_6 Depth=1
	s_or_b64 exec, exec, s[34:35]
	s_and_b64 vcc, exec, s[30:31]
	s_cbranch_vccz .LBB111_90
.LBB111_241:                            ;   in Loop: Header=BB111_6 Depth=1
	s_cmp_eq_u32 s74, 1
	s_cselect_b64 s[16:17], -1, 0
	s_and_b64 s[28:29], s[16:17], s[18:19]
	s_mov_b64 s[18:19], -1
                                        ; implicit-def: $sgpr30_sgpr31
                                        ; implicit-def: $sgpr34_sgpr35
                                        ; implicit-def: $sgpr22_sgpr23
	s_and_saveexec_b64 s[16:17], s[28:29]
	s_cbranch_execz .LBB111_267
; %bb.242:                              ;   in Loop: Header=BB111_6 Depth=1
	ds_read_b32 v2, v11 offset:4096
	s_waitcnt lgkmcnt(0)
	s_barrier
	v_readfirstlane_b32 s34, v2
	s_mov_b64 s[18:19], exec
	v_readlane_b32 s22, v55, 37
	v_readlane_b32 s23, v55, 38
	s_and_b64 s[22:23], s[18:19], s[22:23]
	s_mov_b64 exec, s[22:23]
	s_cbranch_execz .LBB111_244
; %bb.243:                              ;   in Loop: Header=BB111_6 Depth=1
	ds_write_b16 v20, v11
.LBB111_244:                            ;   in Loop: Header=BB111_6 Depth=1
	s_or_b64 exec, exec, s[18:19]
	v_or_b32_e32 v35, s4, v35
	v_or_b32_e32 v34, s4, v34
	s_cmp_eq_u32 s34, 0
	s_waitcnt lgkmcnt(0)
	s_barrier
	s_cbranch_scc1 .LBB111_253
; %bb.245:                              ;   in Loop: Header=BB111_6 Depth=1
	v_readlane_b32 s18, v55, 28
	s_add_i32 s18, s34, s18
	v_readlane_b32 s19, v55, 52
	s_mul_hi_u32 s19, s18, s19
	s_mul_i32 s19, s19, s76
	s_sub_i32 s19, s18, s19
	s_sub_i32 s22, s19, s76
	s_cmp_ge_u32 s19, s76
	s_cselect_b32 s19, s22, s19
	s_sub_i32 s22, s19, s76
	s_cmp_ge_u32 s19, s76
	s_cselect_b32 s19, s22, s19
	s_sub_i32 s35, s18, s19
	v_cmp_gt_u32_e32 vcc, s35, v0
	s_mov_b64 s[18:19], 0
                                        ; implicit-def: $vgpr36
	s_and_saveexec_b64 s[22:23], vcc
	s_cbranch_execz .LBB111_255
; %bb.246:                              ;   in Loop: Header=BB111_6 Depth=1
	s_mov_b64 s[26:27], 0
	v_mov_b32_e32 v2, v19
	v_mov_b32_e32 v3, v0
                                        ; implicit-def: $sgpr30_sgpr31
	s_branch .LBB111_248
.LBB111_247:                            ;   in Loop: Header=BB111_248 Depth=2
	s_or_b64 exec, exec, s[18:19]
	s_waitcnt lgkmcnt(0)
	s_barrier
	ds_read_b32 v4, v11 offset:3072
	v_add_u32_e32 v3, s76, v3
	v_cmp_le_u32_e64 s[18:19], s35, v3
	v_add_u32_e32 v2, s13, v2
	s_waitcnt lgkmcnt(0)
	v_and_b32_e32 v5, 0x7fff, v4
	v_cmp_ne_u16_e32 vcc, 0, v5
	s_or_b64 s[18:19], s[18:19], vcc
	s_and_b64 s[18:19], exec, s[18:19]
	s_or_b64 s[26:27], s[18:19], s[26:27]
	s_andn2_b64 s[18:19], s[30:31], exec
	s_and_b64 s[30:31], vcc, exec
	s_or_b64 s[30:31], s[18:19], s[30:31]
	s_barrier
	s_andn2_b64 exec, exec, s[26:27]
	s_cbranch_execz .LBB111_254
.LBB111_248:                            ;   Parent Loop BB111_6 Depth=1
                                        ; =>  This Inner Loop Header: Depth=2
	v_cmp_gt_u32_e32 vcc, s34, v3
	v_mov_b32_e32 v4, 0
	s_and_saveexec_b64 s[18:19], vcc
	s_cbranch_execz .LBB111_250
; %bb.249:                              ;   in Loop: Header=BB111_248 Depth=2
	ds_read_u16 v4, v2
.LBB111_250:                            ;   in Loop: Header=BB111_248 Depth=2
	s_or_b64 exec, exec, s[18:19]
	s_and_saveexec_b64 s[18:19], vcc
	s_cbranch_execz .LBB111_247
; %bb.251:                              ;   in Loop: Header=BB111_248 Depth=2
	s_waitcnt lgkmcnt(0)
	v_cmp_lt_i16_e32 vcc, -1, v4
	v_cndmask_b32_e32 v5, v29, v30, vcc
	v_lshlrev_b32_e32 v10, 16, v4
	v_xor_b32_sdwa v5, v5, v4 dst_sel:DWORD dst_unused:UNUSED_PAD src0_sel:DWORD src1_sel:WORD_0
	v_cmp_o_f32_e32 vcc, v10, v10
	v_cndmask_b32_e32 v5, v29, v5, vcc
	v_and_b32_e32 v5, v5, v34
	v_cmp_eq_u32_e32 vcc, v5, v35
	s_and_b64 exec, exec, vcc
	s_cbranch_execz .LBB111_247
; %bb.252:                              ;   in Loop: Header=BB111_248 Depth=2
	v_perm_b32 v4, v4, s9, v33
	ds_write_b32 v11, v4 offset:3072
	s_branch .LBB111_247
.LBB111_253:                            ;   in Loop: Header=BB111_6 Depth=1
	s_mov_b64 s[30:31], -1
	s_mov_b64 s[18:19], 0
                                        ; implicit-def: $sgpr34_sgpr35
                                        ; implicit-def: $vgpr36
	s_mov_b64 s[22:23], s[30:31]
	s_cbranch_execnz .LBB111_256
	s_branch .LBB111_266
.LBB111_254:                            ;   in Loop: Header=BB111_6 Depth=1
	s_or_b64 exec, exec, s[26:27]
	v_lshrrev_b32_e32 v36, 16, v4
	s_and_b64 s[18:19], s[30:31], exec
.LBB111_255:                            ;   in Loop: Header=BB111_6 Depth=1
	s_or_b64 exec, exec, s[22:23]
	s_mov_b64 s[30:31], 0
	s_mov_b64 s[34:35], -1
	s_mov_b64 s[22:23], s[30:31]
	s_branch .LBB111_266
.LBB111_256:                            ;   in Loop: Header=BB111_6 Depth=1
	s_mov_b64 s[18:19], 0
                                        ; implicit-def: $vgpr36
	s_mov_b64 s[22:23], exec
	v_readlane_b32 s26, v55, 53
	v_readlane_b32 s27, v55, 54
	s_and_b64 s[26:27], s[22:23], s[26:27]
	s_mov_b64 exec, s[26:27]
	s_cbranch_execz .LBB111_265
; %bb.257:                              ;   in Loop: Header=BB111_6 Depth=1
	s_mov_b64 s[26:27], 0
	v_mov_b32_e32 v10, v12
	v_mov_b32_e32 v2, v0
                                        ; implicit-def: $sgpr30_sgpr31
	s_branch .LBB111_259
.LBB111_258:                            ;   in Loop: Header=BB111_259 Depth=2
	s_or_b64 exec, exec, s[18:19]
	s_waitcnt lgkmcnt(0)
	s_barrier
	s_waitcnt vmcnt(0)
	ds_read_b32 v3, v11 offset:3072
	v_add_u32_e32 v2, s76, v2
	v_cmp_le_u32_e64 s[18:19], s78, v2
	v_add_u32_e32 v10, s6, v10
	s_waitcnt lgkmcnt(0)
	v_and_b32_e32 v4, 0x7fff, v3
	v_cmp_ne_u16_e32 vcc, 0, v4
	s_or_b64 s[18:19], s[18:19], vcc
	s_and_b64 s[18:19], exec, s[18:19]
	s_or_b64 s[26:27], s[18:19], s[26:27]
	s_andn2_b64 s[18:19], s[30:31], exec
	s_and_b64 s[30:31], vcc, exec
	s_or_b64 s[30:31], s[18:19], s[30:31]
	s_barrier
	s_andn2_b64 exec, exec, s[26:27]
	s_cbranch_execz .LBB111_264
.LBB111_259:                            ;   Parent Loop BB111_6 Depth=1
                                        ; =>  This Inner Loop Header: Depth=2
	v_cmp_gt_u32_e32 vcc, s60, v2
	v_mov_b32_e32 v3, 0
	s_and_saveexec_b64 s[34:35], vcc
	s_cbranch_execz .LBB111_261
; %bb.260:                              ;   in Loop: Header=BB111_259 Depth=2
	v_lshlrev_b64 v[4:5], 1, v[10:11]
	v_mov_b32_e32 v3, s7
	v_add_co_u32_e64 v4, s[18:19], s33, v4
	v_addc_co_u32_e64 v5, s[18:19], v3, v5, s[18:19]
	global_load_ushort v3, v[4:5], off
.LBB111_261:                            ;   in Loop: Header=BB111_259 Depth=2
	s_or_b64 exec, exec, s[34:35]
	s_and_saveexec_b64 s[18:19], vcc
	s_cbranch_execz .LBB111_258
; %bb.262:                              ;   in Loop: Header=BB111_259 Depth=2
	s_waitcnt vmcnt(0)
	v_cmp_lt_i16_e32 vcc, -1, v3
	v_cndmask_b32_e32 v4, v29, v30, vcc
	v_lshlrev_b32_e32 v5, 16, v3
	v_xor_b32_sdwa v4, v4, v3 dst_sel:DWORD dst_unused:UNUSED_PAD src0_sel:DWORD src1_sel:WORD_0
	v_cmp_o_f32_e32 vcc, v5, v5
	v_cndmask_b32_e32 v4, v29, v4, vcc
	v_and_b32_e32 v4, v4, v34
	v_cmp_eq_u32_e32 vcc, v4, v35
	s_and_b64 exec, exec, vcc
	s_cbranch_execz .LBB111_258
; %bb.263:                              ;   in Loop: Header=BB111_259 Depth=2
	v_perm_b32 v3, v3, s9, v33
	ds_write_b32 v11, v3 offset:3072
	s_branch .LBB111_258
.LBB111_264:                            ;   in Loop: Header=BB111_6 Depth=1
	s_or_b64 exec, exec, s[26:27]
	v_lshrrev_b32_e32 v36, 16, v3
	s_and_b64 s[18:19], s[30:31], exec
.LBB111_265:                            ;   in Loop: Header=BB111_6 Depth=1
	s_or_b64 exec, exec, s[22:23]
	s_mov_b64 s[34:35], 0
	s_mov_b64 s[30:31], -1
	s_mov_b64 s[22:23], 0
.LBB111_266:                            ;   in Loop: Header=BB111_6 Depth=1
	s_orn2_b64 s[18:19], s[18:19], exec
.LBB111_267:                            ;   in Loop: Header=BB111_6 Depth=1
	s_or_b64 exec, exec, s[16:17]
                                        ; implicit-def: $vgpr10
                                        ; implicit-def: $vgpr5
                                        ; implicit-def: $vgpr2
                                        ; implicit-def: $vgpr3
                                        ; implicit-def: $vgpr4
	s_and_saveexec_b64 s[26:27], s[18:19]
	s_cbranch_execz .LBB111_402
; %bb.268:                              ;   in Loop: Header=BB111_6 Depth=1
	s_xor_b64 s[28:29], s[28:29], -1
	s_mov_b64 s[18:19], 0
	v_mov_b32_e32 v5, 1
	v_mov_b32_e32 v10, 1
	s_and_saveexec_b64 s[16:17], s[28:29]
	s_cbranch_execz .LBB111_278
; %bb.269:                              ;   in Loop: Header=BB111_6 Depth=1
	v_cmp_ge_u32_e32 vcc, s74, v37
                                        ; implicit-def: $sgpr36
                                        ; implicit-def: $sgpr18_sgpr19
	s_and_saveexec_b64 s[28:29], vcc
	s_xor_b64 s[28:29], exec, s[28:29]
	s_cbranch_execz .LBB111_275
; %bb.270:                              ;   in Loop: Header=BB111_6 Depth=1
	ds_read_b32 v2, v11 offset:4096
	s_waitcnt lgkmcnt(0)
	v_cmp_ne_u32_e32 vcc, 0, v2
	s_cbranch_vccnz .LBB111_274
; %bb.271:                              ;   in Loop: Header=BB111_6 Depth=1
	s_mov_b64 s[18:19], exec
	v_readlane_b32 s36, v55, 13
	v_readlane_b32 s37, v55, 14
	s_and_b64 s[36:37], s[18:19], s[36:37]
	s_mov_b64 exec, s[36:37]
	s_cbranch_execz .LBB111_273
; %bb.272:                              ;   in Loop: Header=BB111_6 Depth=1
	v_mov_b32_e32 v2, s74
	ds_write_b32 v11, v2 offset:4100
.LBB111_273:                            ;   in Loop: Header=BB111_6 Depth=1
	s_or_b64 exec, exec, s[18:19]
	s_waitcnt lgkmcnt(0)
	s_barrier
.LBB111_274:                            ;   in Loop: Header=BB111_6 Depth=1
	v_or_b32_e32 v35, s4, v35
	v_or_b32_e32 v34, s4, v34
	s_mov_b64 s[18:19], 0
	s_mov_b32 s36, 5
.LBB111_275:                            ;   in Loop: Header=BB111_6 Depth=1
	s_or_saveexec_b64 s[28:29], s[28:29]
	v_mov_b32_e32 v10, s36
	s_xor_b64 exec, exec, s[28:29]
; %bb.276:                              ;   in Loop: Header=BB111_6 Depth=1
	v_subrev_u32_e32 v37, s74, v37
	v_mov_b32_e32 v10, 0
	s_or_b64 s[18:19], s[18:19], exec
; %bb.277:                              ;   in Loop: Header=BB111_6 Depth=1
	s_or_b64 exec, exec, s[28:29]
	s_and_b64 s[18:19], s[18:19], exec
	v_mov_b32_e32 v5, v37
.LBB111_278:                            ;   in Loop: Header=BB111_6 Depth=1
	s_or_b64 exec, exec, s[16:17]
	s_mov_b64 s[38:39], -1
                                        ; implicit-def: $sgpr16_sgpr17
                                        ; implicit-def: $sgpr36_sgpr37
                                        ; implicit-def: $sgpr42_sgpr43
	s_and_saveexec_b64 s[28:29], s[18:19]
	s_xor_b64 s[28:29], exec, s[28:29]
	s_cbranch_execz .LBB111_399
; %bb.279:                              ;   in Loop: Header=BB111_6 Depth=1
	s_cmp_eq_u32 s63, 1
	s_cselect_b64 s[16:17], -1, 0
	v_cmp_eq_u32_e32 vcc, 1, v5
	s_and_b64 s[44:45], s[16:17], vcc
	s_mov_b64 s[46:47], -1
                                        ; implicit-def: $sgpr36_sgpr37
                                        ; implicit-def: $sgpr38_sgpr39
                                        ; implicit-def: $sgpr40_sgpr41
	s_and_saveexec_b64 s[16:17], s[44:45]
	s_cbranch_execz .LBB111_305
; %bb.280:                              ;   in Loop: Header=BB111_6 Depth=1
	ds_read_b32 v2, v11 offset:4096
	s_waitcnt lgkmcnt(0)
	s_barrier
	v_readfirstlane_b32 s42, v2
	s_mov_b64 s[18:19], exec
	v_readlane_b32 s36, v55, 37
	v_readlane_b32 s37, v55, 38
	s_and_b64 s[36:37], s[18:19], s[36:37]
	s_mov_b64 exec, s[36:37]
	s_cbranch_execz .LBB111_282
; %bb.281:                              ;   in Loop: Header=BB111_6 Depth=1
	ds_write_b16 v20, v11
.LBB111_282:                            ;   in Loop: Header=BB111_6 Depth=1
	s_or_b64 exec, exec, s[18:19]
	v_and_b32_e32 v2, s10, v35
	v_lshl_or_b32 v35, 2, s62, v2
	v_or_b32_e32 v34, s4, v34
	s_cmp_eq_u32 s42, 0
	s_waitcnt lgkmcnt(0)
	s_barrier
	s_cbranch_scc1 .LBB111_291
; %bb.283:                              ;   in Loop: Header=BB111_6 Depth=1
	v_readlane_b32 s18, v55, 28
	s_add_i32 s18, s42, s18
	v_readlane_b32 s19, v55, 52
	s_mul_hi_u32 s19, s18, s19
	s_mul_i32 s19, s19, s76
	s_sub_i32 s19, s18, s19
	s_sub_i32 s36, s19, s76
	s_cmp_ge_u32 s19, s76
	s_cselect_b32 s19, s36, s19
	s_sub_i32 s36, s19, s76
	s_cmp_ge_u32 s19, s76
	s_cselect_b32 s19, s36, s19
	s_sub_i32 s43, s18, s19
	v_cmp_gt_u32_e32 vcc, s43, v0
	s_mov_b64 s[18:19], 0
                                        ; implicit-def: $vgpr36
	s_and_saveexec_b64 s[36:37], vcc
	s_cbranch_execz .LBB111_293
; %bb.284:                              ;   in Loop: Header=BB111_6 Depth=1
	s_mov_b64 s[38:39], 0
	v_mov_b32_e32 v2, v19
	v_mov_b32_e32 v3, v0
                                        ; implicit-def: $sgpr40_sgpr41
	s_branch .LBB111_286
.LBB111_285:                            ;   in Loop: Header=BB111_286 Depth=2
	s_or_b64 exec, exec, s[18:19]
	s_waitcnt lgkmcnt(0)
	s_barrier
	ds_read_b32 v4, v11 offset:3072
	v_add_u32_e32 v3, s76, v3
	v_cmp_le_u32_e64 s[18:19], s43, v3
	v_add_u32_e32 v2, s13, v2
	s_waitcnt lgkmcnt(0)
	v_and_b32_e32 v10, 0x7fff, v4
	v_cmp_ne_u16_e32 vcc, 0, v10
	s_or_b64 s[18:19], s[18:19], vcc
	s_and_b64 s[18:19], exec, s[18:19]
	s_or_b64 s[38:39], s[18:19], s[38:39]
	s_andn2_b64 s[18:19], s[40:41], exec
	s_and_b64 s[40:41], vcc, exec
	s_or_b64 s[40:41], s[18:19], s[40:41]
	s_barrier
	s_andn2_b64 exec, exec, s[38:39]
	s_cbranch_execz .LBB111_292
.LBB111_286:                            ;   Parent Loop BB111_6 Depth=1
                                        ; =>  This Inner Loop Header: Depth=2
	v_cmp_gt_u32_e32 vcc, s42, v3
	v_mov_b32_e32 v4, 0
	s_and_saveexec_b64 s[18:19], vcc
	s_cbranch_execz .LBB111_288
; %bb.287:                              ;   in Loop: Header=BB111_286 Depth=2
	ds_read_u16 v4, v2
.LBB111_288:                            ;   in Loop: Header=BB111_286 Depth=2
	s_or_b64 exec, exec, s[18:19]
	s_and_saveexec_b64 s[18:19], vcc
	s_cbranch_execz .LBB111_285
; %bb.289:                              ;   in Loop: Header=BB111_286 Depth=2
	s_waitcnt lgkmcnt(0)
	v_cmp_lt_i16_e32 vcc, -1, v4
	v_cndmask_b32_e32 v10, v29, v30, vcc
	v_lshlrev_b32_e32 v36, 16, v4
	v_xor_b32_sdwa v10, v10, v4 dst_sel:DWORD dst_unused:UNUSED_PAD src0_sel:DWORD src1_sel:WORD_0
	v_cmp_o_f32_e32 vcc, v36, v36
	v_cndmask_b32_e32 v10, v29, v10, vcc
	v_and_b32_e32 v10, v10, v34
	v_cmp_eq_u32_e32 vcc, v10, v35
	s_and_b64 exec, exec, vcc
	s_cbranch_execz .LBB111_285
; %bb.290:                              ;   in Loop: Header=BB111_286 Depth=2
	v_perm_b32 v4, v4, s9, v33
	ds_write_b32 v11, v4 offset:3072
	s_branch .LBB111_285
.LBB111_291:                            ;   in Loop: Header=BB111_6 Depth=1
	s_mov_b64 s[36:37], -1
	s_mov_b64 s[18:19], 0
                                        ; implicit-def: $sgpr38_sgpr39
                                        ; implicit-def: $vgpr36
	s_mov_b64 s[40:41], s[36:37]
	s_cbranch_execnz .LBB111_294
	s_branch .LBB111_304
.LBB111_292:                            ;   in Loop: Header=BB111_6 Depth=1
	s_or_b64 exec, exec, s[38:39]
	v_lshrrev_b32_e32 v36, 16, v4
	s_and_b64 s[18:19], s[40:41], exec
.LBB111_293:                            ;   in Loop: Header=BB111_6 Depth=1
	s_or_b64 exec, exec, s[36:37]
	s_mov_b64 s[36:37], 0
	s_mov_b64 s[38:39], -1
	s_mov_b64 s[40:41], s[36:37]
	s_branch .LBB111_304
.LBB111_294:                            ;   in Loop: Header=BB111_6 Depth=1
	s_mov_b64 s[18:19], 0
                                        ; implicit-def: $vgpr36
	s_mov_b64 s[36:37], exec
	v_readlane_b32 s38, v55, 53
	v_readlane_b32 s39, v55, 54
	s_and_b64 s[38:39], s[36:37], s[38:39]
	s_mov_b64 exec, s[38:39]
	s_cbranch_execz .LBB111_303
; %bb.295:                              ;   in Loop: Header=BB111_6 Depth=1
	s_mov_b64 s[38:39], 0
	v_mov_b32_e32 v10, v12
	v_mov_b32_e32 v2, v0
                                        ; implicit-def: $sgpr40_sgpr41
	s_branch .LBB111_297
.LBB111_296:                            ;   in Loop: Header=BB111_297 Depth=2
	s_or_b64 exec, exec, s[18:19]
	s_waitcnt lgkmcnt(0)
	s_barrier
	s_waitcnt vmcnt(0)
	ds_read_b32 v3, v11 offset:3072
	v_add_u32_e32 v2, s76, v2
	v_cmp_le_u32_e64 s[18:19], s78, v2
	v_add_u32_e32 v10, s6, v10
	s_waitcnt lgkmcnt(0)
	v_and_b32_e32 v4, 0x7fff, v3
	v_cmp_ne_u16_e32 vcc, 0, v4
	s_or_b64 s[18:19], s[18:19], vcc
	s_and_b64 s[18:19], exec, s[18:19]
	s_or_b64 s[38:39], s[18:19], s[38:39]
	s_andn2_b64 s[18:19], s[40:41], exec
	s_and_b64 s[40:41], vcc, exec
	s_or_b64 s[40:41], s[18:19], s[40:41]
	s_barrier
	s_andn2_b64 exec, exec, s[38:39]
	s_cbranch_execz .LBB111_302
.LBB111_297:                            ;   Parent Loop BB111_6 Depth=1
                                        ; =>  This Inner Loop Header: Depth=2
	v_cmp_gt_u32_e32 vcc, s60, v2
	v_mov_b32_e32 v3, 0
	s_and_saveexec_b64 s[42:43], vcc
	s_cbranch_execz .LBB111_299
; %bb.298:                              ;   in Loop: Header=BB111_297 Depth=2
	v_lshlrev_b64 v[36:37], 1, v[10:11]
	v_mov_b32_e32 v3, s7
	v_add_co_u32_e64 v36, s[18:19], s33, v36
	v_addc_co_u32_e64 v37, s[18:19], v3, v37, s[18:19]
	global_load_ushort v3, v[36:37], off
.LBB111_299:                            ;   in Loop: Header=BB111_297 Depth=2
	s_or_b64 exec, exec, s[42:43]
	s_and_saveexec_b64 s[18:19], vcc
	s_cbranch_execz .LBB111_296
; %bb.300:                              ;   in Loop: Header=BB111_297 Depth=2
	s_waitcnt vmcnt(0)
	v_cmp_lt_i16_e32 vcc, -1, v3
	v_cndmask_b32_e32 v4, v29, v30, vcc
	v_lshlrev_b32_e32 v36, 16, v3
	v_xor_b32_sdwa v4, v4, v3 dst_sel:DWORD dst_unused:UNUSED_PAD src0_sel:DWORD src1_sel:WORD_0
	v_cmp_o_f32_e32 vcc, v36, v36
	v_cndmask_b32_e32 v4, v29, v4, vcc
	v_and_b32_e32 v4, v4, v34
	v_cmp_eq_u32_e32 vcc, v4, v35
	s_and_b64 exec, exec, vcc
	s_cbranch_execz .LBB111_296
; %bb.301:                              ;   in Loop: Header=BB111_297 Depth=2
	v_perm_b32 v3, v3, s9, v33
	ds_write_b32 v11, v3 offset:3072
	s_branch .LBB111_296
.LBB111_302:                            ;   in Loop: Header=BB111_6 Depth=1
	s_or_b64 exec, exec, s[38:39]
	v_lshrrev_b32_e32 v36, 16, v3
	s_and_b64 s[18:19], s[40:41], exec
.LBB111_303:                            ;   in Loop: Header=BB111_6 Depth=1
	s_or_b64 exec, exec, s[36:37]
	s_mov_b64 s[38:39], 0
	s_mov_b64 s[36:37], -1
	s_mov_b64 s[40:41], 0
.LBB111_304:                            ;   in Loop: Header=BB111_6 Depth=1
	s_orn2_b64 s[46:47], s[18:19], exec
.LBB111_305:                            ;   in Loop: Header=BB111_6 Depth=1
	s_or_b64 exec, exec, s[16:17]
	s_mov_b64 s[18:19], 0
                                        ; implicit-def: $vgpr10
	s_and_saveexec_b64 s[42:43], s[46:47]
	s_cbranch_execz .LBB111_398
; %bb.306:                              ;   in Loop: Header=BB111_6 Depth=1
	s_xor_b64 s[18:19], s[44:45], -1
	s_mov_b64 s[48:49], 0
	v_mov_b32_e32 v2, 1
	v_mov_b32_e32 v10, 1
	s_and_saveexec_b64 s[16:17], s[18:19]
	s_cbranch_execz .LBB111_316
; %bb.307:                              ;   in Loop: Header=BB111_6 Depth=1
	v_cmp_ge_u32_e32 vcc, s63, v5
                                        ; implicit-def: $sgpr46
                                        ; implicit-def: $sgpr18_sgpr19
	s_and_saveexec_b64 s[44:45], vcc
	s_xor_b64 s[44:45], exec, s[44:45]
	s_cbranch_execz .LBB111_313
; %bb.308:                              ;   in Loop: Header=BB111_6 Depth=1
	ds_read_b32 v2, v11 offset:4096
	s_waitcnt lgkmcnt(0)
	v_cmp_ne_u32_e32 vcc, 0, v2
	s_cbranch_vccnz .LBB111_312
; %bb.309:                              ;   in Loop: Header=BB111_6 Depth=1
	s_mov_b64 s[18:19], exec
	v_readlane_b32 s46, v55, 13
	v_readlane_b32 s47, v55, 14
	s_and_b64 s[46:47], s[18:19], s[46:47]
	s_mov_b64 exec, s[46:47]
	s_cbranch_execz .LBB111_311
; %bb.310:                              ;   in Loop: Header=BB111_6 Depth=1
	v_mov_b32_e32 v2, s63
	ds_write_b32 v11, v2 offset:4100
.LBB111_311:                            ;   in Loop: Header=BB111_6 Depth=1
	s_or_b64 exec, exec, s[18:19]
	s_waitcnt lgkmcnt(0)
	s_barrier
.LBB111_312:                            ;   in Loop: Header=BB111_6 Depth=1
	v_and_b32_e32 v2, s10, v35
	v_lshl_or_b32 v35, 2, s62, v2
	v_or_b32_e32 v34, s4, v34
	s_mov_b64 s[18:19], 0
	s_mov_b32 s46, 5
.LBB111_313:                            ;   in Loop: Header=BB111_6 Depth=1
	s_or_saveexec_b64 s[44:45], s[44:45]
	v_mov_b32_e32 v10, s46
	s_xor_b64 exec, exec, s[44:45]
; %bb.314:                              ;   in Loop: Header=BB111_6 Depth=1
	v_subrev_u32_e32 v5, s63, v5
	v_mov_b32_e32 v10, 0
	s_or_b64 s[18:19], s[18:19], exec
; %bb.315:                              ;   in Loop: Header=BB111_6 Depth=1
	s_or_b64 exec, exec, s[44:45]
	s_and_b64 s[48:49], s[18:19], exec
	v_mov_b32_e32 v2, v5
.LBB111_316:                            ;   in Loop: Header=BB111_6 Depth=1
	s_or_b64 exec, exec, s[16:17]
	s_mov_b64 s[16:17], -1
                                        ; implicit-def: $sgpr18_sgpr19
                                        ; implicit-def: $sgpr46_sgpr47
                                        ; implicit-def: $sgpr52_sgpr53
	s_and_saveexec_b64 s[44:45], s[48:49]
	s_cbranch_execz .LBB111_397
; %bb.317:                              ;   in Loop: Header=BB111_6 Depth=1
	s_cmp_eq_u32 s11, 1
	s_cselect_b64 s[16:17], -1, 0
	v_cmp_eq_u32_e32 vcc, 1, v2
	s_and_b64 s[54:55], s[16:17], vcc
	s_mov_b64 s[18:19], -1
                                        ; implicit-def: $sgpr46_sgpr47
                                        ; implicit-def: $sgpr48_sgpr49
                                        ; implicit-def: $sgpr50_sgpr51
	s_and_saveexec_b64 s[16:17], s[54:55]
	s_cbranch_execz .LBB111_343
; %bb.318:                              ;   in Loop: Header=BB111_6 Depth=1
	ds_read_b32 v3, v11 offset:4096
	s_waitcnt lgkmcnt(0)
	s_barrier
	v_readfirstlane_b32 s52, v3
	s_mov_b64 s[18:19], exec
	v_readlane_b32 s46, v55, 37
	v_readlane_b32 s47, v55, 38
	s_and_b64 s[46:47], s[18:19], s[46:47]
	s_mov_b64 exec, s[46:47]
	s_cbranch_execz .LBB111_320
; %bb.319:                              ;   in Loop: Header=BB111_6 Depth=1
	ds_write_b16 v20, v11
.LBB111_320:                            ;   in Loop: Header=BB111_6 Depth=1
	s_or_b64 exec, exec, s[18:19]
	v_and_b32_e32 v3, s10, v35
	v_lshl_or_b32 v35, 1, s62, v3
	v_or_b32_e32 v34, s4, v34
	s_cmp_eq_u32 s52, 0
	s_waitcnt lgkmcnt(0)
	s_barrier
	s_cbranch_scc1 .LBB111_329
; %bb.321:                              ;   in Loop: Header=BB111_6 Depth=1
	v_readlane_b32 s18, v55, 28
	s_add_i32 s18, s52, s18
	v_readlane_b32 s19, v55, 52
	s_mul_hi_u32 s19, s18, s19
	s_mul_i32 s19, s19, s76
	s_sub_i32 s19, s18, s19
	s_sub_i32 s46, s19, s76
	s_cmp_ge_u32 s19, s76
	s_cselect_b32 s19, s46, s19
	s_sub_i32 s46, s19, s76
	s_cmp_ge_u32 s19, s76
	s_cselect_b32 s19, s46, s19
	s_sub_i32 s53, s18, s19
	v_cmp_gt_u32_e32 vcc, s53, v0
	s_mov_b64 s[18:19], 0
                                        ; implicit-def: $vgpr36
	s_and_saveexec_b64 s[46:47], vcc
	s_cbranch_execz .LBB111_331
; %bb.322:                              ;   in Loop: Header=BB111_6 Depth=1
	s_mov_b64 s[48:49], 0
	v_mov_b32_e32 v3, v19
	v_mov_b32_e32 v4, v0
                                        ; implicit-def: $sgpr50_sgpr51
	s_branch .LBB111_324
.LBB111_323:                            ;   in Loop: Header=BB111_324 Depth=2
	s_or_b64 exec, exec, s[18:19]
	s_waitcnt lgkmcnt(0)
	s_barrier
	ds_read_b32 v5, v11 offset:3072
	v_add_u32_e32 v4, s76, v4
	v_cmp_le_u32_e64 s[18:19], s53, v4
	v_add_u32_e32 v3, s13, v3
	s_waitcnt lgkmcnt(0)
	v_and_b32_e32 v10, 0x7fff, v5
	v_cmp_ne_u16_e32 vcc, 0, v10
	s_or_b64 s[18:19], s[18:19], vcc
	s_and_b64 s[18:19], exec, s[18:19]
	s_or_b64 s[48:49], s[18:19], s[48:49]
	s_andn2_b64 s[18:19], s[50:51], exec
	s_and_b64 s[50:51], vcc, exec
	s_or_b64 s[50:51], s[18:19], s[50:51]
	s_barrier
	s_andn2_b64 exec, exec, s[48:49]
	s_cbranch_execz .LBB111_330
.LBB111_324:                            ;   Parent Loop BB111_6 Depth=1
                                        ; =>  This Inner Loop Header: Depth=2
	v_cmp_gt_u32_e32 vcc, s52, v4
	v_mov_b32_e32 v5, 0
	s_and_saveexec_b64 s[18:19], vcc
	s_cbranch_execz .LBB111_326
; %bb.325:                              ;   in Loop: Header=BB111_324 Depth=2
	ds_read_u16 v5, v3
.LBB111_326:                            ;   in Loop: Header=BB111_324 Depth=2
	s_or_b64 exec, exec, s[18:19]
	s_and_saveexec_b64 s[18:19], vcc
	s_cbranch_execz .LBB111_323
; %bb.327:                              ;   in Loop: Header=BB111_324 Depth=2
	s_waitcnt lgkmcnt(0)
	v_cmp_lt_i16_e32 vcc, -1, v5
	v_cndmask_b32_e32 v10, v29, v30, vcc
	v_lshlrev_b32_e32 v36, 16, v5
	v_xor_b32_sdwa v10, v10, v5 dst_sel:DWORD dst_unused:UNUSED_PAD src0_sel:DWORD src1_sel:WORD_0
	v_cmp_o_f32_e32 vcc, v36, v36
	v_cndmask_b32_e32 v10, v29, v10, vcc
	v_and_b32_e32 v10, v10, v34
	v_cmp_eq_u32_e32 vcc, v10, v35
	s_and_b64 exec, exec, vcc
	s_cbranch_execz .LBB111_323
; %bb.328:                              ;   in Loop: Header=BB111_324 Depth=2
	v_perm_b32 v5, v5, s9, v33
	ds_write_b32 v11, v5 offset:3072
	s_branch .LBB111_323
.LBB111_329:                            ;   in Loop: Header=BB111_6 Depth=1
	s_mov_b64 s[46:47], -1
	s_mov_b64 s[18:19], 0
                                        ; implicit-def: $sgpr48_sgpr49
                                        ; implicit-def: $vgpr36
	s_mov_b64 s[50:51], s[46:47]
	s_cbranch_execnz .LBB111_332
	s_branch .LBB111_342
.LBB111_330:                            ;   in Loop: Header=BB111_6 Depth=1
	s_or_b64 exec, exec, s[48:49]
	v_lshrrev_b32_e32 v36, 16, v5
	s_and_b64 s[18:19], s[50:51], exec
.LBB111_331:                            ;   in Loop: Header=BB111_6 Depth=1
	s_or_b64 exec, exec, s[46:47]
	s_mov_b64 s[46:47], 0
	s_mov_b64 s[48:49], -1
	s_mov_b64 s[50:51], s[46:47]
	s_branch .LBB111_342
.LBB111_332:                            ;   in Loop: Header=BB111_6 Depth=1
	s_mov_b64 s[18:19], 0
                                        ; implicit-def: $vgpr36
	s_mov_b64 s[46:47], exec
	v_readlane_b32 s48, v55, 53
	v_readlane_b32 s49, v55, 54
	s_and_b64 s[48:49], s[46:47], s[48:49]
	s_mov_b64 exec, s[48:49]
	s_cbranch_execz .LBB111_341
; %bb.333:                              ;   in Loop: Header=BB111_6 Depth=1
	s_mov_b64 s[48:49], 0
	v_mov_b32_e32 v10, v12
	v_mov_b32_e32 v3, v0
                                        ; implicit-def: $sgpr50_sgpr51
	s_branch .LBB111_335
.LBB111_334:                            ;   in Loop: Header=BB111_335 Depth=2
	s_or_b64 exec, exec, s[18:19]
	s_waitcnt lgkmcnt(0)
	s_barrier
	s_waitcnt vmcnt(0)
	ds_read_b32 v4, v11 offset:3072
	v_add_u32_e32 v3, s76, v3
	v_cmp_le_u32_e64 s[18:19], s78, v3
	v_add_u32_e32 v10, s6, v10
	s_waitcnt lgkmcnt(0)
	v_and_b32_e32 v5, 0x7fff, v4
	v_cmp_ne_u16_e32 vcc, 0, v5
	s_or_b64 s[18:19], s[18:19], vcc
	s_and_b64 s[18:19], exec, s[18:19]
	s_or_b64 s[48:49], s[18:19], s[48:49]
	s_andn2_b64 s[18:19], s[50:51], exec
	s_and_b64 s[50:51], vcc, exec
	s_or_b64 s[50:51], s[18:19], s[50:51]
	s_barrier
	s_andn2_b64 exec, exec, s[48:49]
	s_cbranch_execz .LBB111_340
.LBB111_335:                            ;   Parent Loop BB111_6 Depth=1
                                        ; =>  This Inner Loop Header: Depth=2
	v_cmp_gt_u32_e32 vcc, s60, v3
	v_mov_b32_e32 v4, 0
	s_and_saveexec_b64 s[52:53], vcc
	s_cbranch_execz .LBB111_337
; %bb.336:                              ;   in Loop: Header=BB111_335 Depth=2
	v_lshlrev_b64 v[4:5], 1, v[10:11]
	v_mov_b32_e32 v36, s7
	v_add_co_u32_e64 v4, s[18:19], s33, v4
	v_addc_co_u32_e64 v5, s[18:19], v36, v5, s[18:19]
	global_load_ushort v4, v[4:5], off
.LBB111_337:                            ;   in Loop: Header=BB111_335 Depth=2
	s_or_b64 exec, exec, s[52:53]
	s_and_saveexec_b64 s[18:19], vcc
	s_cbranch_execz .LBB111_334
; %bb.338:                              ;   in Loop: Header=BB111_335 Depth=2
	s_waitcnt vmcnt(0)
	v_cmp_lt_i16_e32 vcc, -1, v4
	v_cndmask_b32_e32 v5, v29, v30, vcc
	v_lshlrev_b32_e32 v36, 16, v4
	v_xor_b32_sdwa v5, v5, v4 dst_sel:DWORD dst_unused:UNUSED_PAD src0_sel:DWORD src1_sel:WORD_0
	v_cmp_o_f32_e32 vcc, v36, v36
	v_cndmask_b32_e32 v5, v29, v5, vcc
	v_and_b32_e32 v5, v5, v34
	v_cmp_eq_u32_e32 vcc, v5, v35
	s_and_b64 exec, exec, vcc
	s_cbranch_execz .LBB111_334
; %bb.339:                              ;   in Loop: Header=BB111_335 Depth=2
	v_perm_b32 v4, v4, s9, v33
	ds_write_b32 v11, v4 offset:3072
	s_branch .LBB111_334
.LBB111_340:                            ;   in Loop: Header=BB111_6 Depth=1
	s_or_b64 exec, exec, s[48:49]
	v_lshrrev_b32_e32 v36, 16, v4
	s_and_b64 s[18:19], s[50:51], exec
.LBB111_341:                            ;   in Loop: Header=BB111_6 Depth=1
	s_or_b64 exec, exec, s[46:47]
	s_mov_b64 s[48:49], 0
	s_mov_b64 s[46:47], -1
	s_mov_b64 s[50:51], 0
.LBB111_342:                            ;   in Loop: Header=BB111_6 Depth=1
	s_orn2_b64 s[18:19], s[18:19], exec
.LBB111_343:                            ;   in Loop: Header=BB111_6 Depth=1
	s_or_b64 exec, exec, s[16:17]
	s_mov_b64 s[16:17], 0
                                        ; implicit-def: $vgpr10
	s_and_saveexec_b64 s[52:53], s[18:19]
	s_cbranch_execz .LBB111_396
; %bb.344:                              ;   in Loop: Header=BB111_6 Depth=1
	s_xor_b64 s[18:19], s[54:55], -1
	s_mov_b64 s[56:57], 0
	v_mov_b32_e32 v3, 1
	v_mov_b32_e32 v10, 1
	s_and_saveexec_b64 s[16:17], s[18:19]
	s_cbranch_execz .LBB111_354
; %bb.345:                              ;   in Loop: Header=BB111_6 Depth=1
	v_cmp_ge_u32_e32 vcc, s11, v2
                                        ; implicit-def: $sgpr56
                                        ; implicit-def: $sgpr18_sgpr19
	s_and_saveexec_b64 s[54:55], vcc
	s_xor_b64 s[54:55], exec, s[54:55]
	s_cbranch_execz .LBB111_351
; %bb.346:                              ;   in Loop: Header=BB111_6 Depth=1
	ds_read_b32 v3, v11 offset:4096
	s_waitcnt lgkmcnt(0)
	v_cmp_ne_u32_e32 vcc, 0, v3
	s_cbranch_vccnz .LBB111_350
; %bb.347:                              ;   in Loop: Header=BB111_6 Depth=1
	s_mov_b64 s[18:19], exec
	v_readlane_b32 s56, v55, 13
	v_readlane_b32 s57, v55, 14
	s_and_b64 s[56:57], s[18:19], s[56:57]
	s_mov_b64 exec, s[56:57]
	s_cbranch_execz .LBB111_349
; %bb.348:                              ;   in Loop: Header=BB111_6 Depth=1
	v_mov_b32_e32 v3, s11
	ds_write_b32 v11, v3 offset:4100
.LBB111_349:                            ;   in Loop: Header=BB111_6 Depth=1
	s_or_b64 exec, exec, s[18:19]
	s_waitcnt lgkmcnt(0)
	s_barrier
.LBB111_350:                            ;   in Loop: Header=BB111_6 Depth=1
	v_and_b32_e32 v3, s10, v35
	v_lshl_or_b32 v35, 1, s62, v3
	v_or_b32_e32 v34, s4, v34
	s_mov_b64 s[18:19], 0
	s_mov_b32 s56, 5
.LBB111_351:                            ;   in Loop: Header=BB111_6 Depth=1
	s_or_saveexec_b64 s[54:55], s[54:55]
	v_mov_b32_e32 v10, s56
	s_xor_b64 exec, exec, s[54:55]
; %bb.352:                              ;   in Loop: Header=BB111_6 Depth=1
	v_subrev_u32_e32 v2, s11, v2
	v_mov_b32_e32 v10, 0
	s_or_b64 s[18:19], s[18:19], exec
; %bb.353:                              ;   in Loop: Header=BB111_6 Depth=1
	s_or_b64 exec, exec, s[54:55]
	s_and_b64 s[56:57], s[18:19], exec
	v_mov_b32_e32 v3, v2
.LBB111_354:                            ;   in Loop: Header=BB111_6 Depth=1
	s_or_b64 exec, exec, s[16:17]
	s_mov_b64 s[16:17], -1
                                        ; implicit-def: $sgpr18_sgpr19
                                        ; implicit-def: $sgpr58_sgpr59
                                        ; implicit-def: $sgpr80_sgpr81
	s_and_saveexec_b64 s[54:55], s[56:57]
	s_cbranch_execz .LBB111_395
; %bb.355:                              ;   in Loop: Header=BB111_6 Depth=1
	s_cmp_eq_u32 s5, 1
	s_cselect_b64 s[16:17], -1, 0
	v_cmp_eq_u32_e32 vcc, 1, v3
	s_and_b64 s[56:57], s[16:17], vcc
	s_mov_b64 s[82:83], -1
                                        ; implicit-def: $sgpr18_sgpr19
                                        ; implicit-def: $sgpr58_sgpr59
                                        ; implicit-def: $sgpr80_sgpr81
	s_and_saveexec_b64 s[16:17], s[56:57]
	s_cbranch_execz .LBB111_382
; %bb.356:                              ;   in Loop: Header=BB111_6 Depth=1
	ds_read_b32 v2, v11 offset:4096
	s_waitcnt lgkmcnt(0)
	s_barrier
	v_readfirstlane_b32 s11, v2
	s_mov_b64 s[18:19], exec
	v_readlane_b32 s58, v55, 37
	v_readlane_b32 s59, v55, 38
	s_and_b64 s[58:59], s[18:19], s[58:59]
	s_mov_b64 exec, s[58:59]
	s_cbranch_execz .LBB111_358
; %bb.357:                              ;   in Loop: Header=BB111_6 Depth=1
	ds_write_b16 v20, v11
.LBB111_358:                            ;   in Loop: Header=BB111_6 Depth=1
	s_or_b64 exec, exec, s[18:19]
	v_and_b32_e32 v35, s10, v35
	v_or_b32_e32 v34, s4, v34
	s_cmp_eq_u32 s11, 0
	s_waitcnt lgkmcnt(0)
	s_barrier
	s_cbranch_scc1 .LBB111_367
; %bb.359:                              ;   in Loop: Header=BB111_6 Depth=1
	v_readlane_b32 s18, v55, 28
	s_add_i32 s18, s11, s18
	v_readlane_b32 s19, v55, 52
	s_mul_hi_u32 s19, s18, s19
	s_mul_i32 s19, s19, s76
	s_sub_i32 s19, s18, s19
	s_sub_i32 s58, s19, s76
	s_cmp_ge_u32 s19, s76
	s_cselect_b32 s19, s58, s19
	s_sub_i32 s58, s19, s76
	s_cmp_ge_u32 s19, s76
	s_cselect_b32 s19, s58, s19
	s_sub_i32 s62, s18, s19
	v_cmp_gt_u32_e32 vcc, s62, v0
	s_mov_b64 s[82:83], 0
                                        ; implicit-def: $vgpr36
	s_and_saveexec_b64 s[58:59], vcc
	s_cbranch_execz .LBB111_369
; %bb.360:                              ;   in Loop: Header=BB111_6 Depth=1
	s_mov_b64 s[80:81], 0
	v_mov_b32_e32 v2, v19
	v_mov_b32_e32 v4, v0
                                        ; implicit-def: $sgpr82_sgpr83
	s_branch .LBB111_362
.LBB111_361:                            ;   in Loop: Header=BB111_362 Depth=2
	s_or_b64 exec, exec, s[18:19]
	s_waitcnt lgkmcnt(0)
	s_barrier
	ds_read_b32 v5, v11 offset:3072
	v_add_u32_e32 v4, s76, v4
	v_cmp_le_u32_e64 s[18:19], s62, v4
	v_add_u32_e32 v2, s13, v2
	s_waitcnt lgkmcnt(0)
	v_and_b32_e32 v10, 0x7fff, v5
	v_cmp_ne_u16_e32 vcc, 0, v10
	s_or_b64 s[18:19], s[18:19], vcc
	s_and_b64 s[18:19], exec, s[18:19]
	s_or_b64 s[80:81], s[18:19], s[80:81]
	s_andn2_b64 s[18:19], s[82:83], exec
	s_and_b64 s[74:75], vcc, exec
	s_or_b64 s[82:83], s[18:19], s[74:75]
	s_barrier
	s_andn2_b64 exec, exec, s[80:81]
	s_cbranch_execz .LBB111_368
.LBB111_362:                            ;   Parent Loop BB111_6 Depth=1
                                        ; =>  This Inner Loop Header: Depth=2
	v_cmp_gt_u32_e32 vcc, s11, v4
	v_mov_b32_e32 v5, 0
	s_and_saveexec_b64 s[18:19], vcc
	s_cbranch_execz .LBB111_364
; %bb.363:                              ;   in Loop: Header=BB111_362 Depth=2
	ds_read_u16 v5, v2
.LBB111_364:                            ;   in Loop: Header=BB111_362 Depth=2
	s_or_b64 exec, exec, s[18:19]
	s_and_saveexec_b64 s[18:19], vcc
	s_cbranch_execz .LBB111_361
; %bb.365:                              ;   in Loop: Header=BB111_362 Depth=2
	s_waitcnt lgkmcnt(0)
	v_cmp_lt_i16_e32 vcc, -1, v5
	v_cndmask_b32_e32 v10, v29, v30, vcc
	v_lshlrev_b32_e32 v36, 16, v5
	v_xor_b32_sdwa v10, v10, v5 dst_sel:DWORD dst_unused:UNUSED_PAD src0_sel:DWORD src1_sel:WORD_0
	v_cmp_o_f32_e32 vcc, v36, v36
	v_cndmask_b32_e32 v10, v29, v10, vcc
	v_and_b32_e32 v10, v10, v34
	v_cmp_eq_u32_e32 vcc, v10, v35
	s_and_b64 exec, exec, vcc
	s_cbranch_execz .LBB111_361
; %bb.366:                              ;   in Loop: Header=BB111_362 Depth=2
	v_perm_b32 v5, v5, s9, v33
	ds_write_b32 v11, v5 offset:3072
	s_branch .LBB111_361
.LBB111_367:                            ;   in Loop: Header=BB111_6 Depth=1
	s_mov_b64 s[18:19], -1
	s_mov_b64 s[82:83], 0
                                        ; implicit-def: $sgpr58_sgpr59
                                        ; implicit-def: $vgpr36
	s_branch .LBB111_370
.LBB111_368:                            ;   in Loop: Header=BB111_6 Depth=1
	s_or_b64 exec, exec, s[80:81]
	v_lshrrev_b32_e32 v36, 16, v5
	s_and_b64 s[82:83], s[82:83], exec
.LBB111_369:                            ;   in Loop: Header=BB111_6 Depth=1
	s_or_b64 exec, exec, s[58:59]
	s_mov_b64 s[18:19], 0
	s_mov_b64 s[58:59], -1
.LBB111_370:                            ;   in Loop: Header=BB111_6 Depth=1
	s_and_b64 vcc, exec, s[18:19]
	s_mov_b64 s[80:81], s[18:19]
	s_cbranch_vccz .LBB111_381
; %bb.371:                              ;   in Loop: Header=BB111_6 Depth=1
	s_mov_b64 s[82:83], 0
                                        ; implicit-def: $vgpr36
	s_mov_b64 s[62:63], exec
	v_readlane_b32 s18, v55, 53
	v_readlane_b32 s19, v55, 54
	s_and_b64 s[18:19], s[62:63], s[18:19]
	s_mov_b64 exec, s[18:19]
	s_cbranch_execz .LBB111_380
; %bb.372:                              ;   in Loop: Header=BB111_6 Depth=1
	s_mov_b64 s[80:81], 0
	v_mov_b32_e32 v10, v12
	v_mov_b32_e32 v2, v0
                                        ; implicit-def: $sgpr82_sgpr83
	s_branch .LBB111_374
.LBB111_373:                            ;   in Loop: Header=BB111_374 Depth=2
	s_or_b64 exec, exec, s[18:19]
	s_waitcnt lgkmcnt(0)
	s_barrier
	s_waitcnt vmcnt(0)
	ds_read_b32 v4, v11 offset:3072
	v_add_u32_e32 v2, s76, v2
	v_cmp_le_u32_e64 s[18:19], s78, v2
	v_add_u32_e32 v10, s6, v10
	s_waitcnt lgkmcnt(0)
	v_and_b32_e32 v5, 0x7fff, v4
	v_cmp_ne_u16_e32 vcc, 0, v5
	s_or_b64 s[18:19], s[18:19], vcc
	s_and_b64 s[18:19], exec, s[18:19]
	s_or_b64 s[80:81], s[18:19], s[80:81]
	s_andn2_b64 s[18:19], s[82:83], exec
	s_and_b64 s[58:59], vcc, exec
	s_or_b64 s[82:83], s[18:19], s[58:59]
	s_barrier
	s_andn2_b64 exec, exec, s[80:81]
	s_cbranch_execz .LBB111_379
.LBB111_374:                            ;   Parent Loop BB111_6 Depth=1
                                        ; =>  This Inner Loop Header: Depth=2
	v_cmp_gt_u32_e32 vcc, s60, v2
	v_mov_b32_e32 v4, 0
	s_and_saveexec_b64 s[58:59], vcc
	s_cbranch_execz .LBB111_376
; %bb.375:                              ;   in Loop: Header=BB111_374 Depth=2
	v_lshlrev_b64 v[4:5], 1, v[10:11]
	v_mov_b32_e32 v36, s7
	v_add_co_u32_e64 v4, s[18:19], s33, v4
	v_addc_co_u32_e64 v5, s[18:19], v36, v5, s[18:19]
	global_load_ushort v4, v[4:5], off
.LBB111_376:                            ;   in Loop: Header=BB111_374 Depth=2
	s_or_b64 exec, exec, s[58:59]
	s_and_saveexec_b64 s[18:19], vcc
	s_cbranch_execz .LBB111_373
; %bb.377:                              ;   in Loop: Header=BB111_374 Depth=2
	s_waitcnt vmcnt(0)
	v_cmp_lt_i16_e32 vcc, -1, v4
	v_cndmask_b32_e32 v5, v29, v30, vcc
	v_lshlrev_b32_e32 v36, 16, v4
	v_xor_b32_sdwa v5, v5, v4 dst_sel:DWORD dst_unused:UNUSED_PAD src0_sel:DWORD src1_sel:WORD_0
	v_cmp_o_f32_e32 vcc, v36, v36
	v_cndmask_b32_e32 v5, v29, v5, vcc
	v_and_b32_e32 v5, v5, v34
	v_cmp_eq_u32_e32 vcc, v5, v35
	s_and_b64 exec, exec, vcc
	s_cbranch_execz .LBB111_373
; %bb.378:                              ;   in Loop: Header=BB111_374 Depth=2
	v_perm_b32 v4, v4, s9, v33
	ds_write_b32 v11, v4 offset:3072
	s_branch .LBB111_373
.LBB111_379:                            ;   in Loop: Header=BB111_6 Depth=1
	s_or_b64 exec, exec, s[80:81]
	v_lshrrev_b32_e32 v36, 16, v4
	s_and_b64 s[82:83], s[82:83], exec
.LBB111_380:                            ;   in Loop: Header=BB111_6 Depth=1
	s_or_b64 exec, exec, s[62:63]
	s_mov_b64 s[58:59], 0
	s_mov_b64 s[18:19], -1
	s_mov_b64 s[80:81], 0
.LBB111_381:                            ;   in Loop: Header=BB111_6 Depth=1
	s_orn2_b64 s[82:83], s[82:83], exec
.LBB111_382:                            ;   in Loop: Header=BB111_6 Depth=1
	s_or_b64 exec, exec, s[16:17]
	s_mov_b64 vcc, 0
                                        ; implicit-def: $vgpr10
                                        ; implicit-def: $vgpr2
	s_and_saveexec_b64 s[16:17], s[82:83]
	s_cbranch_execz .LBB111_394
; %bb.383:                              ;   in Loop: Header=BB111_6 Depth=1
	s_xor_b64 s[62:63], s[56:57], -1
	v_mov_b32_e32 v10, 1
	v_mov_b32_e32 v2, 1
	s_and_saveexec_b64 s[56:57], s[62:63]
	s_cbranch_execz .LBB111_393
; %bb.384:                              ;   in Loop: Header=BB111_6 Depth=1
	v_cmp_ge_u32_e32 vcc, s5, v3
                                        ; implicit-def: $sgpr11
	s_and_saveexec_b64 s[62:63], vcc
	s_xor_b64 s[82:83], exec, s[62:63]
	s_cbranch_execz .LBB111_390
; %bb.385:                              ;   in Loop: Header=BB111_6 Depth=1
	ds_read_b32 v2, v11 offset:4096
	s_waitcnt lgkmcnt(0)
	v_cmp_ne_u32_e32 vcc, 0, v2
	s_cbranch_vccnz .LBB111_389
; %bb.386:                              ;   in Loop: Header=BB111_6 Depth=1
	s_mov_b64 vcc, exec
	v_readlane_b32 s62, v55, 13
	v_readlane_b32 s63, v55, 14
	s_and_b64 s[62:63], vcc, s[62:63]
	s_mov_b64 exec, s[62:63]
	s_cbranch_execz .LBB111_388
; %bb.387:                              ;   in Loop: Header=BB111_6 Depth=1
	v_mov_b32_e32 v2, s5
	ds_write_b32 v11, v2 offset:4100
.LBB111_388:                            ;   in Loop: Header=BB111_6 Depth=1
	s_or_b64 exec, exec, vcc
	s_waitcnt lgkmcnt(0)
	s_barrier
.LBB111_389:                            ;   in Loop: Header=BB111_6 Depth=1
	v_and_b32_e32 v35, s10, v35
	v_or_b32_e32 v34, s4, v34
	s_mov_b32 s11, 5
.LBB111_390:                            ;   in Loop: Header=BB111_6 Depth=1
	s_or_saveexec_b64 s[82:83], s[82:83]
	v_mov_b32_e32 v10, s11
	s_xor_b64 exec, exec, s[82:83]
; %bb.391:                              ;   in Loop: Header=BB111_6 Depth=1
	v_subrev_u32_e32 v3, s5, v3
	v_mov_b32_e32 v10, 5
; %bb.392:                              ;   in Loop: Header=BB111_6 Depth=1
	s_or_b64 exec, exec, s[82:83]
	v_mov_b32_e32 v2, v3
.LBB111_393:                            ;   in Loop: Header=BB111_6 Depth=1
	s_or_b64 exec, exec, s[56:57]
	s_mov_b64 vcc, exec
.LBB111_394:                            ;   in Loop: Header=BB111_6 Depth=1
	s_or_b64 exec, exec, s[16:17]
	s_orn2_b64 s[16:17], vcc, exec
	v_mov_b32_e32 v3, v2
.LBB111_395:                            ;   in Loop: Header=BB111_6 Depth=1
	s_or_b64 exec, exec, s[54:55]
	s_andn2_b64 s[4:5], s[46:47], exec
	s_and_b64 s[10:11], s[18:19], exec
	s_or_b64 s[46:47], s[4:5], s[10:11]
	s_andn2_b64 s[4:5], s[48:49], exec
	s_and_b64 s[10:11], s[58:59], exec
	s_or_b64 s[48:49], s[4:5], s[10:11]
	;; [unrolled: 3-line block ×3, first 2 shown]
	s_and_b64 s[16:17], s[16:17], exec
	v_mov_b32_e32 v2, v3
.LBB111_396:                            ;   in Loop: Header=BB111_6 Depth=1
	s_or_b64 exec, exec, s[52:53]
	s_and_b64 s[52:53], s[46:47], exec
	s_and_b64 s[46:47], s[48:49], exec
	;; [unrolled: 1-line block ×3, first 2 shown]
	s_orn2_b64 s[16:17], s[16:17], exec
.LBB111_397:                            ;   in Loop: Header=BB111_6 Depth=1
	s_or_b64 exec, exec, s[44:45]
	s_andn2_b64 s[4:5], s[36:37], exec
	s_and_b64 s[10:11], s[52:53], exec
	s_or_b64 s[36:37], s[4:5], s[10:11]
	s_andn2_b64 s[4:5], s[38:39], exec
	s_and_b64 s[10:11], s[46:47], exec
	s_or_b64 s[38:39], s[4:5], s[10:11]
	;; [unrolled: 3-line block ×3, first 2 shown]
	s_and_b64 s[18:19], s[16:17], exec
	v_mov_b32_e32 v5, v2
.LBB111_398:                            ;   in Loop: Header=BB111_6 Depth=1
	s_or_b64 exec, exec, s[42:43]
	s_and_b64 s[42:43], s[36:37], exec
	s_and_b64 s[36:37], s[38:39], exec
	;; [unrolled: 1-line block ×3, first 2 shown]
	s_orn2_b64 s[38:39], s[18:19], exec
.LBB111_399:                            ;   in Loop: Header=BB111_6 Depth=1
	s_or_b64 exec, exec, s[28:29]
	s_mov_b64 s[18:19], s[24:25]
	s_mov_b64 s[28:29], s[20:21]
	s_and_saveexec_b64 s[40:41], s[38:39]
; %bb.400:                              ;   in Loop: Header=BB111_6 Depth=1
	v_cmp_ne_u32_e64 s[18:19], 5, v10
	v_cmp_eq_u32_e32 vcc, 5, v10
	s_andn2_b64 s[4:5], s[20:21], exec
	s_and_b64 s[10:11], s[18:19], exec
	s_or_b64 s[28:29], s[4:5], s[10:11]
	s_andn2_b64 s[4:5], s[24:25], exec
	s_and_b64 s[10:11], vcc, exec
	s_andn2_b64 s[42:43], s[42:43], exec
	s_andn2_b64 s[36:37], s[36:37], exec
	s_andn2_b64 s[16:17], s[16:17], exec
	s_or_b64 s[18:19], s[4:5], s[10:11]
; %bb.401:                              ;   in Loop: Header=BB111_6 Depth=1
	s_or_b64 exec, exec, s[40:41]
	s_andn2_b64 s[4:5], s[30:31], exec
	s_and_b64 s[10:11], s[42:43], exec
	s_or_b64 s[30:31], s[4:5], s[10:11]
	s_andn2_b64 s[4:5], s[34:35], exec
	s_and_b64 s[10:11], s[36:37], exec
	s_or_b64 s[34:35], s[4:5], s[10:11]
	s_andn2_b64 s[4:5], s[22:23], exec
	s_and_b64 s[10:11], s[16:17], exec
	s_or_b64 s[22:23], s[4:5], s[10:11]
	s_andn2_b64 s[4:5], s[20:21], exec
	s_and_b64 s[10:11], s[28:29], exec
	s_or_b64 s[20:21], s[4:5], s[10:11]
	s_andn2_b64 s[4:5], s[24:25], exec
	s_and_b64 s[10:11], s[18:19], exec
	s_or_b64 s[24:25], s[4:5], s[10:11]
	v_mov_b32_e32 v2, v35
	v_mov_b32_e32 v3, v34
	;; [unrolled: 1-line block ×3, first 2 shown]
.LBB111_402:                            ;   in Loop: Header=BB111_6 Depth=1
	s_or_b64 exec, exec, s[26:27]
	s_mov_b64 s[28:29], s[22:23]
	s_mov_b64 s[26:27], s[22:23]
	s_and_saveexec_b64 s[16:17], s[24:25]
.LBB111_403:                            ;   in Loop: Header=BB111_6 Depth=1
	v_mov_b32_e32 v10, 0
	s_andn2_b64 s[22:23], s[22:23], exec
	s_andn2_b64 s[30:31], s[30:31], exec
	;; [unrolled: 1-line block ×5, first 2 shown]
	s_or_b64 s[20:21], s[20:21], exec
.LBB111_404:                            ;   in Loop: Header=BB111_6 Depth=1
	s_or_b64 exec, exec, s[16:17]
	s_andn2_b64 s[4:5], s[88:89], exec
	s_and_b64 s[10:11], s[22:23], exec
	s_or_b64 s[88:89], s[4:5], s[10:11]
	s_andn2_b64 s[4:5], s[86:87], exec
	s_and_b64 s[10:11], s[30:31], exec
	s_or_b64 s[86:87], s[4:5], s[10:11]
	;; [unrolled: 3-line block ×4, first 2 shown]
	s_andn2_b64 s[4:5], s[70:71], exec
	s_and_b64 s[10:11], s[26:27], exec
	s_mov_b64 s[18:19], -1
	s_or_b64 s[70:71], s[4:5], s[10:11]
                                        ; implicit-def: $vgpr34
                                        ; implicit-def: $vgpr35
                                        ; implicit-def: $vgpr37
                                        ; implicit-def: $vgpr36
	s_and_saveexec_b64 s[4:5], s[20:21]
	s_xor_b64 s[16:17], exec, s[4:5]
	s_cbranch_execz .LBB111_5
; %bb.405:                              ;   in Loop: Header=BB111_6 Depth=1
	v_cmp_eq_u32_e32 vcc, 0, v10
	s_mov_b64 s[20:21], -1
	s_and_saveexec_b64 s[22:23], vcc
	s_cbranch_execz .LBB111_4
; %bb.406:                              ;   in Loop: Header=BB111_6 Depth=1
	s_xor_b32 s73, s73, 1
	s_add_i32 s10, s72, -2
	s_cmp_eq_u32 s72, 0
	s_cselect_b64 s[4:5], -1, 0
	s_xor_b64 s[20:21], exec, -1
	s_orn2_b64 s[18:19], s[4:5], exec
	s_mov_b32 s72, s10
	s_branch .LBB111_4
.LBB111_407:
	s_or_b64 exec, exec, s[90:91]
	s_xor_b64 s[16:17], s[68:69], -1
	s_xor_b64 s[20:21], s[66:67], -1
	;; [unrolled: 1-line block ×5, first 2 shown]
	s_mov_b64 s[12:13], 0
	s_and_saveexec_b64 s[8:9], s[4:5]
	s_xor_b64 s[10:11], exec, s[8:9]
	s_cbranch_execnz .LBB111_412
; %bb.408:
	s_andn2_saveexec_b64 s[0:1], s[10:11]
	s_cbranch_execnz .LBB111_431
.LBB111_409:
	s_or_b64 exec, exec, s[0:1]
	s_and_saveexec_b64 s[0:1], s[12:13]
.LBB111_410:
	; divergent unreachable
.LBB111_411:
	s_endpgm
.LBB111_412:
	s_mov_b64 s[14:15], 0
	s_and_saveexec_b64 s[4:5], s[18:19]
	s_xor_b64 s[12:13], exec, s[4:5]
	s_cbranch_execz .LBB111_429
; %bb.413:
	s_mov_b64 s[18:19], 0
	s_and_saveexec_b64 s[4:5], s[20:21]
	s_xor_b64 s[14:15], exec, s[4:5]
	s_cbranch_execz .LBB111_427
; %bb.414:
	s_and_saveexec_b64 s[4:5], s[16:17]
	s_xor_b64 s[16:17], exec, s[4:5]
	s_cbranch_execz .LBB111_425
; %bb.415:
	s_and_saveexec_b64 s[4:5], s[2:3]
	s_xor_b64 s[2:3], exec, s[4:5]
; %bb.416:
	v_and_b32_e32 v1, 0x8000, v2
	v_mov_b32_e32 v3, 0x8000
	v_mov_b32_e32 v4, 0xffff
	v_cmp_eq_u32_e32 vcc, 0, v1
	v_cndmask_b32_e32 v1, v3, v4, vcc
	v_xor_b32_e32 v4, v1, v2
; %bb.417:
	s_or_b64 exec, exec, s[2:3]
	s_mov_b64 s[2:3], exec
	v_readlane_b32 s4, v55, 13
	v_readlane_b32 s5, v55, 14
	;; [unrolled: 1-line block ×4, first 2 shown]
	s_and_b64 s[4:5], s[2:3], s[4:5]
	v_readlane_b32 s43, v55, 19
	v_readlane_b32 s19, v55, 34
	s_mov_b64 exec, s[4:5]
	s_cbranch_execz .LBB111_419
; %bb.418:
	v_mov_b32_e32 v1, 0
	ds_write_b32 v1, v1 offset:4108
.LBB111_419:
	s_or_b64 exec, exec, s[2:3]
	v_mov_b32_e32 v5, 0
	s_waitcnt lgkmcnt(0)
	s_barrier
	s_mov_b64 s[2:3], exec
	v_readlane_b32 s4, v55, 35
	v_readlane_b32 s5, v55, 36
	s_and_b64 s[4:5], s[2:3], s[4:5]
	s_mov_b64 exec, s[4:5]
	s_cbranch_execz .LBB111_421
; %bb.420:
	global_load_ushort v5, v[8:9], off
.LBB111_421:
	s_or_b64 exec, exec, s[2:3]
	v_readlane_b32 s5, v55, 9
	v_readlane_b32 s9, v55, 10
	s_mul_i32 s2, s9, s5
	v_readlane_b32 s8, v55, 15
	s_add_i32 s34, s60, 63
	s_sub_i32 s2, s8, s2
	s_andn2_b32 s34, s34, 63
	s_add_i32 s3, s9, 1
	s_sub_i32 s4, s2, s5
	s_cmp_ge_u32 s2, s5
	s_cselect_b32 s3, s3, s9
	s_cselect_b32 s2, s4, s2
	s_add_i32 s4, s3, 1
	s_cmp_ge_u32 s2, s5
	s_cselect_b32 s2, s4, s3
	s_mul_i32 s3, s2, s5
	v_readlane_b32 s4, v55, 3
	s_sub_i32 s3, s8, s3
	v_readlane_b32 s5, v55, 4
	s_mul_i32 s3, s3, s5
	s_mul_i32 s2, s2, s4
	v_readlane_b32 s9, v55, 11
	v_readlane_b32 s20, v55, 12
	s_add_i32 s2, s2, s3
	s_mul_i32 s3, s20, s9
	s_sub_i32 s3, s8, s3
	s_add_i32 s4, s20, 1
	s_sub_i32 s5, s3, s9
	s_cmp_ge_u32 s3, s9
	s_cselect_b32 s4, s4, s20
	s_cselect_b32 s3, s5, s3
	s_add_i32 s5, s4, 1
	s_cmp_ge_u32 s3, s9
	s_cselect_b32 s3, s5, s4
	s_mul_i32 s4, s3, s9
	s_sub_i32 s4, s8, s4
	v_readlane_b32 s8, v55, 5
	v_readlane_b32 s9, v55, 6
	s_mul_i32 s4, s4, s9
	s_mul_i32 s3, s3, s8
	s_add_i32 s4, s3, s4
	s_mov_b32 s3, 0
	s_lshl_b64 s[8:9], s[2:3], 1
	v_readlane_b32 s20, v55, 7
	s_load_dword s39, s[18:19], 0x1c8
	s_load_dword s40, s[18:19], 0x2a8
	v_mov_b32_e32 v1, 0xffff
	v_mov_b32_e32 v11, 0x8000
	v_cmp_lt_i16_e32 vcc, -1, v4
	v_readlane_b32 s21, v55, 8
	s_add_u32 s35, s20, s8
	s_mov_b32 s5, s3
	v_cndmask_b32_e32 v2, v1, v11, vcc
	v_lshlrev_b32_e32 v3, 16, v4
	s_addc_u32 s36, s21, s9
	s_lshl_b64 s[2:3], s[4:5], 3
	v_readlane_b32 s4, v55, 1
	v_xor_b32_sdwa v2, v2, v4 dst_sel:DWORD dst_unused:UNUSED_PAD src0_sel:DWORD src1_sel:WORD_0
	v_cmp_o_f32_e32 vcc, v3, v3
	v_readlane_b32 s5, v55, 2
	s_add_u32 s37, s4, s2
	v_cndmask_b32_e32 v10, v1, v2, vcc
	s_addc_u32 s38, s5, s3
	v_cmp_gt_u32_e32 vcc, s34, v0
	s_mov_b64 s[20:21], -1
	s_mov_b64 s[2:3], 0
	s_mov_b64 s[4:5], 0
	s_and_saveexec_b64 s[18:19], vcc
	s_cbranch_execnz .LBB111_432
; %bb.422:
	s_or_b64 exec, exec, s[18:19]
	s_and_saveexec_b64 s[8:9], s[20:21]
	s_cbranch_execnz .LBB111_449
.LBB111_423:
	s_or_b64 exec, exec, s[8:9]
	s_and_saveexec_b64 s[0:1], s[4:5]
	s_xor_b64 s[0:1], exec, s[0:1]
	s_cbranch_execnz .LBB111_474
.LBB111_424:
	s_or_b64 exec, exec, s[0:1]
	s_and_b64 s[18:19], s[2:3], exec
.LBB111_425:
	s_andn2_saveexec_b64 s[0:1], s[16:17]
	s_cbranch_execnz .LBB111_476
.LBB111_426:
	s_or_b64 exec, exec, s[0:1]
	s_and_b64 s[18:19], s[18:19], exec
.LBB111_427:
	s_andn2_saveexec_b64 s[0:1], s[14:15]
	s_cbranch_execnz .LBB111_475
.LBB111_428:
	s_or_b64 exec, exec, s[0:1]
	s_and_b64 s[14:15], s[18:19], exec
.LBB111_429:
	s_andn2_saveexec_b64 s[0:1], s[12:13]
	s_cbranch_execnz .LBB111_470
.LBB111_430:
	s_or_b64 exec, exec, s[0:1]
	s_and_b64 s[12:13], s[14:15], exec
	s_andn2_saveexec_b64 s[0:1], s[10:11]
	s_cbranch_execz .LBB111_409
.LBB111_431:
	s_or_b64 s[12:13], s[12:13], exec
	s_trap 2
	s_or_b64 exec, exec, s[0:1]
	s_and_saveexec_b64 s[0:1], s[12:13]
	s_cbranch_execnz .LBB111_410
	s_branch .LBB111_411
.LBB111_432:
	v_add_u32_e32 v2, s76, v0
	v_readlane_b32 s4, v55, 0
	v_mul_lo_u32 v2, s4, v2
	s_mov_b64 s[20:21], 0
	v_mov_b32_e32 v3, 0
	v_mov_b32_e32 v4, v0
                                        ; implicit-def: $sgpr22_sgpr23
                                        ; implicit-def: $vgpr14
	s_branch .LBB111_434
.LBB111_433:                            ;   in Loop: Header=BB111_434 Depth=1
	s_or_b64 exec, exec, s[24:25]
	s_xor_b64 s[4:5], s[28:29], -1
	s_and_b64 s[8:9], exec, s[8:9]
	s_or_b64 s[20:21], s[8:9], s[20:21]
	s_andn2_b64 s[8:9], s[22:23], exec
	s_and_b64 s[4:5], s[4:5], exec
	s_or_b64 s[22:23], s[8:9], s[4:5]
	v_mov_b32_e32 v4, v12
	s_waitcnt vmcnt(0)
	v_mov_b32_e32 v5, v15
	s_andn2_b64 exec, exec, s[20:21]
	s_cbranch_execz .LBB111_448
.LBB111_434:                            ; =>This Inner Loop Header: Depth=1
	v_add_u32_e32 v12, s76, v4
	v_cmp_gt_u32_e64 s[4:5], s60, v12
	v_mov_b32_e32 v15, 0
	s_and_saveexec_b64 s[8:9], s[4:5]
	s_cbranch_execz .LBB111_436
; %bb.435:                              ;   in Loop: Header=BB111_434 Depth=1
	v_lshlrev_b64 v[16:17], 1, v[2:3]
	v_mov_b32_e32 v15, s7
	v_add_co_u32_e64 v16, s[4:5], s33, v16
	v_addc_co_u32_e64 v17, s[4:5], v15, v17, s[4:5]
	global_load_ushort v15, v[16:17], off
.LBB111_436:                            ;   in Loop: Header=BB111_434 Depth=1
	s_or_b64 exec, exec, s[8:9]
	v_cmp_gt_u32_e64 s[4:5], s60, v4
	s_mov_b64 s[24:25], 0
	s_and_saveexec_b64 s[8:9], s[4:5]
	s_cbranch_execz .LBB111_438
; %bb.437:                              ;   in Loop: Header=BB111_434 Depth=1
	s_waitcnt vmcnt(0)
	v_cmp_lt_i16_e64 s[4:5], -1, v5
	v_cndmask_b32_e64 v16, v1, v11, s[4:5]
	v_lshlrev_b32_e32 v17, 16, v5
	v_xor_b32_sdwa v16, v16, v5 dst_sel:DWORD dst_unused:UNUSED_PAD src0_sel:DWORD src1_sel:WORD_0
	v_cmp_o_f32_e64 s[4:5], v17, v17
	v_cndmask_b32_e64 v16, v1, v16, s[4:5]
	v_cmp_gt_u32_e64 s[4:5], v16, v10
	v_cndmask_b32_e64 v17, 0, 1, s[4:5]
	v_cmp_lt_u32_e64 s[4:5], v16, v10
	v_cndmask_b32_e64 v16, 0, 1, s[4:5]
	v_cndmask_b32_e64 v16, v16, v17, s[42:43]
	v_and_b32_e32 v16, 1, v16
	v_cmp_eq_u32_e64 s[4:5], 1, v16
	s_and_b64 s[24:25], s[4:5], exec
.LBB111_438:                            ;   in Loop: Header=BB111_434 Depth=1
	s_or_b64 exec, exec, s[8:9]
	v_cndmask_b32_e64 v16, 0, 1, s[24:25]
	v_cmp_ne_u32_e64 s[4:5], 0, v16
	s_cmp_lg_u64 s[4:5], 0
	s_cselect_b64 s[8:9], -1, 0
	s_and_b64 s[8:9], s[0:1], s[8:9]
	s_and_saveexec_b64 s[26:27], s[8:9]
	s_cbranch_execz .LBB111_442
; %bb.439:                              ;   in Loop: Header=BB111_434 Depth=1
	s_mov_b64 s[30:31], exec
	s_waitcnt lgkmcnt(0)
	v_mbcnt_lo_u32_b32 v14, s30, 0
	v_mbcnt_hi_u32_b32 v14, s31, v14
	s_bcnt1_i32_b64 s41, s[4:5]
	v_cmp_eq_u32_e64 s[8:9], 0, v14
                                        ; implicit-def: $vgpr16
	s_and_saveexec_b64 s[28:29], s[8:9]
	s_cbranch_execz .LBB111_441
; %bb.440:                              ;   in Loop: Header=BB111_434 Depth=1
	s_bcnt1_i32_b64 s8, s[30:31]
	s_mul_i32 s8, s41, s8
	v_mov_b32_e32 v16, s8
	ds_add_rtn_u32 v16, v3, v16 offset:4108
.LBB111_441:                            ;   in Loop: Header=BB111_434 Depth=1
	s_or_b64 exec, exec, s[28:29]
	s_waitcnt lgkmcnt(0)
	v_readfirstlane_b32 s8, v16
	v_mov_b32_e32 v16, s8
	v_mad_u32_u24 v14, s41, v14, v16
.LBB111_442:                            ;   in Loop: Header=BB111_434 Depth=1
	s_or_b64 exec, exec, s[26:27]
	s_waitcnt lgkmcnt(0)
	ds_bpermute_b32 v14, v13, v14
	s_mov_b64 s[8:9], -1
	s_mov_b64 s[30:31], -1
                                        ; implicit-def: $sgpr28_sgpr29
	s_and_saveexec_b64 s[26:27], s[24:25]
	s_cbranch_execz .LBB111_446
; %bb.443:                              ;   in Loop: Header=BB111_434 Depth=1
	v_and_b32_e32 v17, s4, v6
	v_and_b32_e32 v16, s5, v7
	v_bcnt_u32_b32 v17, v17, 0
	v_bcnt_u32_b32 v16, v16, v17
	s_waitcnt lgkmcnt(0)
	v_add_u32_e32 v16, v14, v16
	v_cmp_gt_u32_e64 s[4:5], s61, v16
	s_mov_b64 s[24:25], 0
	s_and_saveexec_b64 s[28:29], s[4:5]
	s_cbranch_execz .LBB111_445
; %bb.444:                              ;   in Loop: Header=BB111_434 Depth=1
	v_mul_lo_u32 v18, v16, s39
	v_mov_b32_e32 v19, v3
	v_lshlrev_b64 v[18:19], 1, v[18:19]
	v_mov_b32_e32 v17, s36
	v_add_co_u32_e64 v18, s[4:5], s35, v18
	v_mul_lo_u32 v16, v16, s40
	v_addc_co_u32_e64 v19, s[4:5], v17, v19, s[4:5]
	v_mov_b32_e32 v17, v3
	v_lshlrev_b64 v[16:17], 3, v[16:17]
	s_waitcnt vmcnt(0)
	global_store_short v[18:19], v5, off
	v_mov_b32_e32 v18, s38
	v_add_co_u32_e64 v16, s[4:5], s37, v16
	s_mov_b64 s[24:25], exec
	v_mov_b32_e32 v5, v3
	v_addc_co_u32_e64 v17, s[4:5], v18, v17, s[4:5]
	global_store_dwordx2 v[16:17], v[4:5], off
.LBB111_445:                            ;   in Loop: Header=BB111_434 Depth=1
	s_or_b64 exec, exec, s[28:29]
	s_mov_b64 s[28:29], -1
	s_orn2_b64 s[30:31], s[24:25], exec
.LBB111_446:                            ;   in Loop: Header=BB111_434 Depth=1
	s_or_b64 exec, exec, s[26:27]
	s_and_saveexec_b64 s[24:25], s[30:31]
	s_cbranch_execz .LBB111_433
; %bb.447:                              ;   in Loop: Header=BB111_434 Depth=1
	v_cmp_le_u32_e64 s[4:5], s34, v12
	v_add_u32_e32 v2, s6, v2
	s_andn2_b64 s[28:29], s[28:29], exec
	s_orn2_b64 s[8:9], s[4:5], exec
	s_branch .LBB111_433
.LBB111_448:
	s_or_b64 exec, exec, s[20:21]
	s_mov_b64 s[4:5], exec
	s_orn2_b64 s[20:21], s[22:23], exec
	s_or_b64 exec, exec, s[18:19]
	s_and_saveexec_b64 s[8:9], s[20:21]
	s_cbranch_execz .LBB111_423
.LBB111_449:
	v_mov_b32_e32 v1, 0
	s_waitcnt lgkmcnt(0)
	s_barrier
	s_mov_b64 s[2:3], exec
	v_readlane_b32 s18, v55, 35
	v_readlane_b32 s19, v55, 36
	s_and_b64 s[18:19], s[2:3], s[18:19]
	s_mov_b64 exec, s[18:19]
	s_cbranch_execz .LBB111_451
; %bb.450:
	global_load_ushort v1, v[8:9], off
.LBB111_451:
	s_or_b64 exec, exec, s[2:3]
	s_mov_b64 s[2:3], 0
	s_and_saveexec_b64 s[30:31], vcc
	s_cbranch_execz .LBB111_473
; %bb.452:
	v_add_u32_e32 v2, s76, v0
	v_readlane_b32 s2, v55, 0
	v_mul_lo_u32 v2, s2, v2
	s_mov_b64 s[18:19], 0
	v_mov_b32_e32 v3, 0
	v_mov_b32_e32 v4, 0xffff
	s_waitcnt vmcnt(0)
	v_mov_b32_e32 v5, 0x8000
                                        ; implicit-def: $sgpr20_sgpr21
                                        ; implicit-def: $vgpr8
	s_branch .LBB111_455
.LBB111_453:                            ;   in Loop: Header=BB111_455 Depth=1
	s_or_b64 exec, exec, s[24:25]
	s_orn2_b64 s[26:27], s[26:27], exec
	s_orn2_b64 s[24:25], s[22:23], exec
	s_waitcnt vmcnt(0)
	v_mov_b32_e32 v1, v11
	v_mov_b32_e32 v0, v9
.LBB111_454:                            ;   in Loop: Header=BB111_455 Depth=1
	s_or_b64 exec, exec, s[2:3]
	s_xor_b64 s[2:3], s[26:27], -1
	s_and_b64 s[22:23], exec, s[24:25]
	s_or_b64 s[18:19], s[22:23], s[18:19]
	s_andn2_b64 s[20:21], s[20:21], exec
	s_and_b64 s[2:3], s[2:3], exec
	s_or_b64 s[20:21], s[20:21], s[2:3]
	s_andn2_b64 exec, exec, s[18:19]
	s_cbranch_execz .LBB111_471
.LBB111_455:                            ; =>This Inner Loop Header: Depth=1
	v_add_u32_e32 v9, s76, v0
	v_cmp_gt_u32_e32 vcc, s60, v9
	s_waitcnt vmcnt(0)
	v_mov_b32_e32 v11, 0
	s_and_saveexec_b64 s[2:3], vcc
	s_cbranch_execz .LBB111_457
; %bb.456:                              ;   in Loop: Header=BB111_455 Depth=1
	v_lshlrev_b64 v[14:15], 1, v[2:3]
	v_mov_b32_e32 v11, s7
	v_add_co_u32_e32 v14, vcc, s33, v14
	v_addc_co_u32_e32 v15, vcc, v11, v15, vcc
	global_load_ushort v11, v[14:15], off
.LBB111_457:                            ;   in Loop: Header=BB111_455 Depth=1
	s_or_b64 exec, exec, s[2:3]
	v_cmp_gt_u32_e32 vcc, s60, v0
	s_mov_b64 s[22:23], 0
	s_and_saveexec_b64 s[2:3], vcc
; %bb.458:                              ;   in Loop: Header=BB111_455 Depth=1
	v_cmp_lt_i16_e32 vcc, -1, v1
	v_cndmask_b32_e32 v12, v4, v5, vcc
	v_lshlrev_b32_e32 v14, 16, v1
	v_xor_b32_sdwa v12, v12, v1 dst_sel:DWORD dst_unused:UNUSED_PAD src0_sel:DWORD src1_sel:WORD_0
	v_cmp_o_f32_e32 vcc, v14, v14
	v_cndmask_b32_e32 v12, v4, v12, vcc
	v_cmp_eq_u32_e32 vcc, v12, v10
	s_and_b64 s[22:23], vcc, exec
; %bb.459:                              ;   in Loop: Header=BB111_455 Depth=1
	s_or_b64 exec, exec, s[2:3]
	v_cndmask_b32_e64 v12, 0, 1, s[22:23]
	v_cmp_ne_u32_e32 vcc, 0, v12
	s_cmp_lg_u64 vcc, 0
	s_cselect_b64 s[2:3], -1, 0
	s_and_b64 s[2:3], s[0:1], s[2:3]
	s_and_saveexec_b64 s[24:25], s[2:3]
	s_cbranch_execz .LBB111_463
; %bb.460:                              ;   in Loop: Header=BB111_455 Depth=1
	s_mov_b64 s[28:29], exec
	v_mbcnt_lo_u32_b32 v8, s28, 0
	v_mbcnt_hi_u32_b32 v8, s29, v8
	s_bcnt1_i32_b64 s41, vcc
	v_cmp_eq_u32_e64 s[2:3], 0, v8
                                        ; implicit-def: $vgpr12
	s_and_saveexec_b64 s[26:27], s[2:3]
	s_cbranch_execz .LBB111_462
; %bb.461:                              ;   in Loop: Header=BB111_455 Depth=1
	s_bcnt1_i32_b64 s2, s[28:29]
	s_mul_i32 s2, s41, s2
	v_mov_b32_e32 v12, s2
	ds_add_rtn_u32 v12, v3, v12 offset:4108
.LBB111_462:                            ;   in Loop: Header=BB111_455 Depth=1
	s_or_b64 exec, exec, s[26:27]
	s_waitcnt lgkmcnt(0)
	v_readfirstlane_b32 s2, v12
	v_mov_b32_e32 v12, s2
	v_mad_u32_u24 v8, s41, v8, v12
.LBB111_463:                            ;   in Loop: Header=BB111_455 Depth=1
	s_or_b64 exec, exec, s[24:25]
	ds_bpermute_b32 v8, v13, v8
	s_cmp_eq_u64 vcc, 0
	s_cselect_b64 s[26:27], -1, 0
	s_mov_b64 s[24:25], -1
	s_waitcnt lgkmcnt(0)
	v_cmp_gt_u32_e64 s[2:3], s61, v8
	s_or_b64 s[28:29], s[26:27], s[2:3]
	s_mov_b64 s[26:27], -1
	s_and_saveexec_b64 s[2:3], s[28:29]
	s_cbranch_execz .LBB111_454
; %bb.464:                              ;   in Loop: Header=BB111_455 Depth=1
	v_and_b32_e32 v14, vcc_lo, v6
	v_and_b32_e32 v12, vcc_hi, v7
	v_bcnt_u32_b32 v14, v14, 0
	v_bcnt_u32_b32 v12, v12, v14
	v_sub_u32_e32 v14, s61, v8
	v_cmp_gt_u32_e32 vcc, v14, v12
	s_and_b64 s[42:43], s[22:23], vcc
	s_mov_b64 s[22:23], -1
	s_mov_b64 s[28:29], -1
	s_and_saveexec_b64 s[24:25], s[42:43]
	s_cbranch_execz .LBB111_468
; %bb.465:                              ;   in Loop: Header=BB111_455 Depth=1
	v_add_u32_e32 v12, v8, v12
	v_cmp_gt_u32_e32 vcc, s61, v12
	s_mov_b64 s[28:29], 0
	s_and_saveexec_b64 s[26:27], vcc
	s_cbranch_execz .LBB111_467
; %bb.466:                              ;   in Loop: Header=BB111_455 Depth=1
	v_mul_lo_u32 v14, v12, s39
	v_mov_b32_e32 v15, v3
	v_lshlrev_b64 v[14:15], 1, v[14:15]
	v_mul_lo_u32 v16, v12, s40
	v_mov_b32_e32 v12, s36
	v_add_co_u32_e32 v14, vcc, s35, v14
	v_addc_co_u32_e32 v15, vcc, v12, v15, vcc
	v_mov_b32_e32 v17, v3
	global_store_short v[14:15], v1, off
	v_lshlrev_b64 v[14:15], 3, v[16:17]
	v_mov_b32_e32 v12, s38
	v_add_co_u32_e32 v14, vcc, s37, v14
	s_mov_b64 s[28:29], exec
	v_mov_b32_e32 v1, v3
	v_addc_co_u32_e32 v15, vcc, v12, v15, vcc
	global_store_dwordx2 v[14:15], v[0:1], off
.LBB111_467:                            ;   in Loop: Header=BB111_455 Depth=1
	s_or_b64 exec, exec, s[26:27]
	s_xor_b64 s[26:27], exec, -1
	s_orn2_b64 s[28:29], s[28:29], exec
.LBB111_468:                            ;   in Loop: Header=BB111_455 Depth=1
	s_or_b64 exec, exec, s[24:25]
	s_and_saveexec_b64 s[24:25], s[28:29]
	s_cbranch_execz .LBB111_453
; %bb.469:                              ;   in Loop: Header=BB111_455 Depth=1
	v_cmp_le_u32_e32 vcc, s34, v9
	v_add_u32_e32 v2, s6, v2
	s_or_b64 s[26:27], s[26:27], exec
	s_orn2_b64 s[22:23], vcc, exec
	s_branch .LBB111_453
.LBB111_470:
	s_or_b64 s[14:15], s[14:15], exec
	s_trap 2
	s_branch .LBB111_430
.LBB111_471:
	s_or_b64 exec, exec, s[18:19]
	s_mov_b64 s[0:1], 0
	s_and_saveexec_b64 s[2:3], s[20:21]
	s_xor_b64 s[2:3], exec, s[2:3]
	s_cbranch_execnz .LBB111_477
.LBB111_472:
	s_or_b64 exec, exec, s[2:3]
	s_and_b64 s[2:3], s[0:1], exec
.LBB111_473:
	s_or_b64 exec, exec, s[30:31]
	s_and_b64 s[2:3], s[2:3], exec
	s_andn2_b64 s[4:5], s[4:5], exec
	s_or_b64 exec, exec, s[8:9]
	s_and_saveexec_b64 s[0:1], s[4:5]
	s_xor_b64 s[0:1], exec, s[0:1]
	s_cbranch_execz .LBB111_424
.LBB111_474:
	s_trap 2
	s_or_b64 s[2:3], s[2:3], exec
	s_branch .LBB111_424
.LBB111_475:
	s_or_b64 s[18:19], s[18:19], exec
	s_trap 2
	s_branch .LBB111_428
.LBB111_476:
	s_trap 2
	s_or_b64 s[18:19], s[18:19], exec
	s_branch .LBB111_426
.LBB111_477:
	s_mov_b64 s[0:1], exec
	s_trap 2
	s_branch .LBB111_472
	.section	.rodata,"a",@progbits
	.p2align	6, 0x0
	.amdhsa_kernel _ZN2at6native6sbtopk10gatherTopKIN3c108BFloat16EjLi2ELb0EEEvNS_4cuda6detail10TensorInfoIKT_T0_EESA_SA_bSA_SA_NS7_IS8_SA_EESA_NS7_IlSA_EESA_PS8_
		.amdhsa_group_segment_fixed_size 4112
		.amdhsa_private_segment_fixed_size 0
		.amdhsa_kernarg_size 952
		.amdhsa_user_sgpr_count 6
		.amdhsa_user_sgpr_private_segment_buffer 1
		.amdhsa_user_sgpr_dispatch_ptr 0
		.amdhsa_user_sgpr_queue_ptr 0
		.amdhsa_user_sgpr_kernarg_segment_ptr 1
		.amdhsa_user_sgpr_dispatch_id 0
		.amdhsa_user_sgpr_flat_scratch_init 0
		.amdhsa_user_sgpr_kernarg_preload_length 0
		.amdhsa_user_sgpr_kernarg_preload_offset 0
		.amdhsa_user_sgpr_private_segment_size 0
		.amdhsa_uses_dynamic_stack 0
		.amdhsa_system_sgpr_private_segment_wavefront_offset 0
		.amdhsa_system_sgpr_workgroup_id_x 1
		.amdhsa_system_sgpr_workgroup_id_y 1
		.amdhsa_system_sgpr_workgroup_id_z 1
		.amdhsa_system_sgpr_workgroup_info 0
		.amdhsa_system_vgpr_workitem_id 0
		.amdhsa_next_free_vgpr 56
		.amdhsa_next_free_sgpr 96
		.amdhsa_accum_offset 56
		.amdhsa_reserve_vcc 1
		.amdhsa_reserve_flat_scratch 0
		.amdhsa_float_round_mode_32 0
		.amdhsa_float_round_mode_16_64 0
		.amdhsa_float_denorm_mode_32 3
		.amdhsa_float_denorm_mode_16_64 3
		.amdhsa_dx10_clamp 1
		.amdhsa_ieee_mode 1
		.amdhsa_fp16_overflow 0
		.amdhsa_tg_split 0
		.amdhsa_exception_fp_ieee_invalid_op 0
		.amdhsa_exception_fp_denorm_src 0
		.amdhsa_exception_fp_ieee_div_zero 0
		.amdhsa_exception_fp_ieee_overflow 0
		.amdhsa_exception_fp_ieee_underflow 0
		.amdhsa_exception_fp_ieee_inexact 0
		.amdhsa_exception_int_div_zero 0
	.end_amdhsa_kernel
	.section	.text._ZN2at6native6sbtopk10gatherTopKIN3c108BFloat16EjLi2ELb0EEEvNS_4cuda6detail10TensorInfoIKT_T0_EESA_SA_bSA_SA_NS7_IS8_SA_EESA_NS7_IlSA_EESA_PS8_,"axG",@progbits,_ZN2at6native6sbtopk10gatherTopKIN3c108BFloat16EjLi2ELb0EEEvNS_4cuda6detail10TensorInfoIKT_T0_EESA_SA_bSA_SA_NS7_IS8_SA_EESA_NS7_IlSA_EESA_PS8_,comdat
.Lfunc_end111:
	.size	_ZN2at6native6sbtopk10gatherTopKIN3c108BFloat16EjLi2ELb0EEEvNS_4cuda6detail10TensorInfoIKT_T0_EESA_SA_bSA_SA_NS7_IS8_SA_EESA_NS7_IlSA_EESA_PS8_, .Lfunc_end111-_ZN2at6native6sbtopk10gatherTopKIN3c108BFloat16EjLi2ELb0EEEvNS_4cuda6detail10TensorInfoIKT_T0_EESA_SA_bSA_SA_NS7_IS8_SA_EESA_NS7_IlSA_EESA_PS8_
                                        ; -- End function
	.section	.AMDGPU.csdata,"",@progbits
; Kernel info:
; codeLenInByte = 17140
; NumSgprs: 100
; NumVgprs: 56
; NumAgprs: 0
; TotalNumVgprs: 56
; ScratchSize: 0
; MemoryBound: 0
; FloatMode: 240
; IeeeMode: 1
; LDSByteSize: 4112 bytes/workgroup (compile time only)
; SGPRBlocks: 12
; VGPRBlocks: 6
; NumSGPRsForWavesPerEU: 100
; NumVGPRsForWavesPerEU: 56
; AccumOffset: 56
; Occupancy: 8
; WaveLimiterHint : 1
; COMPUTE_PGM_RSRC2:SCRATCH_EN: 0
; COMPUTE_PGM_RSRC2:USER_SGPR: 6
; COMPUTE_PGM_RSRC2:TRAP_HANDLER: 0
; COMPUTE_PGM_RSRC2:TGID_X_EN: 1
; COMPUTE_PGM_RSRC2:TGID_Y_EN: 1
; COMPUTE_PGM_RSRC2:TGID_Z_EN: 1
; COMPUTE_PGM_RSRC2:TIDIG_COMP_CNT: 0
; COMPUTE_PGM_RSRC3_GFX90A:ACCUM_OFFSET: 13
; COMPUTE_PGM_RSRC3_GFX90A:TG_SPLIT: 0
	.section	.text._ZN2at6native6mbtopk23computeBlockDigitCountsIN3c108BFloat16EjjLi3EEEvNS_4cuda6detail10TensorInfoIKT_T0_EEjPjjSA_iijT1_PSD_Ps,"axG",@progbits,_ZN2at6native6mbtopk23computeBlockDigitCountsIN3c108BFloat16EjjLi3EEEvNS_4cuda6detail10TensorInfoIKT_T0_EEjPjjSA_iijT1_PSD_Ps,comdat
	.protected	_ZN2at6native6mbtopk23computeBlockDigitCountsIN3c108BFloat16EjjLi3EEEvNS_4cuda6detail10TensorInfoIKT_T0_EEjPjjSA_iijT1_PSD_Ps ; -- Begin function _ZN2at6native6mbtopk23computeBlockDigitCountsIN3c108BFloat16EjjLi3EEEvNS_4cuda6detail10TensorInfoIKT_T0_EEjPjjSA_iijT1_PSD_Ps
	.globl	_ZN2at6native6mbtopk23computeBlockDigitCountsIN3c108BFloat16EjjLi3EEEvNS_4cuda6detail10TensorInfoIKT_T0_EEjPjjSA_iijT1_PSD_Ps
	.p2align	8
	.type	_ZN2at6native6mbtopk23computeBlockDigitCountsIN3c108BFloat16EjjLi3EEEvNS_4cuda6detail10TensorInfoIKT_T0_EEjPjjSA_iijT1_PSD_Ps,@function
_ZN2at6native6mbtopk23computeBlockDigitCountsIN3c108BFloat16EjjLi3EEEvNS_4cuda6detail10TensorInfoIKT_T0_EEjPjjSA_iijT1_PSD_Ps: ; @_ZN2at6native6mbtopk23computeBlockDigitCountsIN3c108BFloat16EjjLi3EEEvNS_4cuda6detail10TensorInfoIKT_T0_EEjPjjSA_iijT1_PSD_Ps
; %bb.0:
	s_load_dwordx2 s[10:11], s[4:5], 0xf8
	s_load_dwordx4 s[12:15], s[4:5], 0xe8
	s_load_dwordx2 s[0:1], s[4:5], 0x110
	s_waitcnt lgkmcnt(0)
	v_cvt_f32_u32_e32 v1, s10
	s_sub_i32 s2, 0, s10
	s_mul_i32 s1, s1, s8
	s_add_i32 s1, s1, s7
	v_rcp_iflag_f32_e32 v1, v1
	s_mul_i32 s18, s1, s0
	s_add_i32 s18, s18, s6
	s_mov_b32 s7, 0
	v_mul_f32_e32 v1, 0x4f7ffffe, v1
	v_cvt_u32_f32_e32 v1, v1
	v_readfirstlane_b32 s0, v1
	s_mul_i32 s2, s2, s0
	s_mul_hi_u32 s1, s0, s2
	s_add_i32 s0, s0, s1
	s_mul_hi_u32 s0, s18, s0
	s_mul_i32 s1, s0, s10
	s_sub_i32 s1, s18, s1
	s_add_i32 s2, s0, 1
	s_sub_i32 s3, s1, s10
	s_cmp_ge_u32 s1, s10
	s_cselect_b32 s0, s2, s0
	s_cselect_b32 s1, s3, s1
	s_add_i32 s2, s0, 1
	s_cmp_ge_u32 s1, s10
	s_cselect_b32 s6, s2, s0
	s_cmp_ge_u32 s6, s12
	s_cbranch_scc1 .LBB112_29
; %bb.1:
	s_load_dwordx2 s[8:9], s[4:5], 0xc
	s_load_dwordx4 s[0:3], s[4:5], 0x100
	s_lshl_b64 s[16:17], s[6:7], 2
	s_movk_i32 s7, 0x100
	v_cmp_gt_u32_e32 vcc, s7, v0
	s_waitcnt lgkmcnt(0)
	v_cvt_f32_u32_e32 v1, s9
	v_cvt_f32_u32_e32 v2, s8
	s_add_u32 s0, s0, s16
	s_addc_u32 s1, s1, s17
	v_rcp_iflag_f32_e32 v1, v1
	s_sub_i32 s12, 0, s9
	v_rcp_iflag_f32_e32 v2, v2
	v_mul_f32_e32 v1, 0x4f7ffffe, v1
	v_cvt_u32_f32_e32 v1, v1
	v_mul_f32_e32 v2, 0x4f7ffffe, v2
	v_cvt_u32_f32_e32 v2, v2
	v_readfirstlane_b32 s16, v1
	s_mul_i32 s12, s12, s16
	s_mul_hi_u32 s12, s16, s12
	s_add_i32 s16, s16, s12
	s_mul_hi_u32 s12, s6, s16
	s_mul_i32 s16, s12, s9
	s_sub_i32 s16, s6, s16
	s_add_i32 s17, s12, 1
	s_sub_i32 s19, s16, s9
	s_cmp_ge_u32 s16, s9
	s_cselect_b32 s12, s17, s12
	s_cselect_b32 s16, s19, s16
	s_add_i32 s17, s12, 1
	s_cmp_ge_u32 s16, s9
	v_readfirstlane_b32 s20, v2
	s_cselect_b32 s19, s17, s12
	v_lshlrev_b32_e32 v1, 2, v0
	s_and_saveexec_b64 s[16:17], vcc
	s_cbranch_execz .LBB112_3
; %bb.2:
	v_mov_b32_e32 v2, 0
	ds_write_b32 v1, v2
.LBB112_3:
	s_or_b64 exec, exec, s[16:17]
	s_load_dword s12, s[4:5], 0xd8
	s_mul_i32 s7, s6, s10
	s_sub_i32 s7, s18, s7
	s_add_i32 s17, s7, 1
	s_mul_i32 s7, s15, s7
	s_lshl_b32 s16, s7, 8
	s_waitcnt lgkmcnt(0)
	s_sub_i32 s7, s12, s16
	s_add_u32 s7, s7, 0xff
	s_addc_u32 s21, 0, 0
	v_mov_b32_e32 v2, s7
	v_alignbit_b32 v2, s21, v2, 8
	s_cmp_lt_u32 s17, s10
	v_readfirstlane_b32 s7, v2
	s_cselect_b32 s15, s15, s7
	s_cmp_lt_i32 s15, 1
	s_mov_b32 s7, 0
	s_barrier
	s_cbranch_scc1 .LBB112_25
; %bb.4:
	s_sub_i32 s10, 0, s8
	s_mul_i32 s10, s10, s20
	s_mul_hi_u32 s10, s20, s10
	s_add_i32 s10, s20, s10
	s_load_dwordx4 s[20:23], s[4:5], 0x6c
	s_load_dwordx2 s[24:25], s[4:5], 0x0
	s_mul_hi_u32 s4, s19, s10
	s_load_dword s10, s[0:1], 0x0
	s_mul_i32 s1, s4, s8
	s_mul_i32 s0, s19, s9
	s_sub_i32 s1, s19, s1
	s_sub_i32 s0, s6, s0
	s_add_i32 s5, s4, 1
	s_sub_i32 s6, s1, s8
	s_cmp_ge_u32 s1, s8
	s_cselect_b32 s4, s5, s4
	s_cselect_b32 s1, s6, s1
	s_add_i32 s5, s4, 1
	s_cmp_ge_u32 s1, s8
	s_cselect_b32 s1, s5, s4
	s_mul_i32 s4, s1, s8
	s_sub_i32 s4, s19, s4
	s_waitcnt lgkmcnt(0)
	s_mul_i32 s0, s0, s22
	s_mul_i32 s4, s4, s21
	s_add_i32 s0, s4, s0
	s_mul_i32 s1, s1, s20
	s_add_i32 s6, s0, s1
	s_lshl_b64 s[0:1], s[6:7], 1
	s_add_u32 s6, s24, s0
	s_addc_u32 s8, s25, s1
	s_and_b32 s9, s14, 0xff
	s_cmp_lt_u32 s15, 4
	s_cbranch_scc1 .LBB112_19
; %bb.5:
	v_add_u32_e32 v2, s16, v0
	v_add_u32_e32 v3, 0x200, v2
	v_add_u32_e32 v4, 0x300, v2
	v_mul_lo_u32 v6, s13, v3
	v_add_u32_e32 v3, 0x100, v2
	s_and_b32 s7, s15, 0x7ffffffc
	v_mul_lo_u32 v5, s13, v4
	s_lshl_b32 s14, s13, 10
	v_mul_lo_u32 v7, s13, v3
	v_mul_lo_u32 v8, s13, v2
	s_mov_b32 s17, 0
	v_mov_b32_e32 v3, 0
	v_mov_b32_e32 v9, 1
	;; [unrolled: 1-line block ×4, first 2 shown]
	s_mov_b32 s19, 0
	s_branch .LBB112_7
.LBB112_6:                              ;   in Loop: Header=BB112_7 Depth=1
	s_or_b64 exec, exec, s[4:5]
	s_add_i32 s19, s19, 4
	s_add_i32 s17, s17, s14
	s_cmp_eq_u32 s7, s19
	v_add_u32_e32 v4, 0x400, v4
	s_cbranch_scc1 .LBB112_19
.LBB112_7:                              ; =>This Inner Loop Header: Depth=1
	v_add_u32_e32 v2, 0xfffffd00, v4
	v_cmp_gt_u32_e64 s[0:1], s12, v2
	s_and_saveexec_b64 s[4:5], s[0:1]
	s_cbranch_execz .LBB112_10
; %bb.8:                                ;   in Loop: Header=BB112_7 Depth=1
	v_add_u32_e32 v2, s17, v8
	v_lshlrev_b64 v[12:13], 1, v[2:3]
	v_mov_b32_e32 v2, s8
	v_add_co_u32_e64 v12, s[0:1], s6, v12
	v_addc_co_u32_e64 v13, s[0:1], v2, v13, s[0:1]
	global_load_ushort v2, v[12:13], off
	s_waitcnt vmcnt(0)
	v_cmp_lt_i16_e64 s[0:1], -1, v2
	v_cndmask_b32_e64 v12, v10, v11, s[0:1]
	v_lshlrev_b32_e32 v13, 16, v2
	v_xor_b32_sdwa v2, v12, v2 dst_sel:DWORD dst_unused:UNUSED_PAD src0_sel:DWORD src1_sel:WORD_0
	v_cmp_o_f32_e64 s[0:1], v13, v13
	v_cndmask_b32_e64 v2, v10, v2, s[0:1]
	v_xor_b32_e32 v12, s10, v2
	v_and_b32_e32 v12, s11, v12
	v_cmp_eq_u32_e64 s[0:1], 0, v12
	s_and_b64 exec, exec, s[0:1]
	s_cbranch_execz .LBB112_10
; %bb.9:                                ;   in Loop: Header=BB112_7 Depth=1
	v_bfe_u32 v2, v2, s9, 8
	v_lshlrev_b32_e32 v2, 2, v2
	ds_add_u32 v2, v9
.LBB112_10:                             ;   in Loop: Header=BB112_7 Depth=1
	s_or_b64 exec, exec, s[4:5]
	v_add_u32_e32 v2, 0xfffffe00, v4
	v_cmp_gt_u32_e64 s[0:1], s12, v2
	s_and_saveexec_b64 s[4:5], s[0:1]
	s_cbranch_execz .LBB112_13
; %bb.11:                               ;   in Loop: Header=BB112_7 Depth=1
	v_add_u32_e32 v2, s17, v7
	v_lshlrev_b64 v[12:13], 1, v[2:3]
	v_mov_b32_e32 v2, s8
	v_add_co_u32_e64 v12, s[0:1], s6, v12
	v_addc_co_u32_e64 v13, s[0:1], v2, v13, s[0:1]
	global_load_ushort v2, v[12:13], off
	s_waitcnt vmcnt(0)
	v_cmp_lt_i16_e64 s[0:1], -1, v2
	v_cndmask_b32_e64 v12, v10, v11, s[0:1]
	v_lshlrev_b32_e32 v13, 16, v2
	v_xor_b32_sdwa v2, v12, v2 dst_sel:DWORD dst_unused:UNUSED_PAD src0_sel:DWORD src1_sel:WORD_0
	v_cmp_o_f32_e64 s[0:1], v13, v13
	v_cndmask_b32_e64 v2, v10, v2, s[0:1]
	v_xor_b32_e32 v12, s10, v2
	v_and_b32_e32 v12, s11, v12
	v_cmp_eq_u32_e64 s[0:1], 0, v12
	s_and_b64 exec, exec, s[0:1]
	s_cbranch_execz .LBB112_13
; %bb.12:                               ;   in Loop: Header=BB112_7 Depth=1
	v_bfe_u32 v2, v2, s9, 8
	v_lshlrev_b32_e32 v2, 2, v2
	ds_add_u32 v2, v9
.LBB112_13:                             ;   in Loop: Header=BB112_7 Depth=1
	s_or_b64 exec, exec, s[4:5]
	v_add_u32_e32 v2, 0xffffff00, v4
	v_cmp_gt_u32_e64 s[0:1], s12, v2
	s_and_saveexec_b64 s[4:5], s[0:1]
	s_cbranch_execz .LBB112_16
; %bb.14:                               ;   in Loop: Header=BB112_7 Depth=1
	v_add_u32_e32 v2, s17, v6
	v_lshlrev_b64 v[12:13], 1, v[2:3]
	v_mov_b32_e32 v2, s8
	v_add_co_u32_e64 v12, s[0:1], s6, v12
	v_addc_co_u32_e64 v13, s[0:1], v2, v13, s[0:1]
	global_load_ushort v2, v[12:13], off
	s_waitcnt vmcnt(0)
	v_cmp_lt_i16_e64 s[0:1], -1, v2
	v_cndmask_b32_e64 v12, v10, v11, s[0:1]
	v_lshlrev_b32_e32 v13, 16, v2
	v_xor_b32_sdwa v2, v12, v2 dst_sel:DWORD dst_unused:UNUSED_PAD src0_sel:DWORD src1_sel:WORD_0
	v_cmp_o_f32_e64 s[0:1], v13, v13
	v_cndmask_b32_e64 v2, v10, v2, s[0:1]
	v_xor_b32_e32 v12, s10, v2
	v_and_b32_e32 v12, s11, v12
	v_cmp_eq_u32_e64 s[0:1], 0, v12
	s_and_b64 exec, exec, s[0:1]
	s_cbranch_execz .LBB112_16
; %bb.15:                               ;   in Loop: Header=BB112_7 Depth=1
	v_bfe_u32 v2, v2, s9, 8
	v_lshlrev_b32_e32 v2, 2, v2
	ds_add_u32 v2, v9
.LBB112_16:                             ;   in Loop: Header=BB112_7 Depth=1
	s_or_b64 exec, exec, s[4:5]
	v_cmp_gt_u32_e64 s[0:1], s12, v4
	s_and_saveexec_b64 s[4:5], s[0:1]
	s_cbranch_execz .LBB112_6
; %bb.17:                               ;   in Loop: Header=BB112_7 Depth=1
	v_add_u32_e32 v2, s17, v5
	v_lshlrev_b64 v[12:13], 1, v[2:3]
	v_mov_b32_e32 v2, s8
	v_add_co_u32_e64 v12, s[0:1], s6, v12
	v_addc_co_u32_e64 v13, s[0:1], v2, v13, s[0:1]
	global_load_ushort v2, v[12:13], off
	s_waitcnt vmcnt(0)
	v_cmp_lt_i16_e64 s[0:1], -1, v2
	v_cndmask_b32_e64 v12, v10, v11, s[0:1]
	v_lshlrev_b32_e32 v13, 16, v2
	v_xor_b32_sdwa v2, v12, v2 dst_sel:DWORD dst_unused:UNUSED_PAD src0_sel:DWORD src1_sel:WORD_0
	v_cmp_o_f32_e64 s[0:1], v13, v13
	v_cndmask_b32_e64 v2, v10, v2, s[0:1]
	v_xor_b32_e32 v12, s10, v2
	v_and_b32_e32 v12, s11, v12
	v_cmp_eq_u32_e64 s[0:1], 0, v12
	s_and_b64 exec, exec, s[0:1]
	s_cbranch_execz .LBB112_6
; %bb.18:                               ;   in Loop: Header=BB112_7 Depth=1
	v_bfe_u32 v2, v2, s9, 8
	v_lshlrev_b32_e32 v2, 2, v2
	ds_add_u32 v2, v9
	s_branch .LBB112_6
.LBB112_19:
	s_and_b32 s14, s15, 3
	s_cmp_eq_u32 s14, 0
	s_cbranch_scc1 .LBB112_25
; %bb.20:
	s_lshl_b32 s0, s7, 8
	s_add_i32 s0, s0, s16
	v_add_u32_e32 v4, s0, v0
	v_mul_lo_u32 v2, s13, v4
	s_lshl_b32 s7, s13, 8
	v_mov_b32_e32 v3, 0
	v_mov_b32_e32 v5, 1
	;; [unrolled: 1-line block ×4, first 2 shown]
	s_branch .LBB112_22
.LBB112_21:                             ;   in Loop: Header=BB112_22 Depth=1
	s_or_b64 exec, exec, s[4:5]
	s_add_i32 s14, s14, -1
	v_add_u32_e32 v2, s7, v2
	s_cmp_lg_u32 s14, 0
	v_add_u32_e32 v4, 0x100, v4
	s_cbranch_scc0 .LBB112_25
.LBB112_22:                             ; =>This Inner Loop Header: Depth=1
	v_cmp_gt_u32_e64 s[0:1], s12, v4
	s_and_saveexec_b64 s[4:5], s[0:1]
	s_cbranch_execz .LBB112_21
; %bb.23:                               ;   in Loop: Header=BB112_22 Depth=1
	v_lshlrev_b64 v[8:9], 1, v[2:3]
	v_mov_b32_e32 v10, s8
	v_add_co_u32_e64 v8, s[0:1], s6, v8
	v_addc_co_u32_e64 v9, s[0:1], v10, v9, s[0:1]
	global_load_ushort v8, v[8:9], off
	s_waitcnt vmcnt(0)
	v_cmp_lt_i16_e64 s[0:1], -1, v8
	v_cndmask_b32_e64 v9, v6, v7, s[0:1]
	v_lshlrev_b32_e32 v10, 16, v8
	v_xor_b32_sdwa v8, v9, v8 dst_sel:DWORD dst_unused:UNUSED_PAD src0_sel:DWORD src1_sel:WORD_0
	v_cmp_o_f32_e64 s[0:1], v10, v10
	v_cndmask_b32_e64 v8, v6, v8, s[0:1]
	v_xor_b32_e32 v9, s10, v8
	v_and_b32_e32 v9, s11, v9
	v_cmp_eq_u32_e64 s[0:1], 0, v9
	s_and_b64 exec, exec, s[0:1]
	s_cbranch_execz .LBB112_21
; %bb.24:                               ;   in Loop: Header=BB112_22 Depth=1
	v_bfe_u32 v8, v8, s9, 8
	v_lshlrev_b32_e32 v8, 2, v8
	ds_add_u32 v8, v5
	s_branch .LBB112_21
.LBB112_25:
	v_mov_b32_e32 v2, 0
	s_waitcnt lgkmcnt(0)
	s_barrier
	s_and_saveexec_b64 s[0:1], vcc
	s_cbranch_execz .LBB112_27
; %bb.26:
	ds_read_b32 v2, v1
.LBB112_27:
	s_or_b64 exec, exec, s[0:1]
	s_and_saveexec_b64 s[0:1], vcc
	s_cbranch_execz .LBB112_29
; %bb.28:
	v_lshl_or_b32 v0, s18, 8, v0
	v_mov_b32_e32 v1, 0
	v_lshlrev_b64 v[0:1], 1, v[0:1]
	v_mov_b32_e32 v3, s3
	v_add_co_u32_e32 v0, vcc, s2, v0
	v_addc_co_u32_e32 v1, vcc, v3, v1, vcc
	s_waitcnt lgkmcnt(0)
	global_store_short v[0:1], v2, off
.LBB112_29:
	s_endpgm
	.section	.rodata,"a",@progbits
	.p2align	6, 0x0
	.amdhsa_kernel _ZN2at6native6mbtopk23computeBlockDigitCountsIN3c108BFloat16EjjLi3EEEvNS_4cuda6detail10TensorInfoIKT_T0_EEjPjjSA_iijT1_PSD_Ps
		.amdhsa_group_segment_fixed_size 1024
		.amdhsa_private_segment_fixed_size 0
		.amdhsa_kernarg_size 528
		.amdhsa_user_sgpr_count 6
		.amdhsa_user_sgpr_private_segment_buffer 1
		.amdhsa_user_sgpr_dispatch_ptr 0
		.amdhsa_user_sgpr_queue_ptr 0
		.amdhsa_user_sgpr_kernarg_segment_ptr 1
		.amdhsa_user_sgpr_dispatch_id 0
		.amdhsa_user_sgpr_flat_scratch_init 0
		.amdhsa_user_sgpr_kernarg_preload_length 0
		.amdhsa_user_sgpr_kernarg_preload_offset 0
		.amdhsa_user_sgpr_private_segment_size 0
		.amdhsa_uses_dynamic_stack 0
		.amdhsa_system_sgpr_private_segment_wavefront_offset 0
		.amdhsa_system_sgpr_workgroup_id_x 1
		.amdhsa_system_sgpr_workgroup_id_y 1
		.amdhsa_system_sgpr_workgroup_id_z 1
		.amdhsa_system_sgpr_workgroup_info 0
		.amdhsa_system_vgpr_workitem_id 0
		.amdhsa_next_free_vgpr 14
		.amdhsa_next_free_sgpr 26
		.amdhsa_accum_offset 16
		.amdhsa_reserve_vcc 1
		.amdhsa_reserve_flat_scratch 0
		.amdhsa_float_round_mode_32 0
		.amdhsa_float_round_mode_16_64 0
		.amdhsa_float_denorm_mode_32 3
		.amdhsa_float_denorm_mode_16_64 3
		.amdhsa_dx10_clamp 1
		.amdhsa_ieee_mode 1
		.amdhsa_fp16_overflow 0
		.amdhsa_tg_split 0
		.amdhsa_exception_fp_ieee_invalid_op 0
		.amdhsa_exception_fp_denorm_src 0
		.amdhsa_exception_fp_ieee_div_zero 0
		.amdhsa_exception_fp_ieee_overflow 0
		.amdhsa_exception_fp_ieee_underflow 0
		.amdhsa_exception_fp_ieee_inexact 0
		.amdhsa_exception_int_div_zero 0
	.end_amdhsa_kernel
	.section	.text._ZN2at6native6mbtopk23computeBlockDigitCountsIN3c108BFloat16EjjLi3EEEvNS_4cuda6detail10TensorInfoIKT_T0_EEjPjjSA_iijT1_PSD_Ps,"axG",@progbits,_ZN2at6native6mbtopk23computeBlockDigitCountsIN3c108BFloat16EjjLi3EEEvNS_4cuda6detail10TensorInfoIKT_T0_EEjPjjSA_iijT1_PSD_Ps,comdat
.Lfunc_end112:
	.size	_ZN2at6native6mbtopk23computeBlockDigitCountsIN3c108BFloat16EjjLi3EEEvNS_4cuda6detail10TensorInfoIKT_T0_EEjPjjSA_iijT1_PSD_Ps, .Lfunc_end112-_ZN2at6native6mbtopk23computeBlockDigitCountsIN3c108BFloat16EjjLi3EEEvNS_4cuda6detail10TensorInfoIKT_T0_EEjPjjSA_iijT1_PSD_Ps
                                        ; -- End function
	.section	.AMDGPU.csdata,"",@progbits
; Kernel info:
; codeLenInByte = 1652
; NumSgprs: 30
; NumVgprs: 14
; NumAgprs: 0
; TotalNumVgprs: 14
; ScratchSize: 0
; MemoryBound: 0
; FloatMode: 240
; IeeeMode: 1
; LDSByteSize: 1024 bytes/workgroup (compile time only)
; SGPRBlocks: 3
; VGPRBlocks: 1
; NumSGPRsForWavesPerEU: 30
; NumVGPRsForWavesPerEU: 14
; AccumOffset: 16
; Occupancy: 8
; WaveLimiterHint : 1
; COMPUTE_PGM_RSRC2:SCRATCH_EN: 0
; COMPUTE_PGM_RSRC2:USER_SGPR: 6
; COMPUTE_PGM_RSRC2:TRAP_HANDLER: 0
; COMPUTE_PGM_RSRC2:TGID_X_EN: 1
; COMPUTE_PGM_RSRC2:TGID_Y_EN: 1
; COMPUTE_PGM_RSRC2:TGID_Z_EN: 1
; COMPUTE_PGM_RSRC2:TIDIG_COMP_CNT: 0
; COMPUTE_PGM_RSRC3_GFX90A:ACCUM_OFFSET: 3
; COMPUTE_PGM_RSRC3_GFX90A:TG_SPLIT: 0
	.section	.text._ZN2at6native6mbtopk10gatherTopKIN3c108BFloat16EjLi3EEEvNS_4cuda6detail10TensorInfoIKT_T0_EESA_SA_bjSA_NS7_IS8_SA_EESA_NS7_IlSA_EESA_jjPS8_PjSF_j,"axG",@progbits,_ZN2at6native6mbtopk10gatherTopKIN3c108BFloat16EjLi3EEEvNS_4cuda6detail10TensorInfoIKT_T0_EESA_SA_bjSA_NS7_IS8_SA_EESA_NS7_IlSA_EESA_jjPS8_PjSF_j,comdat
	.protected	_ZN2at6native6mbtopk10gatherTopKIN3c108BFloat16EjLi3EEEvNS_4cuda6detail10TensorInfoIKT_T0_EESA_SA_bjSA_NS7_IS8_SA_EESA_NS7_IlSA_EESA_jjPS8_PjSF_j ; -- Begin function _ZN2at6native6mbtopk10gatherTopKIN3c108BFloat16EjLi3EEEvNS_4cuda6detail10TensorInfoIKT_T0_EESA_SA_bjSA_NS7_IS8_SA_EESA_NS7_IlSA_EESA_jjPS8_PjSF_j
	.globl	_ZN2at6native6mbtopk10gatherTopKIN3c108BFloat16EjLi3EEEvNS_4cuda6detail10TensorInfoIKT_T0_EESA_SA_bjSA_NS7_IS8_SA_EESA_NS7_IlSA_EESA_jjPS8_PjSF_j
	.p2align	8
	.type	_ZN2at6native6mbtopk10gatherTopKIN3c108BFloat16EjLi3EEEvNS_4cuda6detail10TensorInfoIKT_T0_EESA_SA_bjSA_NS7_IS8_SA_EESA_NS7_IlSA_EESA_jjPS8_PjSF_j,@function
_ZN2at6native6mbtopk10gatherTopKIN3c108BFloat16EjLi3EEEvNS_4cuda6detail10TensorInfoIKT_T0_EESA_SA_bjSA_NS7_IS8_SA_EESA_NS7_IlSA_EESA_jjPS8_PjSF_j: ; @_ZN2at6native6mbtopk10gatherTopKIN3c108BFloat16EjLi3EEEvNS_4cuda6detail10TensorInfoIKT_T0_EESA_SA_bjSA_NS7_IS8_SA_EESA_NS7_IlSA_EESA_jjPS8_PjSF_j
; %bb.0:
	s_load_dwordx2 s[0:1], s[4:5], 0x2d8
	s_load_dword s2, s[4:5], 0x2d0
	s_waitcnt lgkmcnt(0)
	s_mul_i32 s1, s1, s8
	s_add_i32 s1, s1, s7
	s_mul_i32 s0, s1, s0
	s_add_i32 s0, s0, s6
	s_cmp_ge_u32 s0, s2
	s_cbranch_scc1 .LBB113_40
; %bb.1:
	s_load_dwordx8 s[8:15], s[4:5], 0x2a8
	s_load_dwordx2 s[36:37], s[4:5], 0xc
	s_load_dwordx2 s[40:41], s[4:5], 0xfc
	;; [unrolled: 1-line block ×4, first 2 shown]
	s_mov_b32 s39, 0
	s_waitcnt lgkmcnt(0)
	v_cvt_f32_u32_e32 v1, s10
	s_sub_i32 s1, 0, s10
	v_cvt_f32_u32_e32 v2, s37
	v_rcp_iflag_f32_e32 v1, v1
	v_rcp_iflag_f32_e32 v2, v2
	v_mul_f32_e32 v1, 0x4f7ffffe, v1
	v_cvt_u32_f32_e32 v1, v1
	v_mul_f32_e32 v2, 0x4f7ffffe, v2
	v_cvt_u32_f32_e32 v2, v2
	v_readfirstlane_b32 s2, v1
	s_mul_i32 s1, s1, s2
	s_mul_hi_u32 s1, s2, s1
	s_add_i32 s2, s2, s1
	s_mul_hi_u32 s1, s0, s2
	s_mul_i32 s2, s1, s10
	s_sub_i32 s2, s0, s2
	s_add_i32 s3, s1, 1
	s_sub_i32 s11, s2, s10
	s_cmp_ge_u32 s2, s10
	s_cselect_b32 s1, s3, s1
	s_cselect_b32 s2, s11, s2
	s_add_i32 s3, s1, 1
	s_cmp_ge_u32 s2, s10
	s_cselect_b32 s38, s3, s1
	v_cvt_f32_u32_e32 v1, s36
	s_mul_i32 s28, s38, s10
	s_sub_i32 s1, 0, s37
	s_sub_i32 s11, s0, s28
	v_readfirstlane_b32 s0, v2
	s_mul_i32 s1, s1, s0
	s_mul_hi_u32 s1, s0, s1
	v_rcp_iflag_f32_e32 v1, v1
	s_add_i32 s0, s0, s1
	v_cvt_f32_u32_e32 v2, s41
	s_mul_hi_u32 s0, s38, s0
	s_mul_i32 s1, s0, s37
	s_sub_i32 s1, s38, s1
	v_mul_f32_e32 v1, 0x4f7ffffe, v1
	s_add_i32 s2, s0, 1
	s_sub_i32 s3, s1, s37
	v_cvt_u32_f32_e32 v1, v1
	v_rcp_iflag_f32_e32 v2, v2
	s_cmp_ge_u32 s1, s37
	s_cselect_b32 s0, s2, s0
	s_cselect_b32 s1, s3, s1
	s_add_i32 s2, s0, 1
	s_cmp_ge_u32 s1, s37
	v_readfirstlane_b32 s1, v1
	v_mul_f32_e32 v1, 0x4f7ffffe, v2
	v_cvt_u32_f32_e32 v1, v1
	s_cselect_b32 s33, s2, s0
	s_sub_i32 s0, 0, s36
	s_mul_i32 s0, s0, s1
	s_mul_hi_u32 s0, s1, s0
	s_add_i32 s2, s1, s0
	v_readfirstlane_b32 s1, v1
	v_cvt_f32_u32_e32 v1, s40
	s_sub_i32 s0, 0, s41
	s_mul_i32 s0, s0, s1
	s_mul_hi_u32 s0, s1, s0
	v_rcp_iflag_f32_e32 v1, v1
	s_add_i32 s1, s1, s0
	v_cvt_f32_u32_e32 v2, s35
	s_mul_hi_u32 s0, s38, s1
	s_mul_i32 s1, s0, s41
	s_sub_i32 s1, s38, s1
	v_mul_f32_e32 v1, 0x4f7ffffe, v1
	s_add_i32 s3, s0, 1
	s_sub_i32 s16, s1, s41
	v_cvt_u32_f32_e32 v1, v1
	v_rcp_iflag_f32_e32 v2, v2
	s_cmp_ge_u32 s1, s41
	s_cselect_b32 s0, s3, s0
	s_cselect_b32 s1, s16, s1
	s_add_i32 s3, s0, 1
	s_cmp_ge_u32 s1, s41
	v_readfirstlane_b32 s1, v1
	v_mul_f32_e32 v1, 0x4f7ffffe, v2
	v_cvt_u32_f32_e32 v1, v1
	s_cselect_b32 s52, s3, s0
	s_sub_i32 s0, 0, s40
	s_mul_i32 s0, s0, s1
	s_mul_hi_u32 s0, s1, s0
	s_add_i32 s3, s1, s0
	v_readfirstlane_b32 s1, v1
	v_cvt_f32_u32_e32 v1, s34
	s_sub_i32 s0, 0, s35
	s_mul_i32 s0, s0, s1
	s_mul_hi_u32 s0, s1, s0
	s_add_i32 s1, s1, s0
	v_rcp_iflag_f32_e32 v1, v1
	s_mul_hi_u32 s0, s38, s1
	s_mul_i32 s1, s0, s35
	s_sub_i32 s1, s38, s1
	s_add_i32 s16, s0, 1
	s_sub_i32 s17, s1, s35
	v_mul_f32_e32 v1, 0x4f7ffffe, v1
	s_cmp_ge_u32 s1, s35
	v_cvt_u32_f32_e32 v1, v1
	s_cselect_b32 s0, s16, s0
	s_cselect_b32 s1, s17, s1
	s_add_i32 s16, s0, 1
	s_cmp_ge_u32 s1, s35
	s_cselect_b32 s53, s16, s0
	s_sub_i32 s0, 0, s34
	v_readfirstlane_b32 s1, v1
	s_mul_i32 s0, s0, s1
	s_mul_hi_u32 s0, s1, s0
	s_add_i32 s29, s1, s0
	s_lshl_b64 s[0:1], s[38:39], 1
	s_add_u32 s0, s12, s0
	s_addc_u32 s1, s13, s1
	v_mov_b32_e32 v1, 0
	global_load_ushort v1, v1, s[0:1]
	s_load_dwordx2 s[44:45], s[4:5], 0x0
	s_load_dwordx4 s[20:23], s[4:5], 0x15c
	s_load_dwordx4 s[16:19], s[4:5], 0x23c
	s_load_dwordx2 s[42:43], s[4:5], 0xf0
	s_load_dwordx4 s[24:27], s[4:5], 0x6c
	v_cmp_ne_u32_e64 s[0:1], 0, v0
	s_mul_hi_u32 s54, s33, s2
	s_waitcnt lgkmcnt(0)
	s_mul_hi_u32 s27, s52, s3
	s_mul_hi_u32 s19, s53, s29
	v_cmp_eq_u32_e64 s[2:3], 0, v0
	s_waitcnt vmcnt(0)
	v_readfirstlane_b32 s23, v1
	s_and_saveexec_b64 s[12:13], s[2:3]
	s_cbranch_execz .LBB113_17
; %bb.2:
	s_load_dwordx2 s[46:47], s[4:5], 0x2c8
	s_mov_b32 s29, s39
	s_lshl_b64 s[48:49], s[28:29], 2
	s_add_u32 s28, s14, s48
	s_addc_u32 s29, s15, s49
	s_waitcnt lgkmcnt(0)
	s_add_u32 s30, s46, s48
	s_addc_u32 s31, s47, s49
	s_cmp_lt_u32 s10, 4
	s_cbranch_scc1 .LBB113_14
; %bb.3:
	s_mov_b32 s55, s39
	s_mov_b32 s56, s39
	s_mov_b32 s57, s39
.LBB113_4:                              ; =>This Inner Loop Header: Depth=1
	s_add_u32 s28, s14, s48
	s_addc_u32 s29, s15, s49
	s_load_dwordx4 s[28:31], s[28:29], 0x0
	s_add_u32 s50, s46, s48
	s_addc_u32 s51, s47, s49
	s_cmp_ge_u32 s57, s11
	s_cbranch_scc0 .LBB113_11
; %bb.5:                                ;   in Loop: Header=BB113_4 Depth=1
	s_add_i32 s58, s57, 1
	s_cmp_ge_u32 s58, s11
	s_cbranch_scc0 .LBB113_12
.LBB113_6:                              ;   in Loop: Header=BB113_4 Depth=1
	s_add_i32 s58, s58, 1
	s_cmp_ge_u32 s58, s11
	s_cbranch_scc0 .LBB113_13
.LBB113_7:                              ;   in Loop: Header=BB113_4 Depth=1
	s_add_i32 s58, s58, 1
	s_cmp_ge_u32 s58, s11
	s_cbranch_scc1 .LBB113_9
.LBB113_8:                              ;   in Loop: Header=BB113_4 Depth=1
	s_load_dword s50, s[50:51], 0xc
	s_waitcnt lgkmcnt(0)
	s_add_i32 s39, s39, s31
	s_add_i32 s55, s50, s55
.LBB113_9:                              ;   in Loop: Header=BB113_4 Depth=1
	s_waitcnt lgkmcnt(0)
	s_add_i32 s28, s28, s56
	s_add_i32 s28, s28, s29
	;; [unrolled: 1-line block ×4, first 2 shown]
	s_add_u32 s14, s14, 16
	s_addc_u32 s15, s15, 0
	s_add_u32 s46, s46, 16
	s_addc_u32 s47, s47, 0
	s_add_i32 s51, s58, 4
	s_add_u32 s30, s46, s48
	s_addc_u32 s31, s47, s49
	s_add_u32 s28, s14, s48
	s_addc_u32 s29, s15, s49
	s_add_i32 s50, s58, 1
	s_cmp_ge_u32 s51, s10
	s_cbranch_scc1 .LBB113_15
; %bb.10:                               ;   in Loop: Header=BB113_4 Depth=1
	s_mov_b32 s57, s50
	s_branch .LBB113_4
.LBB113_11:                             ;   in Loop: Header=BB113_4 Depth=1
	s_load_dword s58, s[50:51], 0x0
	s_waitcnt lgkmcnt(0)
	s_add_i32 s39, s28, s39
	s_add_i32 s55, s58, s55
	;; [unrolled: 1-line block ×3, first 2 shown]
	s_cmp_ge_u32 s58, s11
	s_cbranch_scc1 .LBB113_6
.LBB113_12:                             ;   in Loop: Header=BB113_4 Depth=1
	s_load_dword s59, s[50:51], 0x4
	s_waitcnt lgkmcnt(0)
	s_add_i32 s39, s39, s29
	s_add_i32 s55, s59, s55
	s_add_i32 s58, s58, 1
	s_cmp_ge_u32 s58, s11
	s_cbranch_scc1 .LBB113_7
.LBB113_13:                             ;   in Loop: Header=BB113_4 Depth=1
	s_load_dword s59, s[50:51], 0x8
	s_waitcnt lgkmcnt(0)
	s_add_i32 s39, s39, s30
	s_add_i32 s55, s59, s55
	;; [unrolled: 1-line block ×3, first 2 shown]
	s_cmp_ge_u32 s58, s11
	s_cbranch_scc0 .LBB113_8
	s_branch .LBB113_9
.LBB113_14:
	s_mov_b32 s55, 0
	s_mov_b32 s56, 0
	;; [unrolled: 1-line block ×3, first 2 shown]
	s_cmp_ge_u32 s14, s10
	s_cbranch_scc0 .LBB113_38
	s_branch .LBB113_16
.LBB113_15:
	s_add_i32 s14, s57, 4
	s_cmp_ge_u32 s14, s10
	s_cbranch_scc0 .LBB113_38
.LBB113_16:
	v_mov_b32_e32 v2, s55
	v_mov_b32_e32 v3, s56
	;; [unrolled: 1-line block ×4, first 2 shown]
	ds_write_b96 v1, v[2:4] offset:1056
.LBB113_17:
	s_or_b64 exec, exec, s[12:13]
	s_load_dwordx4 s[12:15], s[4:5], 0xd8
	s_mul_i32 s28, s9, s11
	s_lshl_b32 s28, s28, 8
	s_waitcnt lgkmcnt(0)
	s_add_i32 s15, s11, 1
	s_mov_b32 s11, 0
	s_sub_i32 s29, s12, s28
	s_add_u32 s29, s29, 0xff
	s_addc_u32 s30, 0, 0
	v_mov_b32_e32 v1, s29
	v_alignbit_b32 v1, s30, v1, 8
	s_cmp_lt_u32 s15, s10
	v_readfirstlane_b32 s10, v1
	s_cselect_b32 s9, s9, s10
	s_cmp_eq_u32 s9, 0
	s_barrier
	s_cbranch_scc1 .LBB113_40
; %bb.18:
	s_mul_i32 s10, s33, s37
	s_mul_i32 s15, s54, s36
	s_sub_i32 s10, s38, s10
	s_sub_i32 s15, s33, s15
	s_mul_i32 s10, s10, s26
	s_add_i32 s26, s54, 1
	s_sub_i32 s29, s15, s36
	s_cmp_ge_u32 s15, s36
	s_cselect_b32 s26, s26, s54
	s_cselect_b32 s15, s29, s15
	s_add_i32 s29, s26, 1
	s_cmp_ge_u32 s15, s36
	s_cselect_b32 s15, s29, s26
	s_mul_i32 s26, s15, s36
	s_sub_i32 s26, s33, s26
	s_mul_i32 s25, s26, s25
	s_add_i32 s10, s25, s10
	s_mul_i32 s15, s15, s24
	s_add_i32 s10, s10, s15
	s_mul_i32 s15, s52, s41
	s_sub_i32 s15, s38, s15
	s_mul_i32 s15, s15, s22
	s_mul_i32 s22, s27, s40
	s_sub_i32 s22, s52, s22
	s_add_i32 s24, s27, 1
	s_sub_i32 s25, s22, s40
	s_cmp_ge_u32 s22, s40
	s_cselect_b32 s24, s24, s27
	s_cselect_b32 s22, s25, s22
	s_add_i32 s25, s24, 1
	s_cmp_ge_u32 s22, s40
	s_cselect_b32 s22, s25, s24
	s_mul_i32 s24, s22, s40
	s_sub_i32 s24, s52, s24
	s_mul_i32 s21, s24, s21
	s_add_i32 s15, s21, s15
	s_mul_i32 s22, s22, s20
	s_add_i32 s20, s15, s22
	s_mul_i32 s15, s53, s35
	s_sub_i32 s15, s38, s15
	s_mul_i32 s15, s15, s18
	s_mul_i32 s18, s19, s34
	s_sub_i32 s18, s53, s18
	s_add_i32 s21, s19, 1
	s_sub_i32 s22, s18, s34
	s_cmp_ge_u32 s18, s34
	s_cselect_b32 s19, s21, s19
	s_cselect_b32 s18, s22, s18
	s_add_i32 s21, s19, 1
	s_cmp_ge_u32 s18, s34
	s_cselect_b32 s18, s21, s19
	s_mul_i32 s19, s18, s34
	s_sub_i32 s19, s53, s19
	s_mul_i32 s17, s19, s17
	s_add_i32 s15, s17, s15
	s_mul_i32 s18, s18, s16
	s_add_i32 s24, s15, s18
	s_lshl_b64 s[16:17], s[10:11], 1
	s_add_u32 s15, s44, s16
	s_mov_b32 s21, s11
	s_addc_u32 s16, s45, s17
	s_lshl_b64 s[18:19], s[20:21], 1
	s_add_u32 s17, s42, s18
	s_mov_b32 s25, s11
	v_mov_b32_e32 v1, 0
	s_addc_u32 s18, s43, s19
	s_lshl_b64 s[10:11], s[24:25], 3
	ds_read_b96 v[2:4], v1 offset:1056
	s_add_u32 s19, s6, s10
	s_addc_u32 s20, s7, s11
	s_and_b32 s10, 0xffff, s23
	s_sext_i32_i16 s6, s23
	s_cmp_gt_i32 s6, -1
	s_mov_b32 s6, 0x8000
	s_cselect_b32 s11, s6, 0xffff
	s_lshl_b32 s6, s23, 16
	v_cmp_o_f32_e64 s[6:7], s6, s6
	s_xor_b32 s10, s11, s10
	s_waitcnt lgkmcnt(0)
	v_add_u32_e32 v5, v2, v3
	v_lshrrev_b32_e32 v2, 5, v0
	s_and_b64 s[6:7], s[6:7], exec
	v_add_lshl_u32 v6, v2, v0, 2
	v_lshlrev_b32_e32 v2, 2, v0
	v_lshrrev_b32_e32 v3, 3, v0
	s_cselect_b32 s21, s10, 0xffff
	s_bitcmp1_b32 s14, 0
	s_load_dword s10, s[4:5], 0xe8
	s_load_dword s14, s[4:5], 0x1c8
	v_add_lshl_u32 v7, v3, v2, 2
	v_add_u32_e32 v2, -1, v0
	v_lshrrev_b32_e32 v3, 5, v2
	v_add_lshl_u32 v8, v3, v2, 2
	v_mbcnt_lo_u32_b32 v3, -1, 0
	v_add_u32_e32 v2, s28, v0
	v_mbcnt_hi_u32_b32 v11, -1, v3
	s_cselect_b64 s[6:7], -1, 0
	v_cmp_gt_u32_e64 s[4:5], 64, v0
	s_waitcnt lgkmcnt(0)
	v_mul_lo_u32 v0, s10, v2
	s_lshl_b32 s22, s10, 8
	v_mov_b32_e32 v9, 0xffff
	v_mov_b32_e32 v10, 0x8000
	v_and_b32_e32 v12, 15, v11
	v_bfe_i32 v13, v11, 4, 1
	v_add_u32_e32 v14, -1, v11
	v_and_b32_e32 v15, 64, v11
                                        ; implicit-def: $vgpr16
	s_branch .LBB113_21
.LBB113_19:                             ;   in Loop: Header=BB113_21 Depth=1
	s_or_b64 exec, exec, s[10:11]
	v_add_u32_e32 v5, v19, v5
.LBB113_20:                             ;   in Loop: Header=BB113_21 Depth=1
	s_add_i32 s9, s9, -1
	v_add_u32_e32 v4, v18, v4
	v_add_u32_e32 v0, s22, v0
	s_cmp_lg_u32 s9, 0
	v_add_u32_e32 v2, 0x100, v2
	s_cbranch_scc0 .LBB113_40
.LBB113_21:                             ; =>This Inner Loop Header: Depth=1
	v_cmp_gt_u32_e32 vcc, s12, v2
	v_mov_b32_e32 v3, 0
	v_mov_b32_e32 v17, 0
	s_and_saveexec_b64 s[10:11], vcc
	s_cbranch_execz .LBB113_23
; %bb.22:                               ;   in Loop: Header=BB113_21 Depth=1
	v_lshlrev_b64 v[16:17], 1, v[0:1]
	v_mov_b32_e32 v3, s16
	v_add_co_u32_e32 v16, vcc, s15, v16
	v_addc_co_u32_e32 v17, vcc, v3, v17, vcc
	global_load_ushort v16, v[16:17], off
	s_waitcnt vmcnt(0)
	v_cmp_lt_i16_e32 vcc, -1, v16
	v_cndmask_b32_e32 v3, v9, v10, vcc
	v_lshlrev_b32_e32 v17, 16, v16
	v_xor_b32_sdwa v3, v3, v16 dst_sel:DWORD dst_unused:UNUSED_PAD src0_sel:DWORD src1_sel:WORD_0
	v_cmp_o_f32_e32 vcc, v17, v17
	v_cndmask_b32_e32 v17, v9, v3, vcc
	v_cmp_lt_u32_e32 vcc, s21, v17
	v_cndmask_b32_e64 v3, 0, 1, vcc
	v_cmp_gt_u32_e32 vcc, s21, v17
	v_cndmask_b32_e64 v18, 0, 1, vcc
	v_cndmask_b32_e64 v3, v18, v3, s[6:7]
	v_cmp_eq_u32_e32 vcc, s21, v17
	v_and_b32_e32 v3, 1, v3
	v_cndmask_b32_e64 v17, 0, 1, vcc
.LBB113_23:                             ;   in Loop: Header=BB113_21 Depth=1
	s_or_b64 exec, exec, s[10:11]
	ds_write_b32 v6, v3
	s_waitcnt lgkmcnt(0)
	s_barrier
	s_and_saveexec_b64 s[10:11], s[4:5]
	s_cbranch_execz .LBB113_25
; %bb.24:                               ;   in Loop: Header=BB113_21 Depth=1
	ds_read2_b32 v[18:19], v7 offset1:1
	ds_read2_b32 v[20:21], v7 offset0:2 offset1:3
	v_cmp_ne_u32_e32 vcc, 0, v12
	; wave barrier
	s_waitcnt lgkmcnt(1)
	v_add_u32_e32 v19, v19, v18
	s_waitcnt lgkmcnt(0)
	v_add3_u32 v19, v19, v20, v21
	s_nop 1
	v_mov_b32_dpp v20, v19 row_shr:1 row_mask:0xf bank_mask:0xf
	v_cndmask_b32_e32 v20, 0, v20, vcc
	v_add_u32_e32 v19, v20, v19
	v_cmp_lt_u32_e32 vcc, 1, v12
	s_nop 0
	v_mov_b32_dpp v20, v19 row_shr:2 row_mask:0xf bank_mask:0xf
	v_cndmask_b32_e32 v20, 0, v20, vcc
	v_add_u32_e32 v19, v19, v20
	v_cmp_lt_u32_e32 vcc, 3, v12
	;; [unrolled: 5-line block ×4, first 2 shown]
	s_nop 0
	v_mov_b32_dpp v20, v19 row_bcast:15 row_mask:0xf bank_mask:0xf
	v_and_b32_e32 v20, v13, v20
	v_add_u32_e32 v19, v19, v20
	s_nop 1
	v_mov_b32_dpp v20, v19 row_bcast:31 row_mask:0xf bank_mask:0xf
	v_cndmask_b32_e32 v20, 0, v20, vcc
	v_cmp_lt_i32_e32 vcc, v14, v15
	v_add_u32_e32 v19, v19, v20
	v_cndmask_b32_e32 v20, v14, v11, vcc
	v_lshlrev_b32_e32 v20, 2, v20
	ds_bpermute_b32 v19, v20, v19
	s_waitcnt lgkmcnt(0)
	v_add_u32_e32 v18, v19, v18
	v_cndmask_b32_e64 v20, v18, v3, s[2:3]
	ds_write_b32 v7, v20
	; wave barrier
	ds_read2_b32 v[18:19], v7 offset0:1 offset1:2
	ds_read_b32 v21, v7 offset:12
	s_waitcnt lgkmcnt(1)
	v_add_u32_e32 v18, v18, v20
	v_add_u32_e32 v19, v19, v18
	ds_write2_b32 v7, v18, v19 offset0:1 offset1:2
	s_waitcnt lgkmcnt(1)
	v_add_u32_e32 v18, v21, v19
	ds_write_b32 v7, v18 offset:12
.LBB113_25:                             ;   in Loop: Header=BB113_21 Depth=1
	s_or_b64 exec, exec, s[10:11]
	v_mov_b32_e32 v19, 0
	s_waitcnt lgkmcnt(0)
	s_barrier
	s_and_saveexec_b64 s[10:11], s[0:1]
	s_cbranch_execz .LBB113_27
; %bb.26:                               ;   in Loop: Header=BB113_21 Depth=1
	ds_read_b32 v19, v8
.LBB113_27:                             ;   in Loop: Header=BB113_21 Depth=1
	s_or_b64 exec, exec, s[10:11]
	ds_read_b32 v18, v1 offset:1048
	v_cmp_ne_u32_e32 vcc, 0, v3
	s_waitcnt lgkmcnt(0)
	s_barrier
	s_and_saveexec_b64 s[10:11], vcc
	s_cbranch_execz .LBB113_29
; %bb.28:                               ;   in Loop: Header=BB113_21 Depth=1
	v_add_u32_e32 v19, v19, v4
	v_mul_lo_u32 v20, v19, s14
	v_mov_b32_e32 v21, v1
	v_lshlrev_b64 v[20:21], 1, v[20:21]
	v_mov_b32_e32 v3, s18
	v_add_co_u32_e32 v20, vcc, s17, v20
	v_addc_co_u32_e32 v21, vcc, v3, v21, vcc
	global_store_short v[20:21], v16, off
	v_mul_lo_u32 v20, v19, s8
	v_mov_b32_e32 v21, v1
	v_lshlrev_b64 v[20:21], 3, v[20:21]
	v_mov_b32_e32 v19, s20
	v_add_co_u32_e32 v20, vcc, s19, v20
	v_mov_b32_e32 v3, v1
	v_addc_co_u32_e32 v21, vcc, v19, v21, vcc
	global_store_dwordx2 v[20:21], v[2:3], off
.LBB113_29:                             ;   in Loop: Header=BB113_21 Depth=1
	s_or_b64 exec, exec, s[10:11]
	v_cmp_le_u32_e32 vcc, s13, v5
	s_cbranch_vccnz .LBB113_20
; %bb.30:                               ;   in Loop: Header=BB113_21 Depth=1
	ds_write_b32 v6, v17
	s_waitcnt lgkmcnt(0)
	s_barrier
	s_and_saveexec_b64 s[10:11], s[4:5]
	s_cbranch_execz .LBB113_32
; %bb.31:                               ;   in Loop: Header=BB113_21 Depth=1
	ds_read2_b32 v[20:21], v7 offset1:1
	ds_read2_b32 v[22:23], v7 offset0:2 offset1:3
	v_cmp_ne_u32_e32 vcc, 0, v12
	; wave barrier
	s_waitcnt lgkmcnt(1)
	v_add_u32_e32 v3, v21, v20
	s_waitcnt lgkmcnt(0)
	v_add3_u32 v3, v3, v22, v23
	s_nop 1
	v_mov_b32_dpp v19, v3 row_shr:1 row_mask:0xf bank_mask:0xf
	v_cndmask_b32_e32 v19, 0, v19, vcc
	v_add_u32_e32 v3, v19, v3
	v_cmp_lt_u32_e32 vcc, 1, v12
	s_nop 0
	v_mov_b32_dpp v19, v3 row_shr:2 row_mask:0xf bank_mask:0xf
	v_cndmask_b32_e32 v19, 0, v19, vcc
	v_add_u32_e32 v3, v3, v19
	v_cmp_lt_u32_e32 vcc, 3, v12
	;; [unrolled: 5-line block ×4, first 2 shown]
	s_nop 0
	v_mov_b32_dpp v19, v3 row_bcast:15 row_mask:0xf bank_mask:0xf
	v_and_b32_e32 v19, v13, v19
	v_add_u32_e32 v3, v3, v19
	s_nop 1
	v_mov_b32_dpp v19, v3 row_bcast:31 row_mask:0xf bank_mask:0xf
	v_cndmask_b32_e32 v19, 0, v19, vcc
	v_cmp_lt_i32_e32 vcc, v14, v15
	v_add_u32_e32 v3, v3, v19
	v_cndmask_b32_e32 v19, v14, v11, vcc
	v_lshlrev_b32_e32 v19, 2, v19
	ds_bpermute_b32 v3, v19, v3
	s_waitcnt lgkmcnt(0)
	v_add_u32_e32 v3, v3, v20
	v_cndmask_b32_e64 v3, v3, v17, s[2:3]
	ds_write_b32 v7, v3
	; wave barrier
	ds_read2_b32 v[20:21], v7 offset0:1 offset1:2
	ds_read_b32 v19, v7 offset:12
	s_waitcnt lgkmcnt(1)
	v_add_u32_e32 v3, v20, v3
	v_add_u32_e32 v20, v21, v3
	ds_write2_b32 v7, v3, v20 offset0:1 offset1:2
	s_waitcnt lgkmcnt(1)
	v_add_u32_e32 v3, v19, v20
	ds_write_b32 v7, v3 offset:12
.LBB113_32:                             ;   in Loop: Header=BB113_21 Depth=1
	s_or_b64 exec, exec, s[10:11]
	v_mov_b32_e32 v3, 0
	s_waitcnt lgkmcnt(0)
	s_barrier
	s_and_saveexec_b64 s[10:11], s[0:1]
	s_cbranch_execz .LBB113_34
; %bb.33:                               ;   in Loop: Header=BB113_21 Depth=1
	ds_read_b32 v3, v8
.LBB113_34:                             ;   in Loop: Header=BB113_21 Depth=1
	s_or_b64 exec, exec, s[10:11]
	ds_read_b32 v19, v1 offset:1048
	v_cmp_ne_u32_e32 vcc, 0, v17
	s_waitcnt lgkmcnt(0)
	s_barrier
	s_and_saveexec_b64 s[10:11], vcc
	s_cbranch_execz .LBB113_19
; %bb.35:                               ;   in Loop: Header=BB113_21 Depth=1
	v_add_u32_e32 v17, v3, v5
	v_cmp_gt_u32_e32 vcc, s13, v17
	s_and_b64 exec, exec, vcc
	s_cbranch_execz .LBB113_19
; %bb.36:                               ;   in Loop: Header=BB113_21 Depth=1
	v_mul_lo_u32 v20, v17, s14
	v_mov_b32_e32 v21, v1
	v_lshlrev_b64 v[20:21], 1, v[20:21]
	v_mov_b32_e32 v3, s18
	v_add_co_u32_e32 v20, vcc, s17, v20
	v_addc_co_u32_e32 v21, vcc, v3, v21, vcc
	global_store_short v[20:21], v16, off
	v_mul_lo_u32 v20, v17, s8
	v_mov_b32_e32 v21, v1
	v_lshlrev_b64 v[20:21], 3, v[20:21]
	v_mov_b32_e32 v17, s20
	v_add_co_u32_e32 v20, vcc, s19, v20
	v_mov_b32_e32 v3, v1
	v_addc_co_u32_e32 v21, vcc, v17, v21, vcc
	global_store_dwordx2 v[20:21], v[2:3], off
	s_branch .LBB113_19
.LBB113_37:                             ;   in Loop: Header=BB113_38 Depth=1
	s_add_u32 s28, s28, 4
	s_addc_u32 s29, s29, 0
	s_waitcnt lgkmcnt(0)
	s_add_i32 s56, s15, s56
	s_add_u32 s30, s30, 4
	s_addc_u32 s31, s31, 0
	s_add_i32 s14, s14, 1
	s_cmp_lt_u32 s14, s10
	s_cbranch_scc0 .LBB113_16
.LBB113_38:                             ; =>This Inner Loop Header: Depth=1
	s_load_dword s15, s[28:29], 0x0
	s_cmp_ge_u32 s14, s11
	s_cbranch_scc1 .LBB113_37
; %bb.39:                               ;   in Loop: Header=BB113_38 Depth=1
	s_load_dword s46, s[30:31], 0x0
	s_waitcnt lgkmcnt(0)
	s_add_i32 s39, s15, s39
	s_add_i32 s55, s46, s55
	s_branch .LBB113_37
.LBB113_40:
	s_endpgm
	.section	.rodata,"a",@progbits
	.p2align	6, 0x0
	.amdhsa_kernel _ZN2at6native6mbtopk10gatherTopKIN3c108BFloat16EjLi3EEEvNS_4cuda6detail10TensorInfoIKT_T0_EESA_SA_bjSA_NS7_IS8_SA_EESA_NS7_IlSA_EESA_jjPS8_PjSF_j
		.amdhsa_group_segment_fixed_size 1068
		.amdhsa_private_segment_fixed_size 0
		.amdhsa_kernarg_size 984
		.amdhsa_user_sgpr_count 6
		.amdhsa_user_sgpr_private_segment_buffer 1
		.amdhsa_user_sgpr_dispatch_ptr 0
		.amdhsa_user_sgpr_queue_ptr 0
		.amdhsa_user_sgpr_kernarg_segment_ptr 1
		.amdhsa_user_sgpr_dispatch_id 0
		.amdhsa_user_sgpr_flat_scratch_init 0
		.amdhsa_user_sgpr_kernarg_preload_length 0
		.amdhsa_user_sgpr_kernarg_preload_offset 0
		.amdhsa_user_sgpr_private_segment_size 0
		.amdhsa_uses_dynamic_stack 0
		.amdhsa_system_sgpr_private_segment_wavefront_offset 0
		.amdhsa_system_sgpr_workgroup_id_x 1
		.amdhsa_system_sgpr_workgroup_id_y 1
		.amdhsa_system_sgpr_workgroup_id_z 1
		.amdhsa_system_sgpr_workgroup_info 0
		.amdhsa_system_vgpr_workitem_id 0
		.amdhsa_next_free_vgpr 24
		.amdhsa_next_free_sgpr 60
		.amdhsa_accum_offset 24
		.amdhsa_reserve_vcc 1
		.amdhsa_reserve_flat_scratch 0
		.amdhsa_float_round_mode_32 0
		.amdhsa_float_round_mode_16_64 0
		.amdhsa_float_denorm_mode_32 3
		.amdhsa_float_denorm_mode_16_64 3
		.amdhsa_dx10_clamp 1
		.amdhsa_ieee_mode 1
		.amdhsa_fp16_overflow 0
		.amdhsa_tg_split 0
		.amdhsa_exception_fp_ieee_invalid_op 0
		.amdhsa_exception_fp_denorm_src 0
		.amdhsa_exception_fp_ieee_div_zero 0
		.amdhsa_exception_fp_ieee_overflow 0
		.amdhsa_exception_fp_ieee_underflow 0
		.amdhsa_exception_fp_ieee_inexact 0
		.amdhsa_exception_int_div_zero 0
	.end_amdhsa_kernel
	.section	.text._ZN2at6native6mbtopk10gatherTopKIN3c108BFloat16EjLi3EEEvNS_4cuda6detail10TensorInfoIKT_T0_EESA_SA_bjSA_NS7_IS8_SA_EESA_NS7_IlSA_EESA_jjPS8_PjSF_j,"axG",@progbits,_ZN2at6native6mbtopk10gatherTopKIN3c108BFloat16EjLi3EEEvNS_4cuda6detail10TensorInfoIKT_T0_EESA_SA_bjSA_NS7_IS8_SA_EESA_NS7_IlSA_EESA_jjPS8_PjSF_j,comdat
.Lfunc_end113:
	.size	_ZN2at6native6mbtopk10gatherTopKIN3c108BFloat16EjLi3EEEvNS_4cuda6detail10TensorInfoIKT_T0_EESA_SA_bjSA_NS7_IS8_SA_EESA_NS7_IlSA_EESA_jjPS8_PjSF_j, .Lfunc_end113-_ZN2at6native6mbtopk10gatherTopKIN3c108BFloat16EjLi3EEEvNS_4cuda6detail10TensorInfoIKT_T0_EESA_SA_bjSA_NS7_IS8_SA_EESA_NS7_IlSA_EESA_jjPS8_PjSF_j
                                        ; -- End function
	.section	.AMDGPU.csdata,"",@progbits
; Kernel info:
; codeLenInByte = 2808
; NumSgprs: 64
; NumVgprs: 24
; NumAgprs: 0
; TotalNumVgprs: 24
; ScratchSize: 0
; MemoryBound: 0
; FloatMode: 240
; IeeeMode: 1
; LDSByteSize: 1068 bytes/workgroup (compile time only)
; SGPRBlocks: 7
; VGPRBlocks: 2
; NumSGPRsForWavesPerEU: 64
; NumVGPRsForWavesPerEU: 24
; AccumOffset: 24
; Occupancy: 8
; WaveLimiterHint : 1
; COMPUTE_PGM_RSRC2:SCRATCH_EN: 0
; COMPUTE_PGM_RSRC2:USER_SGPR: 6
; COMPUTE_PGM_RSRC2:TRAP_HANDLER: 0
; COMPUTE_PGM_RSRC2:TGID_X_EN: 1
; COMPUTE_PGM_RSRC2:TGID_Y_EN: 1
; COMPUTE_PGM_RSRC2:TGID_Z_EN: 1
; COMPUTE_PGM_RSRC2:TIDIG_COMP_CNT: 0
; COMPUTE_PGM_RSRC3_GFX90A:ACCUM_OFFSET: 5
; COMPUTE_PGM_RSRC3_GFX90A:TG_SPLIT: 0
	.section	.text._ZN2at6native6sbtopk10gatherTopKIN3c108BFloat16EjLi3ELb0EEEvNS_4cuda6detail10TensorInfoIKT_T0_EESA_SA_bSA_SA_NS7_IS8_SA_EESA_NS7_IlSA_EESA_PS8_,"axG",@progbits,_ZN2at6native6sbtopk10gatherTopKIN3c108BFloat16EjLi3ELb0EEEvNS_4cuda6detail10TensorInfoIKT_T0_EESA_SA_bSA_SA_NS7_IS8_SA_EESA_NS7_IlSA_EESA_PS8_,comdat
	.protected	_ZN2at6native6sbtopk10gatherTopKIN3c108BFloat16EjLi3ELb0EEEvNS_4cuda6detail10TensorInfoIKT_T0_EESA_SA_bSA_SA_NS7_IS8_SA_EESA_NS7_IlSA_EESA_PS8_ ; -- Begin function _ZN2at6native6sbtopk10gatherTopKIN3c108BFloat16EjLi3ELb0EEEvNS_4cuda6detail10TensorInfoIKT_T0_EESA_SA_bSA_SA_NS7_IS8_SA_EESA_NS7_IlSA_EESA_PS8_
	.globl	_ZN2at6native6sbtopk10gatherTopKIN3c108BFloat16EjLi3ELb0EEEvNS_4cuda6detail10TensorInfoIKT_T0_EESA_SA_bSA_SA_NS7_IS8_SA_EESA_NS7_IlSA_EESA_PS8_
	.p2align	8
	.type	_ZN2at6native6sbtopk10gatherTopKIN3c108BFloat16EjLi3ELb0EEEvNS_4cuda6detail10TensorInfoIKT_T0_EESA_SA_bSA_SA_NS7_IS8_SA_EESA_NS7_IlSA_EESA_PS8_,@function
_ZN2at6native6sbtopk10gatherTopKIN3c108BFloat16EjLi3ELb0EEEvNS_4cuda6detail10TensorInfoIKT_T0_EESA_SA_bSA_SA_NS7_IS8_SA_EESA_NS7_IlSA_EESA_PS8_: ; @_ZN2at6native6sbtopk10gatherTopKIN3c108BFloat16EjLi3ELb0EEEvNS_4cuda6detail10TensorInfoIKT_T0_EESA_SA_bSA_SA_NS7_IS8_SA_EESA_NS7_IlSA_EESA_PS8_
; %bb.0:
	s_load_dwordx2 s[12:13], s[4:5], 0x2b8
	s_load_dwordx4 s[60:63], s[4:5], 0xd8
	s_mov_b64 s[20:21], s[4:5]
	s_add_u32 s10, s20, 0x2b8
	s_addc_u32 s11, s21, 0
	s_waitcnt lgkmcnt(0)
	s_mul_i32 s0, s13, s8
	s_add_i32 s0, s0, s7
	s_mul_i32 s0, s0, s12
	s_add_i32 s13, s0, s6
	s_cmp_ge_u32 s13, s63
	s_cbranch_scc1 .LBB114_411
; %bb.1:
	s_load_dwordx4 s[0:3], s[20:21], 0x23c
                                        ; implicit-def: $vgpr55 : SGPR spill to VGPR lane
	s_load_dwordx2 s[16:17], s[20:21], 0xc
	s_load_dwordx2 s[14:15], s[20:21], 0x0
	s_mov_b32 s24, 0
	s_waitcnt lgkmcnt(0)
	v_cvt_f32_u32_e32 v1, s17
	v_writelane_b32 v55, s0, 0
	v_writelane_b32 v55, s1, 1
	;; [unrolled: 1-line block ×4, first 2 shown]
	s_load_dwordx2 s[18:19], s[20:21], 0x1dc
	s_load_dwordx2 s[0:1], s[20:21], 0x1d0
	v_rcp_iflag_f32_e32 v1, v1
	v_mul_f32_e32 v1, 0x4f7ffffe, v1
	s_waitcnt lgkmcnt(0)
	v_writelane_b32 v55, s0, 4
	v_writelane_b32 v55, s1, 5
	s_load_dwordx4 s[0:3], s[20:21], 0x15c
	v_cvt_u32_f32_e32 v1, v1
	s_waitcnt lgkmcnt(0)
	v_writelane_b32 v55, s0, 6
	v_writelane_b32 v55, s1, 7
	;; [unrolled: 1-line block ×4, first 2 shown]
	s_load_dwordx2 s[22:23], s[20:21], 0xfc
	s_load_dwordx2 s[0:1], s[20:21], 0xf0
	v_readfirstlane_b32 s4, v1
	v_cvt_f32_u32_e32 v1, s16
	s_waitcnt lgkmcnt(0)
	v_cvt_f32_u32_e32 v2, s23
	v_writelane_b32 v55, s0, 10
	v_writelane_b32 v55, s1, 11
	s_load_dword s0, s[20:21], 0xe8
	v_rcp_iflag_f32_e32 v1, v1
	v_rcp_iflag_f32_e32 v2, v2
	s_waitcnt lgkmcnt(0)
	v_writelane_b32 v55, s0, 12
	s_load_dwordx4 s[0:3], s[20:21], 0x6c
	s_waitcnt lgkmcnt(0)
	s_sub_i32 s3, 0, s17
	s_mul_i32 s3, s3, s4
	s_mul_hi_u32 s3, s4, s3
	s_add_i32 s4, s4, s3
	s_mul_hi_u32 s3, s13, s4
	s_mul_i32 s4, s3, s17
	s_sub_i32 s4, s13, s4
	s_add_i32 s5, s3, 1
	s_sub_i32 s7, s4, s17
	v_mul_f32_e32 v1, 0x4f7ffffe, v1
	s_cmp_ge_u32 s4, s17
	v_cvt_u32_f32_e32 v1, v1
	s_cselect_b32 s3, s5, s3
	s_cselect_b32 s4, s7, s4
	s_add_i32 s5, s3, 1
	s_cmp_ge_u32 s4, s17
	s_cselect_b32 s3, s5, s3
	v_readfirstlane_b32 s5, v1
	v_mul_f32_e32 v1, 0x4f7ffffe, v2
	v_cvt_u32_f32_e32 v1, v1
	s_sub_i32 s4, 0, s16
	s_mul_i32 s4, s4, s5
	s_mul_hi_u32 s4, s5, s4
	v_readfirstlane_b32 s7, v1
	v_cvt_f32_u32_e32 v1, s22
	s_add_i32 s5, s5, s4
	s_mul_hi_u32 s4, s3, s5
	s_sub_i32 s5, 0, s23
	s_mul_i32 s5, s5, s7
	s_mul_hi_u32 s5, s7, s5
	v_rcp_iflag_f32_e32 v1, v1
	s_add_i32 s7, s7, s5
	v_cvt_f32_u32_e32 v2, s19
	s_mul_hi_u32 s5, s13, s7
	s_mul_i32 s7, s5, s23
	s_sub_i32 s7, s13, s7
	v_mul_f32_e32 v1, 0x4f7ffffe, v1
	s_add_i32 s8, s5, 1
	s_sub_i32 s9, s7, s23
	v_cvt_u32_f32_e32 v1, v1
	v_rcp_iflag_f32_e32 v2, v2
	s_cmp_ge_u32 s7, s23
	s_cselect_b32 s5, s8, s5
	s_cselect_b32 s7, s9, s7
	s_add_i32 s8, s5, 1
	s_cmp_ge_u32 s7, s23
	v_readfirstlane_b32 s7, v1
	v_mul_f32_e32 v1, 0x4f7ffffe, v2
	s_cselect_b32 s8, s8, s5
	v_writelane_b32 v55, s22, 13
	s_sub_i32 s5, 0, s22
	v_cvt_u32_f32_e32 v1, v1
	s_mul_i32 s5, s5, s7
	s_mul_hi_u32 s5, s7, s5
	v_writelane_b32 v55, s23, 14
	s_add_i32 s7, s7, s5
	v_writelane_b32 v55, s8, 15
	s_mul_hi_u32 s5, s8, s7
	v_readfirstlane_b32 s7, v1
	v_cvt_f32_u32_e32 v1, s18
	v_writelane_b32 v55, s5, 16
	s_sub_i32 s5, 0, s19
	s_mul_i32 s5, s5, s7
	s_mul_hi_u32 s5, s7, s5
	s_add_i32 s7, s7, s5
	v_rcp_iflag_f32_e32 v1, v1
	s_mul_hi_u32 s5, s13, s7
	s_mul_i32 s7, s5, s19
	s_sub_i32 s7, s13, s7
	s_add_i32 s8, s5, 1
	s_sub_i32 s9, s7, s19
	v_mul_f32_e32 v1, 0x4f7ffffe, v1
	s_cmp_ge_u32 s7, s19
	v_cvt_u32_f32_e32 v1, v1
	s_cselect_b32 s5, s8, s5
	s_cselect_b32 s7, s9, s7
	s_add_i32 s8, s5, 1
	s_cmp_ge_u32 s7, s19
	s_cselect_b32 s8, s8, s5
	v_writelane_b32 v55, s18, 17
	s_sub_i32 s5, 0, s18
	v_readfirstlane_b32 s7, v1
	s_mul_i32 s5, s5, s7
	s_mul_hi_u32 s5, s7, s5
	v_writelane_b32 v55, s19, 18
	s_add_i32 s7, s7, s5
	v_writelane_b32 v55, s8, 19
	s_mul_hi_u32 s5, s8, s7
	v_writelane_b32 v55, s5, 20
	v_cmp_eq_u32_e64 s[8:9], 0, v0
	s_mov_b64 s[18:19], exec
	v_writelane_b32 v55, s8, 21
	v_writelane_b32 v55, s9, 22
	s_and_b64 s[8:9], s[18:19], s[8:9]
	s_mov_b64 exec, s[8:9]
	s_cbranch_execz .LBB114_3
; %bb.2:
	v_mov_b32_e32 v2, 0
	v_mov_b32_e32 v3, s60
	v_mov_b32_e32 v4, v2
	ds_write_b96 v2, v[2:4] offset:4096
.LBB114_3:
	s_or_b64 exec, exec, s[18:19]
	s_mul_i32 s5, s3, s17
	s_sub_i32 s5, s13, s5
	s_mul_i32 s5, s5, s2
	s_mul_i32 s2, s4, s16
	s_sub_i32 s2, s3, s2
	s_add_i32 s7, s4, 1
	s_sub_i32 s8, s2, s16
	s_cmp_ge_u32 s2, s16
	s_cselect_b32 s4, s7, s4
	s_cselect_b32 s2, s8, s2
	s_add_i32 s7, s4, 1
	s_cmp_ge_u32 s2, s16
	s_cselect_b32 s2, s7, s4
	s_mul_i32 s4, s2, s16
	s_sub_i32 s3, s3, s4
	s_mul_i32 s1, s3, s1
	s_add_i32 s1, s1, s5
	s_mul_i32 s2, s2, s0
	s_add_i32 s0, s1, s2
	s_mov_b32 s1, s24
	s_lshl_b64 s[0:1], s[0:1], 1
	s_add_u32 s33, s14, s0
	v_writelane_b32 v55, s13, 23
	s_mov_b32 s2, 0
	s_waitcnt lgkmcnt(0)
	s_barrier
	s_load_dword s0, s[10:11], 0xc
	s_addc_u32 s7, s15, s1
	v_writelane_b32 v55, s2, 24
	s_bitcmp1_b32 s62, 0
	v_writelane_b32 v55, s3, 25
	s_cselect_b64 s[2:3], -1, 0
	v_writelane_b32 v55, s2, 26
	v_mbcnt_lo_u32_b32 v1, -1, 0
	v_writelane_b32 v55, s3, 27
	s_xor_b64 s[2:3], s[2:3], -1
	v_mbcnt_hi_u32_b32 v1, -1, v1
	v_writelane_b32 v55, s2, 28
	s_waitcnt lgkmcnt(0)
	s_and_b32 s84, s0, 0xffff
	s_bfe_u32 s8, s0, 0xa0006
	v_cmp_gt_u32_e32 vcc, 64, v0
	v_cmp_gt_i32_e64 s[0:1], 4, v1
	v_writelane_b32 v55, s3, 29
	s_lshl_b32 s85, s84, 2
	s_and_b64 s[0:1], vcc, s[0:1]
	v_writelane_b32 v55, s0, 30
	s_cmpk_gt_u32 s60, 0x600
	v_writelane_b32 v55, s1, 31
	s_cselect_b64 s[0:1], -1, 0
	v_writelane_b32 v55, s0, 32
	s_cmp_gt_u32 s84, 63
	v_writelane_b32 v55, s1, 33
	s_cselect_b64 s[0:1], -1, 0
	v_writelane_b32 v55, s0, 34
	v_writelane_b32 v55, s1, 35
	s_add_i32 s0, s84, -1
	s_add_i32 s2, s0, s60
	s_cmp_lt_u32 s6, s12
	v_writelane_b32 v55, s0, 36
	s_cselect_b32 s0, 12, 18
	s_add_u32 s0, s10, s0
	s_addc_u32 s1, s11, 0
	v_writelane_b32 v55, s0, 37
	s_add_i32 s3, s8, -2
	v_writelane_b32 v55, s1, 38
	s_lshr_b32 s0, s3, 1
	s_add_i32 s4, s0, 1
	s_cmpk_gt_u32 s84, 0x7f
	s_cselect_b64 s[0:1], -1, 0
	v_writelane_b32 v55, s0, 39
	v_writelane_b32 v55, s1, 40
	;; [unrolled: 1-line block ×3, first 2 shown]
	s_load_dword s9, s[20:21], 0xe8
	v_mov_b32_e32 v11, 0
	v_mov_b32_e32 v13, v11
	;; [unrolled: 1-line block ×3, first 2 shown]
	v_writelane_b32 v55, s21, 42
	s_waitcnt lgkmcnt(0)
	v_mul_lo_u32 v12, v0, s9
	v_lshlrev_b64 v[2:3], 1, v[12:13]
	v_add_co_u32_e32 v8, vcc, s33, v2
	v_lshrrev_b32_e32 v2, 4, v0
	v_addc_co_u32_e32 v9, vcc, v17, v3, vcc
	v_cmp_gt_u32_e64 s[10:11], s60, v0
	v_and_b32_e32 v18, 60, v2
	v_lshlrev_b64 v[2:3], v1, -1
	v_writelane_b32 v55, s10, 43
	v_not_b32_e32 v6, v2
	v_cvt_f32_u32_e32 v2, s85
	v_writelane_b32 v55, s11, 44
	v_cmp_gt_u32_e64 s[10:11], 2, v0
	s_and_b32 s5, s8, 0x3fe
	s_and_b32 s6, s4, 7
	v_writelane_b32 v55, s10, 45
	s_cmp_gt_u32 s3, 13
	v_writelane_b32 v55, s11, 46
	s_cselect_b64 s[10:11], -1, 0
	v_writelane_b32 v55, s10, 47
	v_rcp_iflag_f32_e32 v2, v2
	v_writelane_b32 v55, s11, 48
	s_and_b32 s3, s4, -8
	v_writelane_b32 v55, s3, 49
	s_cmp_lg_u32 s6, 0
	v_writelane_b32 v55, s6, 50
	s_cselect_b64 s[10:11], -1, 0
	v_writelane_b32 v55, s10, 51
	v_mul_f32_e32 v2, 0x4f7ffffe, v2
	v_writelane_b32 v55, s11, 52
	v_cvt_u32_f32_e32 v2, v2
	v_writelane_b32 v55, s8, 53
	s_cmp_lg_u32 s5, s8
	v_writelane_b32 v55, s5, 54
	s_cselect_b64 s[4:5], -1, 0
	v_writelane_b32 v55, s4, 55
	v_writelane_b32 v55, s5, 56
	s_sub_i32 s3, 0, s85
	v_readfirstlane_b32 s4, v2
	s_mul_i32 s3, s3, s4
	s_mul_hi_u32 s3, s4, s3
	s_add_i32 s3, s4, s3
	v_cvt_f32_u32_e32 v2, s84
	v_writelane_b32 v55, s3, 57
	s_mul_hi_u32 s3, s60, s3
	s_mul_i32 s3, s3, s85
	s_sub_i32 s3, s60, s3
	s_sub_i32 s4, s3, s85
	v_rcp_iflag_f32_e32 v5, v2
	s_cmp_ge_u32 s3, s85
	s_cselect_b32 s3, s4, s3
	s_sub_i32 s4, s3, s85
	s_cmp_ge_u32 s3, s85
	v_mul_f32_e32 v5, 0x4f7ffffe, v5
	s_cselect_b32 s3, s4, s3
	v_cvt_u32_f32_e32 v5, v5
	v_lshlrev_b32_e32 v16, 2, v0
	s_sub_i32 s8, s60, s3
	v_cmp_gt_u32_e64 s[4:5], s8, v16
	v_writelane_b32 v55, s4, 58
	v_writelane_b32 v55, s5, 59
	s_sub_i32 s4, 0, s84
	v_readfirstlane_b32 s5, v5
	s_mul_i32 s4, s4, s5
	s_mul_hi_u32 s4, s5, s4
	s_add_i32 s4, s5, s4
	v_writelane_b32 v55, s4, 60
	s_mul_hi_u32 s4, s2, s4
	s_mul_i32 s4, s4, s84
	s_sub_i32 s4, s2, s4
	s_sub_i32 s5, s4, s84
	v_add_u32_e32 v21, s8, v0
	s_cmp_ge_u32 s4, s84
	v_mul_lo_u32 v10, v21, s9
	s_cselect_b32 s4, s5, s4
	v_not_b32_e32 v7, v3
	v_lshlrev_b64 v[2:3], 1, v[10:11]
	s_sub_i32 s5, s4, s84
	v_add_co_u32_e32 v14, vcc, s33, v2
	s_cmp_ge_u32 s4, s84
	v_mul_lo_u32 v2, s9, v16
	s_cselect_b32 s4, s5, s4
	v_add_u32_e32 v22, s9, v2
	v_or_b32_e32 v2, 2, v16
	s_sub_i32 s86, s2, s4
	v_mul_lo_u32 v23, s9, v2
	v_or_b32_e32 v2, 3, v16
	s_add_i32 s2, s84, s60
	v_mul_lo_u32 v24, s9, v2
	v_add_u32_e32 v2, s2, v0
	v_lshlrev_b32_e32 v19, 1, v0
	v_lshlrev_b32_e32 v4, 2, v1
	v_mov_b32_e32 v10, s7
	v_cmp_gt_u32_e64 s[4:5], s86, v0
	s_mul_i32 s6, s9, s84
	v_subrev_u32_e32 v2, s3, v2
	v_cmp_eq_u32_e64 s[0:1], 0, v1
	v_add_u32_e32 v20, 0xc00, v19
	v_and_b32_e32 v13, 0x100, v4
	v_cmp_gt_u32_e64 s[14:15], s60, v21
	v_addc_co_u32_e32 v15, vcc, v10, v3, vcc
	v_writelane_b32 v55, s4, 61
	s_lshl_b32 s87, s6, 2
	v_lshlrev_b32_e32 v25, 2, v12
	v_mul_lo_u32 v26, s9, v2
	v_lshlrev_b32_e32 v27, 3, v0
	s_lshl_b32 s12, s84, 3
	s_lshl_b32 s13, s84, 1
	v_or_b32_e32 v28, 0xc00, v4
	s_mov_b32 s80, 14
	s_mov_b64 s[74:75], 0
	v_mov_b32_e32 v37, s61
	s_movk_i32 s9, 0x3f80
	v_mov_b32_e32 v29, 0xffff
	v_mov_b32_e32 v30, 0x8000
	v_mov_b32_e32 v31, -1
	v_mov_b32_e32 v32, 0xc00
	v_mov_b32_e32 v33, 0x5040100
	;; [unrolled: 1-line block ×5, first 2 shown]
	s_mov_b32 s81, 0
	v_writelane_b32 v55, s5, 62
                                        ; implicit-def: $sgpr64_sgpr65
                                        ; implicit-def: $sgpr66_sgpr67
                                        ; implicit-def: $sgpr68_sgpr69
                                        ; implicit-def: $sgpr2_sgpr3
                                        ; implicit-def: $sgpr70_sgpr71
                                        ; implicit-def: $sgpr76_sgpr77
                                        ; implicit-def: $sgpr78_sgpr79
                                        ; implicit-def: $sgpr92_sgpr93
                                        ; implicit-def: $sgpr94_sgpr95
                                        ; implicit-def: $sgpr72_sgpr73
	s_branch .LBB114_6
.LBB114_4:                              ;   in Loop: Header=BB114_6 Depth=1
	s_or_b64 exec, exec, s[22:23]
	s_andn2_b64 s[4:5], s[72:73], exec
	s_and_b64 s[10:11], s[20:21], exec
	s_or_b64 s[72:73], s[4:5], s[10:11]
	s_andn2_b64 s[94:95], s[94:95], exec
	s_andn2_b64 s[92:93], s[92:93], exec
	s_andn2_b64 s[78:79], s[78:79], exec
	s_andn2_b64 s[76:77], s[76:77], exec
	s_orn2_b64 s[18:19], s[18:19], exec
	v_mov_b32_e32 v34, v3
	v_mov_b32_e32 v35, v2
	;; [unrolled: 1-line block ×4, first 2 shown]
.LBB114_5:                              ;   in Loop: Header=BB114_6 Depth=1
	s_or_b64 exec, exec, s[16:17]
	s_and_b64 s[4:5], exec, s[18:19]
	s_or_b64 s[74:75], s[4:5], s[74:75]
	s_andn2_b64 s[4:5], s[70:71], exec
	s_and_b64 s[10:11], s[72:73], exec
	s_or_b64 s[70:71], s[4:5], s[10:11]
	s_andn2_b64 s[2:3], s[2:3], exec
	s_and_b64 s[4:5], s[94:95], exec
	;; [unrolled: 3-line block ×5, first 2 shown]
	s_or_b64 s[64:65], s[4:5], s[10:11]
	s_andn2_b64 exec, exec, s[74:75]
	s_cbranch_execz .LBB114_407
.LBB114_6:                              ; =>This Loop Header: Depth=1
                                        ;     Child Loop BB114_11 Depth 2
                                        ;     Child Loop BB114_29 Depth 2
	;; [unrolled: 1-line block ×25, first 2 shown]
	ds_read_b64 v[2:3], v11 offset:4096
	s_waitcnt lgkmcnt(0)
	v_readfirstlane_b32 s4, v2
	s_cmp_lg_u32 s4, 0
	s_cbranch_scc1 .LBB114_36
; %bb.7:                                ;   in Loop: Header=BB114_6 Depth=1
	v_readlane_b32 s4, v55, 32
	v_readlane_b32 s5, v55, 33
	s_and_b64 vcc, exec, s[4:5]
	s_cbranch_vccz .LBB114_19
; %bb.8:                                ;   in Loop: Header=BB114_6 Depth=1
	s_movk_i32 s4, 0x601
	v_cmp_gt_u32_e32 vcc, s4, v3
	s_mov_b64 s[16:17], 0
	s_mov_b64 s[18:19], 0
	s_cbranch_vccz .LBB114_20
; %bb.9:                                ;   in Loop: Header=BB114_6 Depth=1
	v_readlane_b32 s4, v55, 37
	v_readlane_b32 s5, v55, 38
	s_nop 4
	global_load_ushort v2, v11, s[4:5]
	global_load_ushort v3, v[8:9], off
	v_readlane_b32 s4, v55, 41
	v_readlane_b32 s5, v55, 42
	s_load_dword s4, s[4:5], 0xe8
	s_mov_b64 s[22:23], 0
	s_waitcnt vmcnt(1)
	v_add_u32_e32 v5, v0, v2
	s_waitcnt lgkmcnt(0)
	v_mul_lo_u32 v4, s4, v2
	v_mul_lo_u32 v10, s4, v5
	v_mov_b32_e32 v5, v0
	s_branch .LBB114_11
.LBB114_10:                             ;   in Loop: Header=BB114_11 Depth=2
	s_or_b64 exec, exec, s[20:21]
	v_add_u32_e32 v10, v10, v4
	v_mov_b32_e32 v3, v38
	s_andn2_b64 exec, exec, s[22:23]
	s_cbranch_execz .LBB114_21
.LBB114_11:                             ;   Parent Loop BB114_6 Depth=1
                                        ; =>  This Inner Loop Header: Depth=2
	v_add_u32_e32 v5, v5, v2
	v_cmp_gt_u32_e64 s[18:19], s60, v5
	v_cmp_le_u32_e32 vcc, s60, v5
	s_waitcnt lgkmcnt(0)
	v_mov_b32_e32 v39, 0
	v_mov_b32_e32 v38, 0
	s_and_saveexec_b64 s[20:21], s[18:19]
	s_cbranch_execz .LBB114_13
; %bb.12:                               ;   in Loop: Header=BB114_11 Depth=2
	v_lshlrev_b64 v[40:41], 1, v[10:11]
	v_add_co_u32_e64 v40, s[18:19], s33, v40
	v_addc_co_u32_e64 v41, s[18:19], v17, v41, s[18:19]
	global_load_ushort v38, v[40:41], off
.LBB114_13:                             ;   in Loop: Header=BB114_11 Depth=2
	s_or_b64 exec, exec, s[20:21]
	s_waitcnt vmcnt(0)
	v_cmp_lt_i16_e64 s[18:19], -1, v3
	v_cndmask_b32_e64 v40, v29, v30, s[18:19]
	v_lshlrev_b32_e32 v41, 16, v3
	v_xor_b32_sdwa v40, v40, v3 dst_sel:DWORD dst_unused:UNUSED_PAD src0_sel:DWORD src1_sel:WORD_0
	v_cmp_o_f32_e64 s[18:19], v41, v41
	v_cndmask_b32_e64 v40, v29, v40, s[18:19]
	v_and_b32_e32 v40, v40, v34
	v_cmp_eq_u32_e64 s[18:19], v40, v35
	s_cmp_lg_u64 s[18:19], 0
	s_cselect_b64 s[4:5], -1, 0
	s_and_b64 s[4:5], s[0:1], s[4:5]
	s_and_saveexec_b64 s[24:25], s[4:5]
	s_cbranch_execz .LBB114_17
; %bb.14:                               ;   in Loop: Header=BB114_11 Depth=2
	s_mov_b64 s[28:29], exec
	v_mbcnt_lo_u32_b32 v39, s28, 0
	v_mbcnt_hi_u32_b32 v39, s29, v39
	s_bcnt1_i32_b64 s4, s[18:19]
	v_cmp_eq_u32_e64 s[20:21], 0, v39
                                        ; implicit-def: $vgpr40
	s_and_saveexec_b64 s[26:27], s[20:21]
	s_cbranch_execz .LBB114_16
; %bb.15:                               ;   in Loop: Header=BB114_11 Depth=2
	s_bcnt1_i32_b64 s5, s[28:29]
	s_mul_i32 s5, s4, s5
	v_mov_b32_e32 v40, s5
	ds_add_rtn_u32 v40, v11, v40 offset:4104
.LBB114_16:                             ;   in Loop: Header=BB114_11 Depth=2
	s_or_b64 exec, exec, s[26:27]
	s_waitcnt lgkmcnt(0)
	v_readfirstlane_b32 s5, v40
	v_mov_b32_e32 v40, s5
	v_mad_u32_u24 v39, s4, v39, v40
.LBB114_17:                             ;   in Loop: Header=BB114_11 Depth=2
	s_or_b64 exec, exec, s[24:25]
	ds_bpermute_b32 v39, v13, v39
	s_and_b64 s[4:5], exec, vcc
	s_or_b64 s[22:23], s[4:5], s[22:23]
	s_and_saveexec_b64 s[20:21], s[18:19]
	s_cbranch_execz .LBB114_10
; %bb.18:                               ;   in Loop: Header=BB114_11 Depth=2
	v_and_b32_e32 v41, s18, v6
	v_and_b32_e32 v40, s19, v7
	v_bcnt_u32_b32 v41, v41, 0
	v_bcnt_u32_b32 v40, v40, v41
	v_lshlrev_b32_e32 v40, 1, v40
	s_waitcnt lgkmcnt(0)
	v_lshl_add_u32 v39, v39, 1, v40
	ds_write_b16 v39, v3
	s_branch .LBB114_10
.LBB114_19:                             ;   in Loop: Header=BB114_6 Depth=1
	s_mov_b64 s[18:19], 0
                                        ; implicit-def: $sgpr4
	s_cbranch_execnz .LBB114_24
	s_branch .LBB114_34
.LBB114_20:                             ;   in Loop: Header=BB114_6 Depth=1
	s_mov_b32 s4, 0
	s_and_b64 vcc, exec, s[16:17]
	s_cbranch_vccnz .LBB114_24
	s_branch .LBB114_34
.LBB114_21:                             ;   in Loop: Header=BB114_6 Depth=1
	s_or_b64 exec, exec, s[22:23]
	s_waitcnt lgkmcnt(0)
	s_barrier
	s_mov_b64 s[18:19], exec
	v_readlane_b32 s4, v55, 21
	v_readlane_b32 s5, v55, 22
	s_and_b64 s[4:5], s[18:19], s[4:5]
	s_mov_b64 exec, s[4:5]
	s_cbranch_execz .LBB114_23
; %bb.22:                               ;   in Loop: Header=BB114_6 Depth=1
	ds_read_b32 v2, v11 offset:4104
	s_waitcnt lgkmcnt(0)
	ds_write_b32 v11, v2 offset:4096
.LBB114_23:                             ;   in Loop: Header=BB114_6 Depth=1
	s_or_b64 exec, exec, s[18:19]
	s_waitcnt lgkmcnt(0)
	s_barrier
	s_mov_b64 s[18:19], -1
	s_mov_b32 s4, 0
	s_and_b64 vcc, exec, s[16:17]
	s_cbranch_vccz .LBB114_34
.LBB114_24:                             ;   in Loop: Header=BB114_6 Depth=1
	v_mov_b32_e32 v2, 0
	s_mov_b64 s[16:17], exec
	v_readlane_b32 s4, v55, 43
	v_readlane_b32 s5, v55, 44
	s_and_b64 s[4:5], s[16:17], s[4:5]
	s_mov_b64 exec, s[4:5]
	s_cbranch_execz .LBB114_26
; %bb.25:                               ;   in Loop: Header=BB114_6 Depth=1
	global_load_ushort v2, v[8:9], off
.LBB114_26:                             ;   in Loop: Header=BB114_6 Depth=1
	s_or_b64 exec, exec, s[16:17]
	s_mov_b64 s[16:17], exec
	v_readlane_b32 s4, v55, 43
	v_readlane_b32 s5, v55, 44
	s_and_b64 s[4:5], s[16:17], s[4:5]
	s_mov_b64 exec, s[4:5]
	s_cbranch_execz .LBB114_31
; %bb.27:                               ;   in Loop: Header=BB114_6 Depth=1
	v_readlane_b32 s4, v55, 37
	v_readlane_b32 s5, v55, 38
	s_mov_b64 s[20:21], 0
	v_mov_b32_e32 v4, v19
	v_mov_b32_e32 v39, v0
	s_nop 1
	global_load_ushort v3, v11, s[4:5]
	v_readlane_b32 s4, v55, 41
	v_readlane_b32 s5, v55, 42
	s_load_dword s4, s[4:5], 0xe8
	s_waitcnt vmcnt(0)
	v_add_u32_e32 v10, v0, v3
	v_lshlrev_b32_e32 v5, 1, v3
	s_waitcnt lgkmcnt(0)
	v_mul_lo_u32 v38, s4, v3
	v_mul_lo_u32 v10, s4, v10
	s_branch .LBB114_29
.LBB114_28:                             ;   in Loop: Header=BB114_29 Depth=2
	s_or_b64 exec, exec, s[22:23]
	s_and_b64 s[4:5], exec, vcc
	s_or_b64 s[20:21], s[4:5], s[20:21]
	ds_write_b16 v4, v2
	v_add_u32_e32 v4, v4, v5
	v_add_u32_e32 v10, v10, v38
	s_waitcnt vmcnt(0)
	v_mov_b32_e32 v2, v40
	s_andn2_b64 exec, exec, s[20:21]
	s_cbranch_execz .LBB114_31
.LBB114_29:                             ;   Parent Loop BB114_6 Depth=1
                                        ; =>  This Inner Loop Header: Depth=2
	v_add_u32_e32 v39, v39, v3
	v_cmp_gt_u32_e64 s[18:19], s60, v39
	v_cmp_le_u32_e32 vcc, s60, v39
	v_mov_b32_e32 v40, 0
	s_and_saveexec_b64 s[22:23], s[18:19]
	s_cbranch_execz .LBB114_28
; %bb.30:                               ;   in Loop: Header=BB114_29 Depth=2
	v_lshlrev_b64 v[40:41], 1, v[10:11]
	v_mov_b32_e32 v42, s7
	v_add_co_u32_e64 v40, s[18:19], s33, v40
	v_addc_co_u32_e64 v41, s[18:19], v42, v41, s[18:19]
	global_load_ushort v40, v[40:41], off
	s_branch .LBB114_28
.LBB114_31:                             ;   in Loop: Header=BB114_6 Depth=1
	s_or_b64 exec, exec, s[16:17]
	s_waitcnt lgkmcnt(0)
	s_barrier
	s_mov_b64 s[16:17], exec
	v_readlane_b32 s4, v55, 21
	v_readlane_b32 s5, v55, 22
	s_and_b64 s[4:5], s[16:17], s[4:5]
	s_mov_b64 exec, s[4:5]
	s_cbranch_execz .LBB114_33
; %bb.32:                               ;   in Loop: Header=BB114_6 Depth=1
	s_waitcnt vmcnt(0)
	v_mov_b32_e32 v2, s60
	ds_write_b32 v11, v2 offset:4096
.LBB114_33:                             ;   in Loop: Header=BB114_6 Depth=1
	s_or_b64 exec, exec, s[16:17]
	s_mov_b64 s[18:19], -1
	s_waitcnt lgkmcnt(0)
	s_barrier
                                        ; implicit-def: $sgpr4
.LBB114_34:                             ;   in Loop: Header=BB114_6 Depth=1
	s_and_b64 vcc, exec, s[18:19]
	s_cbranch_vccz .LBB114_36
; %bb.35:                               ;   in Loop: Header=BB114_6 Depth=1
	s_waitcnt vmcnt(0)
	ds_read_b32 v2, v11 offset:4096
	s_waitcnt lgkmcnt(0)
	v_readfirstlane_b32 s4, v2
.LBB114_36:                             ;   in Loop: Header=BB114_6 Depth=1
	s_cmp_lt_i32 s4, 1
	s_cbranch_scc0 .LBB114_48
; %bb.37:                               ;   in Loop: Header=BB114_6 Depth=1
	s_waitcnt vmcnt(0)
	v_mov_b32_e32 v2, 0
	s_mov_b32 s5, 0
	v_mov_b32_e32 v3, 0
	v_mov_b32_e32 v4, v2
	;; [unrolled: 1-line block ×3, first 2 shown]
	s_mov_b64 s[48:49], exec
	v_readlane_b32 s10, v55, 58
	v_readlane_b32 s11, v55, 59
	s_and_b64 s[10:11], s[48:49], s[10:11]
	s_mov_b64 exec, s[10:11]
	s_cbranch_execz .LBB114_41
; %bb.38:                               ;   in Loop: Header=BB114_6 Depth=1
	s_and_b32 s10, s80, 0xfe
	s_mov_b64 s[50:51], 0
	s_mov_b32 s11, 0
	s_mov_b32 s16, 0
	;; [unrolled: 1-line block ×4, first 2 shown]
	v_mov_b32_e32 v38, v16
.LBB114_39:                             ;   Parent Loop BB114_6 Depth=1
                                        ; =>  This Inner Loop Header: Depth=2
	v_add_u32_e32 v10, s5, v25
	v_lshlrev_b64 v[2:3], 1, v[10:11]
	v_mov_b32_e32 v39, s7
	v_add_u32_e32 v10, s5, v22
	v_add_co_u32_e64 v2, s[18:19], s33, v2
	v_lshlrev_b64 v[4:5], 1, v[10:11]
	v_addc_co_u32_e64 v3, s[18:19], v39, v3, s[18:19]
	v_add_u32_e32 v10, s5, v23
	global_load_ushort v42, v[2:3], off
	v_add_co_u32_e64 v2, s[18:19], s33, v4
	v_lshlrev_b64 v[40:41], 1, v[10:11]
	v_add_u32_e32 v10, s5, v24
	v_addc_co_u32_e64 v3, s[18:19], v39, v5, s[18:19]
	v_lshlrev_b64 v[4:5], 1, v[10:11]
	global_load_ushort v10, v[2:3], off
	v_add_co_u32_e64 v2, s[18:19], s33, v40
	v_addc_co_u32_e64 v3, s[18:19], v39, v41, s[18:19]
	global_load_ushort v40, v[2:3], off
	v_add_co_u32_e64 v2, s[18:19], s33, v4
	v_addc_co_u32_e64 v3, s[18:19], v39, v5, s[18:19]
	global_load_ushort v2, v[2:3], off
	v_add_u32_e32 v38, s85, v38
	v_cmp_le_u32_e32 vcc, s8, v38
	s_add_i32 s5, s5, s87
	s_waitcnt vmcnt(3)
	v_cmp_lt_i16_e64 s[18:19], -1, v42
	v_lshlrev_b32_e32 v3, 16, v42
	v_cndmask_b32_e64 v4, v29, v30, s[18:19]
	v_xor_b32_sdwa v4, v4, v42 dst_sel:DWORD dst_unused:UNUSED_PAD src0_sel:DWORD src1_sel:WORD_0
	s_waitcnt vmcnt(2)
	v_cmp_lt_i16_e64 s[18:19], -1, v10
	v_cndmask_b32_e64 v39, v29, v30, s[18:19]
	v_cmp_o_f32_e64 s[18:19], v3, v3
	v_lshlrev_b32_e32 v5, 16, v10
	v_cndmask_b32_e64 v4, v29, v4, s[18:19]
	s_waitcnt vmcnt(1)
	v_cmp_lt_i16_e64 s[18:19], -1, v40
	v_xor_b32_sdwa v10, v39, v10 dst_sel:DWORD dst_unused:UNUSED_PAD src0_sel:DWORD src1_sel:WORD_0
	v_cndmask_b32_e64 v39, v29, v30, s[18:19]
	v_cmp_o_f32_e64 s[18:19], v5, v5
	v_lshlrev_b32_e32 v3, 16, v40
	v_cndmask_b32_e64 v10, v29, v10, s[18:19]
	s_waitcnt vmcnt(0)
	v_cmp_lt_i16_e64 s[18:19], -1, v2
	v_xor_b32_sdwa v39, v39, v40 dst_sel:DWORD dst_unused:UNUSED_PAD src0_sel:DWORD src1_sel:WORD_0
	v_cndmask_b32_e64 v40, v29, v30, s[18:19]
	v_and_b32_e32 v41, v4, v34
	v_bfe_u32 v4, v4, s10, 2
	v_cmp_o_f32_e64 s[18:19], v3, v3
	v_cndmask_b32_e64 v3, v29, v39, s[18:19]
	v_cmp_eq_u32_e64 s[18:19], v41, v35
	v_cmp_eq_u32_e64 s[20:21], 0, v4
	v_lshlrev_b32_e32 v5, 16, v2
	v_cmp_eq_u32_e64 s[22:23], 1, v4
	s_and_b64 s[20:21], s[18:19], s[20:21]
	v_xor_b32_sdwa v2, v40, v2 dst_sel:DWORD dst_unused:UNUSED_PAD src0_sel:DWORD src1_sel:WORD_0
	v_and_b32_e32 v39, v10, v34
	v_bfe_u32 v10, v10, s10, 2
	v_cmp_eq_u32_e64 s[24:25], 2, v4
	v_cmp_eq_u32_e64 s[26:27], 3, v4
	v_cmp_o_f32_e64 s[28:29], v5, v5
	v_cndmask_b32_e64 v5, 0, 1, s[20:21]
	s_and_b64 s[20:21], s[18:19], s[22:23]
	v_cndmask_b32_e64 v2, v29, v2, s[28:29]
	v_cmp_eq_u32_e64 s[28:29], v39, v35
	v_and_b32_e32 v4, v3, v34
	v_bfe_u32 v3, v3, s10, 2
	v_cmp_eq_u32_e64 s[30:31], 0, v10
	v_cmp_eq_u32_e64 s[34:35], 1, v10
	;; [unrolled: 1-line block ×4, first 2 shown]
	v_cndmask_b32_e64 v10, 0, 1, s[20:21]
	s_and_b64 s[20:21], s[18:19], s[24:25]
	s_and_b64 s[18:19], s[18:19], s[26:27]
	v_cndmask_b32_e64 v39, 0, 1, s[20:21]
	v_cndmask_b32_e64 v40, 0, 1, s[18:19]
	v_cmp_eq_u32_e64 s[18:19], v4, v35
	v_and_b32_e32 v4, v2, v34
	v_bfe_u32 v2, v2, s10, 2
	v_cmp_eq_u32_e64 s[20:21], 0, v3
	s_and_b64 s[30:31], s[28:29], s[30:31]
	s_and_b64 s[34:35], s[28:29], s[34:35]
	;; [unrolled: 1-line block ×4, first 2 shown]
	v_cmp_eq_u32_e64 s[22:23], 1, v3
	v_cmp_eq_u32_e64 s[24:25], 2, v3
	;; [unrolled: 1-line block ×3, first 2 shown]
	v_cmp_ne_u32_e64 s[40:41], 0, v5
	v_cndmask_b32_e64 v5, 0, 1, s[34:35]
	v_cmp_ne_u32_e64 s[34:35], 0, v39
	v_cndmask_b32_e64 v39, 0, 1, s[28:29]
	v_cmp_eq_u32_e64 s[28:29], v4, v35
	v_cmp_eq_u32_e64 s[38:39], 0, v2
	s_and_b64 s[20:21], s[18:19], s[20:21]
	v_cndmask_b32_e64 v3, 0, 1, s[30:31]
	v_cmp_eq_u32_e64 s[42:43], 1, v2
	v_cmp_eq_u32_e64 s[44:45], 2, v2
	v_cmp_eq_u32_e64 s[46:47], 3, v2
	v_cndmask_b32_e64 v2, 0, 1, s[20:21]
	s_and_b64 s[22:23], s[18:19], s[22:23]
	s_and_b64 s[24:25], s[18:19], s[24:25]
	;; [unrolled: 1-line block ×4, first 2 shown]
	v_cmp_ne_u32_e64 s[30:31], 0, v10
	v_cndmask_b32_e64 v10, 0, 1, s[36:37]
	v_cmp_ne_u32_e64 s[36:37], 0, v40
	s_bcnt1_i32_b64 s53, s[40:41]
	v_cmp_ne_u32_e64 s[40:41], 0, v3
	v_cmp_ne_u32_e64 s[20:21], 0, v5
	v_cndmask_b32_e64 v3, 0, 1, s[22:23]
	v_cndmask_b32_e64 v5, 0, 1, s[18:19]
	v_cmp_ne_u32_e64 s[18:19], 0, v2
	v_cndmask_b32_e64 v2, 0, 1, s[26:27]
	s_and_b64 s[26:27], s[28:29], s[42:43]
	s_bcnt1_i32_b64 s30, s[30:31]
	s_bcnt1_i32_b64 s31, s[34:35]
	v_cmp_ne_u32_e64 s[22:23], 0, v10
	v_cndmask_b32_e64 v4, 0, 1, s[24:25]
	s_bcnt1_i32_b64 s34, s[36:37]
	s_bcnt1_i32_b64 s37, s[20:21]
	v_cmp_ne_u32_e64 s[20:21], 0, v3
	v_cndmask_b32_e64 v3, 0, 1, s[26:27]
	s_and_b64 s[26:27], s[28:29], s[44:45]
	v_cmp_ne_u32_e64 s[24:25], 0, v39
	s_add_i32 s30, s17, s30
	s_bcnt1_i32_b64 s38, s[22:23]
	v_cmp_ne_u32_e64 s[22:23], 0, v4
	v_cndmask_b32_e64 v4, 0, 1, s[26:27]
	s_add_i32 s26, s16, s31
	s_and_b64 s[16:17], s[28:29], s[46:47]
	s_bcnt1_i32_b64 s35, s[40:41]
	s_add_i32 s36, s52, s53
	s_bcnt1_i32_b64 s27, s[24:25]
	v_cmp_ne_u32_e64 s[24:25], 0, v5
	v_cndmask_b32_e64 v5, 0, 1, s[16:17]
	s_add_i32 s11, s11, s34
	s_bcnt1_i32_b64 s16, s[18:19]
	v_cmp_ne_u32_e64 s[18:19], 0, v2
	s_add_i32 s17, s36, s35
	s_bcnt1_i32_b64 s28, s[20:21]
	v_cmp_ne_u32_e64 s[20:21], 0, v3
	;; [unrolled: 3-line block ×4, first 2 shown]
	s_add_i32 s11, s11, s27
	s_bcnt1_i32_b64 s18, s[18:19]
	s_add_i32 s16, s17, s16
	s_bcnt1_i32_b64 s17, s[20:21]
	;; [unrolled: 2-line block ×4, first 2 shown]
	s_add_i32 s11, s11, s31
	s_add_i32 s52, s16, s18
	s_add_i32 s17, s19, s17
	s_add_i32 s16, s21, s20
	s_add_i32 s11, s11, s22
	s_or_b64 s[50:51], vcc, s[50:51]
	v_mov_b32_e32 v2, s52
	v_mov_b32_e32 v3, s17
	;; [unrolled: 1-line block ×4, first 2 shown]
	s_andn2_b64 exec, exec, s[50:51]
	s_cbranch_execnz .LBB114_39
; %bb.40:                               ;   in Loop: Header=BB114_6 Depth=1
	s_or_b64 exec, exec, s[50:51]
.LBB114_41:                             ;   in Loop: Header=BB114_6 Depth=1
	s_or_b64 exec, exec, s[48:49]
	v_mov_b32_e32 v38, 0
	s_and_saveexec_b64 s[16:17], s[14:15]
	s_cbranch_execz .LBB114_43
; %bb.42:                               ;   in Loop: Header=BB114_6 Depth=1
	global_load_ushort v38, v[14:15], off
.LBB114_43:                             ;   in Loop: Header=BB114_6 Depth=1
	s_or_b64 exec, exec, s[16:17]
	s_mov_b64 s[16:17], 0
	s_mov_b64 s[88:89], 0
	s_and_saveexec_b64 s[20:21], s[14:15]
	s_cbranch_execz .LBB114_50
; %bb.44:                               ;   in Loop: Header=BB114_6 Depth=1
	s_and_b32 s5, s80, 0xfe
	s_mov_b64 s[22:23], 0
	v_mov_b32_e32 v10, v26
	v_mov_b32_e32 v39, v21
	s_branch .LBB114_46
.LBB114_45:                             ;   in Loop: Header=BB114_46 Depth=2
	s_or_b64 exec, exec, s[24:25]
	s_and_b64 s[10:11], exec, vcc
	s_waitcnt vmcnt(0)
	v_cmp_lt_i16_e32 vcc, -1, v38
	v_cndmask_b32_e32 v41, v29, v30, vcc
	v_lshlrev_b32_e32 v42, 16, v38
	v_xor_b32_sdwa v38, v41, v38 dst_sel:DWORD dst_unused:UNUSED_PAD src0_sel:DWORD src1_sel:WORD_0
	v_cmp_o_f32_e32 vcc, v42, v42
	v_cndmask_b32_e32 v38, v29, v38, vcc
	v_and_b32_e32 v41, v38, v34
	v_bfe_u32 v38, v38, s5, 2
	s_or_b64 s[22:23], s[10:11], s[22:23]
	v_cmp_eq_u32_e32 vcc, v41, v35
	v_cmp_eq_u32_e64 s[18:19], 0, v38
	s_and_b64 s[10:11], vcc, s[18:19]
	v_cndmask_b32_e64 v41, 0, 1, s[10:11]
	v_cmp_ne_u32_e64 s[18:19], 0, v41
	s_bcnt1_i32_b64 s10, s[18:19]
	v_cmp_eq_u32_e64 s[18:19], 1, v38
	v_add_u32_e32 v2, s10, v2
	s_and_b64 s[10:11], vcc, s[18:19]
	v_cndmask_b32_e64 v41, 0, 1, s[10:11]
	v_cmp_ne_u32_e64 s[18:19], 0, v41
	s_bcnt1_i32_b64 s10, s[18:19]
	v_cmp_eq_u32_e64 s[18:19], 2, v38
	v_add_u32_e32 v3, s10, v3
	;; [unrolled: 6-line block ×3, first 2 shown]
	s_and_b64 s[10:11], vcc, s[18:19]
	v_cndmask_b32_e64 v38, 0, 1, s[10:11]
	v_cmp_ne_u32_e32 vcc, 0, v38
	s_bcnt1_i32_b64 s10, vcc
	v_add_u32_e32 v5, s10, v5
	v_add_u32_e32 v10, s6, v10
	v_mov_b32_e32 v38, v40
	s_andn2_b64 exec, exec, s[22:23]
	s_cbranch_execz .LBB114_49
.LBB114_46:                             ;   Parent Loop BB114_6 Depth=1
                                        ; =>  This Inner Loop Header: Depth=2
	v_add_u32_e32 v39, s84, v39
	v_cmp_gt_u32_e64 s[18:19], s60, v39
	v_cmp_le_u32_e32 vcc, s60, v39
	v_mov_b32_e32 v40, 0
	s_and_saveexec_b64 s[24:25], s[18:19]
	s_cbranch_execz .LBB114_45
; %bb.47:                               ;   in Loop: Header=BB114_46 Depth=2
	v_lshlrev_b64 v[40:41], 1, v[10:11]
	v_mov_b32_e32 v42, s7
	v_add_co_u32_e64 v40, s[18:19], s33, v40
	v_addc_co_u32_e64 v41, s[18:19], v42, v41, s[18:19]
	global_load_ushort v40, v[40:41], off
	s_branch .LBB114_45
.LBB114_48:                             ;   in Loop: Header=BB114_6 Depth=1
	s_mov_b64 s[88:89], 0
                                        ; implicit-def: $vgpr5
	s_cbranch_execnz .LBB114_51
	s_branch .LBB114_60
.LBB114_49:                             ;   in Loop: Header=BB114_6 Depth=1
	s_or_b64 exec, exec, s[22:23]
	s_mov_b64 s[88:89], exec
.LBB114_50:                             ;   in Loop: Header=BB114_6 Depth=1
	s_or_b64 exec, exec, s[20:21]
	s_and_b64 vcc, exec, s[16:17]
	s_cbranch_vccz .LBB114_60
.LBB114_51:                             ;   in Loop: Header=BB114_6 Depth=1
	v_readlane_b32 s5, v55, 57
	s_mul_hi_u32 s5, s4, s5
	s_mul_i32 s5, s5, s85
	s_sub_i32 s5, s4, s5
	s_sub_i32 s10, s5, s85
	s_cmp_ge_u32 s5, s85
	s_cselect_b32 s5, s10, s5
	s_sub_i32 s10, s5, s85
	s_cmp_ge_u32 s5, s85
	s_cselect_b32 s5, s10, s5
	s_sub_i32 s5, s4, s5
	v_cmp_gt_u32_e32 vcc, s5, v16
	s_mov_b32 s11, 0
	s_waitcnt vmcnt(0)
	v_mov_b32_e32 v2, 0
	v_mov_b32_e32 v3, 0
	v_mov_b32_e32 v4, 0
	v_mov_b32_e32 v5, 0
	s_and_saveexec_b64 s[90:91], vcc
	s_cbranch_execz .LBB114_55
; %bb.52:                               ;   in Loop: Header=BB114_6 Depth=1
	s_and_b32 s10, s80, 0xfe
	s_mov_b64 s[16:17], 0
	v_mov_b32_e32 v10, v27
	s_mov_b32 s62, 0
	s_mov_b32 s63, 0
	;; [unrolled: 1-line block ×3, first 2 shown]
	v_mov_b32_e32 v38, v16
.LBB114_53:                             ;   Parent Loop BB114_6 Depth=1
                                        ; =>  This Inner Loop Header: Depth=2
	ds_read_b64 v[2:3], v10
	v_add_u32_e32 v38, s85, v38
	v_cmp_le_u32_e32 vcc, s5, v38
	v_add_u32_e32 v10, s12, v10
	s_waitcnt lgkmcnt(0)
	v_cmp_lt_i16_e64 s[18:19], -1, v2
	v_cndmask_b32_e64 v41, v29, v30, s[18:19]
	v_cmp_gt_i16_sdwa s[18:19], v2, v31 src0_sel:WORD_1 src1_sel:DWORD
	v_lshlrev_b32_e32 v4, 16, v2
	v_cndmask_b32_e64 v42, v29, v30, s[18:19]
	v_cmp_lt_i16_e64 s[18:19], -1, v3
	v_and_b32_e32 v5, 0xffff0000, v2
	v_cndmask_b32_e64 v43, v29, v30, s[18:19]
	v_cmp_gt_i16_sdwa s[18:19], v3, v31 src0_sel:WORD_1 src1_sel:DWORD
	v_xor_b32_sdwa v42, v42, v2 dst_sel:DWORD dst_unused:UNUSED_PAD src0_sel:DWORD src1_sel:WORD_1
	v_xor_b32_sdwa v2, v41, v2 dst_sel:DWORD dst_unused:UNUSED_PAD src0_sel:DWORD src1_sel:WORD_0
	v_cmp_o_f32_e64 s[24:25], v4, v4
	v_lshlrev_b32_e32 v39, 16, v3
	v_cndmask_b32_e64 v44, v29, v30, s[18:19]
	v_cmp_o_f32_e64 s[18:19], v5, v5
	v_cndmask_b32_e64 v2, v29, v2, s[24:25]
	v_and_b32_e32 v40, 0xffff0000, v3
	v_xor_b32_sdwa v5, v43, v3 dst_sel:DWORD dst_unused:UNUSED_PAD src0_sel:DWORD src1_sel:WORD_0
	v_cmp_o_f32_e64 s[20:21], v39, v39
	v_cndmask_b32_e64 v4, v29, v42, s[18:19]
	v_and_b32_e32 v39, v2, v34
	v_bfe_u32 v2, v2, s10, 2
	v_xor_b32_sdwa v3, v44, v3 dst_sel:DWORD dst_unused:UNUSED_PAD src0_sel:DWORD src1_sel:WORD_1
	v_cmp_o_f32_e64 s[22:23], v40, v40
	v_cndmask_b32_e64 v5, v29, v5, s[20:21]
	v_and_b32_e32 v40, v4, v34
	v_bfe_u32 v4, v4, s10, 2
	v_cmp_eq_u32_e64 s[18:19], v39, v35
	v_cmp_eq_u32_e64 s[26:27], 0, v2
	v_cndmask_b32_e64 v3, v29, v3, s[22:23]
	v_and_b32_e32 v41, v5, v34
	v_bfe_u32 v5, v5, s10, 2
	v_cmp_eq_u32_e64 s[20:21], v40, v35
	v_cmp_eq_u32_e64 s[28:29], 0, v4
	s_and_b64 s[26:27], s[18:19], s[26:27]
	v_and_b32_e32 v42, v3, v34
	v_bfe_u32 v3, v3, s10, 2
	v_cmp_eq_u32_e64 s[22:23], v41, v35
	v_cmp_eq_u32_e64 s[30:31], 0, v5
	;; [unrolled: 1-line block ×5, first 2 shown]
	v_cndmask_b32_e64 v2, 0, 1, s[26:27]
	s_and_b64 s[26:27], s[20:21], s[28:29]
	v_cmp_eq_u32_e64 s[24:25], v42, v35
	v_cmp_eq_u32_e64 s[34:35], 0, v3
	;; [unrolled: 1-line block ×5, first 2 shown]
	v_cndmask_b32_e64 v3, 0, 1, s[26:27]
	s_and_b64 s[26:27], s[22:23], s[30:31]
	v_cmp_eq_u32_e64 s[38:39], 1, v4
	v_cmp_eq_u32_e64 s[46:47], 2, v4
	;; [unrolled: 1-line block ×3, first 2 shown]
	v_cndmask_b32_e64 v4, 0, 1, s[26:27]
	s_and_b64 s[26:27], s[24:25], s[34:35]
	v_cmp_eq_u32_e64 s[40:41], 1, v5
	v_cmp_eq_u32_e64 s[48:49], 2, v5
	;; [unrolled: 1-line block ×3, first 2 shown]
	v_cndmask_b32_e64 v5, 0, 1, s[26:27]
	s_and_b64 s[26:27], s[18:19], s[36:37]
	v_cndmask_b32_e64 v39, 0, 1, s[26:27]
	s_and_b64 s[26:27], s[20:21], s[38:39]
	;; [unrolled: 2-line block ×5, first 2 shown]
	s_and_b64 s[18:19], s[18:19], s[52:53]
	v_cndmask_b32_e64 v43, 0, 1, s[26:27]
	s_and_b64 s[26:27], s[20:21], s[46:47]
	v_cndmask_b32_e64 v47, 0, 1, s[18:19]
	;; [unrolled: 2-line block ×7, first 2 shown]
	v_cndmask_b32_e64 v50, 0, 1, s[18:19]
	v_cmp_ne_u32_e64 s[18:19], 0, v2
	v_cmp_ne_u32_e64 s[20:21], 0, v3
	;; [unrolled: 1-line block ×11, first 2 shown]
	s_bcnt1_i32_b64 s18, s[18:19]
	s_bcnt1_i32_b64 s19, s[20:21]
	s_bcnt1_i32_b64 s20, s[22:23]
	s_bcnt1_i32_b64 s21, s[24:25]
	s_bcnt1_i32_b64 s22, s[26:27]
	s_bcnt1_i32_b64 s24, s[30:31]
	s_bcnt1_i32_b64 s26, s[36:37]
	s_bcnt1_i32_b64 s30, s[44:45]
	v_cmp_ne_u32_e64 s[34:35], 0, v42
	v_cmp_ne_u32_e64 s[40:41], 0, v45
	;; [unrolled: 1-line block ×3, first 2 shown]
	s_bcnt1_i32_b64 s23, s[28:29]
	s_bcnt1_i32_b64 s27, s[38:39]
	;; [unrolled: 1-line block ×3, first 2 shown]
	s_add_i32 s18, s82, s18
	s_add_i32 s22, s63, s22
	;; [unrolled: 1-line block ×4, first 2 shown]
	v_cmp_ne_u32_e64 s[42:43], 0, v46
	v_cmp_ne_u32_e64 s[50:51], 0, v50
	s_bcnt1_i32_b64 s25, s[34:35]
	s_bcnt1_i32_b64 s28, s[40:41]
	s_bcnt1_i32_b64 s34, s[48:49]
	s_add_i32 s18, s18, s19
	s_add_i32 s19, s22, s23
	;; [unrolled: 1-line block ×4, first 2 shown]
	s_bcnt1_i32_b64 s29, s[42:43]
	s_bcnt1_i32_b64 s35, s[50:51]
	s_add_i32 s18, s18, s20
	s_add_i32 s19, s19, s24
	;; [unrolled: 1-line block ×8, first 2 shown]
	s_or_b64 s[16:17], vcc, s[16:17]
	v_mov_b32_e32 v2, s82
	v_mov_b32_e32 v3, s63
	v_mov_b32_e32 v4, s62
	v_mov_b32_e32 v5, s11
	s_andn2_b64 exec, exec, s[16:17]
	s_cbranch_execnz .LBB114_53
; %bb.54:                               ;   in Loop: Header=BB114_6 Depth=1
	s_or_b64 exec, exec, s[16:17]
.LBB114_55:                             ;   in Loop: Header=BB114_6 Depth=1
	s_or_b64 exec, exec, s[90:91]
	v_add_u32_e32 v10, s5, v0
	v_cmp_gt_u32_e32 vcc, s4, v10
	s_and_saveexec_b64 s[16:17], vcc
	s_cbranch_execz .LBB114_59
; %bb.56:                               ;   in Loop: Header=BB114_6 Depth=1
	s_and_b32 s5, s80, 0xfe
	v_lshlrev_b32_e32 v38, 1, v10
	s_mov_b64 s[28:29], 0
.LBB114_57:                             ;   Parent Loop BB114_6 Depth=1
                                        ; =>  This Inner Loop Header: Depth=2
	ds_read_u16 v39, v38
	v_add_u32_e32 v10, s84, v10
	v_cmp_le_u32_e32 vcc, s4, v10
	v_add_u32_e32 v38, s13, v38
	s_waitcnt lgkmcnt(0)
	v_cmp_lt_i16_e64 s[18:19], -1, v39
	v_lshlrev_b32_e32 v40, 16, v39
	v_cndmask_b32_e64 v41, v29, v30, s[18:19]
	v_xor_b32_sdwa v39, v41, v39 dst_sel:DWORD dst_unused:UNUSED_PAD src0_sel:DWORD src1_sel:WORD_0
	v_cmp_o_f32_e64 s[18:19], v40, v40
	v_cndmask_b32_e64 v39, v29, v39, s[18:19]
	v_and_b32_e32 v40, v39, v34
	v_bfe_u32 v39, v39, s5, 2
	v_cmp_eq_u32_e64 s[18:19], v40, v35
	v_cmp_eq_u32_e64 s[20:21], 0, v39
	;; [unrolled: 1-line block ×3, first 2 shown]
	s_and_b64 s[10:11], s[18:19], s[20:21]
	v_cmp_eq_u32_e64 s[24:25], 2, v39
	v_cmp_eq_u32_e64 s[26:27], 3, v39
	v_cndmask_b32_e64 v39, 0, 1, s[10:11]
	s_and_b64 s[10:11], s[18:19], s[22:23]
	v_cndmask_b32_e64 v40, 0, 1, s[10:11]
	s_and_b64 s[10:11], s[18:19], s[24:25]
	;; [unrolled: 2-line block ×3, first 2 shown]
	v_cndmask_b32_e64 v42, 0, 1, s[10:11]
	v_cmp_ne_u32_e64 s[18:19], 0, v39
	v_cmp_ne_u32_e64 s[20:21], 0, v40
	;; [unrolled: 1-line block ×4, first 2 shown]
	s_bcnt1_i32_b64 s10, s[18:19]
	s_bcnt1_i32_b64 s11, s[20:21]
	s_bcnt1_i32_b64 s18, s[22:23]
	s_bcnt1_i32_b64 s19, s[24:25]
	v_add_u32_e32 v2, s10, v2
	v_add_u32_e32 v3, s11, v3
	;; [unrolled: 1-line block ×3, first 2 shown]
	s_or_b64 s[28:29], vcc, s[28:29]
	v_add_u32_e32 v5, s19, v5
	s_andn2_b64 exec, exec, s[28:29]
	s_cbranch_execnz .LBB114_57
; %bb.58:                               ;   in Loop: Header=BB114_6 Depth=1
	s_or_b64 exec, exec, s[28:29]
	s_or_b64 s[88:89], s[88:89], exec
.LBB114_59:                             ;   in Loop: Header=BB114_6 Depth=1
	s_or_b64 exec, exec, s[16:17]
.LBB114_60:                             ;   in Loop: Header=BB114_6 Depth=1
	s_and_saveexec_b64 s[16:17], s[88:89]
	s_or_b64 exec, exec, s[16:17]
	s_lshl_b32 s4, s81, 6
	s_and_saveexec_b64 s[16:17], s[0:1]
	s_cbranch_execz .LBB114_62
; %bb.61:                               ;   in Loop: Header=BB114_6 Depth=1
	v_or_b32_e32 v10, s4, v18
	v_lshlrev_b32_e32 v10, 2, v10
	s_waitcnt vmcnt(0)
	ds_write_b128 v10, v[2:5] offset:3072
.LBB114_62:                             ;   in Loop: Header=BB114_6 Depth=1
	s_or_b64 exec, exec, s[16:17]
	s_waitcnt lgkmcnt(0)
	s_barrier
	s_mov_b64 s[16:17], exec
	v_readlane_b32 s10, v55, 30
	v_readlane_b32 s11, v55, 31
	s_and_b64 s[10:11], s[16:17], s[10:11]
	s_mov_b64 exec, s[10:11]
	s_cbranch_execz .LBB114_76
; %bb.63:                               ;   in Loop: Header=BB114_6 Depth=1
	v_readlane_b32 s10, v55, 34
	v_readlane_b32 s11, v55, 35
	v_add_u32_e32 v4, s4, v1
	s_andn2_b64 vcc, exec, s[10:11]
	s_waitcnt vmcnt(0)
	v_mov_b32_e32 v2, 0
	s_cbranch_vccnz .LBB114_75
; %bb.64:                               ;   in Loop: Header=BB114_6 Depth=1
	v_readlane_b32 s10, v55, 39
	v_readlane_b32 s11, v55, 40
	s_mov_b32 s5, 0
	s_and_b64 vcc, exec, s[10:11]
	v_mov_b32_e32 v2, 0
	s_cbranch_vccz .LBB114_68
; %bb.65:                               ;   in Loop: Header=BB114_6 Depth=1
	v_readlane_b32 s10, v55, 47
	v_readlane_b32 s18, v55, 24
	;; [unrolled: 1-line block ×3, first 2 shown]
	v_lshl_add_u32 v5, v4, 2, v32
	v_readlane_b32 s19, v55, 25
	s_andn2_b64 vcc, exec, s[10:11]
	s_cbranch_vccnz .LBB114_69
; %bb.66:                               ;   in Loop: Header=BB114_6 Depth=1
	v_writelane_b32 v55, s18, 24
	v_writelane_b32 v55, s19, 25
	s_mov_b32 s19, 1
	s_mov_b32 s18, 0
	v_mov_b32_e32 v2, 0
	v_readlane_b32 s5, v55, 49
	v_mov_b32_e32 v3, 0
.LBB114_67:                             ;   Parent Loop BB114_6 Depth=1
                                        ; =>  This Inner Loop Header: Depth=2
	v_lshl_add_u32 v10, s18, 4, v5
	v_lshl_add_u32 v52, s19, 4, v5
	ds_read2_b32 v[38:39], v10 offset1:8
	ds_read2_b32 v[40:41], v52 offset1:8
	ds_read2_b32 v[42:43], v10 offset0:16 offset1:24
	ds_read2_b32 v[44:45], v52 offset0:16 offset1:24
	;; [unrolled: 1-line block ×6, first 2 shown]
	s_waitcnt lgkmcnt(7)
	v_add3_u32 v2, v38, v2, v39
	s_waitcnt lgkmcnt(6)
	v_add3_u32 v3, v40, v3, v41
	;; [unrolled: 2-line block ×3, first 2 shown]
	v_add3_u32 v2, v42, v2, v43
	s_add_i32 s19, s19, 16
	s_add_i32 s18, s18, 16
	s_add_i32 s5, s5, -8
	s_waitcnt lgkmcnt(3)
	v_add3_u32 v2, v46, v2, v47
	s_waitcnt lgkmcnt(2)
	v_add3_u32 v3, v48, v3, v49
	s_cmp_lg_u32 s5, 0
	s_waitcnt lgkmcnt(0)
	v_add3_u32 v3, v52, v3, v53
	v_add3_u32 v2, v50, v2, v51
	s_cbranch_scc1 .LBB114_67
	s_branch .LBB114_70
.LBB114_68:                             ;   in Loop: Header=BB114_6 Depth=1
	s_cbranch_execnz .LBB114_73
	s_branch .LBB114_75
.LBB114_69:                             ;   in Loop: Header=BB114_6 Depth=1
	s_mov_b32 s10, s18
	s_mov_b32 s19, s18
	v_writelane_b32 v55, s10, 24
	v_pk_mov_b32 v[2:3], s[18:19], s[18:19] op_sel:[0,1]
	s_mov_b32 s19, 1
	v_writelane_b32 v55, s11, 25
.LBB114_70:                             ;   in Loop: Header=BB114_6 Depth=1
	v_readlane_b32 s10, v55, 51
	v_readlane_b32 s11, v55, 52
	s_andn2_b64 vcc, exec, s[10:11]
	v_readlane_b32 s5, v55, 50
	s_cbranch_vccnz .LBB114_72
.LBB114_71:                             ;   Parent Loop BB114_6 Depth=1
                                        ; =>  This Inner Loop Header: Depth=2
	v_lshl_add_u32 v10, s18, 4, v5
	v_lshl_add_u32 v38, s19, 4, v5
	ds_read_b32 v38, v38
	ds_read_b32 v10, v10
	s_add_i32 s19, s19, 2
	s_add_i32 s18, s18, 2
	s_add_i32 s5, s5, -1
	s_cmp_lg_u32 s5, 0
	s_waitcnt lgkmcnt(1)
	v_add_u32_e32 v3, v38, v3
	s_waitcnt lgkmcnt(0)
	v_add_u32_e32 v2, v10, v2
	s_cbranch_scc1 .LBB114_71
.LBB114_72:                             ;   in Loop: Header=BB114_6 Depth=1
	v_readlane_b32 s18, v55, 55
	v_add_u32_e32 v2, v2, v3
	v_readlane_b32 s5, v55, 54
	v_readlane_b32 s19, v55, 56
	s_and_b64 vcc, exec, s[18:19]
	s_cbranch_vccz .LBB114_75
.LBB114_73:                             ;   in Loop: Header=BB114_6 Depth=1
	s_lshl_b32 s10, s81, 8
	s_lshl_b32 s11, s5, 4
	s_add_i32 s10, s10, s11
	v_add_u32_e32 v3, s10, v28
	v_readlane_b32 s10, v55, 53
	s_sub_i32 s5, s10, s5
.LBB114_74:                             ;   Parent Loop BB114_6 Depth=1
                                        ; =>  This Inner Loop Header: Depth=2
	ds_read_b32 v5, v3
	s_add_i32 s5, s5, -1
	v_add_u32_e32 v3, 16, v3
	s_cmp_eq_u32 s5, 0
	s_waitcnt lgkmcnt(0)
	v_add_u32_e32 v2, v5, v2
	s_cbranch_scc0 .LBB114_74
.LBB114_75:                             ;   in Loop: Header=BB114_6 Depth=1
	v_lshlrev_b32_e32 v3, 2, v4
	ds_write_b32 v3, v2 offset:3072
.LBB114_76:                             ;   in Loop: Header=BB114_6 Depth=1
	s_or_b64 exec, exec, s[16:17]
	s_lshl_b32 s4, s4, 2
	s_waitcnt vmcnt(0)
	v_mov_b32_e32 v2, s4
	s_waitcnt lgkmcnt(0)
	s_barrier
	ds_read_b128 v[2:5], v2 offset:3072
	s_and_b32 s62, s80, 0xfe
	v_readlane_b32 s16, v55, 28
	s_lshl_b32 s4, 3, s62
	v_readlane_b32 s17, v55, 29
	s_waitcnt lgkmcnt(0)
	v_readfirstlane_b32 s5, v2
	v_readfirstlane_b32 s11, v3
	;; [unrolled: 1-line block ×4, first 2 shown]
	s_not_b32 s10, s4
	s_andn2_b64 vcc, exec, s[16:17]
	v_cmp_eq_u32_e64 s[18:19], 1, v37
	s_cbranch_vccnz .LBB114_89
; %bb.77:                               ;   in Loop: Header=BB114_6 Depth=1
	s_cmp_eq_u32 s5, 1
	s_cselect_b64 s[16:17], -1, 0
	s_and_b64 s[36:37], s[16:17], s[18:19]
	s_mov_b64 s[38:39], -1
	v_mov_b32_e32 v2, v35
	v_mov_b32_e32 v3, v34
	;; [unrolled: 1-line block ×3, first 2 shown]
                                        ; implicit-def: $sgpr22_sgpr23
                                        ; implicit-def: $sgpr28_sgpr29
                                        ; implicit-def: $sgpr26_sgpr27
	s_and_saveexec_b64 s[16:17], s[36:37]
	s_cbranch_execz .LBB114_105
; %bb.78:                               ;   in Loop: Header=BB114_6 Depth=1
	ds_read_b32 v2, v11 offset:4096
	s_waitcnt lgkmcnt(0)
	s_barrier
	v_readfirstlane_b32 s28, v2
	s_mov_b64 s[20:21], exec
	v_readlane_b32 s22, v55, 45
	v_readlane_b32 s23, v55, 46
	s_and_b64 s[22:23], s[20:21], s[22:23]
	s_mov_b64 exec, s[22:23]
	s_cbranch_execz .LBB114_80
; %bb.79:                               ;   in Loop: Header=BB114_6 Depth=1
	ds_write_b16 v20, v11
.LBB114_80:                             ;   in Loop: Header=BB114_6 Depth=1
	s_or_b64 exec, exec, s[20:21]
	v_and_b32_e32 v2, s10, v35
	v_or_b32_e32 v3, s4, v34
	s_cmp_eq_u32 s28, 0
	s_waitcnt lgkmcnt(0)
	s_barrier
	s_cbranch_scc1 .LBB114_91
; %bb.81:                               ;   in Loop: Header=BB114_6 Depth=1
	v_readlane_b32 s20, v55, 36
	s_add_i32 s20, s28, s20
	v_readlane_b32 s21, v55, 60
	s_mul_hi_u32 s21, s20, s21
	s_mul_i32 s21, s21, s84
	s_sub_i32 s21, s20, s21
	s_sub_i32 s22, s21, s84
	s_cmp_ge_u32 s21, s84
	s_cselect_b32 s21, s22, s21
	s_sub_i32 s22, s21, s84
	s_cmp_ge_u32 s21, s84
	s_cselect_b32 s21, s22, s21
	s_sub_i32 s29, s20, s21
	v_cmp_gt_u32_e32 vcc, s29, v0
	s_mov_b64 s[20:21], 0
                                        ; implicit-def: $vgpr4
	s_and_saveexec_b64 s[22:23], vcc
	s_cbranch_execz .LBB114_93
; %bb.82:                               ;   in Loop: Header=BB114_6 Depth=1
	s_mov_b64 s[24:25], 0
	v_mov_b32_e32 v4, v19
	v_mov_b32_e32 v5, v0
                                        ; implicit-def: $sgpr26_sgpr27
	s_branch .LBB114_84
.LBB114_83:                             ;   in Loop: Header=BB114_84 Depth=2
	s_or_b64 exec, exec, s[20:21]
	s_waitcnt lgkmcnt(0)
	s_barrier
	ds_read_b32 v10, v11 offset:3072
	v_add_u32_e32 v5, s84, v5
	v_cmp_le_u32_e64 s[20:21], s29, v5
	v_add_u32_e32 v4, s13, v4
	s_waitcnt lgkmcnt(0)
	v_and_b32_e32 v38, 0x7fff, v10
	v_cmp_ne_u16_e32 vcc, 0, v38
	s_or_b64 s[20:21], s[20:21], vcc
	s_and_b64 s[20:21], exec, s[20:21]
	s_or_b64 s[24:25], s[20:21], s[24:25]
	s_andn2_b64 s[20:21], s[26:27], exec
	s_and_b64 s[26:27], vcc, exec
	s_or_b64 s[26:27], s[20:21], s[26:27]
	s_barrier
	s_andn2_b64 exec, exec, s[24:25]
	s_cbranch_execz .LBB114_92
.LBB114_84:                             ;   Parent Loop BB114_6 Depth=1
                                        ; =>  This Inner Loop Header: Depth=2
	v_cmp_gt_u32_e32 vcc, s28, v5
	v_mov_b32_e32 v10, 0
	s_and_saveexec_b64 s[20:21], vcc
	s_cbranch_execz .LBB114_86
; %bb.85:                               ;   in Loop: Header=BB114_84 Depth=2
	ds_read_u16 v10, v4
.LBB114_86:                             ;   in Loop: Header=BB114_84 Depth=2
	s_or_b64 exec, exec, s[20:21]
	s_and_saveexec_b64 s[20:21], vcc
	s_cbranch_execz .LBB114_83
; %bb.87:                               ;   in Loop: Header=BB114_84 Depth=2
	s_waitcnt lgkmcnt(0)
	v_cmp_lt_i16_e32 vcc, -1, v10
	v_cndmask_b32_e32 v38, v29, v30, vcc
	v_lshlrev_b32_e32 v39, 16, v10
	v_xor_b32_sdwa v38, v38, v10 dst_sel:DWORD dst_unused:UNUSED_PAD src0_sel:DWORD src1_sel:WORD_0
	v_cmp_o_f32_e32 vcc, v39, v39
	v_cndmask_b32_e32 v38, v29, v38, vcc
	v_and_b32_e32 v38, v38, v3
	v_cmp_eq_u32_e32 vcc, v38, v2
	s_and_b64 exec, exec, vcc
	s_cbranch_execz .LBB114_83
; %bb.88:                               ;   in Loop: Header=BB114_84 Depth=2
	v_perm_b32 v10, v10, s9, v33
	ds_write_b32 v11, v10 offset:3072
	s_branch .LBB114_83
.LBB114_89:                             ;   in Loop: Header=BB114_6 Depth=1
	s_mov_b64 s[24:25], 0
	s_mov_b64 s[20:21], 0
                                        ; implicit-def: $sgpr26_sgpr27
                                        ; implicit-def: $sgpr28_sgpr29
                                        ; implicit-def: $sgpr22_sgpr23
                                        ; implicit-def: $vgpr10
                                        ; implicit-def: $vgpr5
                                        ; implicit-def: $vgpr2
                                        ; implicit-def: $vgpr3
                                        ; implicit-def: $vgpr4
	s_cbranch_execnz .LBB114_241
.LBB114_90:                             ;   in Loop: Header=BB114_6 Depth=1
	s_mov_b64 s[30:31], s[22:23]
	s_mov_b64 s[34:35], s[22:23]
	s_and_saveexec_b64 s[16:17], s[24:25]
	s_cbranch_execnz .LBB114_403
	s_branch .LBB114_404
.LBB114_91:                             ;   in Loop: Header=BB114_6 Depth=1
	s_mov_b64 s[22:23], -1
	s_mov_b64 s[20:21], 0
                                        ; implicit-def: $sgpr26_sgpr27
                                        ; implicit-def: $vgpr4
	s_mov_b64 s[28:29], s[22:23]
	s_cbranch_execnz .LBB114_94
	s_branch .LBB114_104
.LBB114_92:                             ;   in Loop: Header=BB114_6 Depth=1
	s_or_b64 exec, exec, s[24:25]
	v_lshrrev_b32_e32 v4, 16, v10
	s_and_b64 s[20:21], s[26:27], exec
.LBB114_93:                             ;   in Loop: Header=BB114_6 Depth=1
	s_or_b64 exec, exec, s[22:23]
	s_mov_b64 s[26:27], -1
	s_mov_b64 s[22:23], 0
	s_mov_b64 s[28:29], s[22:23]
	s_branch .LBB114_104
.LBB114_94:                             ;   in Loop: Header=BB114_6 Depth=1
	s_mov_b64 s[20:21], 0
                                        ; implicit-def: $vgpr4
	s_mov_b64 s[22:23], exec
	v_readlane_b32 s24, v55, 61
	v_readlane_b32 s25, v55, 62
	s_and_b64 s[24:25], s[22:23], s[24:25]
	s_mov_b64 exec, s[24:25]
	s_cbranch_execz .LBB114_103
; %bb.95:                               ;   in Loop: Header=BB114_6 Depth=1
	s_mov_b64 s[24:25], 0
	v_mov_b32_e32 v10, v12
	v_mov_b32_e32 v4, v0
                                        ; implicit-def: $sgpr26_sgpr27
	s_branch .LBB114_97
.LBB114_96:                             ;   in Loop: Header=BB114_97 Depth=2
	s_or_b64 exec, exec, s[20:21]
	s_waitcnt lgkmcnt(0)
	s_barrier
	s_waitcnt vmcnt(0)
	ds_read_b32 v5, v11 offset:3072
	v_add_u32_e32 v4, s84, v4
	v_cmp_le_u32_e64 s[20:21], s86, v4
	v_add_u32_e32 v10, s6, v10
	s_waitcnt lgkmcnt(0)
	v_and_b32_e32 v38, 0x7fff, v5
	v_cmp_ne_u16_e32 vcc, 0, v38
	s_or_b64 s[20:21], s[20:21], vcc
	s_and_b64 s[20:21], exec, s[20:21]
	s_or_b64 s[24:25], s[20:21], s[24:25]
	s_andn2_b64 s[20:21], s[26:27], exec
	s_and_b64 s[26:27], vcc, exec
	s_or_b64 s[26:27], s[20:21], s[26:27]
	s_barrier
	s_andn2_b64 exec, exec, s[24:25]
	s_cbranch_execz .LBB114_102
.LBB114_97:                             ;   Parent Loop BB114_6 Depth=1
                                        ; =>  This Inner Loop Header: Depth=2
	v_cmp_gt_u32_e32 vcc, s60, v4
	v_mov_b32_e32 v5, 0
	s_and_saveexec_b64 s[28:29], vcc
	s_cbranch_execz .LBB114_99
; %bb.98:                               ;   in Loop: Header=BB114_97 Depth=2
	v_lshlrev_b64 v[38:39], 1, v[10:11]
	v_mov_b32_e32 v5, s7
	v_add_co_u32_e64 v38, s[20:21], s33, v38
	v_addc_co_u32_e64 v39, s[20:21], v5, v39, s[20:21]
	global_load_ushort v5, v[38:39], off
.LBB114_99:                             ;   in Loop: Header=BB114_97 Depth=2
	s_or_b64 exec, exec, s[28:29]
	s_and_saveexec_b64 s[20:21], vcc
	s_cbranch_execz .LBB114_96
; %bb.100:                              ;   in Loop: Header=BB114_97 Depth=2
	s_waitcnt vmcnt(0)
	v_cmp_lt_i16_e32 vcc, -1, v5
	v_cndmask_b32_e32 v38, v29, v30, vcc
	v_lshlrev_b32_e32 v39, 16, v5
	v_xor_b32_sdwa v38, v38, v5 dst_sel:DWORD dst_unused:UNUSED_PAD src0_sel:DWORD src1_sel:WORD_0
	v_cmp_o_f32_e32 vcc, v39, v39
	v_cndmask_b32_e32 v38, v29, v38, vcc
	v_and_b32_e32 v38, v38, v3
	v_cmp_eq_u32_e32 vcc, v38, v2
	s_and_b64 exec, exec, vcc
	s_cbranch_execz .LBB114_96
; %bb.101:                              ;   in Loop: Header=BB114_97 Depth=2
	v_perm_b32 v5, v5, s9, v33
	ds_write_b32 v11, v5 offset:3072
	s_branch .LBB114_96
.LBB114_102:                            ;   in Loop: Header=BB114_6 Depth=1
	s_or_b64 exec, exec, s[24:25]
	v_lshrrev_b32_e32 v4, 16, v5
	s_and_b64 s[20:21], s[26:27], exec
.LBB114_103:                            ;   in Loop: Header=BB114_6 Depth=1
	s_or_b64 exec, exec, s[22:23]
	s_mov_b64 s[28:29], -1
	s_mov_b64 s[22:23], 0
	s_mov_b64 s[26:27], 0
.LBB114_104:                            ;   in Loop: Header=BB114_6 Depth=1
	s_orn2_b64 s[38:39], s[20:21], exec
.LBB114_105:                            ;   in Loop: Header=BB114_6 Depth=1
	s_or_b64 exec, exec, s[16:17]
	s_mov_b64 s[30:31], 0
	s_mov_b64 s[24:25], 0
	;; [unrolled: 1-line block ×3, first 2 shown]
                                        ; implicit-def: $vgpr10
                                        ; implicit-def: $vgpr5
	s_and_saveexec_b64 s[34:35], s[38:39]
	s_cbranch_execz .LBB114_240
; %bb.106:                              ;   in Loop: Header=BB114_6 Depth=1
	s_xor_b64 s[24:25], s[36:37], -1
	v_mov_b32_e32 v5, 1
	v_mov_b32_e32 v10, 1
	s_and_saveexec_b64 s[16:17], s[24:25]
	s_cbranch_execz .LBB114_116
; %bb.107:                              ;   in Loop: Header=BB114_6 Depth=1
	v_cmp_ge_u32_e32 vcc, s5, v37
                                        ; implicit-def: $sgpr36
                                        ; implicit-def: $sgpr20_sgpr21
	s_and_saveexec_b64 s[24:25], vcc
	s_xor_b64 s[24:25], exec, s[24:25]
	s_cbranch_execz .LBB114_113
; %bb.108:                              ;   in Loop: Header=BB114_6 Depth=1
	ds_read_b32 v5, v11 offset:4096
	s_waitcnt lgkmcnt(0)
	v_cmp_ne_u32_e32 vcc, 0, v5
	s_cbranch_vccnz .LBB114_112
; %bb.109:                              ;   in Loop: Header=BB114_6 Depth=1
	s_mov_b64 s[20:21], exec
	v_readlane_b32 s36, v55, 21
	v_readlane_b32 s37, v55, 22
	s_and_b64 s[36:37], s[20:21], s[36:37]
	s_mov_b64 exec, s[36:37]
	s_cbranch_execz .LBB114_111
; %bb.110:                              ;   in Loop: Header=BB114_6 Depth=1
	v_mov_b32_e32 v5, s5
	ds_write_b32 v11, v5 offset:4100
.LBB114_111:                            ;   in Loop: Header=BB114_6 Depth=1
	s_or_b64 exec, exec, s[20:21]
	s_waitcnt lgkmcnt(0)
	s_barrier
.LBB114_112:                            ;   in Loop: Header=BB114_6 Depth=1
	v_and_b32_e32 v2, s10, v2
	v_or_b32_e32 v3, s4, v3
	s_mov_b64 s[20:21], 0
	s_mov_b32 s36, 8
.LBB114_113:                            ;   in Loop: Header=BB114_6 Depth=1
	s_or_saveexec_b64 s[24:25], s[24:25]
	v_mov_b32_e32 v10, s36
	v_mov_b32_e32 v5, v37
	s_xor_b64 exec, exec, s[24:25]
; %bb.114:                              ;   in Loop: Header=BB114_6 Depth=1
	v_subrev_u32_e32 v5, s5, v37
	v_mov_b32_e32 v10, 0
	s_or_b64 s[20:21], s[20:21], exec
; %bb.115:                              ;   in Loop: Header=BB114_6 Depth=1
	s_or_b64 exec, exec, s[24:25]
	s_and_b64 s[20:21], s[20:21], exec
.LBB114_116:                            ;   in Loop: Header=BB114_6 Depth=1
	s_or_b64 exec, exec, s[16:17]
	s_mov_b64 s[38:39], -1
                                        ; implicit-def: $sgpr16_sgpr17
                                        ; implicit-def: $sgpr36_sgpr37
                                        ; implicit-def: $sgpr42_sgpr43
	s_and_saveexec_b64 s[24:25], s[20:21]
	s_xor_b64 s[24:25], exec, s[24:25]
	s_cbranch_execz .LBB114_237
; %bb.117:                              ;   in Loop: Header=BB114_6 Depth=1
	s_cmp_eq_u32 s11, 1
	s_cselect_b64 s[16:17], -1, 0
	v_cmp_eq_u32_e32 vcc, 1, v5
	s_and_b64 s[44:45], s[16:17], vcc
	s_mov_b64 s[46:47], -1
                                        ; implicit-def: $sgpr36_sgpr37
                                        ; implicit-def: $sgpr40_sgpr41
                                        ; implicit-def: $sgpr38_sgpr39
	s_and_saveexec_b64 s[16:17], s[44:45]
	s_cbranch_execz .LBB114_143
; %bb.118:                              ;   in Loop: Header=BB114_6 Depth=1
	ds_read_b32 v4, v11 offset:4096
	s_waitcnt lgkmcnt(0)
	s_barrier
	v_readfirstlane_b32 s42, v4
	s_mov_b64 s[20:21], exec
	v_readlane_b32 s36, v55, 45
	v_readlane_b32 s37, v55, 46
	s_and_b64 s[36:37], s[20:21], s[36:37]
	s_mov_b64 exec, s[36:37]
	s_cbranch_execz .LBB114_120
; %bb.119:                              ;   in Loop: Header=BB114_6 Depth=1
	ds_write_b16 v20, v11
.LBB114_120:                            ;   in Loop: Header=BB114_6 Depth=1
	s_or_b64 exec, exec, s[20:21]
	v_and_b32_e32 v2, s10, v2
	v_lshl_or_b32 v2, 1, s62, v2
	v_or_b32_e32 v3, s4, v3
	s_cmp_eq_u32 s42, 0
	s_waitcnt lgkmcnt(0)
	s_barrier
	s_cbranch_scc1 .LBB114_129
; %bb.121:                              ;   in Loop: Header=BB114_6 Depth=1
	v_readlane_b32 s20, v55, 36
	s_add_i32 s20, s42, s20
	v_readlane_b32 s21, v55, 60
	s_mul_hi_u32 s21, s20, s21
	s_mul_i32 s21, s21, s84
	s_sub_i32 s21, s20, s21
	s_sub_i32 s36, s21, s84
	s_cmp_ge_u32 s21, s84
	s_cselect_b32 s21, s36, s21
	s_sub_i32 s36, s21, s84
	s_cmp_ge_u32 s21, s84
	s_cselect_b32 s21, s36, s21
	s_sub_i32 s43, s20, s21
	v_cmp_gt_u32_e32 vcc, s43, v0
	s_mov_b64 s[20:21], 0
                                        ; implicit-def: $vgpr4
	s_and_saveexec_b64 s[36:37], vcc
	s_cbranch_execz .LBB114_131
; %bb.122:                              ;   in Loop: Header=BB114_6 Depth=1
	s_mov_b64 s[38:39], 0
	v_mov_b32_e32 v4, v19
	v_mov_b32_e32 v10, v0
                                        ; implicit-def: $sgpr40_sgpr41
	s_branch .LBB114_124
.LBB114_123:                            ;   in Loop: Header=BB114_124 Depth=2
	s_or_b64 exec, exec, s[20:21]
	s_waitcnt lgkmcnt(0)
	s_barrier
	ds_read_b32 v38, v11 offset:3072
	v_add_u32_e32 v10, s84, v10
	v_cmp_le_u32_e64 s[20:21], s43, v10
	v_add_u32_e32 v4, s13, v4
	s_waitcnt lgkmcnt(0)
	v_and_b32_e32 v39, 0x7fff, v38
	v_cmp_ne_u16_e32 vcc, 0, v39
	s_or_b64 s[20:21], s[20:21], vcc
	s_and_b64 s[20:21], exec, s[20:21]
	s_or_b64 s[38:39], s[20:21], s[38:39]
	s_andn2_b64 s[20:21], s[40:41], exec
	s_and_b64 s[40:41], vcc, exec
	s_or_b64 s[40:41], s[20:21], s[40:41]
	s_barrier
	s_andn2_b64 exec, exec, s[38:39]
	s_cbranch_execz .LBB114_130
.LBB114_124:                            ;   Parent Loop BB114_6 Depth=1
                                        ; =>  This Inner Loop Header: Depth=2
	v_cmp_gt_u32_e32 vcc, s42, v10
	v_mov_b32_e32 v38, 0
	s_and_saveexec_b64 s[20:21], vcc
	s_cbranch_execz .LBB114_126
; %bb.125:                              ;   in Loop: Header=BB114_124 Depth=2
	ds_read_u16 v38, v4
.LBB114_126:                            ;   in Loop: Header=BB114_124 Depth=2
	s_or_b64 exec, exec, s[20:21]
	s_and_saveexec_b64 s[20:21], vcc
	s_cbranch_execz .LBB114_123
; %bb.127:                              ;   in Loop: Header=BB114_124 Depth=2
	s_waitcnt lgkmcnt(0)
	v_cmp_lt_i16_e32 vcc, -1, v38
	v_cndmask_b32_e32 v39, v29, v30, vcc
	v_lshlrev_b32_e32 v40, 16, v38
	v_xor_b32_sdwa v39, v39, v38 dst_sel:DWORD dst_unused:UNUSED_PAD src0_sel:DWORD src1_sel:WORD_0
	v_cmp_o_f32_e32 vcc, v40, v40
	v_cndmask_b32_e32 v39, v29, v39, vcc
	v_and_b32_e32 v39, v39, v3
	v_cmp_eq_u32_e32 vcc, v39, v2
	s_and_b64 exec, exec, vcc
	s_cbranch_execz .LBB114_123
; %bb.128:                              ;   in Loop: Header=BB114_124 Depth=2
	v_perm_b32 v38, v38, s9, v33
	ds_write_b32 v11, v38 offset:3072
	s_branch .LBB114_123
.LBB114_129:                            ;   in Loop: Header=BB114_6 Depth=1
	s_mov_b64 s[36:37], -1
	s_mov_b64 s[20:21], 0
                                        ; implicit-def: $sgpr38_sgpr39
                                        ; implicit-def: $vgpr4
	s_mov_b64 s[40:41], s[36:37]
	s_cbranch_execnz .LBB114_132
	s_branch .LBB114_142
.LBB114_130:                            ;   in Loop: Header=BB114_6 Depth=1
	s_or_b64 exec, exec, s[38:39]
	v_lshrrev_b32_e32 v4, 16, v38
	s_and_b64 s[20:21], s[40:41], exec
.LBB114_131:                            ;   in Loop: Header=BB114_6 Depth=1
	s_or_b64 exec, exec, s[36:37]
	s_mov_b64 s[38:39], -1
	s_mov_b64 s[36:37], 0
	s_mov_b64 s[40:41], s[36:37]
	s_branch .LBB114_142
.LBB114_132:                            ;   in Loop: Header=BB114_6 Depth=1
	s_mov_b64 s[20:21], 0
                                        ; implicit-def: $vgpr4
	s_mov_b64 s[36:37], exec
	v_readlane_b32 s38, v55, 61
	v_readlane_b32 s39, v55, 62
	s_and_b64 s[38:39], s[36:37], s[38:39]
	s_mov_b64 exec, s[38:39]
	s_cbranch_execz .LBB114_141
; %bb.133:                              ;   in Loop: Header=BB114_6 Depth=1
	s_mov_b64 s[38:39], 0
	v_mov_b32_e32 v10, v12
	v_mov_b32_e32 v4, v0
                                        ; implicit-def: $sgpr40_sgpr41
	s_branch .LBB114_135
.LBB114_134:                            ;   in Loop: Header=BB114_135 Depth=2
	s_or_b64 exec, exec, s[20:21]
	s_waitcnt lgkmcnt(0)
	s_barrier
	s_waitcnt vmcnt(0)
	ds_read_b32 v38, v11 offset:3072
	v_add_u32_e32 v4, s84, v4
	v_cmp_le_u32_e64 s[20:21], s86, v4
	v_add_u32_e32 v10, s6, v10
	s_waitcnt lgkmcnt(0)
	v_and_b32_e32 v39, 0x7fff, v38
	v_cmp_ne_u16_e32 vcc, 0, v39
	s_or_b64 s[20:21], s[20:21], vcc
	s_and_b64 s[20:21], exec, s[20:21]
	s_or_b64 s[38:39], s[20:21], s[38:39]
	s_andn2_b64 s[20:21], s[40:41], exec
	s_and_b64 s[40:41], vcc, exec
	s_or_b64 s[40:41], s[20:21], s[40:41]
	s_barrier
	s_andn2_b64 exec, exec, s[38:39]
	s_cbranch_execz .LBB114_140
.LBB114_135:                            ;   Parent Loop BB114_6 Depth=1
                                        ; =>  This Inner Loop Header: Depth=2
	v_cmp_gt_u32_e32 vcc, s60, v4
	v_mov_b32_e32 v38, 0
	s_and_saveexec_b64 s[42:43], vcc
	s_cbranch_execz .LBB114_137
; %bb.136:                              ;   in Loop: Header=BB114_135 Depth=2
	v_lshlrev_b64 v[38:39], 1, v[10:11]
	v_mov_b32_e32 v40, s7
	v_add_co_u32_e64 v38, s[20:21], s33, v38
	v_addc_co_u32_e64 v39, s[20:21], v40, v39, s[20:21]
	global_load_ushort v38, v[38:39], off
.LBB114_137:                            ;   in Loop: Header=BB114_135 Depth=2
	s_or_b64 exec, exec, s[42:43]
	s_and_saveexec_b64 s[20:21], vcc
	s_cbranch_execz .LBB114_134
; %bb.138:                              ;   in Loop: Header=BB114_135 Depth=2
	s_waitcnt vmcnt(0)
	v_cmp_lt_i16_e32 vcc, -1, v38
	v_cndmask_b32_e32 v39, v29, v30, vcc
	v_lshlrev_b32_e32 v40, 16, v38
	v_xor_b32_sdwa v39, v39, v38 dst_sel:DWORD dst_unused:UNUSED_PAD src0_sel:DWORD src1_sel:WORD_0
	v_cmp_o_f32_e32 vcc, v40, v40
	v_cndmask_b32_e32 v39, v29, v39, vcc
	v_and_b32_e32 v39, v39, v3
	v_cmp_eq_u32_e32 vcc, v39, v2
	s_and_b64 exec, exec, vcc
	s_cbranch_execz .LBB114_134
; %bb.139:                              ;   in Loop: Header=BB114_135 Depth=2
	v_perm_b32 v38, v38, s9, v33
	ds_write_b32 v11, v38 offset:3072
	s_branch .LBB114_134
.LBB114_140:                            ;   in Loop: Header=BB114_6 Depth=1
	s_or_b64 exec, exec, s[38:39]
	v_lshrrev_b32_e32 v4, 16, v38
	s_and_b64 s[20:21], s[40:41], exec
.LBB114_141:                            ;   in Loop: Header=BB114_6 Depth=1
	s_or_b64 exec, exec, s[36:37]
	s_mov_b64 s[40:41], -1
	s_mov_b64 s[36:37], 0
	s_mov_b64 s[38:39], 0
.LBB114_142:                            ;   in Loop: Header=BB114_6 Depth=1
	s_orn2_b64 s[46:47], s[20:21], exec
.LBB114_143:                            ;   in Loop: Header=BB114_6 Depth=1
	s_or_b64 exec, exec, s[16:17]
	s_mov_b64 s[20:21], 0
                                        ; implicit-def: $vgpr10
	s_and_saveexec_b64 s[42:43], s[46:47]
	s_cbranch_execz .LBB114_236
; %bb.144:                              ;   in Loop: Header=BB114_6 Depth=1
	s_xor_b64 s[20:21], s[44:45], -1
	s_mov_b64 s[48:49], 0
	v_mov_b32_e32 v38, 1
	v_mov_b32_e32 v10, 1
	s_and_saveexec_b64 s[16:17], s[20:21]
	s_cbranch_execz .LBB114_154
; %bb.145:                              ;   in Loop: Header=BB114_6 Depth=1
	v_cmp_ge_u32_e32 vcc, s11, v5
                                        ; implicit-def: $sgpr46
                                        ; implicit-def: $sgpr20_sgpr21
	s_and_saveexec_b64 s[44:45], vcc
	s_xor_b64 s[44:45], exec, s[44:45]
	s_cbranch_execz .LBB114_151
; %bb.146:                              ;   in Loop: Header=BB114_6 Depth=1
	ds_read_b32 v10, v11 offset:4096
	s_waitcnt lgkmcnt(0)
	v_cmp_ne_u32_e32 vcc, 0, v10
	s_cbranch_vccnz .LBB114_150
; %bb.147:                              ;   in Loop: Header=BB114_6 Depth=1
	s_mov_b64 s[20:21], exec
	v_readlane_b32 s46, v55, 21
	v_readlane_b32 s47, v55, 22
	s_and_b64 s[46:47], s[20:21], s[46:47]
	s_mov_b64 exec, s[46:47]
	s_cbranch_execz .LBB114_149
; %bb.148:                              ;   in Loop: Header=BB114_6 Depth=1
	v_mov_b32_e32 v10, s11
	ds_write_b32 v11, v10 offset:4100
.LBB114_149:                            ;   in Loop: Header=BB114_6 Depth=1
	s_or_b64 exec, exec, s[20:21]
	s_waitcnt lgkmcnt(0)
	s_barrier
.LBB114_150:                            ;   in Loop: Header=BB114_6 Depth=1
	v_and_b32_e32 v2, s10, v2
	v_lshl_or_b32 v2, 1, s62, v2
	v_or_b32_e32 v3, s4, v3
	s_mov_b64 s[20:21], 0
	s_mov_b32 s46, 8
.LBB114_151:                            ;   in Loop: Header=BB114_6 Depth=1
	s_or_saveexec_b64 s[44:45], s[44:45]
	v_mov_b32_e32 v10, s46
	s_xor_b64 exec, exec, s[44:45]
; %bb.152:                              ;   in Loop: Header=BB114_6 Depth=1
	v_subrev_u32_e32 v5, s11, v5
	v_mov_b32_e32 v10, 0
	s_or_b64 s[20:21], s[20:21], exec
; %bb.153:                              ;   in Loop: Header=BB114_6 Depth=1
	s_or_b64 exec, exec, s[44:45]
	s_and_b64 s[48:49], s[20:21], exec
	v_mov_b32_e32 v38, v5
.LBB114_154:                            ;   in Loop: Header=BB114_6 Depth=1
	s_or_b64 exec, exec, s[16:17]
	s_mov_b64 s[16:17], -1
                                        ; implicit-def: $sgpr20_sgpr21
                                        ; implicit-def: $sgpr46_sgpr47
                                        ; implicit-def: $sgpr52_sgpr53
	s_and_saveexec_b64 s[44:45], s[48:49]
	s_cbranch_execz .LBB114_235
; %bb.155:                              ;   in Loop: Header=BB114_6 Depth=1
	s_cmp_eq_u32 s63, 1
	s_cselect_b64 s[16:17], -1, 0
	v_cmp_eq_u32_e32 vcc, 1, v38
	s_and_b64 s[54:55], s[16:17], vcc
	s_mov_b64 s[20:21], -1
                                        ; implicit-def: $sgpr46_sgpr47
                                        ; implicit-def: $sgpr50_sgpr51
                                        ; implicit-def: $sgpr48_sgpr49
	s_and_saveexec_b64 s[16:17], s[54:55]
	s_cbranch_execz .LBB114_181
; %bb.156:                              ;   in Loop: Header=BB114_6 Depth=1
	ds_read_b32 v4, v11 offset:4096
	s_waitcnt lgkmcnt(0)
	s_barrier
	v_readfirstlane_b32 s52, v4
	s_mov_b64 s[20:21], exec
	v_readlane_b32 s46, v55, 45
	v_readlane_b32 s47, v55, 46
	s_and_b64 s[46:47], s[20:21], s[46:47]
	s_mov_b64 exec, s[46:47]
	s_cbranch_execz .LBB114_158
; %bb.157:                              ;   in Loop: Header=BB114_6 Depth=1
	ds_write_b16 v20, v11
.LBB114_158:                            ;   in Loop: Header=BB114_6 Depth=1
	s_or_b64 exec, exec, s[20:21]
	v_and_b32_e32 v2, s10, v2
	v_lshl_or_b32 v2, 2, s62, v2
	v_or_b32_e32 v3, s4, v3
	s_cmp_eq_u32 s52, 0
	s_waitcnt lgkmcnt(0)
	s_barrier
	s_cbranch_scc1 .LBB114_167
; %bb.159:                              ;   in Loop: Header=BB114_6 Depth=1
	v_readlane_b32 s20, v55, 36
	s_add_i32 s20, s52, s20
	v_readlane_b32 s21, v55, 60
	s_mul_hi_u32 s21, s20, s21
	s_mul_i32 s21, s21, s84
	s_sub_i32 s21, s20, s21
	s_sub_i32 s46, s21, s84
	s_cmp_ge_u32 s21, s84
	s_cselect_b32 s21, s46, s21
	s_sub_i32 s46, s21, s84
	s_cmp_ge_u32 s21, s84
	s_cselect_b32 s21, s46, s21
	s_sub_i32 s53, s20, s21
	v_cmp_gt_u32_e32 vcc, s53, v0
	s_mov_b64 s[20:21], 0
                                        ; implicit-def: $vgpr4
	s_and_saveexec_b64 s[46:47], vcc
	s_cbranch_execz .LBB114_169
; %bb.160:                              ;   in Loop: Header=BB114_6 Depth=1
	s_mov_b64 s[48:49], 0
	v_mov_b32_e32 v4, v19
	v_mov_b32_e32 v5, v0
                                        ; implicit-def: $sgpr50_sgpr51
	s_branch .LBB114_162
.LBB114_161:                            ;   in Loop: Header=BB114_162 Depth=2
	s_or_b64 exec, exec, s[20:21]
	s_waitcnt lgkmcnt(0)
	s_barrier
	ds_read_b32 v10, v11 offset:3072
	v_add_u32_e32 v5, s84, v5
	v_cmp_le_u32_e64 s[20:21], s53, v5
	v_add_u32_e32 v4, s13, v4
	s_waitcnt lgkmcnt(0)
	v_and_b32_e32 v39, 0x7fff, v10
	v_cmp_ne_u16_e32 vcc, 0, v39
	s_or_b64 s[20:21], s[20:21], vcc
	s_and_b64 s[20:21], exec, s[20:21]
	s_or_b64 s[48:49], s[20:21], s[48:49]
	s_andn2_b64 s[20:21], s[50:51], exec
	s_and_b64 s[50:51], vcc, exec
	s_or_b64 s[50:51], s[20:21], s[50:51]
	s_barrier
	s_andn2_b64 exec, exec, s[48:49]
	s_cbranch_execz .LBB114_168
.LBB114_162:                            ;   Parent Loop BB114_6 Depth=1
                                        ; =>  This Inner Loop Header: Depth=2
	v_cmp_gt_u32_e32 vcc, s52, v5
	v_mov_b32_e32 v10, 0
	s_and_saveexec_b64 s[20:21], vcc
	s_cbranch_execz .LBB114_164
; %bb.163:                              ;   in Loop: Header=BB114_162 Depth=2
	ds_read_u16 v10, v4
.LBB114_164:                            ;   in Loop: Header=BB114_162 Depth=2
	s_or_b64 exec, exec, s[20:21]
	s_and_saveexec_b64 s[20:21], vcc
	s_cbranch_execz .LBB114_161
; %bb.165:                              ;   in Loop: Header=BB114_162 Depth=2
	s_waitcnt lgkmcnt(0)
	v_cmp_lt_i16_e32 vcc, -1, v10
	v_cndmask_b32_e32 v39, v29, v30, vcc
	v_lshlrev_b32_e32 v40, 16, v10
	v_xor_b32_sdwa v39, v39, v10 dst_sel:DWORD dst_unused:UNUSED_PAD src0_sel:DWORD src1_sel:WORD_0
	v_cmp_o_f32_e32 vcc, v40, v40
	v_cndmask_b32_e32 v39, v29, v39, vcc
	v_and_b32_e32 v39, v39, v3
	v_cmp_eq_u32_e32 vcc, v39, v2
	s_and_b64 exec, exec, vcc
	s_cbranch_execz .LBB114_161
; %bb.166:                              ;   in Loop: Header=BB114_162 Depth=2
	v_perm_b32 v10, v10, s9, v33
	ds_write_b32 v11, v10 offset:3072
	s_branch .LBB114_161
.LBB114_167:                            ;   in Loop: Header=BB114_6 Depth=1
	s_mov_b64 s[46:47], -1
	s_mov_b64 s[20:21], 0
                                        ; implicit-def: $sgpr48_sgpr49
                                        ; implicit-def: $vgpr4
	s_mov_b64 s[50:51], s[46:47]
	s_cbranch_execnz .LBB114_170
	s_branch .LBB114_180
.LBB114_168:                            ;   in Loop: Header=BB114_6 Depth=1
	s_or_b64 exec, exec, s[48:49]
	v_lshrrev_b32_e32 v4, 16, v10
	s_and_b64 s[20:21], s[50:51], exec
.LBB114_169:                            ;   in Loop: Header=BB114_6 Depth=1
	s_or_b64 exec, exec, s[46:47]
	s_mov_b64 s[48:49], -1
	s_mov_b64 s[46:47], 0
	s_mov_b64 s[50:51], s[46:47]
	s_branch .LBB114_180
.LBB114_170:                            ;   in Loop: Header=BB114_6 Depth=1
	s_mov_b64 s[20:21], 0
                                        ; implicit-def: $vgpr4
	s_mov_b64 s[46:47], exec
	v_readlane_b32 s48, v55, 61
	v_readlane_b32 s49, v55, 62
	s_and_b64 s[48:49], s[46:47], s[48:49]
	s_mov_b64 exec, s[48:49]
	s_cbranch_execz .LBB114_179
; %bb.171:                              ;   in Loop: Header=BB114_6 Depth=1
	s_mov_b64 s[48:49], 0
	v_mov_b32_e32 v10, v12
	v_mov_b32_e32 v4, v0
                                        ; implicit-def: $sgpr50_sgpr51
	s_branch .LBB114_173
.LBB114_172:                            ;   in Loop: Header=BB114_173 Depth=2
	s_or_b64 exec, exec, s[20:21]
	s_waitcnt lgkmcnt(0)
	s_barrier
	s_waitcnt vmcnt(0)
	ds_read_b32 v5, v11 offset:3072
	v_add_u32_e32 v4, s84, v4
	v_cmp_le_u32_e64 s[20:21], s86, v4
	v_add_u32_e32 v10, s6, v10
	s_waitcnt lgkmcnt(0)
	v_and_b32_e32 v39, 0x7fff, v5
	v_cmp_ne_u16_e32 vcc, 0, v39
	s_or_b64 s[20:21], s[20:21], vcc
	s_and_b64 s[20:21], exec, s[20:21]
	s_or_b64 s[48:49], s[20:21], s[48:49]
	s_andn2_b64 s[20:21], s[50:51], exec
	s_and_b64 s[50:51], vcc, exec
	s_or_b64 s[50:51], s[20:21], s[50:51]
	s_barrier
	s_andn2_b64 exec, exec, s[48:49]
	s_cbranch_execz .LBB114_178
.LBB114_173:                            ;   Parent Loop BB114_6 Depth=1
                                        ; =>  This Inner Loop Header: Depth=2
	v_cmp_gt_u32_e32 vcc, s60, v4
	v_mov_b32_e32 v5, 0
	s_and_saveexec_b64 s[52:53], vcc
	s_cbranch_execz .LBB114_175
; %bb.174:                              ;   in Loop: Header=BB114_173 Depth=2
	v_lshlrev_b64 v[40:41], 1, v[10:11]
	v_mov_b32_e32 v5, s7
	v_add_co_u32_e64 v40, s[20:21], s33, v40
	v_addc_co_u32_e64 v41, s[20:21], v5, v41, s[20:21]
	global_load_ushort v5, v[40:41], off
.LBB114_175:                            ;   in Loop: Header=BB114_173 Depth=2
	s_or_b64 exec, exec, s[52:53]
	s_and_saveexec_b64 s[20:21], vcc
	s_cbranch_execz .LBB114_172
; %bb.176:                              ;   in Loop: Header=BB114_173 Depth=2
	s_waitcnt vmcnt(0)
	v_cmp_lt_i16_e32 vcc, -1, v5
	v_cndmask_b32_e32 v39, v29, v30, vcc
	v_lshlrev_b32_e32 v40, 16, v5
	v_xor_b32_sdwa v39, v39, v5 dst_sel:DWORD dst_unused:UNUSED_PAD src0_sel:DWORD src1_sel:WORD_0
	v_cmp_o_f32_e32 vcc, v40, v40
	v_cndmask_b32_e32 v39, v29, v39, vcc
	v_and_b32_e32 v39, v39, v3
	v_cmp_eq_u32_e32 vcc, v39, v2
	s_and_b64 exec, exec, vcc
	s_cbranch_execz .LBB114_172
; %bb.177:                              ;   in Loop: Header=BB114_173 Depth=2
	v_perm_b32 v5, v5, s9, v33
	ds_write_b32 v11, v5 offset:3072
	s_branch .LBB114_172
.LBB114_178:                            ;   in Loop: Header=BB114_6 Depth=1
	s_or_b64 exec, exec, s[48:49]
	v_lshrrev_b32_e32 v4, 16, v5
	s_and_b64 s[20:21], s[50:51], exec
.LBB114_179:                            ;   in Loop: Header=BB114_6 Depth=1
	s_or_b64 exec, exec, s[46:47]
	s_mov_b64 s[50:51], -1
	s_mov_b64 s[46:47], 0
	s_mov_b64 s[48:49], 0
.LBB114_180:                            ;   in Loop: Header=BB114_6 Depth=1
	s_orn2_b64 s[20:21], s[20:21], exec
.LBB114_181:                            ;   in Loop: Header=BB114_6 Depth=1
	s_or_b64 exec, exec, s[16:17]
	s_mov_b64 s[16:17], 0
                                        ; implicit-def: $vgpr10
	s_and_saveexec_b64 s[52:53], s[20:21]
	s_cbranch_execz .LBB114_234
; %bb.182:                              ;   in Loop: Header=BB114_6 Depth=1
	s_xor_b64 s[20:21], s[54:55], -1
	s_mov_b64 s[56:57], 0
	v_mov_b32_e32 v5, 1
	v_mov_b32_e32 v10, 1
	s_and_saveexec_b64 s[16:17], s[20:21]
	s_cbranch_execz .LBB114_192
; %bb.183:                              ;   in Loop: Header=BB114_6 Depth=1
	v_cmp_ge_u32_e32 vcc, s63, v38
                                        ; implicit-def: $sgpr56
                                        ; implicit-def: $sgpr20_sgpr21
	s_and_saveexec_b64 s[54:55], vcc
	s_xor_b64 s[54:55], exec, s[54:55]
	s_cbranch_execz .LBB114_189
; %bb.184:                              ;   in Loop: Header=BB114_6 Depth=1
	ds_read_b32 v5, v11 offset:4096
	s_waitcnt lgkmcnt(0)
	v_cmp_ne_u32_e32 vcc, 0, v5
	s_cbranch_vccnz .LBB114_188
; %bb.185:                              ;   in Loop: Header=BB114_6 Depth=1
	s_mov_b64 s[20:21], exec
	v_readlane_b32 s56, v55, 21
	v_readlane_b32 s57, v55, 22
	s_and_b64 s[56:57], s[20:21], s[56:57]
	s_mov_b64 exec, s[56:57]
	s_cbranch_execz .LBB114_187
; %bb.186:                              ;   in Loop: Header=BB114_6 Depth=1
	v_mov_b32_e32 v5, s63
	ds_write_b32 v11, v5 offset:4100
.LBB114_187:                            ;   in Loop: Header=BB114_6 Depth=1
	s_or_b64 exec, exec, s[20:21]
	s_waitcnt lgkmcnt(0)
	s_barrier
.LBB114_188:                            ;   in Loop: Header=BB114_6 Depth=1
	v_and_b32_e32 v2, s10, v2
	v_lshl_or_b32 v2, 2, s62, v2
	v_or_b32_e32 v3, s4, v3
	s_mov_b64 s[20:21], 0
	s_mov_b32 s56, 8
.LBB114_189:                            ;   in Loop: Header=BB114_6 Depth=1
	s_or_saveexec_b64 s[54:55], s[54:55]
	v_mov_b32_e32 v10, s56
	s_xor_b64 exec, exec, s[54:55]
; %bb.190:                              ;   in Loop: Header=BB114_6 Depth=1
	v_subrev_u32_e32 v38, s63, v38
	v_mov_b32_e32 v10, 0
	s_or_b64 s[20:21], s[20:21], exec
; %bb.191:                              ;   in Loop: Header=BB114_6 Depth=1
	s_or_b64 exec, exec, s[54:55]
	s_and_b64 s[56:57], s[20:21], exec
	v_mov_b32_e32 v5, v38
.LBB114_192:                            ;   in Loop: Header=BB114_6 Depth=1
	s_or_b64 exec, exec, s[16:17]
	s_mov_b64 s[16:17], -1
                                        ; implicit-def: $sgpr20_sgpr21
                                        ; implicit-def: $sgpr88_sgpr89
                                        ; implicit-def: $sgpr58_sgpr59
	s_and_saveexec_b64 s[54:55], s[56:57]
	s_cbranch_execz .LBB114_233
; %bb.193:                              ;   in Loop: Header=BB114_6 Depth=1
	s_cmp_eq_u32 s82, 1
	s_cselect_b64 s[16:17], -1, 0
	v_cmp_eq_u32_e32 vcc, 1, v5
	s_mov_b64 s[90:91], -1
	s_and_b64 s[56:57], s[16:17], vcc
                                        ; implicit-def: $sgpr20_sgpr21
                                        ; implicit-def: $sgpr88_sgpr89
                                        ; implicit-def: $sgpr58_sgpr59
	s_mov_b64 s[16:17], exec
                                        ; implicit-def: $vgpr54 : SGPR spill to VGPR lane
	v_writelane_b32 v55, s56, 63
	v_writelane_b32 v54, s57, 0
	s_and_b64 s[56:57], s[16:17], s[56:57]
	s_mov_b64 exec, s[56:57]
	s_cbranch_execz .LBB114_220
; %bb.194:                              ;   in Loop: Header=BB114_6 Depth=1
	ds_read_b32 v4, v11 offset:4096
	s_waitcnt lgkmcnt(0)
	s_barrier
	v_readfirstlane_b32 s83, v4
	s_mov_b64 s[20:21], exec
	v_readlane_b32 s56, v55, 45
	v_readlane_b32 s57, v55, 46
	s_and_b64 s[56:57], s[20:21], s[56:57]
	s_mov_b64 exec, s[56:57]
	s_cbranch_execz .LBB114_196
; %bb.195:                              ;   in Loop: Header=BB114_6 Depth=1
	ds_write_b16 v20, v11
.LBB114_196:                            ;   in Loop: Header=BB114_6 Depth=1
	s_or_b64 exec, exec, s[20:21]
	v_or_b32_e32 v2, s4, v2
	v_or_b32_e32 v3, s4, v3
	s_cmp_eq_u32 s83, 0
	s_waitcnt lgkmcnt(0)
	s_barrier
	s_cbranch_scc1 .LBB114_205
; %bb.197:                              ;   in Loop: Header=BB114_6 Depth=1
	v_readlane_b32 s20, v55, 36
	s_add_i32 s20, s83, s20
	v_readlane_b32 s21, v55, 60
	s_mul_hi_u32 s21, s20, s21
	s_mul_i32 s21, s21, s84
	s_sub_i32 s21, s20, s21
	s_sub_i32 s56, s21, s84
	s_cmp_ge_u32 s21, s84
	s_cselect_b32 s21, s56, s21
	s_sub_i32 s56, s21, s84
	s_cmp_ge_u32 s21, s84
	s_cselect_b32 s21, s56, s21
	s_sub_i32 s56, s20, s21
	s_mov_b64 s[90:91], 0
	v_cmp_gt_u32_e32 vcc, s56, v0
                                        ; implicit-def: $vgpr4
	s_mov_b64 s[20:21], exec
	v_writelane_b32 v54, s20, 1
	v_writelane_b32 v54, s21, 2
	s_and_b64 s[20:21], s[20:21], vcc
	s_mov_b64 exec, s[20:21]
	s_cbranch_execz .LBB114_207
; %bb.198:                              ;   in Loop: Header=BB114_6 Depth=1
	s_mov_b64 s[88:89], 0
	v_mov_b32_e32 v4, v19
	v_mov_b32_e32 v10, v0
                                        ; implicit-def: $sgpr90_sgpr91
	s_branch .LBB114_200
.LBB114_199:                            ;   in Loop: Header=BB114_200 Depth=2
	s_or_b64 exec, exec, s[20:21]
	s_waitcnt lgkmcnt(0)
	s_barrier
	ds_read_b32 v38, v11 offset:3072
	v_add_u32_e32 v10, s84, v10
	v_cmp_le_u32_e64 s[20:21], s56, v10
	v_add_u32_e32 v4, s13, v4
	s_waitcnt lgkmcnt(0)
	v_and_b32_e32 v39, 0x7fff, v38
	v_cmp_ne_u16_e32 vcc, 0, v39
	s_or_b64 s[20:21], s[20:21], vcc
	s_and_b64 s[20:21], exec, s[20:21]
	s_or_b64 s[88:89], s[20:21], s[88:89]
	s_andn2_b64 s[20:21], s[90:91], exec
	s_and_b64 s[58:59], vcc, exec
	s_or_b64 s[90:91], s[20:21], s[58:59]
	s_barrier
	s_andn2_b64 exec, exec, s[88:89]
	s_cbranch_execz .LBB114_206
.LBB114_200:                            ;   Parent Loop BB114_6 Depth=1
                                        ; =>  This Inner Loop Header: Depth=2
	v_cmp_gt_u32_e32 vcc, s83, v10
	v_mov_b32_e32 v38, 0
	s_and_saveexec_b64 s[20:21], vcc
	s_cbranch_execz .LBB114_202
; %bb.201:                              ;   in Loop: Header=BB114_200 Depth=2
	ds_read_u16 v38, v4
.LBB114_202:                            ;   in Loop: Header=BB114_200 Depth=2
	s_or_b64 exec, exec, s[20:21]
	s_and_saveexec_b64 s[20:21], vcc
	s_cbranch_execz .LBB114_199
; %bb.203:                              ;   in Loop: Header=BB114_200 Depth=2
	s_waitcnt lgkmcnt(0)
	v_cmp_lt_i16_e32 vcc, -1, v38
	v_cndmask_b32_e32 v39, v29, v30, vcc
	v_lshlrev_b32_e32 v40, 16, v38
	v_xor_b32_sdwa v39, v39, v38 dst_sel:DWORD dst_unused:UNUSED_PAD src0_sel:DWORD src1_sel:WORD_0
	v_cmp_o_f32_e32 vcc, v40, v40
	v_cndmask_b32_e32 v39, v29, v39, vcc
	v_and_b32_e32 v39, v39, v3
	v_cmp_eq_u32_e32 vcc, v39, v2
	s_and_b64 exec, exec, vcc
	s_cbranch_execz .LBB114_199
; %bb.204:                              ;   in Loop: Header=BB114_200 Depth=2
	v_perm_b32 v38, v38, s9, v33
	ds_write_b32 v11, v38 offset:3072
	s_branch .LBB114_199
.LBB114_205:                            ;   in Loop: Header=BB114_6 Depth=1
	s_mov_b64 s[20:21], -1
	s_mov_b64 s[90:91], 0
                                        ; implicit-def: $sgpr58_sgpr59
                                        ; implicit-def: $vgpr4
	s_branch .LBB114_208
.LBB114_206:                            ;   in Loop: Header=BB114_6 Depth=1
	s_or_b64 exec, exec, s[88:89]
	v_lshrrev_b32_e32 v4, 16, v38
	s_and_b64 s[90:91], s[90:91], exec
.LBB114_207:                            ;   in Loop: Header=BB114_6 Depth=1
	v_readlane_b32 s20, v54, 1
	v_readlane_b32 s21, v54, 2
	s_or_b64 exec, exec, s[20:21]
	s_mov_b64 s[58:59], -1
	s_mov_b64 s[20:21], 0
.LBB114_208:                            ;   in Loop: Header=BB114_6 Depth=1
	s_and_b64 vcc, exec, s[20:21]
	s_mov_b64 s[88:89], s[20:21]
	s_cbranch_vccz .LBB114_219
; %bb.209:                              ;   in Loop: Header=BB114_6 Depth=1
	s_mov_b64 s[90:91], 0
                                        ; implicit-def: $vgpr4
	s_mov_b64 s[56:57], exec
	v_readlane_b32 s20, v55, 61
	v_readlane_b32 s21, v55, 62
	v_writelane_b32 v54, s56, 3
	s_and_b64 s[20:21], s[56:57], s[20:21]
	v_writelane_b32 v54, s57, 4
	s_mov_b64 exec, s[20:21]
	s_cbranch_execz .LBB114_218
; %bb.210:                              ;   in Loop: Header=BB114_6 Depth=1
	s_mov_b64 s[88:89], 0
	v_mov_b32_e32 v10, v12
	v_mov_b32_e32 v4, v0
                                        ; implicit-def: $sgpr90_sgpr91
	s_branch .LBB114_212
.LBB114_211:                            ;   in Loop: Header=BB114_212 Depth=2
	s_or_b64 exec, exec, s[20:21]
	s_waitcnt lgkmcnt(0)
	s_barrier
	s_waitcnt vmcnt(0)
	ds_read_b32 v38, v11 offset:3072
	v_add_u32_e32 v4, s84, v4
	v_cmp_le_u32_e64 s[20:21], s86, v4
	v_add_u32_e32 v10, s6, v10
	s_waitcnt lgkmcnt(0)
	v_and_b32_e32 v39, 0x7fff, v38
	v_cmp_ne_u16_e32 vcc, 0, v39
	s_or_b64 s[20:21], s[20:21], vcc
	s_and_b64 s[20:21], exec, s[20:21]
	s_or_b64 s[88:89], s[20:21], s[88:89]
	s_andn2_b64 s[20:21], s[90:91], exec
	s_and_b64 s[56:57], vcc, exec
	s_or_b64 s[90:91], s[20:21], s[56:57]
	s_barrier
	s_andn2_b64 exec, exec, s[88:89]
	s_cbranch_execz .LBB114_217
.LBB114_212:                            ;   Parent Loop BB114_6 Depth=1
                                        ; =>  This Inner Loop Header: Depth=2
	v_cmp_gt_u32_e32 vcc, s60, v4
	v_mov_b32_e32 v38, 0
	s_and_saveexec_b64 s[58:59], vcc
	s_cbranch_execz .LBB114_214
; %bb.213:                              ;   in Loop: Header=BB114_212 Depth=2
	v_lshlrev_b64 v[38:39], 1, v[10:11]
	v_mov_b32_e32 v40, s7
	v_add_co_u32_e64 v38, s[20:21], s33, v38
	v_addc_co_u32_e64 v39, s[20:21], v40, v39, s[20:21]
	global_load_ushort v38, v[38:39], off
.LBB114_214:                            ;   in Loop: Header=BB114_212 Depth=2
	s_or_b64 exec, exec, s[58:59]
	s_and_saveexec_b64 s[20:21], vcc
	s_cbranch_execz .LBB114_211
; %bb.215:                              ;   in Loop: Header=BB114_212 Depth=2
	s_waitcnt vmcnt(0)
	v_cmp_lt_i16_e32 vcc, -1, v38
	v_cndmask_b32_e32 v39, v29, v30, vcc
	v_lshlrev_b32_e32 v40, 16, v38
	v_xor_b32_sdwa v39, v39, v38 dst_sel:DWORD dst_unused:UNUSED_PAD src0_sel:DWORD src1_sel:WORD_0
	v_cmp_o_f32_e32 vcc, v40, v40
	v_cndmask_b32_e32 v39, v29, v39, vcc
	v_and_b32_e32 v39, v39, v3
	v_cmp_eq_u32_e32 vcc, v39, v2
	s_and_b64 exec, exec, vcc
	s_cbranch_execz .LBB114_211
; %bb.216:                              ;   in Loop: Header=BB114_212 Depth=2
	v_perm_b32 v38, v38, s9, v33
	ds_write_b32 v11, v38 offset:3072
	s_branch .LBB114_211
.LBB114_217:                            ;   in Loop: Header=BB114_6 Depth=1
	s_or_b64 exec, exec, s[88:89]
	v_lshrrev_b32_e32 v4, 16, v38
	s_and_b64 s[90:91], s[90:91], exec
.LBB114_218:                            ;   in Loop: Header=BB114_6 Depth=1
	v_readlane_b32 s20, v54, 3
	v_readlane_b32 s21, v54, 4
	s_or_b64 exec, exec, s[20:21]
	s_mov_b64 s[88:89], -1
	s_mov_b64 s[20:21], 0
	s_mov_b64 s[58:59], 0
.LBB114_219:                            ;   in Loop: Header=BB114_6 Depth=1
	s_orn2_b64 s[90:91], s[90:91], exec
.LBB114_220:                            ;   in Loop: Header=BB114_6 Depth=1
	s_or_b64 exec, exec, s[16:17]
	s_mov_b64 vcc, 0
                                        ; implicit-def: $vgpr10
                                        ; implicit-def: $vgpr38
	s_and_saveexec_b64 s[16:17], s[90:91]
	s_cbranch_execz .LBB114_232
; %bb.221:                              ;   in Loop: Header=BB114_6 Depth=1
	v_readlane_b32 s56, v55, 63
	v_readlane_b32 s57, v54, 0
	s_xor_b64 s[90:91], s[56:57], -1
	v_mov_b32_e32 v10, 1
	v_mov_b32_e32 v38, 1
	s_and_saveexec_b64 s[56:57], s[90:91]
	s_cbranch_execz .LBB114_231
; %bb.222:                              ;   in Loop: Header=BB114_6 Depth=1
	v_cmp_ge_u32_e32 vcc, s82, v5
                                        ; implicit-def: $sgpr83
	s_and_saveexec_b64 s[90:91], vcc
	s_xor_b64 s[90:91], exec, s[90:91]
	s_cbranch_execz .LBB114_228
; %bb.223:                              ;   in Loop: Header=BB114_6 Depth=1
	ds_read_b32 v10, v11 offset:4096
	s_waitcnt lgkmcnt(0)
	v_cmp_ne_u32_e32 vcc, 0, v10
	s_cbranch_vccnz .LBB114_227
; %bb.224:                              ;   in Loop: Header=BB114_6 Depth=1
	v_writelane_b32 v54, s90, 5
	v_writelane_b32 v54, s91, 6
	s_mov_b64 s[90:91], exec
	v_writelane_b32 v54, s90, 7
	v_writelane_b32 v54, s91, 8
	v_readlane_b32 vcc_lo, v55, 21
	v_readlane_b32 s90, v54, 7
	v_readlane_b32 vcc_hi, v55, 22
	v_readlane_b32 s91, v54, 8
	s_and_b64 vcc, s[90:91], vcc
	s_mov_b64 exec, vcc
	s_cbranch_execz .LBB114_226
; %bb.225:                              ;   in Loop: Header=BB114_6 Depth=1
	v_mov_b32_e32 v10, s82
	ds_write_b32 v11, v10 offset:4100
.LBB114_226:                            ;   in Loop: Header=BB114_6 Depth=1
	v_readlane_b32 vcc_lo, v54, 7
	v_readlane_b32 vcc_hi, v54, 8
	s_or_b64 exec, exec, vcc
	v_readlane_b32 s90, v54, 5
	v_readlane_b32 s91, v54, 6
	s_waitcnt lgkmcnt(0)
	s_barrier
.LBB114_227:                            ;   in Loop: Header=BB114_6 Depth=1
	v_or_b32_e32 v2, s4, v2
	v_or_b32_e32 v3, s4, v3
	s_mov_b32 s83, 8
.LBB114_228:                            ;   in Loop: Header=BB114_6 Depth=1
	s_or_saveexec_b64 s[90:91], s[90:91]
	v_mov_b32_e32 v10, s83
	s_xor_b64 exec, exec, s[90:91]
; %bb.229:                              ;   in Loop: Header=BB114_6 Depth=1
	v_subrev_u32_e32 v5, s82, v5
	v_mov_b32_e32 v10, 8
; %bb.230:                              ;   in Loop: Header=BB114_6 Depth=1
	s_or_b64 exec, exec, s[90:91]
	v_mov_b32_e32 v38, v5
.LBB114_231:                            ;   in Loop: Header=BB114_6 Depth=1
	s_or_b64 exec, exec, s[56:57]
	s_mov_b64 vcc, exec
.LBB114_232:                            ;   in Loop: Header=BB114_6 Depth=1
	s_or_b64 exec, exec, s[16:17]
	s_orn2_b64 s[16:17], vcc, exec
	v_mov_b32_e32 v5, v38
.LBB114_233:                            ;   in Loop: Header=BB114_6 Depth=1
	s_or_b64 exec, exec, s[54:55]
	s_andn2_b64 s[46:47], s[46:47], exec
	s_and_b64 s[20:21], s[20:21], exec
	s_or_b64 s[46:47], s[46:47], s[20:21]
	s_andn2_b64 s[20:21], s[50:51], exec
	s_and_b64 s[50:51], s[88:89], exec
	s_or_b64 s[50:51], s[20:21], s[50:51]
	;; [unrolled: 3-line block ×3, first 2 shown]
	s_and_b64 s[16:17], s[16:17], exec
	v_mov_b32_e32 v38, v5
.LBB114_234:                            ;   in Loop: Header=BB114_6 Depth=1
	s_or_b64 exec, exec, s[52:53]
	s_and_b64 s[52:53], s[46:47], exec
	s_and_b64 s[46:47], s[50:51], exec
	;; [unrolled: 1-line block ×3, first 2 shown]
	s_orn2_b64 s[16:17], s[16:17], exec
.LBB114_235:                            ;   in Loop: Header=BB114_6 Depth=1
	s_or_b64 exec, exec, s[44:45]
	s_andn2_b64 s[36:37], s[36:37], exec
	s_and_b64 s[44:45], s[52:53], exec
	s_or_b64 s[36:37], s[36:37], s[44:45]
	s_andn2_b64 s[40:41], s[40:41], exec
	s_and_b64 s[44:45], s[46:47], exec
	s_andn2_b64 s[38:39], s[38:39], exec
	s_and_b64 s[20:21], s[20:21], exec
	s_or_b64 s[40:41], s[40:41], s[44:45]
	s_or_b64 s[38:39], s[38:39], s[20:21]
	s_and_b64 s[20:21], s[16:17], exec
	v_mov_b32_e32 v5, v38
.LBB114_236:                            ;   in Loop: Header=BB114_6 Depth=1
	s_or_b64 exec, exec, s[42:43]
	s_and_b64 s[42:43], s[36:37], exec
	s_and_b64 s[36:37], s[40:41], exec
	;; [unrolled: 1-line block ×3, first 2 shown]
	s_orn2_b64 s[38:39], s[20:21], exec
.LBB114_237:                            ;   in Loop: Header=BB114_6 Depth=1
	s_or_b64 exec, exec, s[24:25]
	s_mov_b64 s[24:25], 0
	s_mov_b64 s[20:21], 0
	s_and_saveexec_b64 s[40:41], s[38:39]
	s_xor_b64 s[38:39], exec, s[40:41]
; %bb.238:                              ;   in Loop: Header=BB114_6 Depth=1
	v_cmp_eq_u32_e32 vcc, 8, v10
	v_cmp_ne_u32_e64 s[20:21], 8, v10
	s_andn2_b64 s[42:43], s[42:43], exec
	s_andn2_b64 s[36:37], s[36:37], exec
	s_andn2_b64 s[16:17], s[16:17], exec
	s_and_b64 s[20:21], s[20:21], exec
	s_and_b64 s[24:25], vcc, exec
; %bb.239:                              ;   in Loop: Header=BB114_6 Depth=1
	s_or_b64 exec, exec, s[38:39]
	s_andn2_b64 s[22:23], s[22:23], exec
	s_and_b64 s[38:39], s[42:43], exec
	s_andn2_b64 s[28:29], s[28:29], exec
	s_and_b64 s[36:37], s[36:37], exec
	s_andn2_b64 s[26:27], s[26:27], exec
	s_and_b64 s[16:17], s[16:17], exec
	s_or_b64 s[22:23], s[22:23], s[38:39]
	s_or_b64 s[28:29], s[28:29], s[36:37]
	;; [unrolled: 1-line block ×3, first 2 shown]
	s_and_b64 s[20:21], s[20:21], exec
	s_and_b64 s[24:25], s[24:25], exec
.LBB114_240:                            ;   in Loop: Header=BB114_6 Depth=1
	s_or_b64 exec, exec, s[34:35]
	s_and_b64 vcc, exec, s[30:31]
	s_cbranch_vccz .LBB114_90
.LBB114_241:                            ;   in Loop: Header=BB114_6 Depth=1
	s_cmp_eq_u32 s82, 1
	s_cselect_b64 s[16:17], -1, 0
	s_and_b64 s[28:29], s[16:17], s[18:19]
	s_mov_b64 s[18:19], -1
                                        ; implicit-def: $sgpr30_sgpr31
                                        ; implicit-def: $sgpr34_sgpr35
                                        ; implicit-def: $sgpr22_sgpr23
	s_and_saveexec_b64 s[16:17], s[28:29]
	s_cbranch_execz .LBB114_267
; %bb.242:                              ;   in Loop: Header=BB114_6 Depth=1
	ds_read_b32 v2, v11 offset:4096
	s_waitcnt lgkmcnt(0)
	s_barrier
	v_readfirstlane_b32 s34, v2
	s_mov_b64 s[18:19], exec
	v_readlane_b32 s22, v55, 45
	v_readlane_b32 s23, v55, 46
	s_and_b64 s[22:23], s[18:19], s[22:23]
	s_mov_b64 exec, s[22:23]
	s_cbranch_execz .LBB114_244
; %bb.243:                              ;   in Loop: Header=BB114_6 Depth=1
	ds_write_b16 v20, v11
.LBB114_244:                            ;   in Loop: Header=BB114_6 Depth=1
	s_or_b64 exec, exec, s[18:19]
	v_or_b32_e32 v35, s4, v35
	v_or_b32_e32 v34, s4, v34
	s_cmp_eq_u32 s34, 0
	s_waitcnt lgkmcnt(0)
	s_barrier
	s_cbranch_scc1 .LBB114_253
; %bb.245:                              ;   in Loop: Header=BB114_6 Depth=1
	v_readlane_b32 s18, v55, 36
	s_add_i32 s18, s34, s18
	v_readlane_b32 s19, v55, 60
	s_mul_hi_u32 s19, s18, s19
	s_mul_i32 s19, s19, s84
	s_sub_i32 s19, s18, s19
	s_sub_i32 s22, s19, s84
	s_cmp_ge_u32 s19, s84
	s_cselect_b32 s19, s22, s19
	s_sub_i32 s22, s19, s84
	s_cmp_ge_u32 s19, s84
	s_cselect_b32 s19, s22, s19
	s_sub_i32 s35, s18, s19
	v_cmp_gt_u32_e32 vcc, s35, v0
	s_mov_b64 s[18:19], 0
                                        ; implicit-def: $vgpr36
	s_and_saveexec_b64 s[22:23], vcc
	s_cbranch_execz .LBB114_255
; %bb.246:                              ;   in Loop: Header=BB114_6 Depth=1
	s_mov_b64 s[26:27], 0
	v_mov_b32_e32 v2, v19
	v_mov_b32_e32 v3, v0
                                        ; implicit-def: $sgpr30_sgpr31
	s_branch .LBB114_248
.LBB114_247:                            ;   in Loop: Header=BB114_248 Depth=2
	s_or_b64 exec, exec, s[18:19]
	s_waitcnt lgkmcnt(0)
	s_barrier
	ds_read_b32 v4, v11 offset:3072
	v_add_u32_e32 v3, s84, v3
	v_cmp_le_u32_e64 s[18:19], s35, v3
	v_add_u32_e32 v2, s13, v2
	s_waitcnt lgkmcnt(0)
	v_and_b32_e32 v5, 0x7fff, v4
	v_cmp_ne_u16_e32 vcc, 0, v5
	s_or_b64 s[18:19], s[18:19], vcc
	s_and_b64 s[18:19], exec, s[18:19]
	s_or_b64 s[26:27], s[18:19], s[26:27]
	s_andn2_b64 s[18:19], s[30:31], exec
	s_and_b64 s[30:31], vcc, exec
	s_or_b64 s[30:31], s[18:19], s[30:31]
	s_barrier
	s_andn2_b64 exec, exec, s[26:27]
	s_cbranch_execz .LBB114_254
.LBB114_248:                            ;   Parent Loop BB114_6 Depth=1
                                        ; =>  This Inner Loop Header: Depth=2
	v_cmp_gt_u32_e32 vcc, s34, v3
	v_mov_b32_e32 v4, 0
	s_and_saveexec_b64 s[18:19], vcc
	s_cbranch_execz .LBB114_250
; %bb.249:                              ;   in Loop: Header=BB114_248 Depth=2
	ds_read_u16 v4, v2
.LBB114_250:                            ;   in Loop: Header=BB114_248 Depth=2
	s_or_b64 exec, exec, s[18:19]
	s_and_saveexec_b64 s[18:19], vcc
	s_cbranch_execz .LBB114_247
; %bb.251:                              ;   in Loop: Header=BB114_248 Depth=2
	s_waitcnt lgkmcnt(0)
	v_cmp_lt_i16_e32 vcc, -1, v4
	v_cndmask_b32_e32 v5, v29, v30, vcc
	v_lshlrev_b32_e32 v10, 16, v4
	v_xor_b32_sdwa v5, v5, v4 dst_sel:DWORD dst_unused:UNUSED_PAD src0_sel:DWORD src1_sel:WORD_0
	v_cmp_o_f32_e32 vcc, v10, v10
	v_cndmask_b32_e32 v5, v29, v5, vcc
	v_and_b32_e32 v5, v5, v34
	v_cmp_eq_u32_e32 vcc, v5, v35
	s_and_b64 exec, exec, vcc
	s_cbranch_execz .LBB114_247
; %bb.252:                              ;   in Loop: Header=BB114_248 Depth=2
	v_perm_b32 v4, v4, s9, v33
	ds_write_b32 v11, v4 offset:3072
	s_branch .LBB114_247
.LBB114_253:                            ;   in Loop: Header=BB114_6 Depth=1
	s_mov_b64 s[30:31], -1
	s_mov_b64 s[18:19], 0
                                        ; implicit-def: $sgpr34_sgpr35
                                        ; implicit-def: $vgpr36
	s_mov_b64 s[22:23], s[30:31]
	s_cbranch_execnz .LBB114_256
	s_branch .LBB114_266
.LBB114_254:                            ;   in Loop: Header=BB114_6 Depth=1
	s_or_b64 exec, exec, s[26:27]
	v_lshrrev_b32_e32 v36, 16, v4
	s_and_b64 s[18:19], s[30:31], exec
.LBB114_255:                            ;   in Loop: Header=BB114_6 Depth=1
	s_or_b64 exec, exec, s[22:23]
	s_mov_b64 s[30:31], 0
	s_mov_b64 s[34:35], -1
	s_mov_b64 s[22:23], s[30:31]
	s_branch .LBB114_266
.LBB114_256:                            ;   in Loop: Header=BB114_6 Depth=1
	s_mov_b64 s[18:19], 0
                                        ; implicit-def: $vgpr36
	s_mov_b64 s[22:23], exec
	v_readlane_b32 s26, v55, 61
	v_readlane_b32 s27, v55, 62
	s_and_b64 s[26:27], s[22:23], s[26:27]
	s_mov_b64 exec, s[26:27]
	s_cbranch_execz .LBB114_265
; %bb.257:                              ;   in Loop: Header=BB114_6 Depth=1
	s_mov_b64 s[26:27], 0
	v_mov_b32_e32 v10, v12
	v_mov_b32_e32 v2, v0
                                        ; implicit-def: $sgpr30_sgpr31
	s_branch .LBB114_259
.LBB114_258:                            ;   in Loop: Header=BB114_259 Depth=2
	s_or_b64 exec, exec, s[18:19]
	s_waitcnt lgkmcnt(0)
	s_barrier
	s_waitcnt vmcnt(0)
	ds_read_b32 v3, v11 offset:3072
	v_add_u32_e32 v2, s84, v2
	v_cmp_le_u32_e64 s[18:19], s86, v2
	v_add_u32_e32 v10, s6, v10
	s_waitcnt lgkmcnt(0)
	v_and_b32_e32 v4, 0x7fff, v3
	v_cmp_ne_u16_e32 vcc, 0, v4
	s_or_b64 s[18:19], s[18:19], vcc
	s_and_b64 s[18:19], exec, s[18:19]
	s_or_b64 s[26:27], s[18:19], s[26:27]
	s_andn2_b64 s[18:19], s[30:31], exec
	s_and_b64 s[30:31], vcc, exec
	s_or_b64 s[30:31], s[18:19], s[30:31]
	s_barrier
	s_andn2_b64 exec, exec, s[26:27]
	s_cbranch_execz .LBB114_264
.LBB114_259:                            ;   Parent Loop BB114_6 Depth=1
                                        ; =>  This Inner Loop Header: Depth=2
	v_cmp_gt_u32_e32 vcc, s60, v2
	v_mov_b32_e32 v3, 0
	s_and_saveexec_b64 s[34:35], vcc
	s_cbranch_execz .LBB114_261
; %bb.260:                              ;   in Loop: Header=BB114_259 Depth=2
	v_lshlrev_b64 v[4:5], 1, v[10:11]
	v_mov_b32_e32 v3, s7
	v_add_co_u32_e64 v4, s[18:19], s33, v4
	v_addc_co_u32_e64 v5, s[18:19], v3, v5, s[18:19]
	global_load_ushort v3, v[4:5], off
.LBB114_261:                            ;   in Loop: Header=BB114_259 Depth=2
	s_or_b64 exec, exec, s[34:35]
	s_and_saveexec_b64 s[18:19], vcc
	s_cbranch_execz .LBB114_258
; %bb.262:                              ;   in Loop: Header=BB114_259 Depth=2
	s_waitcnt vmcnt(0)
	v_cmp_lt_i16_e32 vcc, -1, v3
	v_cndmask_b32_e32 v4, v29, v30, vcc
	v_lshlrev_b32_e32 v5, 16, v3
	v_xor_b32_sdwa v4, v4, v3 dst_sel:DWORD dst_unused:UNUSED_PAD src0_sel:DWORD src1_sel:WORD_0
	v_cmp_o_f32_e32 vcc, v5, v5
	v_cndmask_b32_e32 v4, v29, v4, vcc
	v_and_b32_e32 v4, v4, v34
	v_cmp_eq_u32_e32 vcc, v4, v35
	s_and_b64 exec, exec, vcc
	s_cbranch_execz .LBB114_258
; %bb.263:                              ;   in Loop: Header=BB114_259 Depth=2
	v_perm_b32 v3, v3, s9, v33
	ds_write_b32 v11, v3 offset:3072
	s_branch .LBB114_258
.LBB114_264:                            ;   in Loop: Header=BB114_6 Depth=1
	s_or_b64 exec, exec, s[26:27]
	v_lshrrev_b32_e32 v36, 16, v3
	s_and_b64 s[18:19], s[30:31], exec
.LBB114_265:                            ;   in Loop: Header=BB114_6 Depth=1
	s_or_b64 exec, exec, s[22:23]
	s_mov_b64 s[34:35], 0
	s_mov_b64 s[30:31], -1
	s_mov_b64 s[22:23], 0
.LBB114_266:                            ;   in Loop: Header=BB114_6 Depth=1
	s_orn2_b64 s[18:19], s[18:19], exec
.LBB114_267:                            ;   in Loop: Header=BB114_6 Depth=1
	s_or_b64 exec, exec, s[16:17]
                                        ; implicit-def: $vgpr10
                                        ; implicit-def: $vgpr5
                                        ; implicit-def: $vgpr2
                                        ; implicit-def: $vgpr3
                                        ; implicit-def: $vgpr4
	s_and_saveexec_b64 s[26:27], s[18:19]
	s_cbranch_execz .LBB114_402
; %bb.268:                              ;   in Loop: Header=BB114_6 Depth=1
	s_xor_b64 s[28:29], s[28:29], -1
	s_mov_b64 s[18:19], 0
	v_mov_b32_e32 v5, 1
	v_mov_b32_e32 v10, 1
	s_and_saveexec_b64 s[16:17], s[28:29]
	s_cbranch_execz .LBB114_278
; %bb.269:                              ;   in Loop: Header=BB114_6 Depth=1
	v_cmp_ge_u32_e32 vcc, s82, v37
                                        ; implicit-def: $sgpr36
                                        ; implicit-def: $sgpr18_sgpr19
	s_and_saveexec_b64 s[28:29], vcc
	s_xor_b64 s[28:29], exec, s[28:29]
	s_cbranch_execz .LBB114_275
; %bb.270:                              ;   in Loop: Header=BB114_6 Depth=1
	ds_read_b32 v2, v11 offset:4096
	s_waitcnt lgkmcnt(0)
	v_cmp_ne_u32_e32 vcc, 0, v2
	s_cbranch_vccnz .LBB114_274
; %bb.271:                              ;   in Loop: Header=BB114_6 Depth=1
	s_mov_b64 s[18:19], exec
	v_readlane_b32 s36, v55, 21
	v_readlane_b32 s37, v55, 22
	s_and_b64 s[36:37], s[18:19], s[36:37]
	s_mov_b64 exec, s[36:37]
	s_cbranch_execz .LBB114_273
; %bb.272:                              ;   in Loop: Header=BB114_6 Depth=1
	v_mov_b32_e32 v2, s82
	ds_write_b32 v11, v2 offset:4100
.LBB114_273:                            ;   in Loop: Header=BB114_6 Depth=1
	s_or_b64 exec, exec, s[18:19]
	s_waitcnt lgkmcnt(0)
	s_barrier
.LBB114_274:                            ;   in Loop: Header=BB114_6 Depth=1
	v_or_b32_e32 v35, s4, v35
	v_or_b32_e32 v34, s4, v34
	s_mov_b64 s[18:19], 0
	s_mov_b32 s36, 5
.LBB114_275:                            ;   in Loop: Header=BB114_6 Depth=1
	s_or_saveexec_b64 s[28:29], s[28:29]
	v_mov_b32_e32 v10, s36
	s_xor_b64 exec, exec, s[28:29]
; %bb.276:                              ;   in Loop: Header=BB114_6 Depth=1
	v_subrev_u32_e32 v37, s82, v37
	v_mov_b32_e32 v10, 0
	s_or_b64 s[18:19], s[18:19], exec
; %bb.277:                              ;   in Loop: Header=BB114_6 Depth=1
	s_or_b64 exec, exec, s[28:29]
	s_and_b64 s[18:19], s[18:19], exec
	v_mov_b32_e32 v5, v37
.LBB114_278:                            ;   in Loop: Header=BB114_6 Depth=1
	s_or_b64 exec, exec, s[16:17]
	s_mov_b64 s[38:39], -1
                                        ; implicit-def: $sgpr16_sgpr17
                                        ; implicit-def: $sgpr36_sgpr37
                                        ; implicit-def: $sgpr42_sgpr43
	s_and_saveexec_b64 s[28:29], s[18:19]
	s_xor_b64 s[28:29], exec, s[28:29]
	s_cbranch_execz .LBB114_399
; %bb.279:                              ;   in Loop: Header=BB114_6 Depth=1
	s_cmp_eq_u32 s63, 1
	s_cselect_b64 s[16:17], -1, 0
	v_cmp_eq_u32_e32 vcc, 1, v5
	s_and_b64 s[44:45], s[16:17], vcc
	s_mov_b64 s[46:47], -1
                                        ; implicit-def: $sgpr36_sgpr37
                                        ; implicit-def: $sgpr38_sgpr39
                                        ; implicit-def: $sgpr40_sgpr41
	s_and_saveexec_b64 s[16:17], s[44:45]
	s_cbranch_execz .LBB114_305
; %bb.280:                              ;   in Loop: Header=BB114_6 Depth=1
	ds_read_b32 v2, v11 offset:4096
	s_waitcnt lgkmcnt(0)
	s_barrier
	v_readfirstlane_b32 s42, v2
	s_mov_b64 s[18:19], exec
	v_readlane_b32 s36, v55, 45
	v_readlane_b32 s37, v55, 46
	s_and_b64 s[36:37], s[18:19], s[36:37]
	s_mov_b64 exec, s[36:37]
	s_cbranch_execz .LBB114_282
; %bb.281:                              ;   in Loop: Header=BB114_6 Depth=1
	ds_write_b16 v20, v11
.LBB114_282:                            ;   in Loop: Header=BB114_6 Depth=1
	s_or_b64 exec, exec, s[18:19]
	v_and_b32_e32 v2, s10, v35
	v_lshl_or_b32 v35, 2, s62, v2
	v_or_b32_e32 v34, s4, v34
	s_cmp_eq_u32 s42, 0
	s_waitcnt lgkmcnt(0)
	s_barrier
	s_cbranch_scc1 .LBB114_291
; %bb.283:                              ;   in Loop: Header=BB114_6 Depth=1
	v_readlane_b32 s18, v55, 36
	s_add_i32 s18, s42, s18
	v_readlane_b32 s19, v55, 60
	s_mul_hi_u32 s19, s18, s19
	s_mul_i32 s19, s19, s84
	s_sub_i32 s19, s18, s19
	s_sub_i32 s36, s19, s84
	s_cmp_ge_u32 s19, s84
	s_cselect_b32 s19, s36, s19
	s_sub_i32 s36, s19, s84
	s_cmp_ge_u32 s19, s84
	s_cselect_b32 s19, s36, s19
	s_sub_i32 s43, s18, s19
	v_cmp_gt_u32_e32 vcc, s43, v0
	s_mov_b64 s[18:19], 0
                                        ; implicit-def: $vgpr36
	s_and_saveexec_b64 s[36:37], vcc
	s_cbranch_execz .LBB114_293
; %bb.284:                              ;   in Loop: Header=BB114_6 Depth=1
	s_mov_b64 s[38:39], 0
	v_mov_b32_e32 v2, v19
	v_mov_b32_e32 v3, v0
                                        ; implicit-def: $sgpr40_sgpr41
	s_branch .LBB114_286
.LBB114_285:                            ;   in Loop: Header=BB114_286 Depth=2
	s_or_b64 exec, exec, s[18:19]
	s_waitcnt lgkmcnt(0)
	s_barrier
	ds_read_b32 v4, v11 offset:3072
	v_add_u32_e32 v3, s84, v3
	v_cmp_le_u32_e64 s[18:19], s43, v3
	v_add_u32_e32 v2, s13, v2
	s_waitcnt lgkmcnt(0)
	v_and_b32_e32 v10, 0x7fff, v4
	v_cmp_ne_u16_e32 vcc, 0, v10
	s_or_b64 s[18:19], s[18:19], vcc
	s_and_b64 s[18:19], exec, s[18:19]
	s_or_b64 s[38:39], s[18:19], s[38:39]
	s_andn2_b64 s[18:19], s[40:41], exec
	s_and_b64 s[40:41], vcc, exec
	s_or_b64 s[40:41], s[18:19], s[40:41]
	s_barrier
	s_andn2_b64 exec, exec, s[38:39]
	s_cbranch_execz .LBB114_292
.LBB114_286:                            ;   Parent Loop BB114_6 Depth=1
                                        ; =>  This Inner Loop Header: Depth=2
	v_cmp_gt_u32_e32 vcc, s42, v3
	v_mov_b32_e32 v4, 0
	s_and_saveexec_b64 s[18:19], vcc
	s_cbranch_execz .LBB114_288
; %bb.287:                              ;   in Loop: Header=BB114_286 Depth=2
	ds_read_u16 v4, v2
.LBB114_288:                            ;   in Loop: Header=BB114_286 Depth=2
	s_or_b64 exec, exec, s[18:19]
	s_and_saveexec_b64 s[18:19], vcc
	s_cbranch_execz .LBB114_285
; %bb.289:                              ;   in Loop: Header=BB114_286 Depth=2
	s_waitcnt lgkmcnt(0)
	v_cmp_lt_i16_e32 vcc, -1, v4
	v_cndmask_b32_e32 v10, v29, v30, vcc
	v_lshlrev_b32_e32 v36, 16, v4
	v_xor_b32_sdwa v10, v10, v4 dst_sel:DWORD dst_unused:UNUSED_PAD src0_sel:DWORD src1_sel:WORD_0
	v_cmp_o_f32_e32 vcc, v36, v36
	v_cndmask_b32_e32 v10, v29, v10, vcc
	v_and_b32_e32 v10, v10, v34
	v_cmp_eq_u32_e32 vcc, v10, v35
	s_and_b64 exec, exec, vcc
	s_cbranch_execz .LBB114_285
; %bb.290:                              ;   in Loop: Header=BB114_286 Depth=2
	v_perm_b32 v4, v4, s9, v33
	ds_write_b32 v11, v4 offset:3072
	s_branch .LBB114_285
.LBB114_291:                            ;   in Loop: Header=BB114_6 Depth=1
	s_mov_b64 s[36:37], -1
	s_mov_b64 s[18:19], 0
                                        ; implicit-def: $sgpr38_sgpr39
                                        ; implicit-def: $vgpr36
	s_mov_b64 s[40:41], s[36:37]
	s_cbranch_execnz .LBB114_294
	s_branch .LBB114_304
.LBB114_292:                            ;   in Loop: Header=BB114_6 Depth=1
	s_or_b64 exec, exec, s[38:39]
	v_lshrrev_b32_e32 v36, 16, v4
	s_and_b64 s[18:19], s[40:41], exec
.LBB114_293:                            ;   in Loop: Header=BB114_6 Depth=1
	s_or_b64 exec, exec, s[36:37]
	s_mov_b64 s[36:37], 0
	s_mov_b64 s[38:39], -1
	s_mov_b64 s[40:41], s[36:37]
	s_branch .LBB114_304
.LBB114_294:                            ;   in Loop: Header=BB114_6 Depth=1
	s_mov_b64 s[18:19], 0
                                        ; implicit-def: $vgpr36
	s_mov_b64 s[36:37], exec
	v_readlane_b32 s38, v55, 61
	v_readlane_b32 s39, v55, 62
	s_and_b64 s[38:39], s[36:37], s[38:39]
	s_mov_b64 exec, s[38:39]
	s_cbranch_execz .LBB114_303
; %bb.295:                              ;   in Loop: Header=BB114_6 Depth=1
	s_mov_b64 s[38:39], 0
	v_mov_b32_e32 v10, v12
	v_mov_b32_e32 v2, v0
                                        ; implicit-def: $sgpr40_sgpr41
	s_branch .LBB114_297
.LBB114_296:                            ;   in Loop: Header=BB114_297 Depth=2
	s_or_b64 exec, exec, s[18:19]
	s_waitcnt lgkmcnt(0)
	s_barrier
	s_waitcnt vmcnt(0)
	ds_read_b32 v3, v11 offset:3072
	v_add_u32_e32 v2, s84, v2
	v_cmp_le_u32_e64 s[18:19], s86, v2
	v_add_u32_e32 v10, s6, v10
	s_waitcnt lgkmcnt(0)
	v_and_b32_e32 v4, 0x7fff, v3
	v_cmp_ne_u16_e32 vcc, 0, v4
	s_or_b64 s[18:19], s[18:19], vcc
	s_and_b64 s[18:19], exec, s[18:19]
	s_or_b64 s[38:39], s[18:19], s[38:39]
	s_andn2_b64 s[18:19], s[40:41], exec
	s_and_b64 s[40:41], vcc, exec
	s_or_b64 s[40:41], s[18:19], s[40:41]
	s_barrier
	s_andn2_b64 exec, exec, s[38:39]
	s_cbranch_execz .LBB114_302
.LBB114_297:                            ;   Parent Loop BB114_6 Depth=1
                                        ; =>  This Inner Loop Header: Depth=2
	v_cmp_gt_u32_e32 vcc, s60, v2
	v_mov_b32_e32 v3, 0
	s_and_saveexec_b64 s[42:43], vcc
	s_cbranch_execz .LBB114_299
; %bb.298:                              ;   in Loop: Header=BB114_297 Depth=2
	v_lshlrev_b64 v[36:37], 1, v[10:11]
	v_mov_b32_e32 v3, s7
	v_add_co_u32_e64 v36, s[18:19], s33, v36
	v_addc_co_u32_e64 v37, s[18:19], v3, v37, s[18:19]
	global_load_ushort v3, v[36:37], off
.LBB114_299:                            ;   in Loop: Header=BB114_297 Depth=2
	s_or_b64 exec, exec, s[42:43]
	s_and_saveexec_b64 s[18:19], vcc
	s_cbranch_execz .LBB114_296
; %bb.300:                              ;   in Loop: Header=BB114_297 Depth=2
	s_waitcnt vmcnt(0)
	v_cmp_lt_i16_e32 vcc, -1, v3
	v_cndmask_b32_e32 v4, v29, v30, vcc
	v_lshlrev_b32_e32 v36, 16, v3
	v_xor_b32_sdwa v4, v4, v3 dst_sel:DWORD dst_unused:UNUSED_PAD src0_sel:DWORD src1_sel:WORD_0
	v_cmp_o_f32_e32 vcc, v36, v36
	v_cndmask_b32_e32 v4, v29, v4, vcc
	v_and_b32_e32 v4, v4, v34
	v_cmp_eq_u32_e32 vcc, v4, v35
	s_and_b64 exec, exec, vcc
	s_cbranch_execz .LBB114_296
; %bb.301:                              ;   in Loop: Header=BB114_297 Depth=2
	v_perm_b32 v3, v3, s9, v33
	ds_write_b32 v11, v3 offset:3072
	s_branch .LBB114_296
.LBB114_302:                            ;   in Loop: Header=BB114_6 Depth=1
	s_or_b64 exec, exec, s[38:39]
	v_lshrrev_b32_e32 v36, 16, v3
	s_and_b64 s[18:19], s[40:41], exec
.LBB114_303:                            ;   in Loop: Header=BB114_6 Depth=1
	s_or_b64 exec, exec, s[36:37]
	s_mov_b64 s[38:39], 0
	s_mov_b64 s[36:37], -1
	s_mov_b64 s[40:41], 0
.LBB114_304:                            ;   in Loop: Header=BB114_6 Depth=1
	s_orn2_b64 s[46:47], s[18:19], exec
.LBB114_305:                            ;   in Loop: Header=BB114_6 Depth=1
	s_or_b64 exec, exec, s[16:17]
	s_mov_b64 s[18:19], 0
                                        ; implicit-def: $vgpr10
	s_and_saveexec_b64 s[42:43], s[46:47]
	s_cbranch_execz .LBB114_398
; %bb.306:                              ;   in Loop: Header=BB114_6 Depth=1
	s_xor_b64 s[18:19], s[44:45], -1
	s_mov_b64 s[48:49], 0
	v_mov_b32_e32 v2, 1
	v_mov_b32_e32 v10, 1
	s_and_saveexec_b64 s[16:17], s[18:19]
	s_cbranch_execz .LBB114_316
; %bb.307:                              ;   in Loop: Header=BB114_6 Depth=1
	v_cmp_ge_u32_e32 vcc, s63, v5
                                        ; implicit-def: $sgpr46
                                        ; implicit-def: $sgpr18_sgpr19
	s_and_saveexec_b64 s[44:45], vcc
	s_xor_b64 s[44:45], exec, s[44:45]
	s_cbranch_execz .LBB114_313
; %bb.308:                              ;   in Loop: Header=BB114_6 Depth=1
	ds_read_b32 v2, v11 offset:4096
	s_waitcnt lgkmcnt(0)
	v_cmp_ne_u32_e32 vcc, 0, v2
	s_cbranch_vccnz .LBB114_312
; %bb.309:                              ;   in Loop: Header=BB114_6 Depth=1
	s_mov_b64 s[18:19], exec
	v_readlane_b32 s46, v55, 21
	v_readlane_b32 s47, v55, 22
	s_and_b64 s[46:47], s[18:19], s[46:47]
	s_mov_b64 exec, s[46:47]
	s_cbranch_execz .LBB114_311
; %bb.310:                              ;   in Loop: Header=BB114_6 Depth=1
	v_mov_b32_e32 v2, s63
	ds_write_b32 v11, v2 offset:4100
.LBB114_311:                            ;   in Loop: Header=BB114_6 Depth=1
	s_or_b64 exec, exec, s[18:19]
	s_waitcnt lgkmcnt(0)
	s_barrier
.LBB114_312:                            ;   in Loop: Header=BB114_6 Depth=1
	v_and_b32_e32 v2, s10, v35
	v_lshl_or_b32 v35, 2, s62, v2
	v_or_b32_e32 v34, s4, v34
	s_mov_b64 s[18:19], 0
	s_mov_b32 s46, 5
.LBB114_313:                            ;   in Loop: Header=BB114_6 Depth=1
	s_or_saveexec_b64 s[44:45], s[44:45]
	v_mov_b32_e32 v10, s46
	s_xor_b64 exec, exec, s[44:45]
; %bb.314:                              ;   in Loop: Header=BB114_6 Depth=1
	v_subrev_u32_e32 v5, s63, v5
	v_mov_b32_e32 v10, 0
	s_or_b64 s[18:19], s[18:19], exec
; %bb.315:                              ;   in Loop: Header=BB114_6 Depth=1
	s_or_b64 exec, exec, s[44:45]
	s_and_b64 s[48:49], s[18:19], exec
	v_mov_b32_e32 v2, v5
.LBB114_316:                            ;   in Loop: Header=BB114_6 Depth=1
	s_or_b64 exec, exec, s[16:17]
	s_mov_b64 s[16:17], -1
                                        ; implicit-def: $sgpr18_sgpr19
                                        ; implicit-def: $sgpr46_sgpr47
                                        ; implicit-def: $sgpr52_sgpr53
	s_and_saveexec_b64 s[44:45], s[48:49]
	s_cbranch_execz .LBB114_397
; %bb.317:                              ;   in Loop: Header=BB114_6 Depth=1
	s_cmp_eq_u32 s11, 1
	s_cselect_b64 s[16:17], -1, 0
	v_cmp_eq_u32_e32 vcc, 1, v2
	s_and_b64 s[54:55], s[16:17], vcc
	s_mov_b64 s[18:19], -1
                                        ; implicit-def: $sgpr46_sgpr47
                                        ; implicit-def: $sgpr48_sgpr49
                                        ; implicit-def: $sgpr50_sgpr51
	s_and_saveexec_b64 s[16:17], s[54:55]
	s_cbranch_execz .LBB114_343
; %bb.318:                              ;   in Loop: Header=BB114_6 Depth=1
	ds_read_b32 v3, v11 offset:4096
	s_waitcnt lgkmcnt(0)
	s_barrier
	v_readfirstlane_b32 s52, v3
	s_mov_b64 s[18:19], exec
	v_readlane_b32 s46, v55, 45
	v_readlane_b32 s47, v55, 46
	s_and_b64 s[46:47], s[18:19], s[46:47]
	s_mov_b64 exec, s[46:47]
	s_cbranch_execz .LBB114_320
; %bb.319:                              ;   in Loop: Header=BB114_6 Depth=1
	ds_write_b16 v20, v11
.LBB114_320:                            ;   in Loop: Header=BB114_6 Depth=1
	s_or_b64 exec, exec, s[18:19]
	v_and_b32_e32 v3, s10, v35
	v_lshl_or_b32 v35, 1, s62, v3
	v_or_b32_e32 v34, s4, v34
	s_cmp_eq_u32 s52, 0
	s_waitcnt lgkmcnt(0)
	s_barrier
	s_cbranch_scc1 .LBB114_329
; %bb.321:                              ;   in Loop: Header=BB114_6 Depth=1
	v_readlane_b32 s18, v55, 36
	s_add_i32 s18, s52, s18
	v_readlane_b32 s19, v55, 60
	s_mul_hi_u32 s19, s18, s19
	s_mul_i32 s19, s19, s84
	s_sub_i32 s19, s18, s19
	s_sub_i32 s46, s19, s84
	s_cmp_ge_u32 s19, s84
	s_cselect_b32 s19, s46, s19
	s_sub_i32 s46, s19, s84
	s_cmp_ge_u32 s19, s84
	s_cselect_b32 s19, s46, s19
	s_sub_i32 s53, s18, s19
	v_cmp_gt_u32_e32 vcc, s53, v0
	s_mov_b64 s[18:19], 0
                                        ; implicit-def: $vgpr36
	s_and_saveexec_b64 s[46:47], vcc
	s_cbranch_execz .LBB114_331
; %bb.322:                              ;   in Loop: Header=BB114_6 Depth=1
	s_mov_b64 s[48:49], 0
	v_mov_b32_e32 v3, v19
	v_mov_b32_e32 v4, v0
                                        ; implicit-def: $sgpr50_sgpr51
	s_branch .LBB114_324
.LBB114_323:                            ;   in Loop: Header=BB114_324 Depth=2
	s_or_b64 exec, exec, s[18:19]
	s_waitcnt lgkmcnt(0)
	s_barrier
	ds_read_b32 v5, v11 offset:3072
	v_add_u32_e32 v4, s84, v4
	v_cmp_le_u32_e64 s[18:19], s53, v4
	v_add_u32_e32 v3, s13, v3
	s_waitcnt lgkmcnt(0)
	v_and_b32_e32 v10, 0x7fff, v5
	v_cmp_ne_u16_e32 vcc, 0, v10
	s_or_b64 s[18:19], s[18:19], vcc
	s_and_b64 s[18:19], exec, s[18:19]
	s_or_b64 s[48:49], s[18:19], s[48:49]
	s_andn2_b64 s[18:19], s[50:51], exec
	s_and_b64 s[50:51], vcc, exec
	s_or_b64 s[50:51], s[18:19], s[50:51]
	s_barrier
	s_andn2_b64 exec, exec, s[48:49]
	s_cbranch_execz .LBB114_330
.LBB114_324:                            ;   Parent Loop BB114_6 Depth=1
                                        ; =>  This Inner Loop Header: Depth=2
	v_cmp_gt_u32_e32 vcc, s52, v4
	v_mov_b32_e32 v5, 0
	s_and_saveexec_b64 s[18:19], vcc
	s_cbranch_execz .LBB114_326
; %bb.325:                              ;   in Loop: Header=BB114_324 Depth=2
	ds_read_u16 v5, v3
.LBB114_326:                            ;   in Loop: Header=BB114_324 Depth=2
	s_or_b64 exec, exec, s[18:19]
	s_and_saveexec_b64 s[18:19], vcc
	s_cbranch_execz .LBB114_323
; %bb.327:                              ;   in Loop: Header=BB114_324 Depth=2
	s_waitcnt lgkmcnt(0)
	v_cmp_lt_i16_e32 vcc, -1, v5
	v_cndmask_b32_e32 v10, v29, v30, vcc
	v_lshlrev_b32_e32 v36, 16, v5
	v_xor_b32_sdwa v10, v10, v5 dst_sel:DWORD dst_unused:UNUSED_PAD src0_sel:DWORD src1_sel:WORD_0
	v_cmp_o_f32_e32 vcc, v36, v36
	v_cndmask_b32_e32 v10, v29, v10, vcc
	v_and_b32_e32 v10, v10, v34
	v_cmp_eq_u32_e32 vcc, v10, v35
	s_and_b64 exec, exec, vcc
	s_cbranch_execz .LBB114_323
; %bb.328:                              ;   in Loop: Header=BB114_324 Depth=2
	v_perm_b32 v5, v5, s9, v33
	ds_write_b32 v11, v5 offset:3072
	s_branch .LBB114_323
.LBB114_329:                            ;   in Loop: Header=BB114_6 Depth=1
	s_mov_b64 s[46:47], -1
	s_mov_b64 s[18:19], 0
                                        ; implicit-def: $sgpr48_sgpr49
                                        ; implicit-def: $vgpr36
	s_mov_b64 s[50:51], s[46:47]
	s_cbranch_execnz .LBB114_332
	s_branch .LBB114_342
.LBB114_330:                            ;   in Loop: Header=BB114_6 Depth=1
	s_or_b64 exec, exec, s[48:49]
	v_lshrrev_b32_e32 v36, 16, v5
	s_and_b64 s[18:19], s[50:51], exec
.LBB114_331:                            ;   in Loop: Header=BB114_6 Depth=1
	s_or_b64 exec, exec, s[46:47]
	s_mov_b64 s[46:47], 0
	s_mov_b64 s[48:49], -1
	s_mov_b64 s[50:51], s[46:47]
	s_branch .LBB114_342
.LBB114_332:                            ;   in Loop: Header=BB114_6 Depth=1
	s_mov_b64 s[18:19], 0
                                        ; implicit-def: $vgpr36
	s_mov_b64 s[46:47], exec
	v_readlane_b32 s48, v55, 61
	v_readlane_b32 s49, v55, 62
	s_and_b64 s[48:49], s[46:47], s[48:49]
	s_mov_b64 exec, s[48:49]
	s_cbranch_execz .LBB114_341
; %bb.333:                              ;   in Loop: Header=BB114_6 Depth=1
	s_mov_b64 s[48:49], 0
	v_mov_b32_e32 v10, v12
	v_mov_b32_e32 v3, v0
                                        ; implicit-def: $sgpr50_sgpr51
	s_branch .LBB114_335
.LBB114_334:                            ;   in Loop: Header=BB114_335 Depth=2
	s_or_b64 exec, exec, s[18:19]
	s_waitcnt lgkmcnt(0)
	s_barrier
	s_waitcnt vmcnt(0)
	ds_read_b32 v4, v11 offset:3072
	v_add_u32_e32 v3, s84, v3
	v_cmp_le_u32_e64 s[18:19], s86, v3
	v_add_u32_e32 v10, s6, v10
	s_waitcnt lgkmcnt(0)
	v_and_b32_e32 v5, 0x7fff, v4
	v_cmp_ne_u16_e32 vcc, 0, v5
	s_or_b64 s[18:19], s[18:19], vcc
	s_and_b64 s[18:19], exec, s[18:19]
	s_or_b64 s[48:49], s[18:19], s[48:49]
	s_andn2_b64 s[18:19], s[50:51], exec
	s_and_b64 s[50:51], vcc, exec
	s_or_b64 s[50:51], s[18:19], s[50:51]
	s_barrier
	s_andn2_b64 exec, exec, s[48:49]
	s_cbranch_execz .LBB114_340
.LBB114_335:                            ;   Parent Loop BB114_6 Depth=1
                                        ; =>  This Inner Loop Header: Depth=2
	v_cmp_gt_u32_e32 vcc, s60, v3
	v_mov_b32_e32 v4, 0
	s_and_saveexec_b64 s[52:53], vcc
	s_cbranch_execz .LBB114_337
; %bb.336:                              ;   in Loop: Header=BB114_335 Depth=2
	v_lshlrev_b64 v[4:5], 1, v[10:11]
	v_mov_b32_e32 v36, s7
	v_add_co_u32_e64 v4, s[18:19], s33, v4
	v_addc_co_u32_e64 v5, s[18:19], v36, v5, s[18:19]
	global_load_ushort v4, v[4:5], off
.LBB114_337:                            ;   in Loop: Header=BB114_335 Depth=2
	s_or_b64 exec, exec, s[52:53]
	s_and_saveexec_b64 s[18:19], vcc
	s_cbranch_execz .LBB114_334
; %bb.338:                              ;   in Loop: Header=BB114_335 Depth=2
	s_waitcnt vmcnt(0)
	v_cmp_lt_i16_e32 vcc, -1, v4
	v_cndmask_b32_e32 v5, v29, v30, vcc
	v_lshlrev_b32_e32 v36, 16, v4
	v_xor_b32_sdwa v5, v5, v4 dst_sel:DWORD dst_unused:UNUSED_PAD src0_sel:DWORD src1_sel:WORD_0
	v_cmp_o_f32_e32 vcc, v36, v36
	v_cndmask_b32_e32 v5, v29, v5, vcc
	v_and_b32_e32 v5, v5, v34
	v_cmp_eq_u32_e32 vcc, v5, v35
	s_and_b64 exec, exec, vcc
	s_cbranch_execz .LBB114_334
; %bb.339:                              ;   in Loop: Header=BB114_335 Depth=2
	v_perm_b32 v4, v4, s9, v33
	ds_write_b32 v11, v4 offset:3072
	s_branch .LBB114_334
.LBB114_340:                            ;   in Loop: Header=BB114_6 Depth=1
	s_or_b64 exec, exec, s[48:49]
	v_lshrrev_b32_e32 v36, 16, v4
	s_and_b64 s[18:19], s[50:51], exec
.LBB114_341:                            ;   in Loop: Header=BB114_6 Depth=1
	s_or_b64 exec, exec, s[46:47]
	s_mov_b64 s[48:49], 0
	s_mov_b64 s[46:47], -1
	s_mov_b64 s[50:51], 0
.LBB114_342:                            ;   in Loop: Header=BB114_6 Depth=1
	s_orn2_b64 s[18:19], s[18:19], exec
.LBB114_343:                            ;   in Loop: Header=BB114_6 Depth=1
	s_or_b64 exec, exec, s[16:17]
	s_mov_b64 s[16:17], 0
                                        ; implicit-def: $vgpr10
	s_and_saveexec_b64 s[52:53], s[18:19]
	s_cbranch_execz .LBB114_396
; %bb.344:                              ;   in Loop: Header=BB114_6 Depth=1
	s_xor_b64 s[18:19], s[54:55], -1
	s_mov_b64 s[56:57], 0
	v_mov_b32_e32 v3, 1
	v_mov_b32_e32 v10, 1
	s_and_saveexec_b64 s[16:17], s[18:19]
	s_cbranch_execz .LBB114_354
; %bb.345:                              ;   in Loop: Header=BB114_6 Depth=1
	v_cmp_ge_u32_e32 vcc, s11, v2
                                        ; implicit-def: $sgpr56
                                        ; implicit-def: $sgpr18_sgpr19
	s_and_saveexec_b64 s[54:55], vcc
	s_xor_b64 s[54:55], exec, s[54:55]
	s_cbranch_execz .LBB114_351
; %bb.346:                              ;   in Loop: Header=BB114_6 Depth=1
	ds_read_b32 v3, v11 offset:4096
	s_waitcnt lgkmcnt(0)
	v_cmp_ne_u32_e32 vcc, 0, v3
	s_cbranch_vccnz .LBB114_350
; %bb.347:                              ;   in Loop: Header=BB114_6 Depth=1
	s_mov_b64 s[18:19], exec
	v_readlane_b32 s56, v55, 21
	v_readlane_b32 s57, v55, 22
	s_and_b64 s[56:57], s[18:19], s[56:57]
	s_mov_b64 exec, s[56:57]
	s_cbranch_execz .LBB114_349
; %bb.348:                              ;   in Loop: Header=BB114_6 Depth=1
	v_mov_b32_e32 v3, s11
	ds_write_b32 v11, v3 offset:4100
.LBB114_349:                            ;   in Loop: Header=BB114_6 Depth=1
	s_or_b64 exec, exec, s[18:19]
	s_waitcnt lgkmcnt(0)
	s_barrier
.LBB114_350:                            ;   in Loop: Header=BB114_6 Depth=1
	v_and_b32_e32 v3, s10, v35
	v_lshl_or_b32 v35, 1, s62, v3
	v_or_b32_e32 v34, s4, v34
	s_mov_b64 s[18:19], 0
	s_mov_b32 s56, 5
.LBB114_351:                            ;   in Loop: Header=BB114_6 Depth=1
	s_or_saveexec_b64 s[54:55], s[54:55]
	v_mov_b32_e32 v10, s56
	s_xor_b64 exec, exec, s[54:55]
; %bb.352:                              ;   in Loop: Header=BB114_6 Depth=1
	v_subrev_u32_e32 v2, s11, v2
	v_mov_b32_e32 v10, 0
	s_or_b64 s[18:19], s[18:19], exec
; %bb.353:                              ;   in Loop: Header=BB114_6 Depth=1
	s_or_b64 exec, exec, s[54:55]
	s_and_b64 s[56:57], s[18:19], exec
	v_mov_b32_e32 v3, v2
.LBB114_354:                            ;   in Loop: Header=BB114_6 Depth=1
	s_or_b64 exec, exec, s[16:17]
	s_mov_b64 s[16:17], -1
                                        ; implicit-def: $sgpr18_sgpr19
                                        ; implicit-def: $sgpr58_sgpr59
                                        ; implicit-def: $sgpr88_sgpr89
	s_and_saveexec_b64 s[54:55], s[56:57]
	s_cbranch_execz .LBB114_395
; %bb.355:                              ;   in Loop: Header=BB114_6 Depth=1
	s_cmp_eq_u32 s5, 1
	s_cselect_b64 s[16:17], -1, 0
	v_cmp_eq_u32_e32 vcc, 1, v3
	s_and_b64 s[56:57], s[16:17], vcc
	s_mov_b64 s[90:91], -1
                                        ; implicit-def: $sgpr18_sgpr19
                                        ; implicit-def: $sgpr58_sgpr59
                                        ; implicit-def: $sgpr88_sgpr89
	s_and_saveexec_b64 s[16:17], s[56:57]
	s_cbranch_execz .LBB114_382
; %bb.356:                              ;   in Loop: Header=BB114_6 Depth=1
	ds_read_b32 v2, v11 offset:4096
	s_waitcnt lgkmcnt(0)
	s_barrier
	v_readfirstlane_b32 s11, v2
	s_mov_b64 s[18:19], exec
	v_readlane_b32 s58, v55, 45
	v_readlane_b32 s59, v55, 46
	s_and_b64 s[58:59], s[18:19], s[58:59]
	s_mov_b64 exec, s[58:59]
	s_cbranch_execz .LBB114_358
; %bb.357:                              ;   in Loop: Header=BB114_6 Depth=1
	ds_write_b16 v20, v11
.LBB114_358:                            ;   in Loop: Header=BB114_6 Depth=1
	s_or_b64 exec, exec, s[18:19]
	v_and_b32_e32 v35, s10, v35
	v_or_b32_e32 v34, s4, v34
	s_cmp_eq_u32 s11, 0
	s_waitcnt lgkmcnt(0)
	s_barrier
	s_cbranch_scc1 .LBB114_367
; %bb.359:                              ;   in Loop: Header=BB114_6 Depth=1
	v_readlane_b32 s18, v55, 36
	s_add_i32 s18, s11, s18
	v_readlane_b32 s19, v55, 60
	s_mul_hi_u32 s19, s18, s19
	s_mul_i32 s19, s19, s84
	s_sub_i32 s19, s18, s19
	s_sub_i32 s58, s19, s84
	s_cmp_ge_u32 s19, s84
	s_cselect_b32 s19, s58, s19
	s_sub_i32 s58, s19, s84
	s_cmp_ge_u32 s19, s84
	s_cselect_b32 s19, s58, s19
	s_sub_i32 s62, s18, s19
	v_cmp_gt_u32_e32 vcc, s62, v0
	s_mov_b64 s[90:91], 0
                                        ; implicit-def: $vgpr36
	s_and_saveexec_b64 s[58:59], vcc
	s_cbranch_execz .LBB114_369
; %bb.360:                              ;   in Loop: Header=BB114_6 Depth=1
	s_mov_b64 s[88:89], 0
	v_mov_b32_e32 v2, v19
	v_mov_b32_e32 v4, v0
                                        ; implicit-def: $sgpr90_sgpr91
	s_branch .LBB114_362
.LBB114_361:                            ;   in Loop: Header=BB114_362 Depth=2
	s_or_b64 exec, exec, s[18:19]
	s_waitcnt lgkmcnt(0)
	s_barrier
	ds_read_b32 v5, v11 offset:3072
	v_add_u32_e32 v4, s84, v4
	v_cmp_le_u32_e64 s[18:19], s62, v4
	v_add_u32_e32 v2, s13, v2
	s_waitcnt lgkmcnt(0)
	v_and_b32_e32 v10, 0x7fff, v5
	v_cmp_ne_u16_e32 vcc, 0, v10
	s_or_b64 s[18:19], s[18:19], vcc
	s_and_b64 s[18:19], exec, s[18:19]
	s_or_b64 s[88:89], s[18:19], s[88:89]
	s_andn2_b64 s[18:19], s[90:91], exec
	s_and_b64 s[82:83], vcc, exec
	s_or_b64 s[90:91], s[18:19], s[82:83]
	s_barrier
	s_andn2_b64 exec, exec, s[88:89]
	s_cbranch_execz .LBB114_368
.LBB114_362:                            ;   Parent Loop BB114_6 Depth=1
                                        ; =>  This Inner Loop Header: Depth=2
	v_cmp_gt_u32_e32 vcc, s11, v4
	v_mov_b32_e32 v5, 0
	s_and_saveexec_b64 s[18:19], vcc
	s_cbranch_execz .LBB114_364
; %bb.363:                              ;   in Loop: Header=BB114_362 Depth=2
	ds_read_u16 v5, v2
.LBB114_364:                            ;   in Loop: Header=BB114_362 Depth=2
	s_or_b64 exec, exec, s[18:19]
	s_and_saveexec_b64 s[18:19], vcc
	s_cbranch_execz .LBB114_361
; %bb.365:                              ;   in Loop: Header=BB114_362 Depth=2
	s_waitcnt lgkmcnt(0)
	v_cmp_lt_i16_e32 vcc, -1, v5
	v_cndmask_b32_e32 v10, v29, v30, vcc
	v_lshlrev_b32_e32 v36, 16, v5
	v_xor_b32_sdwa v10, v10, v5 dst_sel:DWORD dst_unused:UNUSED_PAD src0_sel:DWORD src1_sel:WORD_0
	v_cmp_o_f32_e32 vcc, v36, v36
	v_cndmask_b32_e32 v10, v29, v10, vcc
	v_and_b32_e32 v10, v10, v34
	v_cmp_eq_u32_e32 vcc, v10, v35
	s_and_b64 exec, exec, vcc
	s_cbranch_execz .LBB114_361
; %bb.366:                              ;   in Loop: Header=BB114_362 Depth=2
	v_perm_b32 v5, v5, s9, v33
	ds_write_b32 v11, v5 offset:3072
	s_branch .LBB114_361
.LBB114_367:                            ;   in Loop: Header=BB114_6 Depth=1
	s_mov_b64 s[18:19], -1
	s_mov_b64 s[90:91], 0
                                        ; implicit-def: $sgpr58_sgpr59
                                        ; implicit-def: $vgpr36
	s_branch .LBB114_370
.LBB114_368:                            ;   in Loop: Header=BB114_6 Depth=1
	s_or_b64 exec, exec, s[88:89]
	v_lshrrev_b32_e32 v36, 16, v5
	s_and_b64 s[90:91], s[90:91], exec
.LBB114_369:                            ;   in Loop: Header=BB114_6 Depth=1
	s_or_b64 exec, exec, s[58:59]
	s_mov_b64 s[18:19], 0
	s_mov_b64 s[58:59], -1
.LBB114_370:                            ;   in Loop: Header=BB114_6 Depth=1
	s_and_b64 vcc, exec, s[18:19]
	s_mov_b64 s[88:89], s[18:19]
	s_cbranch_vccz .LBB114_381
; %bb.371:                              ;   in Loop: Header=BB114_6 Depth=1
	s_mov_b64 s[90:91], 0
                                        ; implicit-def: $vgpr36
	s_mov_b64 s[62:63], exec
	v_readlane_b32 s18, v55, 61
	v_readlane_b32 s19, v55, 62
	s_and_b64 s[18:19], s[62:63], s[18:19]
	s_mov_b64 exec, s[18:19]
	s_cbranch_execz .LBB114_380
; %bb.372:                              ;   in Loop: Header=BB114_6 Depth=1
	s_mov_b64 s[88:89], 0
	v_mov_b32_e32 v10, v12
	v_mov_b32_e32 v2, v0
                                        ; implicit-def: $sgpr90_sgpr91
	s_branch .LBB114_374
.LBB114_373:                            ;   in Loop: Header=BB114_374 Depth=2
	s_or_b64 exec, exec, s[18:19]
	s_waitcnt lgkmcnt(0)
	s_barrier
	s_waitcnt vmcnt(0)
	ds_read_b32 v4, v11 offset:3072
	v_add_u32_e32 v2, s84, v2
	v_cmp_le_u32_e64 s[18:19], s86, v2
	v_add_u32_e32 v10, s6, v10
	s_waitcnt lgkmcnt(0)
	v_and_b32_e32 v5, 0x7fff, v4
	v_cmp_ne_u16_e32 vcc, 0, v5
	s_or_b64 s[18:19], s[18:19], vcc
	s_and_b64 s[18:19], exec, s[18:19]
	s_or_b64 s[88:89], s[18:19], s[88:89]
	s_andn2_b64 s[18:19], s[90:91], exec
	s_and_b64 s[58:59], vcc, exec
	s_or_b64 s[90:91], s[18:19], s[58:59]
	s_barrier
	s_andn2_b64 exec, exec, s[88:89]
	s_cbranch_execz .LBB114_379
.LBB114_374:                            ;   Parent Loop BB114_6 Depth=1
                                        ; =>  This Inner Loop Header: Depth=2
	v_cmp_gt_u32_e32 vcc, s60, v2
	v_mov_b32_e32 v4, 0
	s_and_saveexec_b64 s[58:59], vcc
	s_cbranch_execz .LBB114_376
; %bb.375:                              ;   in Loop: Header=BB114_374 Depth=2
	v_lshlrev_b64 v[4:5], 1, v[10:11]
	v_mov_b32_e32 v36, s7
	v_add_co_u32_e64 v4, s[18:19], s33, v4
	v_addc_co_u32_e64 v5, s[18:19], v36, v5, s[18:19]
	global_load_ushort v4, v[4:5], off
.LBB114_376:                            ;   in Loop: Header=BB114_374 Depth=2
	s_or_b64 exec, exec, s[58:59]
	s_and_saveexec_b64 s[18:19], vcc
	s_cbranch_execz .LBB114_373
; %bb.377:                              ;   in Loop: Header=BB114_374 Depth=2
	s_waitcnt vmcnt(0)
	v_cmp_lt_i16_e32 vcc, -1, v4
	v_cndmask_b32_e32 v5, v29, v30, vcc
	v_lshlrev_b32_e32 v36, 16, v4
	v_xor_b32_sdwa v5, v5, v4 dst_sel:DWORD dst_unused:UNUSED_PAD src0_sel:DWORD src1_sel:WORD_0
	v_cmp_o_f32_e32 vcc, v36, v36
	v_cndmask_b32_e32 v5, v29, v5, vcc
	v_and_b32_e32 v5, v5, v34
	v_cmp_eq_u32_e32 vcc, v5, v35
	s_and_b64 exec, exec, vcc
	s_cbranch_execz .LBB114_373
; %bb.378:                              ;   in Loop: Header=BB114_374 Depth=2
	v_perm_b32 v4, v4, s9, v33
	ds_write_b32 v11, v4 offset:3072
	s_branch .LBB114_373
.LBB114_379:                            ;   in Loop: Header=BB114_6 Depth=1
	s_or_b64 exec, exec, s[88:89]
	v_lshrrev_b32_e32 v36, 16, v4
	s_and_b64 s[90:91], s[90:91], exec
.LBB114_380:                            ;   in Loop: Header=BB114_6 Depth=1
	s_or_b64 exec, exec, s[62:63]
	s_mov_b64 s[58:59], 0
	s_mov_b64 s[18:19], -1
	s_mov_b64 s[88:89], 0
.LBB114_381:                            ;   in Loop: Header=BB114_6 Depth=1
	s_orn2_b64 s[90:91], s[90:91], exec
.LBB114_382:                            ;   in Loop: Header=BB114_6 Depth=1
	s_or_b64 exec, exec, s[16:17]
	s_mov_b64 vcc, 0
                                        ; implicit-def: $vgpr10
                                        ; implicit-def: $vgpr2
	s_and_saveexec_b64 s[16:17], s[90:91]
	s_cbranch_execz .LBB114_394
; %bb.383:                              ;   in Loop: Header=BB114_6 Depth=1
	s_xor_b64 s[62:63], s[56:57], -1
	v_mov_b32_e32 v10, 1
	v_mov_b32_e32 v2, 1
	s_and_saveexec_b64 s[56:57], s[62:63]
	s_cbranch_execz .LBB114_393
; %bb.384:                              ;   in Loop: Header=BB114_6 Depth=1
	v_cmp_ge_u32_e32 vcc, s5, v3
                                        ; implicit-def: $sgpr11
	s_and_saveexec_b64 s[62:63], vcc
	s_xor_b64 s[90:91], exec, s[62:63]
	s_cbranch_execz .LBB114_390
; %bb.385:                              ;   in Loop: Header=BB114_6 Depth=1
	ds_read_b32 v2, v11 offset:4096
	s_waitcnt lgkmcnt(0)
	v_cmp_ne_u32_e32 vcc, 0, v2
	s_cbranch_vccnz .LBB114_389
; %bb.386:                              ;   in Loop: Header=BB114_6 Depth=1
	s_mov_b64 vcc, exec
	v_readlane_b32 s62, v55, 21
	v_readlane_b32 s63, v55, 22
	s_and_b64 s[62:63], vcc, s[62:63]
	s_mov_b64 exec, s[62:63]
	s_cbranch_execz .LBB114_388
; %bb.387:                              ;   in Loop: Header=BB114_6 Depth=1
	v_mov_b32_e32 v2, s5
	ds_write_b32 v11, v2 offset:4100
.LBB114_388:                            ;   in Loop: Header=BB114_6 Depth=1
	s_or_b64 exec, exec, vcc
	s_waitcnt lgkmcnt(0)
	s_barrier
.LBB114_389:                            ;   in Loop: Header=BB114_6 Depth=1
	v_and_b32_e32 v35, s10, v35
	v_or_b32_e32 v34, s4, v34
	s_mov_b32 s11, 5
.LBB114_390:                            ;   in Loop: Header=BB114_6 Depth=1
	s_or_saveexec_b64 s[90:91], s[90:91]
	v_mov_b32_e32 v10, s11
	s_xor_b64 exec, exec, s[90:91]
; %bb.391:                              ;   in Loop: Header=BB114_6 Depth=1
	v_subrev_u32_e32 v3, s5, v3
	v_mov_b32_e32 v10, 5
; %bb.392:                              ;   in Loop: Header=BB114_6 Depth=1
	s_or_b64 exec, exec, s[90:91]
	v_mov_b32_e32 v2, v3
.LBB114_393:                            ;   in Loop: Header=BB114_6 Depth=1
	s_or_b64 exec, exec, s[56:57]
	s_mov_b64 vcc, exec
.LBB114_394:                            ;   in Loop: Header=BB114_6 Depth=1
	s_or_b64 exec, exec, s[16:17]
	s_orn2_b64 s[16:17], vcc, exec
	v_mov_b32_e32 v3, v2
.LBB114_395:                            ;   in Loop: Header=BB114_6 Depth=1
	s_or_b64 exec, exec, s[54:55]
	s_andn2_b64 s[4:5], s[46:47], exec
	s_and_b64 s[10:11], s[18:19], exec
	s_or_b64 s[46:47], s[4:5], s[10:11]
	s_andn2_b64 s[4:5], s[48:49], exec
	s_and_b64 s[10:11], s[58:59], exec
	s_or_b64 s[48:49], s[4:5], s[10:11]
	s_andn2_b64 s[4:5], s[50:51], exec
	s_and_b64 s[10:11], s[88:89], exec
	s_or_b64 s[50:51], s[4:5], s[10:11]
	s_and_b64 s[16:17], s[16:17], exec
	v_mov_b32_e32 v2, v3
.LBB114_396:                            ;   in Loop: Header=BB114_6 Depth=1
	s_or_b64 exec, exec, s[52:53]
	s_and_b64 s[52:53], s[46:47], exec
	s_and_b64 s[46:47], s[48:49], exec
	;; [unrolled: 1-line block ×3, first 2 shown]
	s_orn2_b64 s[16:17], s[16:17], exec
.LBB114_397:                            ;   in Loop: Header=BB114_6 Depth=1
	s_or_b64 exec, exec, s[44:45]
	s_andn2_b64 s[4:5], s[36:37], exec
	s_and_b64 s[10:11], s[52:53], exec
	s_or_b64 s[36:37], s[4:5], s[10:11]
	s_andn2_b64 s[4:5], s[38:39], exec
	s_and_b64 s[10:11], s[46:47], exec
	s_or_b64 s[38:39], s[4:5], s[10:11]
	;; [unrolled: 3-line block ×3, first 2 shown]
	s_and_b64 s[18:19], s[16:17], exec
	v_mov_b32_e32 v5, v2
.LBB114_398:                            ;   in Loop: Header=BB114_6 Depth=1
	s_or_b64 exec, exec, s[42:43]
	s_and_b64 s[42:43], s[36:37], exec
	s_and_b64 s[36:37], s[38:39], exec
	;; [unrolled: 1-line block ×3, first 2 shown]
	s_orn2_b64 s[38:39], s[18:19], exec
.LBB114_399:                            ;   in Loop: Header=BB114_6 Depth=1
	s_or_b64 exec, exec, s[28:29]
	s_mov_b64 s[18:19], s[24:25]
	s_mov_b64 s[28:29], s[20:21]
	s_and_saveexec_b64 s[40:41], s[38:39]
; %bb.400:                              ;   in Loop: Header=BB114_6 Depth=1
	v_cmp_ne_u32_e64 s[18:19], 5, v10
	v_cmp_eq_u32_e32 vcc, 5, v10
	s_andn2_b64 s[4:5], s[20:21], exec
	s_and_b64 s[10:11], s[18:19], exec
	s_or_b64 s[28:29], s[4:5], s[10:11]
	s_andn2_b64 s[4:5], s[24:25], exec
	s_and_b64 s[10:11], vcc, exec
	s_andn2_b64 s[42:43], s[42:43], exec
	s_andn2_b64 s[36:37], s[36:37], exec
	;; [unrolled: 1-line block ×3, first 2 shown]
	s_or_b64 s[18:19], s[4:5], s[10:11]
; %bb.401:                              ;   in Loop: Header=BB114_6 Depth=1
	s_or_b64 exec, exec, s[40:41]
	s_andn2_b64 s[4:5], s[30:31], exec
	s_and_b64 s[10:11], s[42:43], exec
	s_or_b64 s[30:31], s[4:5], s[10:11]
	s_andn2_b64 s[4:5], s[34:35], exec
	s_and_b64 s[10:11], s[36:37], exec
	s_or_b64 s[34:35], s[4:5], s[10:11]
	;; [unrolled: 3-line block ×5, first 2 shown]
	v_mov_b32_e32 v2, v35
	v_mov_b32_e32 v3, v34
	;; [unrolled: 1-line block ×3, first 2 shown]
.LBB114_402:                            ;   in Loop: Header=BB114_6 Depth=1
	s_or_b64 exec, exec, s[26:27]
	s_mov_b64 s[28:29], s[22:23]
	s_mov_b64 s[26:27], s[22:23]
	s_and_saveexec_b64 s[16:17], s[24:25]
.LBB114_403:                            ;   in Loop: Header=BB114_6 Depth=1
	v_mov_b32_e32 v10, 0
	s_andn2_b64 s[22:23], s[22:23], exec
	s_andn2_b64 s[30:31], s[30:31], exec
	;; [unrolled: 1-line block ×5, first 2 shown]
	s_or_b64 s[20:21], s[20:21], exec
.LBB114_404:                            ;   in Loop: Header=BB114_6 Depth=1
	s_or_b64 exec, exec, s[16:17]
	s_andn2_b64 s[4:5], s[72:73], exec
	s_and_b64 s[10:11], s[22:23], exec
	s_or_b64 s[72:73], s[4:5], s[10:11]
	s_andn2_b64 s[4:5], s[94:95], exec
	s_and_b64 s[10:11], s[30:31], exec
	s_or_b64 s[94:95], s[4:5], s[10:11]
	;; [unrolled: 3-line block ×4, first 2 shown]
	s_andn2_b64 s[4:5], s[76:77], exec
	s_and_b64 s[10:11], s[26:27], exec
	s_mov_b64 s[18:19], -1
	s_or_b64 s[76:77], s[4:5], s[10:11]
                                        ; implicit-def: $vgpr34
                                        ; implicit-def: $vgpr35
                                        ; implicit-def: $vgpr37
                                        ; implicit-def: $vgpr36
	s_and_saveexec_b64 s[4:5], s[20:21]
	s_xor_b64 s[16:17], exec, s[4:5]
	s_cbranch_execz .LBB114_5
; %bb.405:                              ;   in Loop: Header=BB114_6 Depth=1
	v_cmp_eq_u32_e32 vcc, 0, v10
	s_mov_b64 s[20:21], -1
	s_and_saveexec_b64 s[22:23], vcc
	s_cbranch_execz .LBB114_4
; %bb.406:                              ;   in Loop: Header=BB114_6 Depth=1
	s_xor_b32 s81, s81, 1
	s_add_i32 s10, s80, -2
	s_cmp_eq_u32 s80, 0
	s_cselect_b64 s[4:5], -1, 0
	s_xor_b64 s[20:21], exec, -1
	s_orn2_b64 s[18:19], s[4:5], exec
	s_mov_b32 s80, s10
	s_branch .LBB114_4
.LBB114_407:
	s_or_b64 exec, exec, s[74:75]
	s_xor_b64 s[16:17], s[2:3], -1
	s_xor_b64 s[20:21], s[68:69], -1
	;; [unrolled: 1-line block ×5, first 2 shown]
	s_mov_b64 s[12:13], 0
	s_and_saveexec_b64 s[8:9], s[4:5]
	s_xor_b64 s[10:11], exec, s[8:9]
	s_cbranch_execnz .LBB114_412
; %bb.408:
	s_andn2_saveexec_b64 s[0:1], s[10:11]
	s_cbranch_execnz .LBB114_431
.LBB114_409:
	s_or_b64 exec, exec, s[0:1]
	s_and_saveexec_b64 s[0:1], s[12:13]
.LBB114_410:
	; divergent unreachable
.LBB114_411:
	s_endpgm
.LBB114_412:
	s_mov_b64 s[14:15], 0
	s_and_saveexec_b64 s[4:5], s[18:19]
	s_xor_b64 s[12:13], exec, s[4:5]
	s_cbranch_execz .LBB114_429
; %bb.413:
	s_mov_b64 s[18:19], 0
	s_and_saveexec_b64 s[4:5], s[20:21]
	s_xor_b64 s[14:15], exec, s[4:5]
	s_cbranch_execz .LBB114_427
; %bb.414:
	s_and_saveexec_b64 s[4:5], s[16:17]
	s_xor_b64 s[16:17], exec, s[4:5]
	s_cbranch_execz .LBB114_425
; %bb.415:
	s_and_saveexec_b64 s[4:5], s[2:3]
	s_xor_b64 s[2:3], exec, s[4:5]
; %bb.416:
	v_and_b32_e32 v1, 0x8000, v2
	v_mov_b32_e32 v3, 0x8000
	v_mov_b32_e32 v4, 0xffff
	v_cmp_eq_u32_e32 vcc, 0, v1
	v_cndmask_b32_e32 v1, v3, v4, vcc
	v_xor_b32_e32 v4, v1, v2
; %bb.417:
	s_or_b64 exec, exec, s[2:3]
	s_mov_b64 s[2:3], exec
	v_readlane_b32 s4, v55, 21
	v_readlane_b32 s5, v55, 22
	;; [unrolled: 1-line block ×4, first 2 shown]
	s_and_b64 s[4:5], s[2:3], s[4:5]
	v_readlane_b32 s43, v55, 27
	v_readlane_b32 s19, v55, 42
	s_mov_b64 exec, s[4:5]
	s_cbranch_execz .LBB114_419
; %bb.418:
	v_mov_b32_e32 v1, 0
	ds_write_b32 v1, v1 offset:4108
.LBB114_419:
	s_or_b64 exec, exec, s[2:3]
	v_mov_b32_e32 v5, 0
	s_waitcnt lgkmcnt(0)
	s_barrier
	s_mov_b64 s[2:3], exec
	v_readlane_b32 s4, v55, 43
	v_readlane_b32 s5, v55, 44
	s_and_b64 s[4:5], s[2:3], s[4:5]
	s_mov_b64 exec, s[4:5]
	s_cbranch_execz .LBB114_421
; %bb.420:
	global_load_ushort v5, v[8:9], off
.LBB114_421:
	s_or_b64 exec, exec, s[2:3]
	v_readlane_b32 s24, v55, 13
	v_readlane_b32 s25, v55, 14
	;; [unrolled: 1-line block ×3, first 2 shown]
	s_mul_i32 s2, s9, s25
	v_readlane_b32 s8, v55, 23
	v_readlane_b32 s20, v55, 6
	s_sub_i32 s2, s8, s2
	v_readlane_b32 s22, v55, 8
	s_mul_i32 s2, s2, s22
	v_readlane_b32 s22, v55, 16
	s_mul_i32 s3, s22, s24
	s_add_i32 s34, s60, 63
	s_sub_i32 s3, s9, s3
	s_andn2_b32 s34, s34, 63
	s_add_i32 s4, s22, 1
	s_sub_i32 s5, s3, s24
	s_cmp_ge_u32 s3, s24
	s_cselect_b32 s4, s4, s22
	s_cselect_b32 s3, s5, s3
	s_add_i32 s5, s4, 1
	s_cmp_ge_u32 s3, s24
	s_cselect_b32 s3, s5, s4
	s_mul_i32 s4, s3, s24
	v_readlane_b32 s21, v55, 7
	s_sub_i32 s4, s9, s4
	s_mul_i32 s4, s4, s21
	v_readlane_b32 s24, v55, 17
	v_readlane_b32 s23, v55, 9
	s_add_i32 s2, s4, s2
	s_mul_i32 s3, s3, s20
	v_readlane_b32 s25, v55, 18
	v_readlane_b32 s9, v55, 19
	s_add_i32 s2, s2, s3
	s_mul_i32 s3, s9, s25
	v_readlane_b32 s20, v55, 0
	s_sub_i32 s3, s8, s3
	v_readlane_b32 s22, v55, 2
	s_mul_i32 s3, s3, s22
	v_readlane_b32 s22, v55, 20
	s_mul_i32 s4, s22, s24
	s_sub_i32 s4, s9, s4
	s_add_i32 s5, s22, 1
	s_sub_i32 s8, s4, s24
	s_cmp_ge_u32 s4, s24
	s_cselect_b32 s5, s5, s22
	s_cselect_b32 s4, s8, s4
	s_add_i32 s8, s5, 1
	s_cmp_ge_u32 s4, s24
	s_cselect_b32 s4, s8, s5
	s_mul_i32 s5, s4, s24
	v_readlane_b32 s21, v55, 1
	s_sub_i32 s5, s9, s5
	s_mul_i32 s5, s5, s21
	s_add_i32 s3, s5, s3
	s_mul_i32 s4, s4, s20
	s_add_i32 s4, s3, s4
	s_mov_b32 s3, 0
	s_lshl_b64 s[8:9], s[2:3], 1
	v_readlane_b32 s20, v55, 10
	s_load_dword s39, s[18:19], 0x1c8
	s_load_dword s40, s[18:19], 0x2a8
	v_mov_b32_e32 v1, 0xffff
	v_mov_b32_e32 v11, 0x8000
	v_cmp_lt_i16_e32 vcc, -1, v4
	v_readlane_b32 s21, v55, 11
	s_add_u32 s35, s20, s8
	s_mov_b32 s5, s3
	v_cndmask_b32_e32 v2, v1, v11, vcc
	v_lshlrev_b32_e32 v3, 16, v4
	s_addc_u32 s36, s21, s9
	s_lshl_b64 s[2:3], s[4:5], 3
	v_readlane_b32 s4, v55, 4
	v_xor_b32_sdwa v2, v2, v4 dst_sel:DWORD dst_unused:UNUSED_PAD src0_sel:DWORD src1_sel:WORD_0
	v_cmp_o_f32_e32 vcc, v3, v3
	v_readlane_b32 s5, v55, 5
	s_add_u32 s37, s4, s2
	v_cndmask_b32_e32 v10, v1, v2, vcc
	s_addc_u32 s38, s5, s3
	v_cmp_gt_u32_e32 vcc, s34, v0
	s_mov_b64 s[20:21], -1
	s_mov_b64 s[2:3], 0
	s_mov_b64 s[4:5], 0
	v_readlane_b32 s23, v55, 3
	s_and_saveexec_b64 s[18:19], vcc
	s_cbranch_execnz .LBB114_432
; %bb.422:
	s_or_b64 exec, exec, s[18:19]
	s_and_saveexec_b64 s[8:9], s[20:21]
	s_cbranch_execnz .LBB114_449
.LBB114_423:
	s_or_b64 exec, exec, s[8:9]
	s_and_saveexec_b64 s[0:1], s[4:5]
	s_xor_b64 s[0:1], exec, s[0:1]
	s_cbranch_execnz .LBB114_474
.LBB114_424:
	s_or_b64 exec, exec, s[0:1]
	s_and_b64 s[18:19], s[2:3], exec
.LBB114_425:
	s_andn2_saveexec_b64 s[0:1], s[16:17]
	s_cbranch_execnz .LBB114_476
.LBB114_426:
	s_or_b64 exec, exec, s[0:1]
	s_and_b64 s[18:19], s[18:19], exec
.LBB114_427:
	s_andn2_saveexec_b64 s[0:1], s[14:15]
	s_cbranch_execnz .LBB114_475
.LBB114_428:
	s_or_b64 exec, exec, s[0:1]
	s_and_b64 s[14:15], s[18:19], exec
.LBB114_429:
	s_andn2_saveexec_b64 s[0:1], s[12:13]
	s_cbranch_execnz .LBB114_470
.LBB114_430:
	s_or_b64 exec, exec, s[0:1]
	s_and_b64 s[12:13], s[14:15], exec
	s_andn2_saveexec_b64 s[0:1], s[10:11]
	s_cbranch_execz .LBB114_409
.LBB114_431:
	s_or_b64 s[12:13], s[12:13], exec
	s_trap 2
	s_or_b64 exec, exec, s[0:1]
	s_and_saveexec_b64 s[0:1], s[12:13]
	s_cbranch_execnz .LBB114_410
	s_branch .LBB114_411
.LBB114_432:
	v_add_u32_e32 v2, s84, v0
	v_readlane_b32 s4, v55, 12
	v_mul_lo_u32 v2, s4, v2
	s_mov_b64 s[20:21], 0
	v_mov_b32_e32 v3, 0
	v_mov_b32_e32 v4, v0
                                        ; implicit-def: $sgpr22_sgpr23
                                        ; implicit-def: $vgpr14
	s_branch .LBB114_434
.LBB114_433:                            ;   in Loop: Header=BB114_434 Depth=1
	s_or_b64 exec, exec, s[24:25]
	s_xor_b64 s[4:5], s[28:29], -1
	s_and_b64 s[8:9], exec, s[8:9]
	s_or_b64 s[20:21], s[8:9], s[20:21]
	s_andn2_b64 s[8:9], s[22:23], exec
	s_and_b64 s[4:5], s[4:5], exec
	s_or_b64 s[22:23], s[8:9], s[4:5]
	v_mov_b32_e32 v4, v12
	s_waitcnt vmcnt(0)
	v_mov_b32_e32 v5, v15
	s_andn2_b64 exec, exec, s[20:21]
	s_cbranch_execz .LBB114_448
.LBB114_434:                            ; =>This Inner Loop Header: Depth=1
	v_add_u32_e32 v12, s84, v4
	v_cmp_gt_u32_e64 s[4:5], s60, v12
	v_mov_b32_e32 v15, 0
	s_and_saveexec_b64 s[8:9], s[4:5]
	s_cbranch_execz .LBB114_436
; %bb.435:                              ;   in Loop: Header=BB114_434 Depth=1
	v_lshlrev_b64 v[16:17], 1, v[2:3]
	v_mov_b32_e32 v15, s7
	v_add_co_u32_e64 v16, s[4:5], s33, v16
	v_addc_co_u32_e64 v17, s[4:5], v15, v17, s[4:5]
	global_load_ushort v15, v[16:17], off
.LBB114_436:                            ;   in Loop: Header=BB114_434 Depth=1
	s_or_b64 exec, exec, s[8:9]
	v_cmp_gt_u32_e64 s[4:5], s60, v4
	s_mov_b64 s[24:25], 0
	s_and_saveexec_b64 s[8:9], s[4:5]
	s_cbranch_execz .LBB114_438
; %bb.437:                              ;   in Loop: Header=BB114_434 Depth=1
	s_waitcnt vmcnt(0)
	v_cmp_lt_i16_e64 s[4:5], -1, v5
	v_cndmask_b32_e64 v16, v1, v11, s[4:5]
	v_lshlrev_b32_e32 v17, 16, v5
	v_xor_b32_sdwa v16, v16, v5 dst_sel:DWORD dst_unused:UNUSED_PAD src0_sel:DWORD src1_sel:WORD_0
	v_cmp_o_f32_e64 s[4:5], v17, v17
	v_cndmask_b32_e64 v16, v1, v16, s[4:5]
	v_cmp_gt_u32_e64 s[4:5], v16, v10
	v_cndmask_b32_e64 v17, 0, 1, s[4:5]
	v_cmp_lt_u32_e64 s[4:5], v16, v10
	v_cndmask_b32_e64 v16, 0, 1, s[4:5]
	v_cndmask_b32_e64 v16, v16, v17, s[42:43]
	v_and_b32_e32 v16, 1, v16
	v_cmp_eq_u32_e64 s[4:5], 1, v16
	s_and_b64 s[24:25], s[4:5], exec
.LBB114_438:                            ;   in Loop: Header=BB114_434 Depth=1
	s_or_b64 exec, exec, s[8:9]
	v_cndmask_b32_e64 v16, 0, 1, s[24:25]
	v_cmp_ne_u32_e64 s[4:5], 0, v16
	s_cmp_lg_u64 s[4:5], 0
	s_cselect_b64 s[8:9], -1, 0
	s_and_b64 s[8:9], s[0:1], s[8:9]
	s_and_saveexec_b64 s[26:27], s[8:9]
	s_cbranch_execz .LBB114_442
; %bb.439:                              ;   in Loop: Header=BB114_434 Depth=1
	s_mov_b64 s[30:31], exec
	s_waitcnt lgkmcnt(0)
	v_mbcnt_lo_u32_b32 v14, s30, 0
	v_mbcnt_hi_u32_b32 v14, s31, v14
	s_bcnt1_i32_b64 s41, s[4:5]
	v_cmp_eq_u32_e64 s[8:9], 0, v14
                                        ; implicit-def: $vgpr16
	s_and_saveexec_b64 s[28:29], s[8:9]
	s_cbranch_execz .LBB114_441
; %bb.440:                              ;   in Loop: Header=BB114_434 Depth=1
	s_bcnt1_i32_b64 s8, s[30:31]
	s_mul_i32 s8, s41, s8
	v_mov_b32_e32 v16, s8
	ds_add_rtn_u32 v16, v3, v16 offset:4108
.LBB114_441:                            ;   in Loop: Header=BB114_434 Depth=1
	s_or_b64 exec, exec, s[28:29]
	s_waitcnt lgkmcnt(0)
	v_readfirstlane_b32 s8, v16
	v_mov_b32_e32 v16, s8
	v_mad_u32_u24 v14, s41, v14, v16
.LBB114_442:                            ;   in Loop: Header=BB114_434 Depth=1
	s_or_b64 exec, exec, s[26:27]
	s_waitcnt lgkmcnt(0)
	ds_bpermute_b32 v14, v13, v14
	s_mov_b64 s[8:9], -1
	s_mov_b64 s[30:31], -1
                                        ; implicit-def: $sgpr28_sgpr29
	s_and_saveexec_b64 s[26:27], s[24:25]
	s_cbranch_execz .LBB114_446
; %bb.443:                              ;   in Loop: Header=BB114_434 Depth=1
	v_and_b32_e32 v17, s4, v6
	v_and_b32_e32 v16, s5, v7
	v_bcnt_u32_b32 v17, v17, 0
	v_bcnt_u32_b32 v16, v16, v17
	s_waitcnt lgkmcnt(0)
	v_add_u32_e32 v16, v14, v16
	v_cmp_gt_u32_e64 s[4:5], s61, v16
	s_mov_b64 s[24:25], 0
	s_and_saveexec_b64 s[28:29], s[4:5]
	s_cbranch_execz .LBB114_445
; %bb.444:                              ;   in Loop: Header=BB114_434 Depth=1
	v_mul_lo_u32 v18, v16, s39
	v_mov_b32_e32 v19, v3
	v_lshlrev_b64 v[18:19], 1, v[18:19]
	v_mov_b32_e32 v17, s36
	v_add_co_u32_e64 v18, s[4:5], s35, v18
	v_mul_lo_u32 v16, v16, s40
	v_addc_co_u32_e64 v19, s[4:5], v17, v19, s[4:5]
	v_mov_b32_e32 v17, v3
	v_lshlrev_b64 v[16:17], 3, v[16:17]
	s_waitcnt vmcnt(0)
	global_store_short v[18:19], v5, off
	v_mov_b32_e32 v18, s38
	v_add_co_u32_e64 v16, s[4:5], s37, v16
	s_mov_b64 s[24:25], exec
	v_mov_b32_e32 v5, v3
	v_addc_co_u32_e64 v17, s[4:5], v18, v17, s[4:5]
	global_store_dwordx2 v[16:17], v[4:5], off
.LBB114_445:                            ;   in Loop: Header=BB114_434 Depth=1
	s_or_b64 exec, exec, s[28:29]
	s_mov_b64 s[28:29], -1
	s_orn2_b64 s[30:31], s[24:25], exec
.LBB114_446:                            ;   in Loop: Header=BB114_434 Depth=1
	s_or_b64 exec, exec, s[26:27]
	s_and_saveexec_b64 s[24:25], s[30:31]
	s_cbranch_execz .LBB114_433
; %bb.447:                              ;   in Loop: Header=BB114_434 Depth=1
	v_cmp_le_u32_e64 s[4:5], s34, v12
	v_add_u32_e32 v2, s6, v2
	s_andn2_b64 s[28:29], s[28:29], exec
	s_orn2_b64 s[8:9], s[4:5], exec
	s_branch .LBB114_433
.LBB114_448:
	s_or_b64 exec, exec, s[20:21]
	s_mov_b64 s[4:5], exec
	s_orn2_b64 s[20:21], s[22:23], exec
	s_or_b64 exec, exec, s[18:19]
	s_and_saveexec_b64 s[8:9], s[20:21]
	s_cbranch_execz .LBB114_423
.LBB114_449:
	v_mov_b32_e32 v1, 0
	s_waitcnt lgkmcnt(0)
	s_barrier
	s_mov_b64 s[2:3], exec
	v_readlane_b32 s18, v55, 43
	v_readlane_b32 s19, v55, 44
	s_and_b64 s[18:19], s[2:3], s[18:19]
	s_mov_b64 exec, s[18:19]
	s_cbranch_execz .LBB114_451
; %bb.450:
	global_load_ushort v1, v[8:9], off
.LBB114_451:
	s_or_b64 exec, exec, s[2:3]
	s_mov_b64 s[2:3], 0
	s_and_saveexec_b64 s[30:31], vcc
	s_cbranch_execz .LBB114_473
; %bb.452:
	v_add_u32_e32 v2, s84, v0
	v_readlane_b32 s2, v55, 12
	v_mul_lo_u32 v2, s2, v2
	s_mov_b64 s[18:19], 0
	v_mov_b32_e32 v3, 0
	v_mov_b32_e32 v4, 0xffff
	s_waitcnt vmcnt(0)
	v_mov_b32_e32 v5, 0x8000
                                        ; implicit-def: $sgpr20_sgpr21
                                        ; implicit-def: $vgpr8
	s_branch .LBB114_455
.LBB114_453:                            ;   in Loop: Header=BB114_455 Depth=1
	s_or_b64 exec, exec, s[24:25]
	s_orn2_b64 s[26:27], s[26:27], exec
	s_orn2_b64 s[24:25], s[22:23], exec
	s_waitcnt vmcnt(0)
	v_mov_b32_e32 v1, v11
	v_mov_b32_e32 v0, v9
.LBB114_454:                            ;   in Loop: Header=BB114_455 Depth=1
	s_or_b64 exec, exec, s[2:3]
	s_xor_b64 s[2:3], s[26:27], -1
	s_and_b64 s[22:23], exec, s[24:25]
	s_or_b64 s[18:19], s[22:23], s[18:19]
	s_andn2_b64 s[20:21], s[20:21], exec
	s_and_b64 s[2:3], s[2:3], exec
	s_or_b64 s[20:21], s[20:21], s[2:3]
	s_andn2_b64 exec, exec, s[18:19]
	s_cbranch_execz .LBB114_471
.LBB114_455:                            ; =>This Inner Loop Header: Depth=1
	v_add_u32_e32 v9, s84, v0
	v_cmp_gt_u32_e32 vcc, s60, v9
	s_waitcnt vmcnt(0)
	v_mov_b32_e32 v11, 0
	s_and_saveexec_b64 s[2:3], vcc
	s_cbranch_execz .LBB114_457
; %bb.456:                              ;   in Loop: Header=BB114_455 Depth=1
	v_lshlrev_b64 v[14:15], 1, v[2:3]
	v_mov_b32_e32 v11, s7
	v_add_co_u32_e32 v14, vcc, s33, v14
	v_addc_co_u32_e32 v15, vcc, v11, v15, vcc
	global_load_ushort v11, v[14:15], off
.LBB114_457:                            ;   in Loop: Header=BB114_455 Depth=1
	s_or_b64 exec, exec, s[2:3]
	v_cmp_gt_u32_e32 vcc, s60, v0
	s_mov_b64 s[22:23], 0
	s_and_saveexec_b64 s[2:3], vcc
; %bb.458:                              ;   in Loop: Header=BB114_455 Depth=1
	v_cmp_lt_i16_e32 vcc, -1, v1
	v_cndmask_b32_e32 v12, v4, v5, vcc
	v_lshlrev_b32_e32 v14, 16, v1
	v_xor_b32_sdwa v12, v12, v1 dst_sel:DWORD dst_unused:UNUSED_PAD src0_sel:DWORD src1_sel:WORD_0
	v_cmp_o_f32_e32 vcc, v14, v14
	v_cndmask_b32_e32 v12, v4, v12, vcc
	v_cmp_eq_u32_e32 vcc, v12, v10
	s_and_b64 s[22:23], vcc, exec
; %bb.459:                              ;   in Loop: Header=BB114_455 Depth=1
	s_or_b64 exec, exec, s[2:3]
	v_cndmask_b32_e64 v12, 0, 1, s[22:23]
	v_cmp_ne_u32_e32 vcc, 0, v12
	s_cmp_lg_u64 vcc, 0
	s_cselect_b64 s[2:3], -1, 0
	s_and_b64 s[2:3], s[0:1], s[2:3]
	s_and_saveexec_b64 s[24:25], s[2:3]
	s_cbranch_execz .LBB114_463
; %bb.460:                              ;   in Loop: Header=BB114_455 Depth=1
	s_mov_b64 s[28:29], exec
	v_mbcnt_lo_u32_b32 v8, s28, 0
	v_mbcnt_hi_u32_b32 v8, s29, v8
	s_bcnt1_i32_b64 s41, vcc
	v_cmp_eq_u32_e64 s[2:3], 0, v8
                                        ; implicit-def: $vgpr12
	s_and_saveexec_b64 s[26:27], s[2:3]
	s_cbranch_execz .LBB114_462
; %bb.461:                              ;   in Loop: Header=BB114_455 Depth=1
	s_bcnt1_i32_b64 s2, s[28:29]
	s_mul_i32 s2, s41, s2
	v_mov_b32_e32 v12, s2
	ds_add_rtn_u32 v12, v3, v12 offset:4108
.LBB114_462:                            ;   in Loop: Header=BB114_455 Depth=1
	s_or_b64 exec, exec, s[26:27]
	s_waitcnt lgkmcnt(0)
	v_readfirstlane_b32 s2, v12
	v_mov_b32_e32 v12, s2
	v_mad_u32_u24 v8, s41, v8, v12
.LBB114_463:                            ;   in Loop: Header=BB114_455 Depth=1
	s_or_b64 exec, exec, s[24:25]
	ds_bpermute_b32 v8, v13, v8
	s_cmp_eq_u64 vcc, 0
	s_cselect_b64 s[26:27], -1, 0
	s_mov_b64 s[24:25], -1
	s_waitcnt lgkmcnt(0)
	v_cmp_gt_u32_e64 s[2:3], s61, v8
	s_or_b64 s[28:29], s[26:27], s[2:3]
	s_mov_b64 s[26:27], -1
	s_and_saveexec_b64 s[2:3], s[28:29]
	s_cbranch_execz .LBB114_454
; %bb.464:                              ;   in Loop: Header=BB114_455 Depth=1
	v_and_b32_e32 v14, vcc_lo, v6
	v_and_b32_e32 v12, vcc_hi, v7
	v_bcnt_u32_b32 v14, v14, 0
	v_bcnt_u32_b32 v12, v12, v14
	v_sub_u32_e32 v14, s61, v8
	v_cmp_gt_u32_e32 vcc, v14, v12
	s_and_b64 s[42:43], s[22:23], vcc
	s_mov_b64 s[22:23], -1
	s_mov_b64 s[28:29], -1
	s_and_saveexec_b64 s[24:25], s[42:43]
	s_cbranch_execz .LBB114_468
; %bb.465:                              ;   in Loop: Header=BB114_455 Depth=1
	v_add_u32_e32 v12, v8, v12
	v_cmp_gt_u32_e32 vcc, s61, v12
	s_mov_b64 s[28:29], 0
	s_and_saveexec_b64 s[26:27], vcc
	s_cbranch_execz .LBB114_467
; %bb.466:                              ;   in Loop: Header=BB114_455 Depth=1
	v_mul_lo_u32 v14, v12, s39
	v_mov_b32_e32 v15, v3
	v_lshlrev_b64 v[14:15], 1, v[14:15]
	v_mul_lo_u32 v16, v12, s40
	v_mov_b32_e32 v12, s36
	v_add_co_u32_e32 v14, vcc, s35, v14
	v_addc_co_u32_e32 v15, vcc, v12, v15, vcc
	v_mov_b32_e32 v17, v3
	global_store_short v[14:15], v1, off
	v_lshlrev_b64 v[14:15], 3, v[16:17]
	v_mov_b32_e32 v12, s38
	v_add_co_u32_e32 v14, vcc, s37, v14
	s_mov_b64 s[28:29], exec
	v_mov_b32_e32 v1, v3
	v_addc_co_u32_e32 v15, vcc, v12, v15, vcc
	global_store_dwordx2 v[14:15], v[0:1], off
.LBB114_467:                            ;   in Loop: Header=BB114_455 Depth=1
	s_or_b64 exec, exec, s[26:27]
	s_xor_b64 s[26:27], exec, -1
	s_orn2_b64 s[28:29], s[28:29], exec
.LBB114_468:                            ;   in Loop: Header=BB114_455 Depth=1
	s_or_b64 exec, exec, s[24:25]
	s_and_saveexec_b64 s[24:25], s[28:29]
	s_cbranch_execz .LBB114_453
; %bb.469:                              ;   in Loop: Header=BB114_455 Depth=1
	v_cmp_le_u32_e32 vcc, s34, v9
	v_add_u32_e32 v2, s6, v2
	s_or_b64 s[26:27], s[26:27], exec
	s_orn2_b64 s[22:23], vcc, exec
	s_branch .LBB114_453
.LBB114_470:
	s_or_b64 s[14:15], s[14:15], exec
	s_trap 2
	s_branch .LBB114_430
.LBB114_471:
	s_or_b64 exec, exec, s[18:19]
	s_mov_b64 s[0:1], 0
	s_and_saveexec_b64 s[2:3], s[20:21]
	s_xor_b64 s[2:3], exec, s[2:3]
	s_cbranch_execnz .LBB114_477
.LBB114_472:
	s_or_b64 exec, exec, s[2:3]
	s_and_b64 s[2:3], s[0:1], exec
.LBB114_473:
	s_or_b64 exec, exec, s[30:31]
	s_and_b64 s[2:3], s[2:3], exec
	s_andn2_b64 s[4:5], s[4:5], exec
	s_or_b64 exec, exec, s[8:9]
	s_and_saveexec_b64 s[0:1], s[4:5]
	s_xor_b64 s[0:1], exec, s[0:1]
	s_cbranch_execz .LBB114_424
.LBB114_474:
	s_trap 2
	s_or_b64 s[2:3], s[2:3], exec
	s_branch .LBB114_424
.LBB114_475:
	s_or_b64 s[18:19], s[18:19], exec
	s_trap 2
	s_branch .LBB114_428
.LBB114_476:
	s_trap 2
	s_or_b64 s[18:19], s[18:19], exec
	s_branch .LBB114_426
.LBB114_477:
	s_mov_b64 s[0:1], exec
	s_trap 2
	s_branch .LBB114_472
	.section	.rodata,"a",@progbits
	.p2align	6, 0x0
	.amdhsa_kernel _ZN2at6native6sbtopk10gatherTopKIN3c108BFloat16EjLi3ELb0EEEvNS_4cuda6detail10TensorInfoIKT_T0_EESA_SA_bSA_SA_NS7_IS8_SA_EESA_NS7_IlSA_EESA_PS8_
		.amdhsa_group_segment_fixed_size 4112
		.amdhsa_private_segment_fixed_size 0
		.amdhsa_kernarg_size 952
		.amdhsa_user_sgpr_count 6
		.amdhsa_user_sgpr_private_segment_buffer 1
		.amdhsa_user_sgpr_dispatch_ptr 0
		.amdhsa_user_sgpr_queue_ptr 0
		.amdhsa_user_sgpr_kernarg_segment_ptr 1
		.amdhsa_user_sgpr_dispatch_id 0
		.amdhsa_user_sgpr_flat_scratch_init 0
		.amdhsa_user_sgpr_kernarg_preload_length 0
		.amdhsa_user_sgpr_kernarg_preload_offset 0
		.amdhsa_user_sgpr_private_segment_size 0
		.amdhsa_uses_dynamic_stack 0
		.amdhsa_system_sgpr_private_segment_wavefront_offset 0
		.amdhsa_system_sgpr_workgroup_id_x 1
		.amdhsa_system_sgpr_workgroup_id_y 1
		.amdhsa_system_sgpr_workgroup_id_z 1
		.amdhsa_system_sgpr_workgroup_info 0
		.amdhsa_system_vgpr_workitem_id 0
		.amdhsa_next_free_vgpr 56
		.amdhsa_next_free_sgpr 96
		.amdhsa_accum_offset 56
		.amdhsa_reserve_vcc 1
		.amdhsa_reserve_flat_scratch 0
		.amdhsa_float_round_mode_32 0
		.amdhsa_float_round_mode_16_64 0
		.amdhsa_float_denorm_mode_32 3
		.amdhsa_float_denorm_mode_16_64 3
		.amdhsa_dx10_clamp 1
		.amdhsa_ieee_mode 1
		.amdhsa_fp16_overflow 0
		.amdhsa_tg_split 0
		.amdhsa_exception_fp_ieee_invalid_op 0
		.amdhsa_exception_fp_denorm_src 0
		.amdhsa_exception_fp_ieee_div_zero 0
		.amdhsa_exception_fp_ieee_overflow 0
		.amdhsa_exception_fp_ieee_underflow 0
		.amdhsa_exception_fp_ieee_inexact 0
		.amdhsa_exception_int_div_zero 0
	.end_amdhsa_kernel
	.section	.text._ZN2at6native6sbtopk10gatherTopKIN3c108BFloat16EjLi3ELb0EEEvNS_4cuda6detail10TensorInfoIKT_T0_EESA_SA_bSA_SA_NS7_IS8_SA_EESA_NS7_IlSA_EESA_PS8_,"axG",@progbits,_ZN2at6native6sbtopk10gatherTopKIN3c108BFloat16EjLi3ELb0EEEvNS_4cuda6detail10TensorInfoIKT_T0_EESA_SA_bSA_SA_NS7_IS8_SA_EESA_NS7_IlSA_EESA_PS8_,comdat
.Lfunc_end114:
	.size	_ZN2at6native6sbtopk10gatherTopKIN3c108BFloat16EjLi3ELb0EEEvNS_4cuda6detail10TensorInfoIKT_T0_EESA_SA_bSA_SA_NS7_IS8_SA_EESA_NS7_IlSA_EESA_PS8_, .Lfunc_end114-_ZN2at6native6sbtopk10gatherTopKIN3c108BFloat16EjLi3ELb0EEEvNS_4cuda6detail10TensorInfoIKT_T0_EESA_SA_bSA_SA_NS7_IS8_SA_EESA_NS7_IlSA_EESA_PS8_
                                        ; -- End function
	.section	.AMDGPU.csdata,"",@progbits
; Kernel info:
; codeLenInByte = 17576
; NumSgprs: 100
; NumVgprs: 56
; NumAgprs: 0
; TotalNumVgprs: 56
; ScratchSize: 0
; MemoryBound: 0
; FloatMode: 240
; IeeeMode: 1
; LDSByteSize: 4112 bytes/workgroup (compile time only)
; SGPRBlocks: 12
; VGPRBlocks: 6
; NumSGPRsForWavesPerEU: 100
; NumVGPRsForWavesPerEU: 56
; AccumOffset: 56
; Occupancy: 8
; WaveLimiterHint : 1
; COMPUTE_PGM_RSRC2:SCRATCH_EN: 0
; COMPUTE_PGM_RSRC2:USER_SGPR: 6
; COMPUTE_PGM_RSRC2:TRAP_HANDLER: 0
; COMPUTE_PGM_RSRC2:TGID_X_EN: 1
; COMPUTE_PGM_RSRC2:TGID_Y_EN: 1
; COMPUTE_PGM_RSRC2:TGID_Z_EN: 1
; COMPUTE_PGM_RSRC2:TIDIG_COMP_CNT: 0
; COMPUTE_PGM_RSRC3_GFX90A:ACCUM_OFFSET: 13
; COMPUTE_PGM_RSRC3_GFX90A:TG_SPLIT: 0
	.section	.text._ZN2at6native6mbtopk23computeBlockDigitCountsIN3c108BFloat16EjjLin1EEEvNS_4cuda6detail10TensorInfoIKT_T0_EEjPjjSA_iijT1_PSD_Ps,"axG",@progbits,_ZN2at6native6mbtopk23computeBlockDigitCountsIN3c108BFloat16EjjLin1EEEvNS_4cuda6detail10TensorInfoIKT_T0_EEjPjjSA_iijT1_PSD_Ps,comdat
	.protected	_ZN2at6native6mbtopk23computeBlockDigitCountsIN3c108BFloat16EjjLin1EEEvNS_4cuda6detail10TensorInfoIKT_T0_EEjPjjSA_iijT1_PSD_Ps ; -- Begin function _ZN2at6native6mbtopk23computeBlockDigitCountsIN3c108BFloat16EjjLin1EEEvNS_4cuda6detail10TensorInfoIKT_T0_EEjPjjSA_iijT1_PSD_Ps
	.globl	_ZN2at6native6mbtopk23computeBlockDigitCountsIN3c108BFloat16EjjLin1EEEvNS_4cuda6detail10TensorInfoIKT_T0_EEjPjjSA_iijT1_PSD_Ps
	.p2align	8
	.type	_ZN2at6native6mbtopk23computeBlockDigitCountsIN3c108BFloat16EjjLin1EEEvNS_4cuda6detail10TensorInfoIKT_T0_EEjPjjSA_iijT1_PSD_Ps,@function
_ZN2at6native6mbtopk23computeBlockDigitCountsIN3c108BFloat16EjjLin1EEEvNS_4cuda6detail10TensorInfoIKT_T0_EEjPjjSA_iijT1_PSD_Ps: ; @_ZN2at6native6mbtopk23computeBlockDigitCountsIN3c108BFloat16EjjLin1EEEvNS_4cuda6detail10TensorInfoIKT_T0_EEjPjjSA_iijT1_PSD_Ps
; %bb.0:
	s_load_dwordx2 s[10:11], s[4:5], 0xf8
	s_load_dwordx4 s[12:15], s[4:5], 0xe8
	s_load_dwordx2 s[0:1], s[4:5], 0x110
	s_mov_b32 s9, 0
	s_waitcnt lgkmcnt(0)
	v_cvt_f32_u32_e32 v1, s10
	s_sub_i32 s2, 0, s10
	s_mul_i32 s1, s1, s8
	s_add_i32 s1, s1, s7
	v_rcp_iflag_f32_e32 v1, v1
	s_mul_i32 s16, s1, s0
	s_add_i32 s16, s16, s6
	v_mul_f32_e32 v1, 0x4f7ffffe, v1
	v_cvt_u32_f32_e32 v1, v1
	v_readfirstlane_b32 s0, v1
	s_mul_i32 s2, s2, s0
	s_mul_hi_u32 s1, s0, s2
	s_add_i32 s0, s0, s1
	s_mul_hi_u32 s0, s16, s0
	s_mul_i32 s1, s0, s10
	s_sub_i32 s1, s16, s1
	s_add_i32 s2, s0, 1
	s_sub_i32 s3, s1, s10
	s_cmp_ge_u32 s1, s10
	s_cselect_b32 s0, s2, s0
	s_cselect_b32 s1, s3, s1
	s_add_i32 s2, s0, 1
	s_cmp_ge_u32 s1, s10
	s_cselect_b32 s8, s2, s0
	s_cmp_ge_u32 s8, s12
	s_cbranch_scc1 .LBB115_32
; %bb.1:
	s_load_dwordx4 s[0:3], s[4:5], 0x100
	s_load_dword s6, s[4:5], 0xd0
	s_lshl_b64 s[18:19], s[8:9], 2
	s_waitcnt lgkmcnt(0)
	s_add_u32 s0, s0, s18
	s_addc_u32 s1, s1, s19
	s_cmp_lt_i32 s6, 2
	s_mov_b32 s19, s8
	s_cbranch_scc1 .LBB115_4
; %bb.2:
	s_add_i32 s20, s6, -1
	s_mov_b32 s21, 0
	s_add_i32 s12, s6, 1
	s_lshl_b64 s[6:7], s[20:21], 2
	s_add_u32 s6, s6, s4
	s_addc_u32 s7, s7, s5
	s_add_u32 s6, s6, 8
	s_addc_u32 s7, s7, 0
	s_mov_b32 s19, s8
	s_mov_b32 s9, s21
.LBB115_3:                              ; =>This Inner Loop Header: Depth=1
	s_load_dword s17, s[6:7], 0x0
	s_load_dword s20, s[6:7], 0x64
	s_mov_b32 s18, s19
	s_waitcnt lgkmcnt(0)
	v_cvt_f32_u32_e32 v1, s17
	s_sub_i32 s19, 0, s17
	v_rcp_iflag_f32_e32 v1, v1
	v_mul_f32_e32 v1, 0x4f7ffffe, v1
	v_cvt_u32_f32_e32 v1, v1
	v_readfirstlane_b32 s21, v1
	s_mul_i32 s19, s19, s21
	s_mul_hi_u32 s19, s21, s19
	s_add_i32 s21, s21, s19
	s_mul_hi_u32 s19, s18, s21
	s_mul_i32 s21, s19, s17
	s_sub_i32 s21, s18, s21
	s_add_i32 s22, s19, 1
	s_sub_i32 s23, s21, s17
	s_cmp_ge_u32 s21, s17
	s_cselect_b32 s19, s22, s19
	s_cselect_b32 s21, s23, s21
	s_add_i32 s22, s19, 1
	s_cmp_ge_u32 s21, s17
	s_cselect_b32 s19, s22, s19
	s_mul_i32 s17, s19, s17
	s_sub_i32 s17, s18, s17
	s_mul_i32 s17, s20, s17
	s_add_i32 s12, s12, -1
	s_add_i32 s9, s17, s9
	s_add_u32 s6, s6, -4
	s_addc_u32 s7, s7, -1
	s_cmp_gt_u32 s12, 2
	s_cbranch_scc1 .LBB115_3
.LBB115_4:
	s_load_dword s12, s[0:1], 0x0
	s_movk_i32 s0, 0x100
	v_cmp_gt_u32_e32 vcc, s0, v0
	v_lshlrev_b32_e32 v1, 2, v0
	s_and_saveexec_b64 s[0:1], vcc
	s_cbranch_execz .LBB115_6
; %bb.5:
	v_mov_b32_e32 v2, 0
	ds_write_b32 v1, v2
.LBB115_6:
	s_or_b64 exec, exec, s[0:1]
	s_load_dword s17, s[4:5], 0xd8
	s_mul_i32 s0, s8, s10
	s_sub_i32 s0, s16, s0
	s_add_i32 s1, s0, 1
	s_mul_i32 s0, s15, s0
	s_lshl_b32 s18, s0, 8
	s_waitcnt lgkmcnt(0)
	s_sub_i32 s0, s17, s18
	s_add_u32 s0, s0, 0xff
	s_addc_u32 s6, 0, 0
	v_mov_b32_e32 v2, s0
	v_alignbit_b32 v2, s6, v2, 8
	s_cmp_lt_u32 s1, s10
	v_readfirstlane_b32 s0, v2
	s_cselect_b32 s10, s15, s0
	s_cmp_lt_i32 s10, 1
	s_mov_b32 s7, 0
	s_barrier
	s_cbranch_scc1 .LBB115_28
; %bb.7:
	s_load_dword s6, s[4:5], 0x6c
	s_load_dwordx2 s[0:1], s[4:5], 0x0
	s_waitcnt lgkmcnt(0)
	s_mul_i32 s4, s6, s19
	s_add_i32 s6, s4, s9
	s_lshl_b64 s[4:5], s[6:7], 1
	s_add_u32 s6, s0, s4
	s_addc_u32 s8, s1, s5
	s_and_b32 s9, s14, 0xff
	s_cmp_lt_u32 s10, 4
	s_cbranch_scc1 .LBB115_22
; %bb.8:
	v_add_u32_e32 v2, s18, v0
	v_add_u32_e32 v3, 0x200, v2
	;; [unrolled: 1-line block ×3, first 2 shown]
	v_mul_lo_u32 v6, s13, v3
	v_add_u32_e32 v3, 0x100, v2
	s_and_b32 s7, s10, 0x7ffffffc
	v_mul_lo_u32 v5, s13, v4
	s_lshl_b32 s14, s13, 10
	v_mul_lo_u32 v7, s13, v3
	v_mul_lo_u32 v8, s13, v2
	s_mov_b32 s15, 0
	v_mov_b32_e32 v3, 0
	v_mov_b32_e32 v9, 1
	;; [unrolled: 1-line block ×4, first 2 shown]
	s_mov_b32 s19, 0
	s_branch .LBB115_10
.LBB115_9:                              ;   in Loop: Header=BB115_10 Depth=1
	s_or_b64 exec, exec, s[4:5]
	s_add_i32 s19, s19, 4
	s_add_i32 s15, s15, s14
	s_cmp_eq_u32 s7, s19
	v_add_u32_e32 v4, 0x400, v4
	s_cbranch_scc1 .LBB115_22
.LBB115_10:                             ; =>This Inner Loop Header: Depth=1
	v_add_u32_e32 v2, 0xfffffd00, v4
	v_cmp_gt_u32_e64 s[0:1], s17, v2
	s_and_saveexec_b64 s[4:5], s[0:1]
	s_cbranch_execz .LBB115_13
; %bb.11:                               ;   in Loop: Header=BB115_10 Depth=1
	v_add_u32_e32 v2, s15, v8
	v_lshlrev_b64 v[12:13], 1, v[2:3]
	v_mov_b32_e32 v2, s8
	v_add_co_u32_e64 v12, s[0:1], s6, v12
	v_addc_co_u32_e64 v13, s[0:1], v2, v13, s[0:1]
	global_load_ushort v2, v[12:13], off
	s_waitcnt vmcnt(0)
	v_cmp_lt_i16_e64 s[0:1], -1, v2
	v_cndmask_b32_e64 v12, v10, v11, s[0:1]
	v_lshlrev_b32_e32 v13, 16, v2
	v_xor_b32_sdwa v2, v12, v2 dst_sel:DWORD dst_unused:UNUSED_PAD src0_sel:DWORD src1_sel:WORD_0
	v_cmp_o_f32_e64 s[0:1], v13, v13
	v_cndmask_b32_e64 v2, v10, v2, s[0:1]
	v_xor_b32_e32 v12, s12, v2
	v_and_b32_e32 v12, s11, v12
	v_cmp_eq_u32_e64 s[0:1], 0, v12
	s_and_b64 exec, exec, s[0:1]
	s_cbranch_execz .LBB115_13
; %bb.12:                               ;   in Loop: Header=BB115_10 Depth=1
	v_bfe_u32 v2, v2, s9, 8
	v_lshlrev_b32_e32 v2, 2, v2
	ds_add_u32 v2, v9
.LBB115_13:                             ;   in Loop: Header=BB115_10 Depth=1
	s_or_b64 exec, exec, s[4:5]
	v_add_u32_e32 v2, 0xfffffe00, v4
	v_cmp_gt_u32_e64 s[0:1], s17, v2
	s_and_saveexec_b64 s[4:5], s[0:1]
	s_cbranch_execz .LBB115_16
; %bb.14:                               ;   in Loop: Header=BB115_10 Depth=1
	v_add_u32_e32 v2, s15, v7
	v_lshlrev_b64 v[12:13], 1, v[2:3]
	v_mov_b32_e32 v2, s8
	v_add_co_u32_e64 v12, s[0:1], s6, v12
	v_addc_co_u32_e64 v13, s[0:1], v2, v13, s[0:1]
	global_load_ushort v2, v[12:13], off
	s_waitcnt vmcnt(0)
	v_cmp_lt_i16_e64 s[0:1], -1, v2
	v_cndmask_b32_e64 v12, v10, v11, s[0:1]
	v_lshlrev_b32_e32 v13, 16, v2
	v_xor_b32_sdwa v2, v12, v2 dst_sel:DWORD dst_unused:UNUSED_PAD src0_sel:DWORD src1_sel:WORD_0
	v_cmp_o_f32_e64 s[0:1], v13, v13
	v_cndmask_b32_e64 v2, v10, v2, s[0:1]
	v_xor_b32_e32 v12, s12, v2
	v_and_b32_e32 v12, s11, v12
	v_cmp_eq_u32_e64 s[0:1], 0, v12
	s_and_b64 exec, exec, s[0:1]
	s_cbranch_execz .LBB115_16
; %bb.15:                               ;   in Loop: Header=BB115_10 Depth=1
	v_bfe_u32 v2, v2, s9, 8
	v_lshlrev_b32_e32 v2, 2, v2
	ds_add_u32 v2, v9
.LBB115_16:                             ;   in Loop: Header=BB115_10 Depth=1
	s_or_b64 exec, exec, s[4:5]
	;; [unrolled: 29-line block ×3, first 2 shown]
	v_cmp_gt_u32_e64 s[0:1], s17, v4
	s_and_saveexec_b64 s[4:5], s[0:1]
	s_cbranch_execz .LBB115_9
; %bb.20:                               ;   in Loop: Header=BB115_10 Depth=1
	v_add_u32_e32 v2, s15, v5
	v_lshlrev_b64 v[12:13], 1, v[2:3]
	v_mov_b32_e32 v2, s8
	v_add_co_u32_e64 v12, s[0:1], s6, v12
	v_addc_co_u32_e64 v13, s[0:1], v2, v13, s[0:1]
	global_load_ushort v2, v[12:13], off
	s_waitcnt vmcnt(0)
	v_cmp_lt_i16_e64 s[0:1], -1, v2
	v_cndmask_b32_e64 v12, v10, v11, s[0:1]
	v_lshlrev_b32_e32 v13, 16, v2
	v_xor_b32_sdwa v2, v12, v2 dst_sel:DWORD dst_unused:UNUSED_PAD src0_sel:DWORD src1_sel:WORD_0
	v_cmp_o_f32_e64 s[0:1], v13, v13
	v_cndmask_b32_e64 v2, v10, v2, s[0:1]
	v_xor_b32_e32 v12, s12, v2
	v_and_b32_e32 v12, s11, v12
	v_cmp_eq_u32_e64 s[0:1], 0, v12
	s_and_b64 exec, exec, s[0:1]
	s_cbranch_execz .LBB115_9
; %bb.21:                               ;   in Loop: Header=BB115_10 Depth=1
	v_bfe_u32 v2, v2, s9, 8
	v_lshlrev_b32_e32 v2, 2, v2
	ds_add_u32 v2, v9
	s_branch .LBB115_9
.LBB115_22:
	s_and_b32 s10, s10, 3
	s_cmp_eq_u32 s10, 0
	s_cbranch_scc1 .LBB115_28
; %bb.23:
	s_lshl_b32 s0, s7, 8
	s_add_i32 s0, s0, s18
	v_add_u32_e32 v4, s0, v0
	v_mul_lo_u32 v2, s13, v4
	s_lshl_b32 s7, s13, 8
	v_mov_b32_e32 v3, 0
	v_mov_b32_e32 v5, 1
	v_mov_b32_e32 v6, 0xffff
	v_mov_b32_e32 v7, 0x8000
	s_branch .LBB115_25
.LBB115_24:                             ;   in Loop: Header=BB115_25 Depth=1
	s_or_b64 exec, exec, s[4:5]
	s_add_i32 s10, s10, -1
	v_add_u32_e32 v2, s7, v2
	s_cmp_lg_u32 s10, 0
	v_add_u32_e32 v4, 0x100, v4
	s_cbranch_scc0 .LBB115_28
.LBB115_25:                             ; =>This Inner Loop Header: Depth=1
	v_cmp_gt_u32_e64 s[0:1], s17, v4
	s_and_saveexec_b64 s[4:5], s[0:1]
	s_cbranch_execz .LBB115_24
; %bb.26:                               ;   in Loop: Header=BB115_25 Depth=1
	v_lshlrev_b64 v[8:9], 1, v[2:3]
	v_mov_b32_e32 v10, s8
	v_add_co_u32_e64 v8, s[0:1], s6, v8
	v_addc_co_u32_e64 v9, s[0:1], v10, v9, s[0:1]
	global_load_ushort v8, v[8:9], off
	s_waitcnt vmcnt(0)
	v_cmp_lt_i16_e64 s[0:1], -1, v8
	v_cndmask_b32_e64 v9, v6, v7, s[0:1]
	v_lshlrev_b32_e32 v10, 16, v8
	v_xor_b32_sdwa v8, v9, v8 dst_sel:DWORD dst_unused:UNUSED_PAD src0_sel:DWORD src1_sel:WORD_0
	v_cmp_o_f32_e64 s[0:1], v10, v10
	v_cndmask_b32_e64 v8, v6, v8, s[0:1]
	v_xor_b32_e32 v9, s12, v8
	v_and_b32_e32 v9, s11, v9
	v_cmp_eq_u32_e64 s[0:1], 0, v9
	s_and_b64 exec, exec, s[0:1]
	s_cbranch_execz .LBB115_24
; %bb.27:                               ;   in Loop: Header=BB115_25 Depth=1
	v_bfe_u32 v8, v8, s9, 8
	v_lshlrev_b32_e32 v8, 2, v8
	ds_add_u32 v8, v5
	s_branch .LBB115_24
.LBB115_28:
	v_mov_b32_e32 v2, 0
	s_waitcnt lgkmcnt(0)
	s_barrier
	s_and_saveexec_b64 s[0:1], vcc
	s_cbranch_execz .LBB115_30
; %bb.29:
	ds_read_b32 v2, v1
.LBB115_30:
	s_or_b64 exec, exec, s[0:1]
	s_and_saveexec_b64 s[0:1], vcc
	s_cbranch_execz .LBB115_32
; %bb.31:
	v_lshl_or_b32 v0, s16, 8, v0
	v_mov_b32_e32 v1, 0
	v_lshlrev_b64 v[0:1], 1, v[0:1]
	v_mov_b32_e32 v3, s3
	v_add_co_u32_e32 v0, vcc, s2, v0
	v_addc_co_u32_e32 v1, vcc, v3, v1, vcc
	s_waitcnt lgkmcnt(0)
	global_store_short v[0:1], v2, off
.LBB115_32:
	s_endpgm
	.section	.rodata,"a",@progbits
	.p2align	6, 0x0
	.amdhsa_kernel _ZN2at6native6mbtopk23computeBlockDigitCountsIN3c108BFloat16EjjLin1EEEvNS_4cuda6detail10TensorInfoIKT_T0_EEjPjjSA_iijT1_PSD_Ps
		.amdhsa_group_segment_fixed_size 1024
		.amdhsa_private_segment_fixed_size 0
		.amdhsa_kernarg_size 528
		.amdhsa_user_sgpr_count 6
		.amdhsa_user_sgpr_private_segment_buffer 1
		.amdhsa_user_sgpr_dispatch_ptr 0
		.amdhsa_user_sgpr_queue_ptr 0
		.amdhsa_user_sgpr_kernarg_segment_ptr 1
		.amdhsa_user_sgpr_dispatch_id 0
		.amdhsa_user_sgpr_flat_scratch_init 0
		.amdhsa_user_sgpr_kernarg_preload_length 0
		.amdhsa_user_sgpr_kernarg_preload_offset 0
		.amdhsa_user_sgpr_private_segment_size 0
		.amdhsa_uses_dynamic_stack 0
		.amdhsa_system_sgpr_private_segment_wavefront_offset 0
		.amdhsa_system_sgpr_workgroup_id_x 1
		.amdhsa_system_sgpr_workgroup_id_y 1
		.amdhsa_system_sgpr_workgroup_id_z 1
		.amdhsa_system_sgpr_workgroup_info 0
		.amdhsa_system_vgpr_workitem_id 0
		.amdhsa_next_free_vgpr 14
		.amdhsa_next_free_sgpr 24
		.amdhsa_accum_offset 16
		.amdhsa_reserve_vcc 1
		.amdhsa_reserve_flat_scratch 0
		.amdhsa_float_round_mode_32 0
		.amdhsa_float_round_mode_16_64 0
		.amdhsa_float_denorm_mode_32 3
		.amdhsa_float_denorm_mode_16_64 3
		.amdhsa_dx10_clamp 1
		.amdhsa_ieee_mode 1
		.amdhsa_fp16_overflow 0
		.amdhsa_tg_split 0
		.amdhsa_exception_fp_ieee_invalid_op 0
		.amdhsa_exception_fp_denorm_src 0
		.amdhsa_exception_fp_ieee_div_zero 0
		.amdhsa_exception_fp_ieee_overflow 0
		.amdhsa_exception_fp_ieee_underflow 0
		.amdhsa_exception_fp_ieee_inexact 0
		.amdhsa_exception_int_div_zero 0
	.end_amdhsa_kernel
	.section	.text._ZN2at6native6mbtopk23computeBlockDigitCountsIN3c108BFloat16EjjLin1EEEvNS_4cuda6detail10TensorInfoIKT_T0_EEjPjjSA_iijT1_PSD_Ps,"axG",@progbits,_ZN2at6native6mbtopk23computeBlockDigitCountsIN3c108BFloat16EjjLin1EEEvNS_4cuda6detail10TensorInfoIKT_T0_EEjPjjSA_iijT1_PSD_Ps,comdat
.Lfunc_end115:
	.size	_ZN2at6native6mbtopk23computeBlockDigitCountsIN3c108BFloat16EjjLin1EEEvNS_4cuda6detail10TensorInfoIKT_T0_EEjPjjSA_iijT1_PSD_Ps, .Lfunc_end115-_ZN2at6native6mbtopk23computeBlockDigitCountsIN3c108BFloat16EjjLin1EEEvNS_4cuda6detail10TensorInfoIKT_T0_EEjPjjSA_iijT1_PSD_Ps
                                        ; -- End function
	.section	.AMDGPU.csdata,"",@progbits
; Kernel info:
; codeLenInByte = 1652
; NumSgprs: 28
; NumVgprs: 14
; NumAgprs: 0
; TotalNumVgprs: 14
; ScratchSize: 0
; MemoryBound: 0
; FloatMode: 240
; IeeeMode: 1
; LDSByteSize: 1024 bytes/workgroup (compile time only)
; SGPRBlocks: 3
; VGPRBlocks: 1
; NumSGPRsForWavesPerEU: 28
; NumVGPRsForWavesPerEU: 14
; AccumOffset: 16
; Occupancy: 8
; WaveLimiterHint : 1
; COMPUTE_PGM_RSRC2:SCRATCH_EN: 0
; COMPUTE_PGM_RSRC2:USER_SGPR: 6
; COMPUTE_PGM_RSRC2:TRAP_HANDLER: 0
; COMPUTE_PGM_RSRC2:TGID_X_EN: 1
; COMPUTE_PGM_RSRC2:TGID_Y_EN: 1
; COMPUTE_PGM_RSRC2:TGID_Z_EN: 1
; COMPUTE_PGM_RSRC2:TIDIG_COMP_CNT: 0
; COMPUTE_PGM_RSRC3_GFX90A:ACCUM_OFFSET: 3
; COMPUTE_PGM_RSRC3_GFX90A:TG_SPLIT: 0
	.section	.text._ZN2at6native6mbtopk10gatherTopKIN3c108BFloat16EjLin1EEEvNS_4cuda6detail10TensorInfoIKT_T0_EESA_SA_bjSA_NS7_IS8_SA_EESA_NS7_IlSA_EESA_jjPS8_PjSF_j,"axG",@progbits,_ZN2at6native6mbtopk10gatherTopKIN3c108BFloat16EjLin1EEEvNS_4cuda6detail10TensorInfoIKT_T0_EESA_SA_bjSA_NS7_IS8_SA_EESA_NS7_IlSA_EESA_jjPS8_PjSF_j,comdat
	.protected	_ZN2at6native6mbtopk10gatherTopKIN3c108BFloat16EjLin1EEEvNS_4cuda6detail10TensorInfoIKT_T0_EESA_SA_bjSA_NS7_IS8_SA_EESA_NS7_IlSA_EESA_jjPS8_PjSF_j ; -- Begin function _ZN2at6native6mbtopk10gatherTopKIN3c108BFloat16EjLin1EEEvNS_4cuda6detail10TensorInfoIKT_T0_EESA_SA_bjSA_NS7_IS8_SA_EESA_NS7_IlSA_EESA_jjPS8_PjSF_j
	.globl	_ZN2at6native6mbtopk10gatherTopKIN3c108BFloat16EjLin1EEEvNS_4cuda6detail10TensorInfoIKT_T0_EESA_SA_bjSA_NS7_IS8_SA_EESA_NS7_IlSA_EESA_jjPS8_PjSF_j
	.p2align	8
	.type	_ZN2at6native6mbtopk10gatherTopKIN3c108BFloat16EjLin1EEEvNS_4cuda6detail10TensorInfoIKT_T0_EESA_SA_bjSA_NS7_IS8_SA_EESA_NS7_IlSA_EESA_jjPS8_PjSF_j,@function
_ZN2at6native6mbtopk10gatherTopKIN3c108BFloat16EjLin1EEEvNS_4cuda6detail10TensorInfoIKT_T0_EESA_SA_bjSA_NS7_IS8_SA_EESA_NS7_IlSA_EESA_jjPS8_PjSF_j: ; @_ZN2at6native6mbtopk10gatherTopKIN3c108BFloat16EjLin1EEEvNS_4cuda6detail10TensorInfoIKT_T0_EESA_SA_bjSA_NS7_IS8_SA_EESA_NS7_IlSA_EESA_jjPS8_PjSF_j
; %bb.0:
	s_load_dwordx2 s[0:1], s[4:5], 0x2d8
	s_load_dword s2, s[4:5], 0x2d0
	s_waitcnt lgkmcnt(0)
	s_mul_i32 s1, s1, s8
	s_add_i32 s1, s1, s7
	s_mul_i32 s17, s1, s0
	s_add_i32 s17, s17, s6
	s_cmp_ge_u32 s17, s2
	s_cbranch_scc1 .LBB116_49
; %bb.1:
	s_load_dwordx4 s[8:11], s[4:5], 0x2a8
	s_load_dword s0, s[4:5], 0xd0
	s_mov_b32 s7, 0
	s_waitcnt lgkmcnt(0)
	v_cvt_f32_u32_e32 v1, s10
	s_sub_i32 s1, 0, s10
	v_rcp_iflag_f32_e32 v1, v1
	v_mul_f32_e32 v1, 0x4f7ffffe, v1
	v_cvt_u32_f32_e32 v1, v1
	v_readfirstlane_b32 s2, v1
	s_mul_i32 s1, s1, s2
	s_mul_hi_u32 s1, s2, s1
	s_add_i32 s2, s2, s1
	s_mul_hi_u32 s1, s17, s2
	s_mul_i32 s2, s1, s10
	s_sub_i32 s2, s17, s2
	s_add_i32 s3, s1, 1
	s_sub_i32 s6, s2, s10
	s_cmp_ge_u32 s2, s10
	s_cselect_b32 s1, s3, s1
	s_cselect_b32 s2, s6, s2
	s_add_i32 s3, s1, 1
	s_cmp_ge_u32 s2, s10
	s_cselect_b32 s20, s3, s1
	s_cmp_lt_i32 s0, 2
	s_mov_b32 s6, s20
	s_cbranch_scc1 .LBB116_4
; %bb.2:
	s_add_i32 s6, s0, -1
	s_add_i32 s2, s0, 1
	s_lshl_b64 s[0:1], s[6:7], 2
	s_add_u32 s0, s0, s4
	s_addc_u32 s1, s1, s5
	s_add_u32 s0, s0, 8
	s_addc_u32 s1, s1, 0
	s_mov_b32 s6, s20
.LBB116_3:                              ; =>This Inner Loop Header: Depth=1
	s_load_dword s3, s[0:1], 0x0
	s_load_dword s12, s[0:1], 0x64
	s_mov_b32 s11, s6
	s_waitcnt lgkmcnt(0)
	v_cvt_f32_u32_e32 v1, s3
	s_sub_i32 s6, 0, s3
	v_rcp_iflag_f32_e32 v1, v1
	v_mul_f32_e32 v1, 0x4f7ffffe, v1
	v_cvt_u32_f32_e32 v1, v1
	v_readfirstlane_b32 s13, v1
	s_mul_i32 s6, s6, s13
	s_mul_hi_u32 s6, s13, s6
	s_add_i32 s13, s13, s6
	s_mul_hi_u32 s6, s11, s13
	s_mul_i32 s13, s6, s3
	s_sub_i32 s13, s11, s13
	s_add_i32 s14, s6, 1
	s_sub_i32 s15, s13, s3
	s_cmp_ge_u32 s13, s3
	s_cselect_b32 s6, s14, s6
	s_cselect_b32 s13, s15, s13
	s_add_i32 s14, s6, 1
	s_cmp_ge_u32 s13, s3
	s_cselect_b32 s6, s14, s6
	s_mul_i32 s3, s6, s3
	s_sub_i32 s3, s11, s3
	s_mul_i32 s3, s12, s3
	s_add_i32 s2, s2, -1
	s_add_i32 s7, s3, s7
	s_add_u32 s0, s0, -4
	s_addc_u32 s1, s1, -1
	s_cmp_gt_u32 s2, 2
	s_cbranch_scc1 .LBB116_3
.LBB116_4:
	s_load_dword s2, s[4:5], 0x1c0
	s_add_u32 s0, s4, 0xf0
	s_addc_u32 s1, s5, 0
	s_mov_b32 s23, 0
	s_mov_b32 s22, s20
	s_waitcnt lgkmcnt(0)
	s_cmp_lt_i32 s2, 2
	s_cbranch_scc1 .LBB116_7
; %bb.5:
	s_add_i32 s22, s2, -1
	s_add_i32 s11, s2, 1
	s_lshl_b64 s[2:3], s[22:23], 2
	s_add_u32 s2, s2, s0
	s_addc_u32 s3, s3, s1
	s_add_u32 s2, s2, 8
	s_addc_u32 s3, s3, 0
	s_mov_b32 s22, s20
.LBB116_6:                              ; =>This Inner Loop Header: Depth=1
	s_load_dword s12, s[2:3], 0x0
	s_load_dword s14, s[2:3], 0x64
	s_mov_b32 s13, s22
	s_waitcnt lgkmcnt(0)
	v_cvt_f32_u32_e32 v1, s12
	s_sub_i32 s15, 0, s12
	v_rcp_iflag_f32_e32 v1, v1
	v_mul_f32_e32 v1, 0x4f7ffffe, v1
	v_cvt_u32_f32_e32 v1, v1
	v_readfirstlane_b32 s16, v1
	s_mul_i32 s15, s15, s16
	s_mul_hi_u32 s15, s16, s15
	s_add_i32 s16, s16, s15
	s_mul_hi_u32 s15, s22, s16
	s_mul_i32 s16, s15, s12
	s_sub_i32 s16, s22, s16
	s_add_i32 s18, s15, 1
	s_sub_i32 s19, s16, s12
	s_cmp_ge_u32 s16, s12
	s_cselect_b32 s15, s18, s15
	s_cselect_b32 s16, s19, s16
	s_add_i32 s18, s15, 1
	s_cmp_ge_u32 s16, s12
	s_cselect_b32 s22, s18, s15
	s_mul_i32 s12, s22, s12
	s_sub_i32 s12, s13, s12
	s_mul_i32 s12, s14, s12
	s_add_i32 s11, s11, -1
	s_add_i32 s23, s12, s23
	s_add_u32 s2, s2, -4
	s_addc_u32 s3, s3, -1
	s_cmp_gt_u32 s11, 2
	s_cbranch_scc1 .LBB116_6
.LBB116_7:
	s_load_dword s33, s[4:5], 0x6c
	s_load_dword s12, s[4:5], 0x2a0
	s_add_u32 s2, s4, 0x1d0
	s_addc_u32 s3, s5, 0
	s_mov_b32 s25, 0
	s_mov_b32 s24, s20
	s_waitcnt lgkmcnt(0)
	s_cmp_lt_i32 s12, 2
	s_cbranch_scc1 .LBB116_10
; %bb.8:
	s_add_i32 s24, s12, -1
	s_add_i32 s11, s12, 1
	s_lshl_b64 s[12:13], s[24:25], 2
	s_add_u32 s2, s12, s2
	s_addc_u32 s3, s13, s3
	s_add_u32 s2, s2, 8
	s_addc_u32 s3, s3, 0
	s_mov_b32 s24, s20
.LBB116_9:                              ; =>This Inner Loop Header: Depth=1
	s_load_dword s12, s[2:3], 0x0
	s_load_dword s14, s[2:3], 0x64
	s_mov_b32 s13, s24
	s_waitcnt lgkmcnt(0)
	v_cvt_f32_u32_e32 v1, s12
	s_sub_i32 s15, 0, s12
	v_rcp_iflag_f32_e32 v1, v1
	v_mul_f32_e32 v1, 0x4f7ffffe, v1
	v_cvt_u32_f32_e32 v1, v1
	v_readfirstlane_b32 s16, v1
	s_mul_i32 s15, s15, s16
	s_mul_hi_u32 s15, s16, s15
	s_add_i32 s16, s16, s15
	s_mul_hi_u32 s15, s24, s16
	s_mul_i32 s16, s15, s12
	s_sub_i32 s16, s24, s16
	s_add_i32 s18, s15, 1
	s_sub_i32 s19, s16, s12
	s_cmp_ge_u32 s16, s12
	s_cselect_b32 s15, s18, s15
	s_cselect_b32 s16, s19, s16
	s_add_i32 s18, s15, 1
	s_cmp_ge_u32 s16, s12
	s_cselect_b32 s24, s18, s15
	s_mul_i32 s12, s24, s12
	s_sub_i32 s12, s13, s12
	s_mul_i32 s12, s14, s12
	s_add_i32 s11, s11, -1
	s_add_i32 s25, s12, s25
	s_add_u32 s2, s2, -4
	s_addc_u32 s3, s3, -1
	s_cmp_gt_u32 s11, 2
	s_cbranch_scc1 .LBB116_9
.LBB116_10:
	s_load_dword s41, s[0:1], 0x6c
	s_load_dwordx4 s[12:15], s[4:5], 0x2b8
	s_mul_i32 s16, s20, s10
	s_mov_b32 s21, 0
	s_sub_i32 s11, s17, s16
	s_lshl_b64 s[0:1], s[20:21], 1
	s_waitcnt lgkmcnt(0)
	s_add_u32 s0, s12, s0
	s_addc_u32 s1, s13, s1
	v_mov_b32_e32 v1, 0
	global_load_ushort v1, v1, s[0:1]
	s_load_dwordx2 s[30:31], s[4:5], 0x0
	s_load_dwordx2 s[28:29], s[4:5], 0xf0
	s_load_dwordx2 s[26:27], s[4:5], 0x1d0
	v_cmp_ne_u32_e64 s[0:1], 0, v0
	v_cmp_eq_u32_e64 s[2:3], 0, v0
	s_waitcnt vmcnt(0)
	v_readfirstlane_b32 s40, v1
	s_and_saveexec_b64 s[12:13], s[2:3]
	s_cbranch_execz .LBB116_26
; %bb.11:
	s_load_dwordx2 s[34:35], s[4:5], 0x2c8
	s_mov_b32 s17, s21
	s_lshl_b64 s[36:37], s[16:17], 2
	s_add_u32 s16, s14, s36
	s_addc_u32 s17, s15, s37
	s_waitcnt lgkmcnt(0)
	s_add_u32 s18, s34, s36
	s_addc_u32 s19, s35, s37
	s_mov_b32 s20, 0
	s_mov_b32 s42, 0
	s_cmp_lt_u32 s10, 4
	s_cbranch_scc1 .LBB116_23
; %bb.12:
	s_mov_b32 s43, 0
.LBB116_13:                             ; =>This Inner Loop Header: Depth=1
	s_add_u32 s16, s14, s36
	s_addc_u32 s17, s15, s37
	s_load_dwordx4 s[16:19], s[16:17], 0x0
	s_add_u32 s38, s34, s36
	s_addc_u32 s39, s35, s37
	s_cmp_ge_u32 s43, s11
	s_cbranch_scc0 .LBB116_20
; %bb.14:                               ;   in Loop: Header=BB116_13 Depth=1
	s_add_i32 s44, s43, 1
	s_cmp_ge_u32 s44, s11
	s_cbranch_scc0 .LBB116_21
.LBB116_15:                             ;   in Loop: Header=BB116_13 Depth=1
	s_add_i32 s44, s44, 1
	s_cmp_ge_u32 s44, s11
	s_cbranch_scc0 .LBB116_22
.LBB116_16:                             ;   in Loop: Header=BB116_13 Depth=1
	s_add_i32 s44, s44, 1
	s_cmp_ge_u32 s44, s11
	s_cbranch_scc1 .LBB116_18
.LBB116_17:                             ;   in Loop: Header=BB116_13 Depth=1
	s_load_dword s38, s[38:39], 0xc
	s_waitcnt lgkmcnt(0)
	s_add_i32 s21, s21, s19
	s_add_i32 s20, s38, s20
.LBB116_18:                             ;   in Loop: Header=BB116_13 Depth=1
	s_waitcnt lgkmcnt(0)
	s_add_i32 s16, s16, s42
	s_add_i32 s16, s16, s17
	;; [unrolled: 1-line block ×4, first 2 shown]
	s_add_u32 s14, s14, 16
	s_addc_u32 s15, s15, 0
	s_add_u32 s34, s34, 16
	s_addc_u32 s35, s35, 0
	s_add_i32 s39, s44, 4
	s_add_u32 s18, s34, s36
	s_addc_u32 s19, s35, s37
	s_add_u32 s16, s14, s36
	s_addc_u32 s17, s15, s37
	s_add_i32 s38, s44, 1
	s_cmp_ge_u32 s39, s10
	s_cbranch_scc1 .LBB116_24
; %bb.19:                               ;   in Loop: Header=BB116_13 Depth=1
	s_mov_b32 s43, s38
	s_branch .LBB116_13
.LBB116_20:                             ;   in Loop: Header=BB116_13 Depth=1
	s_load_dword s44, s[38:39], 0x0
	s_waitcnt lgkmcnt(0)
	s_add_i32 s21, s16, s21
	s_add_i32 s20, s44, s20
	;; [unrolled: 1-line block ×3, first 2 shown]
	s_cmp_ge_u32 s44, s11
	s_cbranch_scc1 .LBB116_15
.LBB116_21:                             ;   in Loop: Header=BB116_13 Depth=1
	s_load_dword s45, s[38:39], 0x4
	s_waitcnt lgkmcnt(0)
	s_add_i32 s21, s21, s17
	s_add_i32 s20, s45, s20
	;; [unrolled: 1-line block ×3, first 2 shown]
	s_cmp_ge_u32 s44, s11
	s_cbranch_scc1 .LBB116_16
.LBB116_22:                             ;   in Loop: Header=BB116_13 Depth=1
	s_load_dword s45, s[38:39], 0x8
	s_waitcnt lgkmcnt(0)
	s_add_i32 s21, s21, s18
	s_add_i32 s20, s45, s20
	;; [unrolled: 1-line block ×3, first 2 shown]
	s_cmp_ge_u32 s44, s11
	s_cbranch_scc0 .LBB116_17
	s_branch .LBB116_18
.LBB116_23:
	s_mov_b32 s14, 0
	s_cmp_ge_u32 s14, s10
	s_cbranch_scc0 .LBB116_47
	s_branch .LBB116_25
.LBB116_24:
	s_add_i32 s14, s43, 4
	s_cmp_ge_u32 s14, s10
	s_cbranch_scc0 .LBB116_47
.LBB116_25:
	v_mov_b32_e32 v2, s20
	v_mov_b32_e32 v3, s42
	;; [unrolled: 1-line block ×4, first 2 shown]
	ds_write_b96 v1, v[2:4] offset:1056
.LBB116_26:
	s_or_b64 exec, exec, s[12:13]
	s_load_dword s16, s[4:5], 0x23c
	s_load_dwordx4 s[12:15], s[4:5], 0xd8
	s_mul_i32 s17, s9, s11
	s_lshl_b32 s34, s17, 8
	s_waitcnt lgkmcnt(0)
	s_add_i32 s15, s11, 1
	s_mov_b32 s11, 0
	s_sub_i32 s17, s12, s34
	s_add_u32 s17, s17, 0xff
	s_addc_u32 s18, 0, 0
	v_mov_b32_e32 v1, s17
	v_alignbit_b32 v1, s18, v1, 8
	s_cmp_lt_u32 s15, s10
	v_readfirstlane_b32 s10, v1
	s_cselect_b32 s9, s9, s10
	s_cmp_eq_u32 s9, 0
	s_barrier
	s_cbranch_scc1 .LBB116_49
; %bb.27:
	s_mul_i32 s10, s41, s22
	s_mul_i32 s6, s33, s6
	s_add_i32 s18, s10, s23
	s_add_i32 s10, s6, s7
	s_mul_i32 s6, s16, s24
	s_add_i32 s6, s6, s25
	s_lshl_b64 s[16:17], s[10:11], 1
	s_add_u32 s15, s30, s16
	s_mov_b32 s19, s11
	s_addc_u32 s16, s31, s17
	s_lshl_b64 s[18:19], s[18:19], 1
	s_add_u32 s17, s28, s18
	s_mov_b32 s7, s11
	v_mov_b32_e32 v1, 0
	s_addc_u32 s18, s29, s19
	s_lshl_b64 s[6:7], s[6:7], 3
	ds_read_b96 v[2:4], v1 offset:1056
	s_add_u32 s19, s26, s6
	s_addc_u32 s20, s27, s7
	s_and_b32 s10, 0xffff, s40
	s_sext_i32_i16 s6, s40
	s_cmp_gt_i32 s6, -1
	s_mov_b32 s6, 0x8000
	s_cselect_b32 s11, s6, 0xffff
	s_lshl_b32 s6, s40, 16
	v_cmp_o_f32_e64 s[6:7], s6, s6
	s_xor_b32 s10, s11, s10
	s_waitcnt lgkmcnt(0)
	v_add_u32_e32 v5, v2, v3
	v_lshrrev_b32_e32 v2, 5, v0
	s_and_b64 s[6:7], s[6:7], exec
	v_add_lshl_u32 v6, v2, v0, 2
	v_lshlrev_b32_e32 v2, 2, v0
	v_lshrrev_b32_e32 v3, 3, v0
	s_cselect_b32 s21, s10, 0xffff
	s_bitcmp1_b32 s14, 0
	s_load_dword s10, s[4:5], 0xe8
	s_load_dword s14, s[4:5], 0x1c8
	v_add_lshl_u32 v7, v3, v2, 2
	v_add_u32_e32 v2, -1, v0
	v_lshrrev_b32_e32 v3, 5, v2
	v_add_lshl_u32 v8, v3, v2, 2
	v_mbcnt_lo_u32_b32 v3, -1, 0
	v_add_u32_e32 v2, s34, v0
	v_mbcnt_hi_u32_b32 v11, -1, v3
	s_cselect_b64 s[6:7], -1, 0
	v_cmp_gt_u32_e64 s[4:5], 64, v0
	s_waitcnt lgkmcnt(0)
	v_mul_lo_u32 v0, s10, v2
	s_lshl_b32 s22, s10, 8
	v_mov_b32_e32 v9, 0xffff
	v_mov_b32_e32 v10, 0x8000
	v_and_b32_e32 v12, 15, v11
	v_bfe_i32 v13, v11, 4, 1
	v_add_u32_e32 v14, -1, v11
	v_and_b32_e32 v15, 64, v11
                                        ; implicit-def: $vgpr16
	s_branch .LBB116_30
.LBB116_28:                             ;   in Loop: Header=BB116_30 Depth=1
	s_or_b64 exec, exec, s[10:11]
	v_add_u32_e32 v5, v19, v5
.LBB116_29:                             ;   in Loop: Header=BB116_30 Depth=1
	s_add_i32 s9, s9, -1
	v_add_u32_e32 v4, v18, v4
	v_add_u32_e32 v0, s22, v0
	s_cmp_lg_u32 s9, 0
	v_add_u32_e32 v2, 0x100, v2
	s_cbranch_scc0 .LBB116_49
.LBB116_30:                             ; =>This Inner Loop Header: Depth=1
	v_cmp_gt_u32_e32 vcc, s12, v2
	v_mov_b32_e32 v3, 0
	v_mov_b32_e32 v17, 0
	s_and_saveexec_b64 s[10:11], vcc
	s_cbranch_execz .LBB116_32
; %bb.31:                               ;   in Loop: Header=BB116_30 Depth=1
	v_lshlrev_b64 v[16:17], 1, v[0:1]
	v_mov_b32_e32 v3, s16
	v_add_co_u32_e32 v16, vcc, s15, v16
	v_addc_co_u32_e32 v17, vcc, v3, v17, vcc
	global_load_ushort v16, v[16:17], off
	s_waitcnt vmcnt(0)
	v_cmp_lt_i16_e32 vcc, -1, v16
	v_cndmask_b32_e32 v3, v9, v10, vcc
	v_lshlrev_b32_e32 v17, 16, v16
	v_xor_b32_sdwa v3, v3, v16 dst_sel:DWORD dst_unused:UNUSED_PAD src0_sel:DWORD src1_sel:WORD_0
	v_cmp_o_f32_e32 vcc, v17, v17
	v_cndmask_b32_e32 v17, v9, v3, vcc
	v_cmp_lt_u32_e32 vcc, s21, v17
	v_cndmask_b32_e64 v3, 0, 1, vcc
	v_cmp_gt_u32_e32 vcc, s21, v17
	v_cndmask_b32_e64 v18, 0, 1, vcc
	v_cndmask_b32_e64 v3, v18, v3, s[6:7]
	v_cmp_eq_u32_e32 vcc, s21, v17
	v_and_b32_e32 v3, 1, v3
	v_cndmask_b32_e64 v17, 0, 1, vcc
.LBB116_32:                             ;   in Loop: Header=BB116_30 Depth=1
	s_or_b64 exec, exec, s[10:11]
	ds_write_b32 v6, v3
	s_waitcnt lgkmcnt(0)
	s_barrier
	s_and_saveexec_b64 s[10:11], s[4:5]
	s_cbranch_execz .LBB116_34
; %bb.33:                               ;   in Loop: Header=BB116_30 Depth=1
	ds_read2_b32 v[18:19], v7 offset1:1
	ds_read2_b32 v[20:21], v7 offset0:2 offset1:3
	v_cmp_ne_u32_e32 vcc, 0, v12
	; wave barrier
	s_waitcnt lgkmcnt(1)
	v_add_u32_e32 v19, v19, v18
	s_waitcnt lgkmcnt(0)
	v_add3_u32 v19, v19, v20, v21
	s_nop 1
	v_mov_b32_dpp v20, v19 row_shr:1 row_mask:0xf bank_mask:0xf
	v_cndmask_b32_e32 v20, 0, v20, vcc
	v_add_u32_e32 v19, v20, v19
	v_cmp_lt_u32_e32 vcc, 1, v12
	s_nop 0
	v_mov_b32_dpp v20, v19 row_shr:2 row_mask:0xf bank_mask:0xf
	v_cndmask_b32_e32 v20, 0, v20, vcc
	v_add_u32_e32 v19, v19, v20
	v_cmp_lt_u32_e32 vcc, 3, v12
	;; [unrolled: 5-line block ×4, first 2 shown]
	s_nop 0
	v_mov_b32_dpp v20, v19 row_bcast:15 row_mask:0xf bank_mask:0xf
	v_and_b32_e32 v20, v13, v20
	v_add_u32_e32 v19, v19, v20
	s_nop 1
	v_mov_b32_dpp v20, v19 row_bcast:31 row_mask:0xf bank_mask:0xf
	v_cndmask_b32_e32 v20, 0, v20, vcc
	v_cmp_lt_i32_e32 vcc, v14, v15
	v_add_u32_e32 v19, v19, v20
	v_cndmask_b32_e32 v20, v14, v11, vcc
	v_lshlrev_b32_e32 v20, 2, v20
	ds_bpermute_b32 v19, v20, v19
	s_waitcnt lgkmcnt(0)
	v_add_u32_e32 v18, v19, v18
	v_cndmask_b32_e64 v20, v18, v3, s[2:3]
	ds_write_b32 v7, v20
	; wave barrier
	ds_read2_b32 v[18:19], v7 offset0:1 offset1:2
	ds_read_b32 v21, v7 offset:12
	s_waitcnt lgkmcnt(1)
	v_add_u32_e32 v18, v18, v20
	v_add_u32_e32 v19, v19, v18
	ds_write2_b32 v7, v18, v19 offset0:1 offset1:2
	s_waitcnt lgkmcnt(1)
	v_add_u32_e32 v18, v21, v19
	ds_write_b32 v7, v18 offset:12
.LBB116_34:                             ;   in Loop: Header=BB116_30 Depth=1
	s_or_b64 exec, exec, s[10:11]
	v_mov_b32_e32 v19, 0
	s_waitcnt lgkmcnt(0)
	s_barrier
	s_and_saveexec_b64 s[10:11], s[0:1]
	s_cbranch_execz .LBB116_36
; %bb.35:                               ;   in Loop: Header=BB116_30 Depth=1
	ds_read_b32 v19, v8
.LBB116_36:                             ;   in Loop: Header=BB116_30 Depth=1
	s_or_b64 exec, exec, s[10:11]
	ds_read_b32 v18, v1 offset:1048
	v_cmp_ne_u32_e32 vcc, 0, v3
	s_waitcnt lgkmcnt(0)
	s_barrier
	s_and_saveexec_b64 s[10:11], vcc
	s_cbranch_execz .LBB116_38
; %bb.37:                               ;   in Loop: Header=BB116_30 Depth=1
	v_add_u32_e32 v19, v19, v4
	v_mul_lo_u32 v20, v19, s14
	v_mov_b32_e32 v21, v1
	v_lshlrev_b64 v[20:21], 1, v[20:21]
	v_mov_b32_e32 v3, s18
	v_add_co_u32_e32 v20, vcc, s17, v20
	v_addc_co_u32_e32 v21, vcc, v3, v21, vcc
	global_store_short v[20:21], v16, off
	v_mul_lo_u32 v20, v19, s8
	v_mov_b32_e32 v21, v1
	v_lshlrev_b64 v[20:21], 3, v[20:21]
	v_mov_b32_e32 v19, s20
	v_add_co_u32_e32 v20, vcc, s19, v20
	v_mov_b32_e32 v3, v1
	v_addc_co_u32_e32 v21, vcc, v19, v21, vcc
	global_store_dwordx2 v[20:21], v[2:3], off
.LBB116_38:                             ;   in Loop: Header=BB116_30 Depth=1
	s_or_b64 exec, exec, s[10:11]
	v_cmp_le_u32_e32 vcc, s13, v5
	s_cbranch_vccnz .LBB116_29
; %bb.39:                               ;   in Loop: Header=BB116_30 Depth=1
	ds_write_b32 v6, v17
	s_waitcnt lgkmcnt(0)
	s_barrier
	s_and_saveexec_b64 s[10:11], s[4:5]
	s_cbranch_execz .LBB116_41
; %bb.40:                               ;   in Loop: Header=BB116_30 Depth=1
	ds_read2_b32 v[20:21], v7 offset1:1
	ds_read2_b32 v[22:23], v7 offset0:2 offset1:3
	v_cmp_ne_u32_e32 vcc, 0, v12
	; wave barrier
	s_waitcnt lgkmcnt(1)
	v_add_u32_e32 v3, v21, v20
	s_waitcnt lgkmcnt(0)
	v_add3_u32 v3, v3, v22, v23
	s_nop 1
	v_mov_b32_dpp v19, v3 row_shr:1 row_mask:0xf bank_mask:0xf
	v_cndmask_b32_e32 v19, 0, v19, vcc
	v_add_u32_e32 v3, v19, v3
	v_cmp_lt_u32_e32 vcc, 1, v12
	s_nop 0
	v_mov_b32_dpp v19, v3 row_shr:2 row_mask:0xf bank_mask:0xf
	v_cndmask_b32_e32 v19, 0, v19, vcc
	v_add_u32_e32 v3, v3, v19
	v_cmp_lt_u32_e32 vcc, 3, v12
	;; [unrolled: 5-line block ×4, first 2 shown]
	s_nop 0
	v_mov_b32_dpp v19, v3 row_bcast:15 row_mask:0xf bank_mask:0xf
	v_and_b32_e32 v19, v13, v19
	v_add_u32_e32 v3, v3, v19
	s_nop 1
	v_mov_b32_dpp v19, v3 row_bcast:31 row_mask:0xf bank_mask:0xf
	v_cndmask_b32_e32 v19, 0, v19, vcc
	v_cmp_lt_i32_e32 vcc, v14, v15
	v_add_u32_e32 v3, v3, v19
	v_cndmask_b32_e32 v19, v14, v11, vcc
	v_lshlrev_b32_e32 v19, 2, v19
	ds_bpermute_b32 v3, v19, v3
	s_waitcnt lgkmcnt(0)
	v_add_u32_e32 v3, v3, v20
	v_cndmask_b32_e64 v3, v3, v17, s[2:3]
	ds_write_b32 v7, v3
	; wave barrier
	ds_read2_b32 v[20:21], v7 offset0:1 offset1:2
	ds_read_b32 v19, v7 offset:12
	s_waitcnt lgkmcnt(1)
	v_add_u32_e32 v3, v20, v3
	v_add_u32_e32 v20, v21, v3
	ds_write2_b32 v7, v3, v20 offset0:1 offset1:2
	s_waitcnt lgkmcnt(1)
	v_add_u32_e32 v3, v19, v20
	ds_write_b32 v7, v3 offset:12
.LBB116_41:                             ;   in Loop: Header=BB116_30 Depth=1
	s_or_b64 exec, exec, s[10:11]
	v_mov_b32_e32 v3, 0
	s_waitcnt lgkmcnt(0)
	s_barrier
	s_and_saveexec_b64 s[10:11], s[0:1]
	s_cbranch_execz .LBB116_43
; %bb.42:                               ;   in Loop: Header=BB116_30 Depth=1
	ds_read_b32 v3, v8
.LBB116_43:                             ;   in Loop: Header=BB116_30 Depth=1
	s_or_b64 exec, exec, s[10:11]
	ds_read_b32 v19, v1 offset:1048
	v_cmp_ne_u32_e32 vcc, 0, v17
	s_waitcnt lgkmcnt(0)
	s_barrier
	s_and_saveexec_b64 s[10:11], vcc
	s_cbranch_execz .LBB116_28
; %bb.44:                               ;   in Loop: Header=BB116_30 Depth=1
	v_add_u32_e32 v17, v3, v5
	v_cmp_gt_u32_e32 vcc, s13, v17
	s_and_b64 exec, exec, vcc
	s_cbranch_execz .LBB116_28
; %bb.45:                               ;   in Loop: Header=BB116_30 Depth=1
	v_mul_lo_u32 v20, v17, s14
	v_mov_b32_e32 v21, v1
	v_lshlrev_b64 v[20:21], 1, v[20:21]
	v_mov_b32_e32 v3, s18
	v_add_co_u32_e32 v20, vcc, s17, v20
	v_addc_co_u32_e32 v21, vcc, v3, v21, vcc
	global_store_short v[20:21], v16, off
	v_mul_lo_u32 v20, v17, s8
	v_mov_b32_e32 v21, v1
	v_lshlrev_b64 v[20:21], 3, v[20:21]
	v_mov_b32_e32 v17, s20
	v_add_co_u32_e32 v20, vcc, s19, v20
	v_mov_b32_e32 v3, v1
	v_addc_co_u32_e32 v21, vcc, v17, v21, vcc
	global_store_dwordx2 v[20:21], v[2:3], off
	s_branch .LBB116_28
.LBB116_46:                             ;   in Loop: Header=BB116_47 Depth=1
	s_add_u32 s16, s16, 4
	s_addc_u32 s17, s17, 0
	s_waitcnt lgkmcnt(0)
	s_add_i32 s42, s15, s42
	s_add_u32 s18, s18, 4
	s_addc_u32 s19, s19, 0
	s_add_i32 s14, s14, 1
	s_cmp_lt_u32 s14, s10
	s_cbranch_scc0 .LBB116_25
.LBB116_47:                             ; =>This Inner Loop Header: Depth=1
	s_load_dword s15, s[16:17], 0x0
	s_cmp_ge_u32 s14, s11
	s_cbranch_scc1 .LBB116_46
; %bb.48:                               ;   in Loop: Header=BB116_47 Depth=1
	s_load_dword s34, s[18:19], 0x0
	s_waitcnt lgkmcnt(0)
	s_add_i32 s21, s15, s21
	s_add_i32 s20, s34, s20
	s_branch .LBB116_46
.LBB116_49:
	s_endpgm
	.section	.rodata,"a",@progbits
	.p2align	6, 0x0
	.amdhsa_kernel _ZN2at6native6mbtopk10gatherTopKIN3c108BFloat16EjLin1EEEvNS_4cuda6detail10TensorInfoIKT_T0_EESA_SA_bjSA_NS7_IS8_SA_EESA_NS7_IlSA_EESA_jjPS8_PjSF_j
		.amdhsa_group_segment_fixed_size 1068
		.amdhsa_private_segment_fixed_size 0
		.amdhsa_kernarg_size 984
		.amdhsa_user_sgpr_count 6
		.amdhsa_user_sgpr_private_segment_buffer 1
		.amdhsa_user_sgpr_dispatch_ptr 0
		.amdhsa_user_sgpr_queue_ptr 0
		.amdhsa_user_sgpr_kernarg_segment_ptr 1
		.amdhsa_user_sgpr_dispatch_id 0
		.amdhsa_user_sgpr_flat_scratch_init 0
		.amdhsa_user_sgpr_kernarg_preload_length 0
		.amdhsa_user_sgpr_kernarg_preload_offset 0
		.amdhsa_user_sgpr_private_segment_size 0
		.amdhsa_uses_dynamic_stack 0
		.amdhsa_system_sgpr_private_segment_wavefront_offset 0
		.amdhsa_system_sgpr_workgroup_id_x 1
		.amdhsa_system_sgpr_workgroup_id_y 1
		.amdhsa_system_sgpr_workgroup_id_z 1
		.amdhsa_system_sgpr_workgroup_info 0
		.amdhsa_system_vgpr_workitem_id 0
		.amdhsa_next_free_vgpr 24
		.amdhsa_next_free_sgpr 46
		.amdhsa_accum_offset 24
		.amdhsa_reserve_vcc 1
		.amdhsa_reserve_flat_scratch 0
		.amdhsa_float_round_mode_32 0
		.amdhsa_float_round_mode_16_64 0
		.amdhsa_float_denorm_mode_32 3
		.amdhsa_float_denorm_mode_16_64 3
		.amdhsa_dx10_clamp 1
		.amdhsa_ieee_mode 1
		.amdhsa_fp16_overflow 0
		.amdhsa_tg_split 0
		.amdhsa_exception_fp_ieee_invalid_op 0
		.amdhsa_exception_fp_denorm_src 0
		.amdhsa_exception_fp_ieee_div_zero 0
		.amdhsa_exception_fp_ieee_overflow 0
		.amdhsa_exception_fp_ieee_underflow 0
		.amdhsa_exception_fp_ieee_inexact 0
		.amdhsa_exception_int_div_zero 0
	.end_amdhsa_kernel
	.section	.text._ZN2at6native6mbtopk10gatherTopKIN3c108BFloat16EjLin1EEEvNS_4cuda6detail10TensorInfoIKT_T0_EESA_SA_bjSA_NS7_IS8_SA_EESA_NS7_IlSA_EESA_jjPS8_PjSF_j,"axG",@progbits,_ZN2at6native6mbtopk10gatherTopKIN3c108BFloat16EjLin1EEEvNS_4cuda6detail10TensorInfoIKT_T0_EESA_SA_bjSA_NS7_IS8_SA_EESA_NS7_IlSA_EESA_jjPS8_PjSF_j,comdat
.Lfunc_end116:
	.size	_ZN2at6native6mbtopk10gatherTopKIN3c108BFloat16EjLin1EEEvNS_4cuda6detail10TensorInfoIKT_T0_EESA_SA_bjSA_NS7_IS8_SA_EESA_NS7_IlSA_EESA_jjPS8_PjSF_j, .Lfunc_end116-_ZN2at6native6mbtopk10gatherTopKIN3c108BFloat16EjLin1EEEvNS_4cuda6detail10TensorInfoIKT_T0_EESA_SA_bjSA_NS7_IS8_SA_EESA_NS7_IlSA_EESA_jjPS8_PjSF_j
                                        ; -- End function
	.section	.AMDGPU.csdata,"",@progbits
; Kernel info:
; codeLenInByte = 2828
; NumSgprs: 50
; NumVgprs: 24
; NumAgprs: 0
; TotalNumVgprs: 24
; ScratchSize: 0
; MemoryBound: 0
; FloatMode: 240
; IeeeMode: 1
; LDSByteSize: 1068 bytes/workgroup (compile time only)
; SGPRBlocks: 6
; VGPRBlocks: 2
; NumSGPRsForWavesPerEU: 50
; NumVGPRsForWavesPerEU: 24
; AccumOffset: 24
; Occupancy: 8
; WaveLimiterHint : 1
; COMPUTE_PGM_RSRC2:SCRATCH_EN: 0
; COMPUTE_PGM_RSRC2:USER_SGPR: 6
; COMPUTE_PGM_RSRC2:TRAP_HANDLER: 0
; COMPUTE_PGM_RSRC2:TGID_X_EN: 1
; COMPUTE_PGM_RSRC2:TGID_Y_EN: 1
; COMPUTE_PGM_RSRC2:TGID_Z_EN: 1
; COMPUTE_PGM_RSRC2:TIDIG_COMP_CNT: 0
; COMPUTE_PGM_RSRC3_GFX90A:ACCUM_OFFSET: 5
; COMPUTE_PGM_RSRC3_GFX90A:TG_SPLIT: 0
	.section	.text._ZN2at6native6sbtopk10gatherTopKIN3c108BFloat16EjLin1ELb0EEEvNS_4cuda6detail10TensorInfoIKT_T0_EESA_SA_bSA_SA_NS7_IS8_SA_EESA_NS7_IlSA_EESA_PS8_,"axG",@progbits,_ZN2at6native6sbtopk10gatherTopKIN3c108BFloat16EjLin1ELb0EEEvNS_4cuda6detail10TensorInfoIKT_T0_EESA_SA_bSA_SA_NS7_IS8_SA_EESA_NS7_IlSA_EESA_PS8_,comdat
	.protected	_ZN2at6native6sbtopk10gatherTopKIN3c108BFloat16EjLin1ELb0EEEvNS_4cuda6detail10TensorInfoIKT_T0_EESA_SA_bSA_SA_NS7_IS8_SA_EESA_NS7_IlSA_EESA_PS8_ ; -- Begin function _ZN2at6native6sbtopk10gatherTopKIN3c108BFloat16EjLin1ELb0EEEvNS_4cuda6detail10TensorInfoIKT_T0_EESA_SA_bSA_SA_NS7_IS8_SA_EESA_NS7_IlSA_EESA_PS8_
	.globl	_ZN2at6native6sbtopk10gatherTopKIN3c108BFloat16EjLin1ELb0EEEvNS_4cuda6detail10TensorInfoIKT_T0_EESA_SA_bSA_SA_NS7_IS8_SA_EESA_NS7_IlSA_EESA_PS8_
	.p2align	8
	.type	_ZN2at6native6sbtopk10gatherTopKIN3c108BFloat16EjLin1ELb0EEEvNS_4cuda6detail10TensorInfoIKT_T0_EESA_SA_bSA_SA_NS7_IS8_SA_EESA_NS7_IlSA_EESA_PS8_,@function
_ZN2at6native6sbtopk10gatherTopKIN3c108BFloat16EjLin1ELb0EEEvNS_4cuda6detail10TensorInfoIKT_T0_EESA_SA_bSA_SA_NS7_IS8_SA_EESA_NS7_IlSA_EESA_PS8_: ; @_ZN2at6native6sbtopk10gatherTopKIN3c108BFloat16EjLin1ELb0EEEvNS_4cuda6detail10TensorInfoIKT_T0_EESA_SA_bSA_SA_NS7_IS8_SA_EESA_NS7_IlSA_EESA_PS8_
; %bb.0:
	s_load_dwordx2 s[10:11], s[4:5], 0x2b8
	s_load_dwordx4 s[60:63], s[4:5], 0xd8
	s_mov_b64 s[20:21], s[4:5]
	s_add_u32 s2, s20, 0x2b8
	s_addc_u32 s3, s21, 0
	s_waitcnt lgkmcnt(0)
	s_mul_i32 s0, s11, s8
	s_add_i32 s0, s0, s7
	s_mul_i32 s0, s0, s10
	s_add_i32 s77, s0, s6
	s_cmp_ge_u32 s77, s63
	s_cbranch_scc1 .LBB117_420
; %bb.1:
	s_load_dword s5, s[20:21], 0xd0
	s_load_dword s0, s[20:21], 0xe8
                                        ; implicit-def: $vgpr54 : SGPR spill to VGPR lane
	s_mov_b32 s1, 0
	s_waitcnt lgkmcnt(0)
	s_cmp_lt_i32 s5, 2
	v_writelane_b32 v54, s0, 0
	s_mov_b32 s0, s77
	s_cbranch_scc1 .LBB117_4
; %bb.2:
	s_add_i32 s0, s5, -1
	s_add_i32 s4, s5, 1
	s_lshl_b64 s[8:9], s[0:1], 2
	s_add_u32 s0, s8, s20
	s_addc_u32 s5, s9, s21
	s_add_u32 s8, s0, 8
	s_addc_u32 s9, s5, 0
	s_mov_b32 s0, s77
.LBB117_3:                              ; =>This Inner Loop Header: Depth=1
	s_load_dword s5, s[8:9], 0x0
	s_load_dword s11, s[8:9], 0x64
	s_mov_b32 s7, s0
	s_waitcnt lgkmcnt(0)
	v_cvt_f32_u32_e32 v1, s5
	s_sub_i32 s0, 0, s5
	v_rcp_iflag_f32_e32 v1, v1
	v_mul_f32_e32 v1, 0x4f7ffffe, v1
	v_cvt_u32_f32_e32 v1, v1
	v_readfirstlane_b32 s12, v1
	s_mul_i32 s0, s0, s12
	s_mul_hi_u32 s0, s12, s0
	s_add_i32 s12, s12, s0
	s_mul_hi_u32 s0, s7, s12
	s_mul_i32 s12, s0, s5
	s_sub_i32 s12, s7, s12
	s_add_i32 s13, s0, 1
	s_sub_i32 s14, s12, s5
	s_cmp_ge_u32 s12, s5
	s_cselect_b32 s0, s13, s0
	s_cselect_b32 s12, s14, s12
	s_add_i32 s13, s0, 1
	s_cmp_ge_u32 s12, s5
	s_cselect_b32 s0, s13, s0
	s_mul_i32 s5, s0, s5
	s_sub_i32 s5, s7, s5
	s_mul_i32 s5, s11, s5
	s_add_i32 s4, s4, -1
	s_add_i32 s1, s5, s1
	s_add_u32 s8, s8, -4
	s_addc_u32 s9, s9, -1
	s_cmp_gt_u32 s4, 2
	s_cbranch_scc1 .LBB117_3
.LBB117_4:
	s_load_dword s5, s[20:21], 0x1c0
	s_add_u32 s8, s20, 0xf0
	s_addc_u32 s9, s21, 0
	s_mov_b32 s65, 0
	s_mov_b32 s78, s77
	s_waitcnt lgkmcnt(0)
	s_cmp_lt_i32 s5, 2
	s_cbranch_scc1 .LBB117_7
; %bb.5:
	s_add_i32 s64, s5, -1
	s_add_i32 s4, s5, 1
	s_lshl_b64 s[12:13], s[64:65], 2
	s_add_u32 s5, s12, s8
	s_addc_u32 s7, s13, s9
	s_add_u32 s12, s5, 8
	s_addc_u32 s13, s7, 0
	s_mov_b32 s78, s77
.LBB117_6:                              ; =>This Inner Loop Header: Depth=1
	s_load_dword s5, s[12:13], 0x0
	s_load_dword s11, s[12:13], 0x64
	s_mov_b32 s7, s78
	s_waitcnt lgkmcnt(0)
	v_cvt_f32_u32_e32 v1, s5
	s_sub_i32 s14, 0, s5
	v_rcp_iflag_f32_e32 v1, v1
	v_mul_f32_e32 v1, 0x4f7ffffe, v1
	v_cvt_u32_f32_e32 v1, v1
	v_readfirstlane_b32 s15, v1
	s_mul_i32 s14, s14, s15
	s_mul_hi_u32 s14, s15, s14
	s_add_i32 s15, s15, s14
	s_mul_hi_u32 s14, s78, s15
	s_mul_i32 s15, s14, s5
	s_sub_i32 s15, s78, s15
	s_add_i32 s16, s14, 1
	s_sub_i32 s17, s15, s5
	s_cmp_ge_u32 s15, s5
	s_cselect_b32 s14, s16, s14
	s_cselect_b32 s15, s17, s15
	s_add_i32 s16, s14, 1
	s_cmp_ge_u32 s15, s5
	s_cselect_b32 s78, s16, s14
	s_mul_i32 s5, s78, s5
	s_sub_i32 s5, s7, s5
	s_mul_i32 s5, s11, s5
	s_add_i32 s4, s4, -1
	s_add_i32 s65, s5, s65
	s_add_u32 s12, s12, -4
	s_addc_u32 s13, s13, -1
	s_cmp_gt_u32 s4, 2
	s_cbranch_scc1 .LBB117_6
.LBB117_7:
	s_load_dword s4, s[20:21], 0x6c
	s_load_dword s12, s[20:21], 0x2a0
	s_add_u32 s7, s20, 0x1d0
	s_addc_u32 s11, s21, 0
	s_mov_b32 s67, 0
	s_waitcnt lgkmcnt(0)
	s_cmp_lt_i32 s12, 2
	s_cbranch_scc1 .LBB117_10
; %bb.8:
	s_add_i32 s66, s12, -1
	s_add_i32 s5, s12, 1
	s_lshl_b64 s[12:13], s[66:67], 2
	s_add_u32 s7, s12, s7
	s_addc_u32 s11, s13, s11
	s_add_u32 s12, s7, 8
	s_addc_u32 s13, s11, 0
.LBB117_9:                              ; =>This Inner Loop Header: Depth=1
	s_load_dword s7, s[12:13], 0x0
	s_load_dword s14, s[12:13], 0x64
	s_mov_b32 s11, s77
	s_waitcnt lgkmcnt(0)
	v_cvt_f32_u32_e32 v1, s7
	s_sub_i32 s15, 0, s7
	v_rcp_iflag_f32_e32 v1, v1
	v_mul_f32_e32 v1, 0x4f7ffffe, v1
	v_cvt_u32_f32_e32 v1, v1
	v_readfirstlane_b32 s16, v1
	s_mul_i32 s15, s15, s16
	s_mul_hi_u32 s15, s16, s15
	s_add_i32 s16, s16, s15
	s_mul_hi_u32 s15, s77, s16
	s_mul_i32 s16, s15, s7
	s_sub_i32 s16, s77, s16
	s_add_i32 s17, s15, 1
	s_sub_i32 s18, s16, s7
	s_cmp_ge_u32 s16, s7
	s_cselect_b32 s15, s17, s15
	s_cselect_b32 s16, s18, s16
	s_add_i32 s17, s15, 1
	s_cmp_ge_u32 s16, s7
	s_cselect_b32 s77, s17, s15
	s_mul_i32 s7, s77, s7
	s_sub_i32 s7, s11, s7
	s_mul_i32 s7, s14, s7
	s_add_i32 s5, s5, -1
	s_add_i32 s67, s7, s67
	s_add_u32 s12, s12, -4
	s_addc_u32 s13, s13, -1
	s_cmp_gt_u32 s5, 2
	s_cbranch_scc1 .LBB117_9
.LBB117_10:
	s_load_dword s5, s[8:9], 0x6c
	s_nop 0
	s_load_dwordx2 s[8:9], s[20:21], 0x0
	s_load_dwordx2 s[12:13], s[20:21], 0xf0
	s_mov_b32 s16, 0
	v_cmp_eq_u32_e64 s[14:15], 0, v0
	s_waitcnt lgkmcnt(0)
	v_writelane_b32 v54, s5, 1
	v_writelane_b32 v54, s12, 2
	;; [unrolled: 1-line block ×3, first 2 shown]
	s_load_dwordx2 s[12:13], s[20:21], 0x1d0
	s_waitcnt lgkmcnt(0)
	v_writelane_b32 v54, s12, 4
	v_writelane_b32 v54, s13, 5
	s_mov_b64 s[12:13], exec
	v_writelane_b32 v54, s14, 6
	v_writelane_b32 v54, s15, 7
	s_and_b64 s[14:15], s[12:13], s[14:15]
	s_mov_b64 exec, s[14:15]
	s_cbranch_execz .LBB117_12
; %bb.11:
	v_mov_b32_e32 v2, 0
	v_mov_b32_e32 v3, s60
	;; [unrolled: 1-line block ×3, first 2 shown]
	ds_write_b96 v2, v[2:4] offset:4096
.LBB117_12:
	s_or_b64 exec, exec, s[12:13]
	s_load_dword s5, s[20:21], 0x23c
	s_mul_i32 s0, s4, s0
	s_add_i32 s0, s0, s1
	s_mov_b32 s1, s16
	s_lshl_b64 s[0:1], s[0:1], 1
	s_add_u32 s64, s8, s0
	s_waitcnt lgkmcnt(0)
	v_writelane_b32 v54, s5, 8
	s_mov_b32 s4, 0
	s_barrier
	s_load_dword s0, s[2:3], 0xc
	s_addc_u32 s66, s9, s1
	v_writelane_b32 v54, s4, 9
	s_bitcmp1_b32 s62, 0
	v_writelane_b32 v54, s5, 10
	s_cselect_b64 s[4:5], -1, 0
	v_writelane_b32 v54, s4, 11
	v_mbcnt_lo_u32_b32 v1, -1, 0
	v_writelane_b32 v54, s5, 12
	s_xor_b64 s[4:5], s[4:5], -1
	v_mbcnt_hi_u32_b32 v1, -1, v1
	v_writelane_b32 v54, s4, 13
	s_waitcnt lgkmcnt(0)
	s_and_b32 s33, s0, 0xffff
	s_bfe_u32 s7, s0, 0xa0006
	v_cmp_gt_u32_e32 vcc, 64, v0
	v_cmp_gt_i32_e64 s[0:1], 4, v1
	v_writelane_b32 v54, s5, 14
	s_lshl_b32 s79, s33, 2
	s_and_b64 s[0:1], vcc, s[0:1]
	v_writelane_b32 v54, s0, 15
	s_cmpk_gt_u32 s60, 0x600
	v_writelane_b32 v54, s1, 16
	s_cselect_b64 s[0:1], -1, 0
	v_writelane_b32 v54, s0, 17
	s_cmp_gt_u32 s33, 63
	v_writelane_b32 v54, s1, 18
	s_cselect_b64 s[0:1], -1, 0
	v_writelane_b32 v54, s0, 19
	v_writelane_b32 v54, s1, 20
	s_add_i32 s0, s33, -1
	s_add_i32 s4, s0, s60
	s_cmp_lt_u32 s6, s10
	v_writelane_b32 v54, s0, 21
	s_cselect_b32 s0, 12, 18
	s_add_u32 s0, s2, s0
	s_addc_u32 s1, s3, 0
	v_writelane_b32 v54, s0, 22
	s_add_i32 s2, s7, -2
	v_writelane_b32 v54, s1, 23
	s_lshr_b32 s0, s2, 1
	s_add_i32 s3, s0, 1
	s_cmpk_gt_u32 s33, 0x7f
	s_cselect_b64 s[0:1], -1, 0
	v_writelane_b32 v54, s0, 24
	v_writelane_b32 v54, s1, 25
	;; [unrolled: 1-line block ×3, first 2 shown]
	s_load_dword s6, s[20:21], 0xe8
	v_mov_b32_e32 v11, 0
	v_mov_b32_e32 v13, v11
	v_writelane_b32 v54, s21, 27
	v_cmp_gt_u32_e64 s[8:9], s60, v0
	s_waitcnt lgkmcnt(0)
	v_mul_lo_u32 v12, v0, s6
	v_lshlrev_b64 v[2:3], 1, v[12:13]
	v_mov_b32_e32 v17, s66
	v_add_co_u32_e32 v8, vcc, s64, v2
	v_writelane_b32 v54, s8, 28
	v_lshrrev_b32_e32 v2, 4, v0
	v_addc_co_u32_e32 v9, vcc, v17, v3, vcc
	v_writelane_b32 v54, s9, 29
	v_and_b32_e32 v18, 60, v2
	v_cmp_gt_u32_e64 s[8:9], 2, v0
	v_lshlrev_b64 v[2:3], v1, -1
	v_writelane_b32 v54, s8, 30
	v_not_b32_e32 v6, v2
	v_cvt_f32_u32_e32 v2, s79
	v_writelane_b32 v54, s9, 31
	s_and_b32 s5, s7, 0x3fe
	s_and_b32 s8, s3, 7
	s_cmp_gt_u32 s2, 13
	s_cselect_b64 s[10:11], -1, 0
	v_writelane_b32 v54, s10, 32
	v_rcp_iflag_f32_e32 v2, v2
	v_writelane_b32 v54, s11, 33
	s_and_b32 s2, s3, -8
	v_writelane_b32 v54, s2, 34
	s_cmp_lg_u32 s8, 0
	v_writelane_b32 v54, s8, 35
	s_cselect_b64 s[2:3], -1, 0
	v_writelane_b32 v54, s2, 36
	v_mul_f32_e32 v2, 0x4f7ffffe, v2
	v_writelane_b32 v54, s3, 37
	v_cvt_u32_f32_e32 v2, v2
	v_writelane_b32 v54, s7, 38
	s_cmp_lg_u32 s5, s7
	v_writelane_b32 v54, s5, 39
	s_cselect_b64 s[2:3], -1, 0
	v_writelane_b32 v54, s2, 40
	v_writelane_b32 v54, s3, 41
	s_sub_i32 s2, 0, s79
	v_readfirstlane_b32 s3, v2
	s_mul_i32 s2, s2, s3
	s_mul_hi_u32 s2, s3, s2
	v_cvt_f32_u32_e32 v2, s33
	s_add_i32 s2, s3, s2
	v_writelane_b32 v54, s2, 42
	s_mul_hi_u32 s2, s60, s2
	s_mul_i32 s2, s2, s79
	s_sub_i32 s2, s60, s2
	v_rcp_iflag_f32_e32 v5, v2
	s_sub_i32 s3, s2, s79
	s_cmp_ge_u32 s2, s79
	s_cselect_b32 s2, s3, s2
	s_sub_i32 s3, s2, s79
	v_mul_f32_e32 v5, 0x4f7ffffe, v5
	s_cmp_ge_u32 s2, s79
	v_cvt_u32_f32_e32 v5, v5
	s_cselect_b32 s2, s3, s2
	v_lshlrev_b32_e32 v16, 2, v0
	s_sub_i32 s13, s60, s2
	v_cmp_gt_u32_e64 s[8:9], s13, v16
	v_writelane_b32 v54, s8, 43
	v_add_u32_e32 v21, s13, v0
	s_sub_i32 s3, 0, s33
	v_readfirstlane_b32 s5, v5
	v_writelane_b32 v54, s9, 44
	v_cmp_gt_u32_e64 s[8:9], s60, v21
	s_mul_i32 s3, s3, s5
	v_writelane_b32 v54, s8, 45
	s_mul_hi_u32 s3, s5, s3
	v_writelane_b32 v54, s9, 46
	s_add_i32 s3, s5, s3
	v_writelane_b32 v54, s3, 47
	s_mul_hi_u32 s3, s4, s3
	s_mul_i32 s3, s3, s33
	s_sub_i32 s3, s4, s3
	s_sub_i32 s5, s3, s33
	s_cmp_ge_u32 s3, s33
	v_mul_lo_u32 v10, v21, s6
	s_cselect_b32 s3, s5, s3
	v_not_b32_e32 v7, v3
	v_lshlrev_b64 v[2:3], 1, v[10:11]
	s_sub_i32 s5, s3, s33
	v_add_co_u32_e32 v14, vcc, s64, v2
	s_cmp_ge_u32 s3, s33
	v_mul_lo_u32 v2, s6, v16
	s_cselect_b32 s3, s5, s3
	v_add_u32_e32 v22, s6, v2
	v_or_b32_e32 v2, 2, v16
	s_sub_i32 s12, s4, s3
	v_mul_lo_u32 v23, s6, v2
	v_or_b32_e32 v2, 3, v16
	s_add_i32 s3, s33, s60
	v_mul_lo_u32 v24, s6, v2
	v_add_u32_e32 v2, s3, v0
	v_lshlrev_b32_e32 v19, 1, v0
	v_lshlrev_b32_e32 v4, 2, v1
	v_mov_b32_e32 v10, s66
	v_cmp_gt_u32_e64 s[4:5], s12, v0
	s_mul_i32 s76, s6, s33
	v_subrev_u32_e32 v2, s2, v2
	v_cmp_eq_u32_e64 s[0:1], 0, v1
	v_add_u32_e32 v20, 0xc00, v19
	v_and_b32_e32 v13, 0x100, v4
	v_addc_co_u32_e32 v15, vcc, v10, v3, vcc
	v_writelane_b32 v54, s4, 48
	s_lshl_b32 s72, s76, 2
	v_lshlrev_b32_e32 v25, 2, v12
	v_mul_lo_u32 v26, s6, v2
	v_lshlrev_b32_e32 v27, 3, v0
	s_lshl_b32 s73, s33, 3
	s_lshl_b32 s10, s33, 1
	v_or_b32_e32 v28, 0xc00, v4
	s_mov_b32 s62, 14
	s_mov_b64 s[90:91], 0
	v_mov_b32_e32 v37, s61
	v_mov_b32_e32 v29, 0xffff
	;; [unrolled: 1-line block ×3, first 2 shown]
	v_mov_b32_e32 v31, -1
	v_mov_b32_e32 v32, 0xc00
	v_mov_b32_e32 v33, 0x5040100
	;; [unrolled: 1-line block ×3, first 2 shown]
	s_mov_b32 s63, 0
	v_mov_b32_e32 v35, 0
	v_mov_b32_e32 v34, 0
	v_writelane_b32 v54, s5, 49
                                        ; implicit-def: $sgpr92_sgpr93
                                        ; implicit-def: $sgpr94_sgpr95
                                        ; implicit-def: $sgpr70_sgpr71
                                        ; implicit-def: $sgpr2_sgpr3
                                        ; implicit-def: $sgpr68_sgpr69
                                        ; implicit-def: $sgpr84_sgpr85
                                        ; implicit-def: $sgpr86_sgpr87
                                        ; implicit-def: $sgpr88_sgpr89
                                        ; implicit-def: $sgpr80_sgpr81
                                        ; implicit-def: $sgpr82_sgpr83
	s_branch .LBB117_15
.LBB117_13:                             ;   in Loop: Header=BB117_15 Depth=1
	s_or_b64 exec, exec, s[18:19]
	s_andn2_b64 s[4:5], s[82:83], exec
	s_and_b64 s[14:15], s[16:17], exec
	s_or_b64 s[82:83], s[4:5], s[14:15]
	s_andn2_b64 s[80:81], s[80:81], exec
	s_andn2_b64 s[88:89], s[88:89], exec
	;; [unrolled: 1-line block ×4, first 2 shown]
	s_orn2_b64 s[8:9], s[8:9], exec
	v_mov_b32_e32 v34, v3
	v_mov_b32_e32 v35, v2
	;; [unrolled: 1-line block ×4, first 2 shown]
.LBB117_14:                             ;   in Loop: Header=BB117_15 Depth=1
	s_or_b64 exec, exec, s[6:7]
	s_and_b64 s[4:5], exec, s[8:9]
	s_or_b64 s[90:91], s[4:5], s[90:91]
	s_andn2_b64 s[4:5], s[68:69], exec
	s_and_b64 s[6:7], s[82:83], exec
	s_or_b64 s[68:69], s[4:5], s[6:7]
	s_andn2_b64 s[2:3], s[2:3], exec
	s_and_b64 s[4:5], s[80:81], exec
	;; [unrolled: 3-line block ×5, first 2 shown]
	s_or_b64 s[92:93], s[4:5], s[6:7]
	s_andn2_b64 exec, exec, s[90:91]
	s_cbranch_execz .LBB117_416
.LBB117_15:                             ; =>This Loop Header: Depth=1
                                        ;     Child Loop BB117_20 Depth 2
                                        ;     Child Loop BB117_38 Depth 2
	;; [unrolled: 1-line block ×25, first 2 shown]
	ds_read_b64 v[2:3], v11 offset:4096
	s_waitcnt lgkmcnt(0)
	v_readfirstlane_b32 s4, v2
	s_cmp_lg_u32 s4, 0
	s_cbranch_scc1 .LBB117_45
; %bb.16:                               ;   in Loop: Header=BB117_15 Depth=1
	v_readlane_b32 s4, v54, 17
	v_readlane_b32 s5, v54, 18
	s_and_b64 vcc, exec, s[4:5]
	s_cbranch_vccz .LBB117_28
; %bb.17:                               ;   in Loop: Header=BB117_15 Depth=1
	s_movk_i32 s4, 0x601
	v_cmp_gt_u32_e32 vcc, s4, v3
	s_mov_b64 s[6:7], 0
	s_mov_b64 s[8:9], 0
	s_cbranch_vccz .LBB117_29
; %bb.18:                               ;   in Loop: Header=BB117_15 Depth=1
	v_readlane_b32 s4, v54, 22
	v_readlane_b32 s5, v54, 23
	s_nop 4
	global_load_ushort v2, v11, s[4:5]
	global_load_ushort v3, v[8:9], off
	v_readlane_b32 s4, v54, 26
	v_readlane_b32 s5, v54, 27
	s_load_dword s4, s[4:5], 0xe8
	s_waitcnt vmcnt(1)
	v_add_u32_e32 v5, v0, v2
	s_waitcnt lgkmcnt(0)
	v_mul_lo_u32 v4, s4, v2
	v_mul_lo_u32 v10, s4, v5
	v_mov_b32_e32 v5, v0
	s_branch .LBB117_20
.LBB117_19:                             ;   in Loop: Header=BB117_20 Depth=2
	s_or_b64 exec, exec, s[16:17]
	v_add_u32_e32 v10, v10, v4
	v_mov_b32_e32 v3, v38
	s_andn2_b64 exec, exec, s[8:9]
	s_cbranch_execz .LBB117_30
.LBB117_20:                             ;   Parent Loop BB117_15 Depth=1
                                        ; =>  This Inner Loop Header: Depth=2
	v_add_u32_e32 v5, v5, v2
	v_cmp_gt_u32_e64 s[18:19], s60, v5
	v_cmp_le_u32_e32 vcc, s60, v5
	s_waitcnt lgkmcnt(0)
	v_mov_b32_e32 v39, 0
	v_mov_b32_e32 v38, 0
	s_and_saveexec_b64 s[16:17], s[18:19]
	s_cbranch_execz .LBB117_22
; %bb.21:                               ;   in Loop: Header=BB117_20 Depth=2
	v_lshlrev_b64 v[40:41], 1, v[10:11]
	v_add_co_u32_e64 v40, s[18:19], s64, v40
	v_addc_co_u32_e64 v41, s[18:19], v17, v41, s[18:19]
	global_load_ushort v38, v[40:41], off
.LBB117_22:                             ;   in Loop: Header=BB117_20 Depth=2
	s_or_b64 exec, exec, s[16:17]
	s_waitcnt vmcnt(0)
	v_cmp_lt_i16_e64 s[18:19], -1, v3
	v_cndmask_b32_e64 v40, v29, v30, s[18:19]
	v_lshlrev_b32_e32 v41, 16, v3
	v_xor_b32_sdwa v40, v40, v3 dst_sel:DWORD dst_unused:UNUSED_PAD src0_sel:DWORD src1_sel:WORD_0
	v_cmp_o_f32_e64 s[18:19], v41, v41
	v_cndmask_b32_e64 v40, v29, v40, s[18:19]
	v_and_b32_e32 v40, v40, v34
	v_cmp_eq_u32_e64 s[18:19], v40, v35
	s_cmp_lg_u64 s[18:19], 0
	s_cselect_b64 s[4:5], -1, 0
	s_and_b64 s[4:5], s[0:1], s[4:5]
	s_and_saveexec_b64 s[16:17], s[4:5]
	s_cbranch_execz .LBB117_26
; %bb.23:                               ;   in Loop: Header=BB117_20 Depth=2
	s_mov_b64 s[24:25], exec
	v_mbcnt_lo_u32_b32 v39, s24, 0
	v_mbcnt_hi_u32_b32 v39, s25, v39
	s_bcnt1_i32_b64 s4, s[18:19]
	v_cmp_eq_u32_e64 s[20:21], 0, v39
                                        ; implicit-def: $vgpr40
	s_and_saveexec_b64 s[22:23], s[20:21]
	s_cbranch_execz .LBB117_25
; %bb.24:                               ;   in Loop: Header=BB117_20 Depth=2
	s_bcnt1_i32_b64 s5, s[24:25]
	s_mul_i32 s5, s4, s5
	v_mov_b32_e32 v40, s5
	ds_add_rtn_u32 v40, v11, v40 offset:4104
.LBB117_25:                             ;   in Loop: Header=BB117_20 Depth=2
	s_or_b64 exec, exec, s[22:23]
	s_waitcnt lgkmcnt(0)
	v_readfirstlane_b32 s5, v40
	v_mov_b32_e32 v40, s5
	v_mad_u32_u24 v39, s4, v39, v40
.LBB117_26:                             ;   in Loop: Header=BB117_20 Depth=2
	s_or_b64 exec, exec, s[16:17]
	ds_bpermute_b32 v39, v13, v39
	s_and_b64 s[4:5], exec, vcc
	s_or_b64 s[8:9], s[4:5], s[8:9]
	s_and_saveexec_b64 s[16:17], s[18:19]
	s_cbranch_execz .LBB117_19
; %bb.27:                               ;   in Loop: Header=BB117_20 Depth=2
	v_and_b32_e32 v41, s18, v6
	v_and_b32_e32 v40, s19, v7
	v_bcnt_u32_b32 v41, v41, 0
	v_bcnt_u32_b32 v40, v40, v41
	v_lshlrev_b32_e32 v40, 1, v40
	s_waitcnt lgkmcnt(0)
	v_lshl_add_u32 v39, v39, 1, v40
	ds_write_b16 v39, v3
	s_branch .LBB117_19
.LBB117_28:                             ;   in Loop: Header=BB117_15 Depth=1
	s_mov_b64 s[8:9], 0
                                        ; implicit-def: $sgpr4
	s_cbranch_execnz .LBB117_33
	s_branch .LBB117_43
.LBB117_29:                             ;   in Loop: Header=BB117_15 Depth=1
	s_mov_b32 s4, 0
	s_and_b64 vcc, exec, s[6:7]
	s_cbranch_vccnz .LBB117_33
	s_branch .LBB117_43
.LBB117_30:                             ;   in Loop: Header=BB117_15 Depth=1
	s_or_b64 exec, exec, s[8:9]
	s_waitcnt lgkmcnt(0)
	s_barrier
	s_mov_b64 s[8:9], exec
	v_readlane_b32 s4, v54, 6
	v_readlane_b32 s5, v54, 7
	s_and_b64 s[4:5], s[8:9], s[4:5]
	s_mov_b64 exec, s[4:5]
	s_cbranch_execz .LBB117_32
; %bb.31:                               ;   in Loop: Header=BB117_15 Depth=1
	ds_read_b32 v2, v11 offset:4104
	s_waitcnt lgkmcnt(0)
	ds_write_b32 v11, v2 offset:4096
.LBB117_32:                             ;   in Loop: Header=BB117_15 Depth=1
	s_or_b64 exec, exec, s[8:9]
	s_waitcnt lgkmcnt(0)
	s_barrier
	s_mov_b64 s[8:9], -1
	s_mov_b32 s4, 0
	s_and_b64 vcc, exec, s[6:7]
	s_cbranch_vccz .LBB117_43
.LBB117_33:                             ;   in Loop: Header=BB117_15 Depth=1
	v_mov_b32_e32 v2, 0
	s_mov_b64 s[6:7], exec
	v_readlane_b32 s4, v54, 28
	v_readlane_b32 s5, v54, 29
	s_and_b64 s[4:5], s[6:7], s[4:5]
	s_mov_b64 exec, s[4:5]
	s_cbranch_execz .LBB117_35
; %bb.34:                               ;   in Loop: Header=BB117_15 Depth=1
	global_load_ushort v2, v[8:9], off
.LBB117_35:                             ;   in Loop: Header=BB117_15 Depth=1
	s_or_b64 exec, exec, s[6:7]
	s_mov_b64 s[6:7], exec
	v_readlane_b32 s4, v54, 28
	v_readlane_b32 s5, v54, 29
	s_and_b64 s[4:5], s[6:7], s[4:5]
	s_mov_b64 exec, s[4:5]
	s_cbranch_execz .LBB117_40
; %bb.36:                               ;   in Loop: Header=BB117_15 Depth=1
	v_readlane_b32 s4, v54, 22
	v_readlane_b32 s5, v54, 23
	s_mov_b64 s[8:9], 0
	v_mov_b32_e32 v4, v19
	v_mov_b32_e32 v39, v0
	s_nop 1
	global_load_ushort v3, v11, s[4:5]
	v_readlane_b32 s4, v54, 26
	v_readlane_b32 s5, v54, 27
	s_load_dword s4, s[4:5], 0xe8
	s_waitcnt vmcnt(0)
	v_add_u32_e32 v10, v0, v3
	v_lshlrev_b32_e32 v5, 1, v3
	s_waitcnt lgkmcnt(0)
	v_mul_lo_u32 v38, s4, v3
	v_mul_lo_u32 v10, s4, v10
	s_branch .LBB117_38
.LBB117_37:                             ;   in Loop: Header=BB117_38 Depth=2
	s_or_b64 exec, exec, s[16:17]
	s_and_b64 s[4:5], exec, vcc
	s_or_b64 s[8:9], s[4:5], s[8:9]
	ds_write_b16 v4, v2
	v_add_u32_e32 v4, v4, v5
	v_add_u32_e32 v10, v10, v38
	s_waitcnt vmcnt(0)
	v_mov_b32_e32 v2, v40
	s_andn2_b64 exec, exec, s[8:9]
	s_cbranch_execz .LBB117_40
.LBB117_38:                             ;   Parent Loop BB117_15 Depth=1
                                        ; =>  This Inner Loop Header: Depth=2
	v_add_u32_e32 v39, v39, v3
	v_cmp_gt_u32_e64 s[18:19], s60, v39
	v_cmp_le_u32_e32 vcc, s60, v39
	v_mov_b32_e32 v40, 0
	s_and_saveexec_b64 s[16:17], s[18:19]
	s_cbranch_execz .LBB117_37
; %bb.39:                               ;   in Loop: Header=BB117_38 Depth=2
	v_lshlrev_b64 v[40:41], 1, v[10:11]
	v_mov_b32_e32 v42, s66
	v_add_co_u32_e64 v40, s[18:19], s64, v40
	v_addc_co_u32_e64 v41, s[18:19], v42, v41, s[18:19]
	global_load_ushort v40, v[40:41], off
	s_branch .LBB117_37
.LBB117_40:                             ;   in Loop: Header=BB117_15 Depth=1
	s_or_b64 exec, exec, s[6:7]
	s_waitcnt lgkmcnt(0)
	s_barrier
	s_mov_b64 s[6:7], exec
	v_readlane_b32 s4, v54, 6
	v_readlane_b32 s5, v54, 7
	s_and_b64 s[4:5], s[6:7], s[4:5]
	s_mov_b64 exec, s[4:5]
	s_cbranch_execz .LBB117_42
; %bb.41:                               ;   in Loop: Header=BB117_15 Depth=1
	s_waitcnt vmcnt(0)
	v_mov_b32_e32 v2, s60
	ds_write_b32 v11, v2 offset:4096
.LBB117_42:                             ;   in Loop: Header=BB117_15 Depth=1
	s_or_b64 exec, exec, s[6:7]
	s_mov_b64 s[8:9], -1
	s_waitcnt lgkmcnt(0)
	s_barrier
                                        ; implicit-def: $sgpr4
.LBB117_43:                             ;   in Loop: Header=BB117_15 Depth=1
	s_and_b64 vcc, exec, s[8:9]
	s_cbranch_vccz .LBB117_45
; %bb.44:                               ;   in Loop: Header=BB117_15 Depth=1
	s_waitcnt vmcnt(0)
	ds_read_b32 v2, v11 offset:4096
	s_waitcnt lgkmcnt(0)
	v_readfirstlane_b32 s4, v2
.LBB117_45:                             ;   in Loop: Header=BB117_15 Depth=1
	s_cmp_lt_i32 s4, 1
	s_cbranch_scc0 .LBB117_57
; %bb.46:                               ;   in Loop: Header=BB117_15 Depth=1
	s_waitcnt vmcnt(0)
	v_mov_b32_e32 v2, 0
	s_mov_b32 s5, 0
	v_mov_b32_e32 v3, 0
	v_mov_b32_e32 v4, v2
	;; [unrolled: 1-line block ×3, first 2 shown]
	s_mov_b64 s[16:17], exec
	v_readlane_b32 s6, v54, 43
	v_readlane_b32 s7, v54, 44
	s_and_b64 s[6:7], s[16:17], s[6:7]
	s_mov_b64 exec, s[6:7]
	s_cbranch_execz .LBB117_50
; %bb.47:                               ;   in Loop: Header=BB117_15 Depth=1
	s_and_b32 s6, s62, 0xfe
	s_mov_b64 s[48:49], 0
	s_mov_b32 s7, 0
	s_mov_b32 s8, 0
	;; [unrolled: 1-line block ×4, first 2 shown]
	v_mov_b32_e32 v38, v16
.LBB117_48:                             ;   Parent Loop BB117_15 Depth=1
                                        ; =>  This Inner Loop Header: Depth=2
	v_add_u32_e32 v10, s5, v25
	v_lshlrev_b64 v[2:3], 1, v[10:11]
	v_mov_b32_e32 v39, s66
	v_add_u32_e32 v10, s5, v22
	v_add_co_u32_e64 v2, s[18:19], s64, v2
	v_lshlrev_b64 v[4:5], 1, v[10:11]
	v_addc_co_u32_e64 v3, s[18:19], v39, v3, s[18:19]
	v_add_u32_e32 v10, s5, v23
	global_load_ushort v42, v[2:3], off
	v_add_co_u32_e64 v2, s[18:19], s64, v4
	v_lshlrev_b64 v[40:41], 1, v[10:11]
	v_add_u32_e32 v10, s5, v24
	v_addc_co_u32_e64 v3, s[18:19], v39, v5, s[18:19]
	v_lshlrev_b64 v[4:5], 1, v[10:11]
	global_load_ushort v10, v[2:3], off
	v_add_co_u32_e64 v2, s[18:19], s64, v40
	v_addc_co_u32_e64 v3, s[18:19], v39, v41, s[18:19]
	global_load_ushort v40, v[2:3], off
	v_add_co_u32_e64 v2, s[18:19], s64, v4
	v_addc_co_u32_e64 v3, s[18:19], v39, v5, s[18:19]
	global_load_ushort v2, v[2:3], off
	v_add_u32_e32 v38, s79, v38
	v_cmp_le_u32_e32 vcc, s13, v38
	s_add_i32 s5, s5, s72
	s_waitcnt vmcnt(3)
	v_cmp_lt_i16_e64 s[18:19], -1, v42
	v_lshlrev_b32_e32 v3, 16, v42
	v_cndmask_b32_e64 v4, v29, v30, s[18:19]
	v_xor_b32_sdwa v4, v4, v42 dst_sel:DWORD dst_unused:UNUSED_PAD src0_sel:DWORD src1_sel:WORD_0
	s_waitcnt vmcnt(2)
	v_cmp_lt_i16_e64 s[18:19], -1, v10
	v_cndmask_b32_e64 v39, v29, v30, s[18:19]
	v_cmp_o_f32_e64 s[18:19], v3, v3
	v_lshlrev_b32_e32 v5, 16, v10
	v_cndmask_b32_e64 v4, v29, v4, s[18:19]
	s_waitcnt vmcnt(1)
	v_cmp_lt_i16_e64 s[18:19], -1, v40
	v_xor_b32_sdwa v10, v39, v10 dst_sel:DWORD dst_unused:UNUSED_PAD src0_sel:DWORD src1_sel:WORD_0
	v_cndmask_b32_e64 v39, v29, v30, s[18:19]
	v_cmp_o_f32_e64 s[18:19], v5, v5
	v_lshlrev_b32_e32 v3, 16, v40
	v_cndmask_b32_e64 v10, v29, v10, s[18:19]
	s_waitcnt vmcnt(0)
	v_cmp_lt_i16_e64 s[18:19], -1, v2
	v_xor_b32_sdwa v39, v39, v40 dst_sel:DWORD dst_unused:UNUSED_PAD src0_sel:DWORD src1_sel:WORD_0
	v_cndmask_b32_e64 v40, v29, v30, s[18:19]
	v_and_b32_e32 v41, v4, v34
	v_bfe_u32 v4, v4, s6, 2
	v_cmp_o_f32_e64 s[18:19], v3, v3
	v_cndmask_b32_e64 v3, v29, v39, s[18:19]
	v_cmp_eq_u32_e64 s[18:19], v41, v35
	v_cmp_eq_u32_e64 s[20:21], 0, v4
	v_lshlrev_b32_e32 v5, 16, v2
	v_cmp_eq_u32_e64 s[22:23], 1, v4
	s_and_b64 s[20:21], s[18:19], s[20:21]
	v_xor_b32_sdwa v2, v40, v2 dst_sel:DWORD dst_unused:UNUSED_PAD src0_sel:DWORD src1_sel:WORD_0
	v_and_b32_e32 v39, v10, v34
	v_bfe_u32 v10, v10, s6, 2
	v_cmp_eq_u32_e64 s[24:25], 2, v4
	v_cmp_eq_u32_e64 s[26:27], 3, v4
	v_cmp_o_f32_e64 s[28:29], v5, v5
	v_cndmask_b32_e64 v5, 0, 1, s[20:21]
	s_and_b64 s[20:21], s[18:19], s[22:23]
	v_cndmask_b32_e64 v2, v29, v2, s[28:29]
	v_cmp_eq_u32_e64 s[28:29], v39, v35
	v_and_b32_e32 v4, v3, v34
	v_bfe_u32 v3, v3, s6, 2
	v_cmp_eq_u32_e64 s[30:31], 0, v10
	v_cmp_eq_u32_e64 s[34:35], 1, v10
	;; [unrolled: 1-line block ×4, first 2 shown]
	v_cndmask_b32_e64 v10, 0, 1, s[20:21]
	s_and_b64 s[20:21], s[18:19], s[24:25]
	s_and_b64 s[18:19], s[18:19], s[26:27]
	v_cndmask_b32_e64 v39, 0, 1, s[20:21]
	v_cndmask_b32_e64 v40, 0, 1, s[18:19]
	v_cmp_eq_u32_e64 s[18:19], v4, v35
	v_and_b32_e32 v4, v2, v34
	v_bfe_u32 v2, v2, s6, 2
	v_cmp_eq_u32_e64 s[20:21], 0, v3
	v_cmp_eq_u32_e64 s[22:23], 1, v3
	v_cmp_ne_u32_e64 s[40:41], 0, v5
	s_and_b64 s[30:31], s[28:29], s[30:31]
	s_and_b64 s[34:35], s[28:29], s[34:35]
	;; [unrolled: 1-line block ×4, first 2 shown]
	v_cmp_eq_u32_e64 s[24:25], 2, v3
	v_cmp_eq_u32_e64 s[26:27], 3, v3
	v_cndmask_b32_e64 v3, 0, 1, s[30:31]
	v_cndmask_b32_e64 v5, 0, 1, s[34:35]
	v_cmp_ne_u32_e64 s[34:35], 0, v39
	v_cndmask_b32_e64 v39, 0, 1, s[28:29]
	v_cmp_eq_u32_e64 s[28:29], v4, v35
	v_cmp_eq_u32_e64 s[38:39], 0, v2
	;; [unrolled: 1-line block ×3, first 2 shown]
	s_bcnt1_i32_b64 s11, s[40:41]
	s_and_b64 s[20:21], s[18:19], s[20:21]
	s_and_b64 s[22:23], s[18:19], s[22:23]
	v_cmp_ne_u32_e64 s[30:31], 0, v10
	v_cndmask_b32_e64 v10, 0, 1, s[36:37]
	v_cmp_eq_u32_e64 s[44:45], 2, v2
	v_cmp_eq_u32_e64 s[46:47], 3, v2
	v_cmp_ne_u32_e64 s[40:41], 0, v3
	v_cndmask_b32_e64 v2, 0, 1, s[20:21]
	v_cmp_ne_u32_e64 s[20:21], 0, v5
	v_cndmask_b32_e64 v3, 0, 1, s[22:23]
	s_and_b64 s[24:25], s[18:19], s[24:25]
	s_and_b64 s[18:19], s[18:19], s[26:27]
	;; [unrolled: 1-line block ×3, first 2 shown]
	s_add_i32 s11, s14, s11
	s_and_b64 s[14:15], s[28:29], s[42:43]
	v_cmp_ne_u32_e64 s[36:37], 0, v40
	s_bcnt1_i32_b64 s30, s[30:31]
	s_bcnt1_i32_b64 s31, s[34:35]
	v_cmp_ne_u32_e64 s[22:23], 0, v10
	v_cndmask_b32_e64 v4, 0, 1, s[24:25]
	v_cndmask_b32_e64 v5, 0, 1, s[18:19]
	v_cmp_ne_u32_e64 s[18:19], 0, v2
	v_cndmask_b32_e64 v2, 0, 1, s[26:27]
	s_bcnt1_i32_b64 s26, s[20:21]
	v_cmp_ne_u32_e64 s[20:21], 0, v3
	v_cndmask_b32_e64 v3, 0, 1, s[14:15]
	s_and_b64 s[14:15], s[28:29], s[44:45]
	s_bcnt1_i32_b64 s34, s[36:37]
	v_cmp_ne_u32_e64 s[24:25], 0, v39
	s_add_i32 s27, s9, s30
	s_bcnt1_i32_b64 s30, s[22:23]
	v_cmp_ne_u32_e64 s[22:23], 0, v4
	v_cndmask_b32_e64 v4, 0, 1, s[14:15]
	s_add_i32 s14, s8, s31
	s_and_b64 s[8:9], s[28:29], s[46:47]
	s_bcnt1_i32_b64 s35, s[40:41]
	s_bcnt1_i32_b64 s15, s[24:25]
	v_cmp_ne_u32_e64 s[24:25], 0, v5
	v_cndmask_b32_e64 v5, 0, 1, s[8:9]
	s_add_i32 s7, s7, s34
	s_bcnt1_i32_b64 s8, s[18:19]
	v_cmp_ne_u32_e64 s[18:19], 0, v2
	s_add_i32 s9, s11, s35
	s_bcnt1_i32_b64 s11, s[20:21]
	v_cmp_ne_u32_e64 s[20:21], 0, v3
	;; [unrolled: 3-line block ×4, first 2 shown]
	s_add_i32 s7, s7, s15
	s_bcnt1_i32_b64 s15, s[18:19]
	s_add_i32 s8, s9, s8
	s_bcnt1_i32_b64 s9, s[20:21]
	;; [unrolled: 2-line block ×4, first 2 shown]
	s_add_i32 s7, s7, s28
	s_add_i32 s14, s8, s15
	;; [unrolled: 1-line block ×5, first 2 shown]
	s_or_b64 s[48:49], vcc, s[48:49]
	v_mov_b32_e32 v2, s14
	v_mov_b32_e32 v3, s9
	;; [unrolled: 1-line block ×4, first 2 shown]
	s_andn2_b64 exec, exec, s[48:49]
	s_cbranch_execnz .LBB117_48
; %bb.49:                               ;   in Loop: Header=BB117_15 Depth=1
	s_or_b64 exec, exec, s[48:49]
.LBB117_50:                             ;   in Loop: Header=BB117_15 Depth=1
	s_or_b64 exec, exec, s[16:17]
	v_mov_b32_e32 v38, 0
	s_mov_b64 s[6:7], exec
	v_readlane_b32 s8, v54, 45
	v_readlane_b32 s9, v54, 46
	s_and_b64 s[8:9], s[6:7], s[8:9]
	s_mov_b64 exec, s[8:9]
	s_cbranch_execz .LBB117_52
; %bb.51:                               ;   in Loop: Header=BB117_15 Depth=1
	global_load_ushort v38, v[14:15], off
.LBB117_52:                             ;   in Loop: Header=BB117_15 Depth=1
	s_or_b64 exec, exec, s[6:7]
	s_mov_b64 s[6:7], 0
	s_mov_b64 s[16:17], 0
	s_mov_b64 s[8:9], exec
	v_readlane_b32 s14, v54, 45
	v_readlane_b32 s15, v54, 46
	s_and_b64 s[14:15], s[8:9], s[14:15]
	s_mov_b64 exec, s[14:15]
	s_cbranch_execz .LBB117_59
; %bb.53:                               ;   in Loop: Header=BB117_15 Depth=1
	s_and_b32 s5, s62, 0xfe
	v_mov_b32_e32 v10, v26
	v_mov_b32_e32 v39, v21
	s_branch .LBB117_55
.LBB117_54:                             ;   in Loop: Header=BB117_55 Depth=2
	s_or_b64 exec, exec, s[20:21]
	s_and_b64 s[14:15], exec, vcc
	s_waitcnt vmcnt(0)
	v_cmp_lt_i16_e32 vcc, -1, v38
	v_cndmask_b32_e32 v41, v29, v30, vcc
	v_lshlrev_b32_e32 v42, 16, v38
	v_xor_b32_sdwa v38, v41, v38 dst_sel:DWORD dst_unused:UNUSED_PAD src0_sel:DWORD src1_sel:WORD_0
	v_cmp_o_f32_e32 vcc, v42, v42
	v_cndmask_b32_e32 v38, v29, v38, vcc
	v_and_b32_e32 v41, v38, v34
	v_bfe_u32 v38, v38, s5, 2
	s_or_b64 s[16:17], s[14:15], s[16:17]
	v_cmp_eq_u32_e32 vcc, v41, v35
	v_cmp_eq_u32_e64 s[18:19], 0, v38
	s_and_b64 s[14:15], vcc, s[18:19]
	v_cndmask_b32_e64 v41, 0, 1, s[14:15]
	v_cmp_ne_u32_e64 s[18:19], 0, v41
	s_bcnt1_i32_b64 s11, s[18:19]
	v_cmp_eq_u32_e64 s[18:19], 1, v38
	s_and_b64 s[14:15], vcc, s[18:19]
	v_cndmask_b32_e64 v41, 0, 1, s[14:15]
	v_cmp_ne_u32_e64 s[18:19], 0, v41
	v_add_u32_e32 v2, s11, v2
	s_bcnt1_i32_b64 s11, s[18:19]
	v_cmp_eq_u32_e64 s[18:19], 2, v38
	s_and_b64 s[14:15], vcc, s[18:19]
	v_cndmask_b32_e64 v41, 0, 1, s[14:15]
	v_cmp_ne_u32_e64 s[18:19], 0, v41
	v_add_u32_e32 v3, s11, v3
	s_bcnt1_i32_b64 s11, s[18:19]
	v_cmp_eq_u32_e64 s[18:19], 3, v38
	s_and_b64 s[14:15], vcc, s[18:19]
	v_cndmask_b32_e64 v38, 0, 1, s[14:15]
	v_cmp_ne_u32_e32 vcc, 0, v38
	v_add_u32_e32 v4, s11, v4
	s_bcnt1_i32_b64 s11, vcc
	v_add_u32_e32 v5, s11, v5
	v_add_u32_e32 v10, s76, v10
	v_mov_b32_e32 v38, v40
	s_andn2_b64 exec, exec, s[16:17]
	s_cbranch_execz .LBB117_58
.LBB117_55:                             ;   Parent Loop BB117_15 Depth=1
                                        ; =>  This Inner Loop Header: Depth=2
	v_add_u32_e32 v39, s33, v39
	v_cmp_gt_u32_e64 s[18:19], s60, v39
	v_cmp_le_u32_e32 vcc, s60, v39
	v_mov_b32_e32 v40, 0
	s_and_saveexec_b64 s[20:21], s[18:19]
	s_cbranch_execz .LBB117_54
; %bb.56:                               ;   in Loop: Header=BB117_55 Depth=2
	v_lshlrev_b64 v[40:41], 1, v[10:11]
	v_mov_b32_e32 v42, s66
	v_add_co_u32_e64 v40, s[18:19], s64, v40
	v_addc_co_u32_e64 v41, s[18:19], v42, v41, s[18:19]
	global_load_ushort v40, v[40:41], off
	s_branch .LBB117_54
.LBB117_57:                             ;   in Loop: Header=BB117_15 Depth=1
	s_mov_b64 s[16:17], 0
                                        ; implicit-def: $vgpr5
	s_cbranch_execnz .LBB117_60
	s_branch .LBB117_69
.LBB117_58:                             ;   in Loop: Header=BB117_15 Depth=1
	s_or_b64 exec, exec, s[16:17]
	s_mov_b64 s[16:17], exec
.LBB117_59:                             ;   in Loop: Header=BB117_15 Depth=1
	s_or_b64 exec, exec, s[8:9]
	s_and_b64 vcc, exec, s[6:7]
	s_cbranch_vccz .LBB117_69
.LBB117_60:                             ;   in Loop: Header=BB117_15 Depth=1
	v_readlane_b32 s5, v54, 42
	s_mul_hi_u32 s5, s4, s5
	s_mul_i32 s5, s5, s79
	s_sub_i32 s5, s4, s5
	s_sub_i32 s6, s5, s79
	s_cmp_ge_u32 s5, s79
	s_cselect_b32 s5, s6, s5
	s_sub_i32 s6, s5, s79
	s_cmp_ge_u32 s5, s79
	s_cselect_b32 s5, s6, s5
	s_sub_i32 s5, s4, s5
	v_cmp_gt_u32_e32 vcc, s5, v16
	s_mov_b32 s15, 0
	s_waitcnt vmcnt(0)
	v_mov_b32_e32 v2, 0
	v_mov_b32_e32 v3, 0
	v_mov_b32_e32 v4, 0
	v_mov_b32_e32 v5, 0
	s_and_saveexec_b64 s[6:7], vcc
	s_cbranch_execz .LBB117_64
; %bb.61:                               ;   in Loop: Header=BB117_15 Depth=1
	s_and_b32 s14, s62, 0xfe
	s_mov_b64 s[8:9], 0
	v_mov_b32_e32 v10, v27
	s_mov_b32 s74, 0
	s_mov_b32 s75, 0
	;; [unrolled: 1-line block ×3, first 2 shown]
	v_mov_b32_e32 v38, v16
.LBB117_62:                             ;   Parent Loop BB117_15 Depth=1
                                        ; =>  This Inner Loop Header: Depth=2
	ds_read_b64 v[2:3], v10
	v_add_u32_e32 v38, s79, v38
	v_cmp_le_u32_e32 vcc, s5, v38
	v_add_u32_e32 v10, s73, v10
	s_waitcnt lgkmcnt(0)
	v_cmp_lt_i16_e64 s[18:19], -1, v2
	v_cndmask_b32_e64 v41, v29, v30, s[18:19]
	v_cmp_gt_i16_sdwa s[18:19], v2, v31 src0_sel:WORD_1 src1_sel:DWORD
	v_lshlrev_b32_e32 v4, 16, v2
	v_cndmask_b32_e64 v42, v29, v30, s[18:19]
	v_cmp_lt_i16_e64 s[18:19], -1, v3
	v_and_b32_e32 v5, 0xffff0000, v2
	v_cndmask_b32_e64 v43, v29, v30, s[18:19]
	v_cmp_gt_i16_sdwa s[18:19], v3, v31 src0_sel:WORD_1 src1_sel:DWORD
	v_xor_b32_sdwa v42, v42, v2 dst_sel:DWORD dst_unused:UNUSED_PAD src0_sel:DWORD src1_sel:WORD_1
	v_xor_b32_sdwa v2, v41, v2 dst_sel:DWORD dst_unused:UNUSED_PAD src0_sel:DWORD src1_sel:WORD_0
	v_cmp_o_f32_e64 s[24:25], v4, v4
	v_lshlrev_b32_e32 v39, 16, v3
	v_cndmask_b32_e64 v44, v29, v30, s[18:19]
	v_cmp_o_f32_e64 s[18:19], v5, v5
	v_cndmask_b32_e64 v2, v29, v2, s[24:25]
	v_and_b32_e32 v40, 0xffff0000, v3
	v_xor_b32_sdwa v5, v43, v3 dst_sel:DWORD dst_unused:UNUSED_PAD src0_sel:DWORD src1_sel:WORD_0
	v_cmp_o_f32_e64 s[20:21], v39, v39
	v_cndmask_b32_e64 v4, v29, v42, s[18:19]
	v_and_b32_e32 v39, v2, v34
	v_bfe_u32 v2, v2, s14, 2
	v_xor_b32_sdwa v3, v44, v3 dst_sel:DWORD dst_unused:UNUSED_PAD src0_sel:DWORD src1_sel:WORD_1
	v_cmp_o_f32_e64 s[22:23], v40, v40
	v_cndmask_b32_e64 v5, v29, v5, s[20:21]
	v_and_b32_e32 v40, v4, v34
	v_bfe_u32 v4, v4, s14, 2
	v_cmp_eq_u32_e64 s[18:19], v39, v35
	v_cmp_eq_u32_e64 s[26:27], 0, v2
	v_cndmask_b32_e64 v3, v29, v3, s[22:23]
	v_and_b32_e32 v41, v5, v34
	v_bfe_u32 v5, v5, s14, 2
	v_cmp_eq_u32_e64 s[20:21], v40, v35
	v_cmp_eq_u32_e64 s[28:29], 0, v4
	s_and_b64 s[26:27], s[18:19], s[26:27]
	v_and_b32_e32 v42, v3, v34
	v_bfe_u32 v3, v3, s14, 2
	v_cmp_eq_u32_e64 s[22:23], v41, v35
	v_cmp_eq_u32_e64 s[30:31], 0, v5
	v_cmp_eq_u32_e64 s[36:37], 1, v2
	v_cmp_eq_u32_e64 s[44:45], 2, v2
	v_cmp_eq_u32_e64 s[52:53], 3, v2
	v_cndmask_b32_e64 v2, 0, 1, s[26:27]
	s_and_b64 s[26:27], s[20:21], s[28:29]
	v_cmp_eq_u32_e64 s[24:25], v42, v35
	v_cmp_eq_u32_e64 s[34:35], 0, v3
	;; [unrolled: 1-line block ×5, first 2 shown]
	v_cndmask_b32_e64 v3, 0, 1, s[26:27]
	s_and_b64 s[26:27], s[22:23], s[30:31]
	v_cmp_eq_u32_e64 s[38:39], 1, v4
	v_cmp_eq_u32_e64 s[46:47], 2, v4
	;; [unrolled: 1-line block ×3, first 2 shown]
	v_cndmask_b32_e64 v4, 0, 1, s[26:27]
	s_and_b64 s[26:27], s[24:25], s[34:35]
	v_cmp_eq_u32_e64 s[40:41], 1, v5
	v_cmp_eq_u32_e64 s[48:49], 2, v5
	v_cmp_eq_u32_e64 s[56:57], 3, v5
	v_cndmask_b32_e64 v5, 0, 1, s[26:27]
	s_and_b64 s[26:27], s[18:19], s[36:37]
	v_cndmask_b32_e64 v39, 0, 1, s[26:27]
	s_and_b64 s[26:27], s[20:21], s[38:39]
	;; [unrolled: 2-line block ×5, first 2 shown]
	s_and_b64 s[18:19], s[18:19], s[52:53]
	v_cndmask_b32_e64 v43, 0, 1, s[26:27]
	s_and_b64 s[26:27], s[20:21], s[46:47]
	v_cndmask_b32_e64 v47, 0, 1, s[18:19]
	s_and_b64 s[18:19], s[20:21], s[54:55]
	v_cndmask_b32_e64 v44, 0, 1, s[26:27]
	s_and_b64 s[26:27], s[22:23], s[48:49]
	v_cndmask_b32_e64 v48, 0, 1, s[18:19]
	s_and_b64 s[18:19], s[22:23], s[56:57]
	v_cndmask_b32_e64 v45, 0, 1, s[26:27]
	s_and_b64 s[26:27], s[24:25], s[50:51]
	v_cndmask_b32_e64 v49, 0, 1, s[18:19]
	s_and_b64 s[18:19], s[24:25], s[58:59]
	v_cndmask_b32_e64 v46, 0, 1, s[26:27]
	v_cndmask_b32_e64 v50, 0, 1, s[18:19]
	v_cmp_ne_u32_e64 s[18:19], 0, v2
	v_cmp_ne_u32_e64 s[20:21], 0, v3
	;; [unrolled: 1-line block ×11, first 2 shown]
	s_bcnt1_i32_b64 s18, s[18:19]
	s_bcnt1_i32_b64 s19, s[20:21]
	;; [unrolled: 1-line block ×8, first 2 shown]
	v_cmp_ne_u32_e64 s[34:35], 0, v42
	v_cmp_ne_u32_e64 s[40:41], 0, v45
	;; [unrolled: 1-line block ×3, first 2 shown]
	s_bcnt1_i32_b64 s23, s[28:29]
	s_bcnt1_i32_b64 s27, s[38:39]
	;; [unrolled: 1-line block ×3, first 2 shown]
	s_add_i32 s11, s11, s18
	s_add_i32 s18, s75, s22
	;; [unrolled: 1-line block ×4, first 2 shown]
	v_cmp_ne_u32_e64 s[42:43], 0, v46
	v_cmp_ne_u32_e64 s[50:51], 0, v50
	s_bcnt1_i32_b64 s25, s[34:35]
	s_bcnt1_i32_b64 s28, s[40:41]
	;; [unrolled: 1-line block ×3, first 2 shown]
	s_add_i32 s11, s11, s19
	s_add_i32 s18, s18, s23
	;; [unrolled: 1-line block ×4, first 2 shown]
	s_bcnt1_i32_b64 s29, s[42:43]
	s_bcnt1_i32_b64 s35, s[50:51]
	s_add_i32 s11, s11, s20
	s_add_i32 s18, s18, s24
	;; [unrolled: 1-line block ×8, first 2 shown]
	s_or_b64 s[8:9], vcc, s[8:9]
	v_mov_b32_e32 v2, s11
	v_mov_b32_e32 v3, s75
	;; [unrolled: 1-line block ×4, first 2 shown]
	s_andn2_b64 exec, exec, s[8:9]
	s_cbranch_execnz .LBB117_62
; %bb.63:                               ;   in Loop: Header=BB117_15 Depth=1
	s_or_b64 exec, exec, s[8:9]
.LBB117_64:                             ;   in Loop: Header=BB117_15 Depth=1
	s_or_b64 exec, exec, s[6:7]
	v_add_u32_e32 v10, s5, v0
	v_cmp_gt_u32_e32 vcc, s4, v10
	s_and_saveexec_b64 s[6:7], vcc
	s_cbranch_execz .LBB117_68
; %bb.65:                               ;   in Loop: Header=BB117_15 Depth=1
	s_and_b32 s5, s62, 0xfe
	v_lshlrev_b32_e32 v38, 1, v10
	s_mov_b64 s[8:9], 0
.LBB117_66:                             ;   Parent Loop BB117_15 Depth=1
                                        ; =>  This Inner Loop Header: Depth=2
	ds_read_u16 v39, v38
	v_add_u32_e32 v10, s33, v10
	v_cmp_le_u32_e32 vcc, s4, v10
	v_add_u32_e32 v38, s10, v38
	s_waitcnt lgkmcnt(0)
	v_cmp_lt_i16_e64 s[18:19], -1, v39
	v_lshlrev_b32_e32 v40, 16, v39
	v_cndmask_b32_e64 v41, v29, v30, s[18:19]
	v_xor_b32_sdwa v39, v41, v39 dst_sel:DWORD dst_unused:UNUSED_PAD src0_sel:DWORD src1_sel:WORD_0
	v_cmp_o_f32_e64 s[18:19], v40, v40
	v_cndmask_b32_e64 v39, v29, v39, s[18:19]
	v_and_b32_e32 v40, v39, v34
	v_bfe_u32 v39, v39, s5, 2
	v_cmp_eq_u32_e64 s[18:19], v40, v35
	v_cmp_eq_u32_e64 s[20:21], 0, v39
	;; [unrolled: 1-line block ×3, first 2 shown]
	s_and_b64 s[14:15], s[18:19], s[20:21]
	v_cmp_eq_u32_e64 s[24:25], 2, v39
	v_cmp_eq_u32_e64 s[26:27], 3, v39
	v_cndmask_b32_e64 v39, 0, 1, s[14:15]
	s_and_b64 s[14:15], s[18:19], s[22:23]
	v_cndmask_b32_e64 v40, 0, 1, s[14:15]
	s_and_b64 s[14:15], s[18:19], s[24:25]
	;; [unrolled: 2-line block ×3, first 2 shown]
	v_cndmask_b32_e64 v42, 0, 1, s[14:15]
	v_cmp_ne_u32_e64 s[18:19], 0, v39
	v_cmp_ne_u32_e64 s[20:21], 0, v40
	;; [unrolled: 1-line block ×4, first 2 shown]
	s_bcnt1_i32_b64 s11, s[18:19]
	s_bcnt1_i32_b64 s14, s[20:21]
	s_bcnt1_i32_b64 s15, s[22:23]
	s_bcnt1_i32_b64 s18, s[24:25]
	v_add_u32_e32 v2, s11, v2
	v_add_u32_e32 v3, s14, v3
	v_add_u32_e32 v4, s15, v4
	s_or_b64 s[8:9], vcc, s[8:9]
	v_add_u32_e32 v5, s18, v5
	s_andn2_b64 exec, exec, s[8:9]
	s_cbranch_execnz .LBB117_66
; %bb.67:                               ;   in Loop: Header=BB117_15 Depth=1
	s_or_b64 exec, exec, s[8:9]
	s_or_b64 s[16:17], s[16:17], exec
.LBB117_68:                             ;   in Loop: Header=BB117_15 Depth=1
	s_or_b64 exec, exec, s[6:7]
.LBB117_69:                             ;   in Loop: Header=BB117_15 Depth=1
	s_and_saveexec_b64 s[6:7], s[16:17]
	s_or_b64 exec, exec, s[6:7]
	s_lshl_b32 s4, s63, 6
	s_and_saveexec_b64 s[6:7], s[0:1]
	s_cbranch_execz .LBB117_71
; %bb.70:                               ;   in Loop: Header=BB117_15 Depth=1
	v_or_b32_e32 v10, s4, v18
	v_lshlrev_b32_e32 v10, 2, v10
	s_waitcnt vmcnt(0)
	ds_write_b128 v10, v[2:5] offset:3072
.LBB117_71:                             ;   in Loop: Header=BB117_15 Depth=1
	s_or_b64 exec, exec, s[6:7]
	s_waitcnt lgkmcnt(0)
	s_barrier
	s_mov_b64 s[6:7], exec
	v_readlane_b32 s8, v54, 15
	v_readlane_b32 s9, v54, 16
	s_and_b64 s[8:9], s[6:7], s[8:9]
	s_mov_b64 exec, s[8:9]
	s_cbranch_execz .LBB117_85
; %bb.72:                               ;   in Loop: Header=BB117_15 Depth=1
	v_readlane_b32 s8, v54, 19
	v_readlane_b32 s9, v54, 20
	v_add_u32_e32 v4, s4, v1
	s_andn2_b64 vcc, exec, s[8:9]
	s_waitcnt vmcnt(0)
	v_mov_b32_e32 v2, 0
	s_cbranch_vccnz .LBB117_84
; %bb.73:                               ;   in Loop: Header=BB117_15 Depth=1
	v_readlane_b32 s8, v54, 24
	v_readlane_b32 s9, v54, 25
	s_mov_b32 s5, 0
	s_and_b64 vcc, exec, s[8:9]
	v_mov_b32_e32 v2, 0
	s_cbranch_vccz .LBB117_77
; %bb.74:                               ;   in Loop: Header=BB117_15 Depth=1
	v_readlane_b32 s14, v54, 32
	v_readlane_b32 s8, v54, 9
	;; [unrolled: 1-line block ×3, first 2 shown]
	v_lshl_add_u32 v5, v4, 2, v32
	v_readlane_b32 s9, v54, 10
	s_andn2_b64 vcc, exec, s[14:15]
	s_cbranch_vccnz .LBB117_78
; %bb.75:                               ;   in Loop: Header=BB117_15 Depth=1
	v_writelane_b32 v54, s8, 9
	v_writelane_b32 v54, s9, 10
	s_mov_b32 s9, 1
	s_mov_b32 s8, 0
	v_mov_b32_e32 v2, 0
	v_readlane_b32 s5, v54, 34
	v_mov_b32_e32 v3, 0
.LBB117_76:                             ;   Parent Loop BB117_15 Depth=1
                                        ; =>  This Inner Loop Header: Depth=2
	v_lshl_add_u32 v10, s8, 4, v5
	v_lshl_add_u32 v52, s9, 4, v5
	ds_read2_b32 v[38:39], v10 offset1:8
	ds_read2_b32 v[40:41], v52 offset1:8
	ds_read2_b32 v[42:43], v10 offset0:16 offset1:24
	ds_read2_b32 v[44:45], v52 offset0:16 offset1:24
	;; [unrolled: 1-line block ×6, first 2 shown]
	s_waitcnt lgkmcnt(7)
	v_add3_u32 v2, v38, v2, v39
	s_waitcnt lgkmcnt(6)
	v_add3_u32 v3, v40, v3, v41
	;; [unrolled: 2-line block ×3, first 2 shown]
	v_add3_u32 v2, v42, v2, v43
	s_add_i32 s9, s9, 16
	s_add_i32 s8, s8, 16
	s_add_i32 s5, s5, -8
	s_waitcnt lgkmcnt(3)
	v_add3_u32 v2, v46, v2, v47
	s_waitcnt lgkmcnt(2)
	v_add3_u32 v3, v48, v3, v49
	s_cmp_lg_u32 s5, 0
	s_waitcnt lgkmcnt(0)
	v_add3_u32 v3, v52, v3, v53
	v_add3_u32 v2, v50, v2, v51
	s_cbranch_scc1 .LBB117_76
	s_branch .LBB117_79
.LBB117_77:                             ;   in Loop: Header=BB117_15 Depth=1
	s_cbranch_execnz .LBB117_82
	s_branch .LBB117_84
.LBB117_78:                             ;   in Loop: Header=BB117_15 Depth=1
	s_mov_b32 s14, s8
	s_mov_b32 s9, s8
	v_writelane_b32 v54, s14, 9
	v_pk_mov_b32 v[2:3], s[8:9], s[8:9] op_sel:[0,1]
	s_mov_b32 s9, 1
	v_writelane_b32 v54, s15, 10
.LBB117_79:                             ;   in Loop: Header=BB117_15 Depth=1
	v_readlane_b32 s14, v54, 36
	v_readlane_b32 s15, v54, 37
	s_andn2_b64 vcc, exec, s[14:15]
	v_readlane_b32 s5, v54, 35
	s_cbranch_vccnz .LBB117_81
.LBB117_80:                             ;   Parent Loop BB117_15 Depth=1
                                        ; =>  This Inner Loop Header: Depth=2
	v_lshl_add_u32 v10, s8, 4, v5
	v_lshl_add_u32 v38, s9, 4, v5
	ds_read_b32 v38, v38
	ds_read_b32 v10, v10
	s_add_i32 s9, s9, 2
	s_add_i32 s8, s8, 2
	s_add_i32 s5, s5, -1
	s_cmp_lg_u32 s5, 0
	s_waitcnt lgkmcnt(1)
	v_add_u32_e32 v3, v38, v3
	s_waitcnt lgkmcnt(0)
	v_add_u32_e32 v2, v10, v2
	s_cbranch_scc1 .LBB117_80
.LBB117_81:                             ;   in Loop: Header=BB117_15 Depth=1
	v_readlane_b32 s8, v54, 40
	v_add_u32_e32 v2, v2, v3
	v_readlane_b32 s5, v54, 39
	v_readlane_b32 s9, v54, 41
	s_and_b64 vcc, exec, s[8:9]
	s_cbranch_vccz .LBB117_84
.LBB117_82:                             ;   in Loop: Header=BB117_15 Depth=1
	s_lshl_b32 s8, s63, 8
	s_lshl_b32 s9, s5, 4
	s_add_i32 s8, s8, s9
	v_add_u32_e32 v3, s8, v28
	v_readlane_b32 s8, v54, 38
	s_sub_i32 s5, s8, s5
.LBB117_83:                             ;   Parent Loop BB117_15 Depth=1
                                        ; =>  This Inner Loop Header: Depth=2
	ds_read_b32 v5, v3
	s_add_i32 s5, s5, -1
	v_add_u32_e32 v3, 16, v3
	s_cmp_eq_u32 s5, 0
	s_waitcnt lgkmcnt(0)
	v_add_u32_e32 v2, v5, v2
	s_cbranch_scc0 .LBB117_83
.LBB117_84:                             ;   in Loop: Header=BB117_15 Depth=1
	v_lshlrev_b32_e32 v3, 2, v4
	ds_write_b32 v3, v2 offset:3072
.LBB117_85:                             ;   in Loop: Header=BB117_15 Depth=1
	s_or_b64 exec, exec, s[6:7]
	s_lshl_b32 s4, s4, 2
	s_waitcnt vmcnt(0)
	v_mov_b32_e32 v2, s4
	s_waitcnt lgkmcnt(0)
	s_barrier
	ds_read_b128 v[2:5], v2 offset:3072
	s_and_b32 s74, s62, 0xfe
	v_readlane_b32 s6, v54, 13
	s_lshl_b32 s53, 3, s74
	v_readlane_b32 s7, v54, 14
	s_waitcnt lgkmcnt(0)
	v_readfirstlane_b32 s52, v2
	v_readfirstlane_b32 s5, v3
	;; [unrolled: 1-line block ×4, first 2 shown]
	s_not_b32 s4, s53
	s_andn2_b64 vcc, exec, s[6:7]
	v_cmp_eq_u32_e64 s[18:19], 1, v37
	s_cbranch_vccnz .LBB117_98
; %bb.86:                               ;   in Loop: Header=BB117_15 Depth=1
	s_cmp_eq_u32 s52, 1
	s_cselect_b64 s[6:7], -1, 0
	s_and_b64 s[6:7], s[6:7], s[18:19]
	s_mov_b64 s[16:17], -1
	v_mov_b32_e32 v2, v35
	v_mov_b32_e32 v3, v34
	;; [unrolled: 1-line block ×3, first 2 shown]
                                        ; implicit-def: $sgpr22_sgpr23
                                        ; implicit-def: $sgpr28_sgpr29
                                        ; implicit-def: $sgpr26_sgpr27
	s_and_saveexec_b64 s[8:9], s[6:7]
	s_cbranch_execz .LBB117_114
; %bb.87:                               ;   in Loop: Header=BB117_15 Depth=1
	ds_read_b32 v2, v11 offset:4096
	s_waitcnt lgkmcnt(0)
	s_barrier
	v_readfirstlane_b32 s11, v2
	s_mov_b64 s[16:17], exec
	v_readlane_b32 s20, v54, 30
	v_readlane_b32 s21, v54, 31
	s_and_b64 s[20:21], s[16:17], s[20:21]
	s_mov_b64 exec, s[20:21]
	s_cbranch_execz .LBB117_89
; %bb.88:                               ;   in Loop: Header=BB117_15 Depth=1
	ds_write_b16 v20, v11
.LBB117_89:                             ;   in Loop: Header=BB117_15 Depth=1
	s_or_b64 exec, exec, s[16:17]
	v_and_b32_e32 v2, s4, v35
	v_or_b32_e32 v3, s53, v34
	s_cmp_eq_u32 s11, 0
	s_waitcnt lgkmcnt(0)
	s_barrier
	s_cbranch_scc1 .LBB117_100
; %bb.90:                               ;   in Loop: Header=BB117_15 Depth=1
	v_readlane_b32 s15, v54, 21
	s_add_i32 s15, s11, s15
	v_readlane_b32 s16, v54, 47
	s_mul_hi_u32 s16, s15, s16
	s_mul_i32 s16, s16, s33
	s_sub_i32 s16, s15, s16
	s_sub_i32 s17, s16, s33
	s_cmp_ge_u32 s16, s33
	s_cselect_b32 s16, s17, s16
	s_sub_i32 s17, s16, s33
	s_cmp_ge_u32 s16, s33
	s_cselect_b32 s16, s17, s16
	s_sub_i32 s15, s15, s16
	v_cmp_gt_u32_e32 vcc, s15, v0
	s_mov_b64 s[20:21], 0
                                        ; implicit-def: $vgpr4
	s_and_saveexec_b64 s[16:17], vcc
	s_cbranch_execz .LBB117_102
; %bb.91:                               ;   in Loop: Header=BB117_15 Depth=1
	s_mov_b64 s[22:23], 0
	v_mov_b32_e32 v4, v19
	v_mov_b32_e32 v5, v0
                                        ; implicit-def: $sgpr24_sgpr25
	s_branch .LBB117_93
.LBB117_92:                             ;   in Loop: Header=BB117_93 Depth=2
	s_or_b64 exec, exec, s[20:21]
	s_waitcnt lgkmcnt(0)
	s_barrier
	ds_read_b32 v10, v11 offset:3072
	v_add_u32_e32 v5, s33, v5
	v_cmp_le_u32_e64 s[20:21], s15, v5
	v_add_u32_e32 v4, s10, v4
	s_waitcnt lgkmcnt(0)
	v_and_b32_e32 v38, 0x7fff, v10
	v_cmp_ne_u16_e32 vcc, 0, v38
	s_or_b64 s[20:21], s[20:21], vcc
	s_and_b64 s[20:21], exec, s[20:21]
	s_or_b64 s[22:23], s[20:21], s[22:23]
	s_andn2_b64 s[20:21], s[24:25], exec
	s_and_b64 s[24:25], vcc, exec
	s_or_b64 s[24:25], s[20:21], s[24:25]
	s_barrier
	s_andn2_b64 exec, exec, s[22:23]
	s_cbranch_execz .LBB117_101
.LBB117_93:                             ;   Parent Loop BB117_15 Depth=1
                                        ; =>  This Inner Loop Header: Depth=2
	v_cmp_gt_u32_e32 vcc, s11, v5
	v_mov_b32_e32 v10, 0
	s_and_saveexec_b64 s[20:21], vcc
	s_cbranch_execz .LBB117_95
; %bb.94:                               ;   in Loop: Header=BB117_93 Depth=2
	ds_read_u16 v10, v4
.LBB117_95:                             ;   in Loop: Header=BB117_93 Depth=2
	s_or_b64 exec, exec, s[20:21]
	s_and_saveexec_b64 s[20:21], vcc
	s_cbranch_execz .LBB117_92
; %bb.96:                               ;   in Loop: Header=BB117_93 Depth=2
	s_waitcnt lgkmcnt(0)
	v_cmp_lt_i16_e32 vcc, -1, v10
	v_cndmask_b32_e32 v38, v29, v30, vcc
	v_lshlrev_b32_e32 v39, 16, v10
	v_xor_b32_sdwa v38, v38, v10 dst_sel:DWORD dst_unused:UNUSED_PAD src0_sel:DWORD src1_sel:WORD_0
	v_cmp_o_f32_e32 vcc, v39, v39
	v_cndmask_b32_e32 v38, v29, v38, vcc
	v_and_b32_e32 v38, v38, v3
	v_cmp_eq_u32_e32 vcc, v38, v2
	s_and_b64 exec, exec, vcc
	s_cbranch_execz .LBB117_92
; %bb.97:                               ;   in Loop: Header=BB117_93 Depth=2
	s_movk_i32 s26, 0x3f80
	v_perm_b32 v10, v10, s26, v33
	ds_write_b32 v11, v10 offset:3072
	s_branch .LBB117_92
.LBB117_98:                             ;   in Loop: Header=BB117_15 Depth=1
	s_mov_b64 s[24:25], 0
	s_mov_b64 s[20:21], 0
                                        ; implicit-def: $sgpr26_sgpr27
                                        ; implicit-def: $sgpr28_sgpr29
                                        ; implicit-def: $sgpr22_sgpr23
                                        ; implicit-def: $vgpr10
                                        ; implicit-def: $vgpr5
                                        ; implicit-def: $vgpr2
                                        ; implicit-def: $vgpr3
                                        ; implicit-def: $vgpr4
	s_cbranch_execnz .LBB117_250
.LBB117_99:                             ;   in Loop: Header=BB117_15 Depth=1
	s_mov_b64 s[30:31], s[22:23]
	s_mov_b64 s[34:35], s[22:23]
	s_and_saveexec_b64 s[6:7], s[24:25]
	s_cbranch_execnz .LBB117_412
	s_branch .LBB117_413
.LBB117_100:                            ;   in Loop: Header=BB117_15 Depth=1
	s_mov_b64 s[22:23], -1
	s_mov_b64 s[20:21], 0
                                        ; implicit-def: $sgpr26_sgpr27
                                        ; implicit-def: $vgpr4
	s_mov_b64 s[28:29], s[22:23]
	s_cbranch_execnz .LBB117_103
	s_branch .LBB117_113
.LBB117_101:                            ;   in Loop: Header=BB117_15 Depth=1
	s_or_b64 exec, exec, s[22:23]
	v_lshrrev_b32_e32 v4, 16, v10
	s_and_b64 s[20:21], s[24:25], exec
.LBB117_102:                            ;   in Loop: Header=BB117_15 Depth=1
	s_or_b64 exec, exec, s[16:17]
	s_mov_b64 s[26:27], -1
	s_mov_b64 s[22:23], 0
	s_mov_b64 s[28:29], s[22:23]
	s_branch .LBB117_113
.LBB117_103:                            ;   in Loop: Header=BB117_15 Depth=1
	s_mov_b64 s[20:21], 0
                                        ; implicit-def: $vgpr4
	s_mov_b64 s[16:17], exec
	v_readlane_b32 s22, v54, 48
	v_readlane_b32 s23, v54, 49
	s_and_b64 s[22:23], s[16:17], s[22:23]
	s_mov_b64 exec, s[22:23]
	s_cbranch_execz .LBB117_112
; %bb.104:                              ;   in Loop: Header=BB117_15 Depth=1
	s_mov_b64 s[22:23], 0
	v_mov_b32_e32 v10, v12
	v_mov_b32_e32 v4, v0
                                        ; implicit-def: $sgpr24_sgpr25
	s_branch .LBB117_106
.LBB117_105:                            ;   in Loop: Header=BB117_106 Depth=2
	s_or_b64 exec, exec, s[20:21]
	s_waitcnt lgkmcnt(0)
	s_barrier
	s_waitcnt vmcnt(0)
	ds_read_b32 v5, v11 offset:3072
	v_add_u32_e32 v4, s33, v4
	v_cmp_le_u32_e64 s[20:21], s12, v4
	v_add_u32_e32 v10, s76, v10
	s_waitcnt lgkmcnt(0)
	v_and_b32_e32 v38, 0x7fff, v5
	v_cmp_ne_u16_e32 vcc, 0, v38
	s_or_b64 s[20:21], s[20:21], vcc
	s_and_b64 s[20:21], exec, s[20:21]
	s_or_b64 s[22:23], s[20:21], s[22:23]
	s_andn2_b64 s[20:21], s[24:25], exec
	s_and_b64 s[24:25], vcc, exec
	s_or_b64 s[24:25], s[20:21], s[24:25]
	s_barrier
	s_andn2_b64 exec, exec, s[22:23]
	s_cbranch_execz .LBB117_111
.LBB117_106:                            ;   Parent Loop BB117_15 Depth=1
                                        ; =>  This Inner Loop Header: Depth=2
	v_cmp_gt_u32_e32 vcc, s60, v4
	v_mov_b32_e32 v5, 0
	s_and_saveexec_b64 s[26:27], vcc
	s_cbranch_execz .LBB117_108
; %bb.107:                              ;   in Loop: Header=BB117_106 Depth=2
	v_lshlrev_b64 v[38:39], 1, v[10:11]
	v_mov_b32_e32 v5, s66
	v_add_co_u32_e64 v38, s[20:21], s64, v38
	v_addc_co_u32_e64 v39, s[20:21], v5, v39, s[20:21]
	global_load_ushort v5, v[38:39], off
.LBB117_108:                            ;   in Loop: Header=BB117_106 Depth=2
	s_or_b64 exec, exec, s[26:27]
	s_and_saveexec_b64 s[20:21], vcc
	s_cbranch_execz .LBB117_105
; %bb.109:                              ;   in Loop: Header=BB117_106 Depth=2
	s_waitcnt vmcnt(0)
	v_cmp_lt_i16_e32 vcc, -1, v5
	v_cndmask_b32_e32 v38, v29, v30, vcc
	v_lshlrev_b32_e32 v39, 16, v5
	v_xor_b32_sdwa v38, v38, v5 dst_sel:DWORD dst_unused:UNUSED_PAD src0_sel:DWORD src1_sel:WORD_0
	v_cmp_o_f32_e32 vcc, v39, v39
	v_cndmask_b32_e32 v38, v29, v38, vcc
	v_and_b32_e32 v38, v38, v3
	v_cmp_eq_u32_e32 vcc, v38, v2
	s_and_b64 exec, exec, vcc
	s_cbranch_execz .LBB117_105
; %bb.110:                              ;   in Loop: Header=BB117_106 Depth=2
	s_movk_i32 s11, 0x3f80
	v_perm_b32 v5, v5, s11, v33
	ds_write_b32 v11, v5 offset:3072
	s_branch .LBB117_105
.LBB117_111:                            ;   in Loop: Header=BB117_15 Depth=1
	s_or_b64 exec, exec, s[22:23]
	v_lshrrev_b32_e32 v4, 16, v5
	s_and_b64 s[20:21], s[24:25], exec
.LBB117_112:                            ;   in Loop: Header=BB117_15 Depth=1
	s_or_b64 exec, exec, s[16:17]
	s_mov_b64 s[28:29], -1
	s_mov_b64 s[22:23], 0
	s_mov_b64 s[26:27], 0
.LBB117_113:                            ;   in Loop: Header=BB117_15 Depth=1
	s_orn2_b64 s[16:17], s[20:21], exec
.LBB117_114:                            ;   in Loop: Header=BB117_15 Depth=1
	s_or_b64 exec, exec, s[8:9]
	s_mov_b64 s[30:31], 0
	s_mov_b64 s[24:25], 0
	s_mov_b64 s[20:21], 0
                                        ; implicit-def: $vgpr10
                                        ; implicit-def: $vgpr5
	s_and_saveexec_b64 s[34:35], s[16:17]
	s_cbranch_execz .LBB117_249
; %bb.115:                              ;   in Loop: Header=BB117_15 Depth=1
	s_xor_b64 s[8:9], s[6:7], -1
	v_mov_b32_e32 v5, 1
	v_mov_b32_e32 v10, 1
	s_and_saveexec_b64 s[6:7], s[8:9]
	s_cbranch_execz .LBB117_125
; %bb.116:                              ;   in Loop: Header=BB117_15 Depth=1
	v_cmp_ge_u32_e32 vcc, s52, v37
                                        ; implicit-def: $sgpr11
                                        ; implicit-def: $sgpr8_sgpr9
	s_and_saveexec_b64 s[16:17], vcc
	s_xor_b64 s[16:17], exec, s[16:17]
	s_cbranch_execz .LBB117_122
; %bb.117:                              ;   in Loop: Header=BB117_15 Depth=1
	ds_read_b32 v5, v11 offset:4096
	s_waitcnt lgkmcnt(0)
	v_cmp_ne_u32_e32 vcc, 0, v5
	s_cbranch_vccnz .LBB117_121
; %bb.118:                              ;   in Loop: Header=BB117_15 Depth=1
	s_mov_b64 s[8:9], exec
	v_readlane_b32 s20, v54, 6
	v_readlane_b32 s21, v54, 7
	s_and_b64 s[20:21], s[8:9], s[20:21]
	s_mov_b64 exec, s[20:21]
	s_cbranch_execz .LBB117_120
; %bb.119:                              ;   in Loop: Header=BB117_15 Depth=1
	v_mov_b32_e32 v5, s52
	ds_write_b32 v11, v5 offset:4100
.LBB117_120:                            ;   in Loop: Header=BB117_15 Depth=1
	s_or_b64 exec, exec, s[8:9]
	s_waitcnt lgkmcnt(0)
	s_barrier
.LBB117_121:                            ;   in Loop: Header=BB117_15 Depth=1
	v_and_b32_e32 v2, s4, v2
	v_or_b32_e32 v3, s53, v3
	s_mov_b64 s[8:9], 0
	s_mov_b32 s11, 8
.LBB117_122:                            ;   in Loop: Header=BB117_15 Depth=1
	s_or_saveexec_b64 s[16:17], s[16:17]
	v_mov_b32_e32 v10, s11
	v_mov_b32_e32 v5, v37
	s_xor_b64 exec, exec, s[16:17]
; %bb.123:                              ;   in Loop: Header=BB117_15 Depth=1
	v_subrev_u32_e32 v5, s52, v37
	v_mov_b32_e32 v10, 0
	s_or_b64 s[8:9], s[8:9], exec
; %bb.124:                              ;   in Loop: Header=BB117_15 Depth=1
	s_or_b64 exec, exec, s[16:17]
	s_and_b64 s[20:21], s[8:9], exec
.LBB117_125:                            ;   in Loop: Header=BB117_15 Depth=1
	s_or_b64 exec, exec, s[6:7]
	s_mov_b64 s[36:37], -1
                                        ; implicit-def: $sgpr6_sgpr7
                                        ; implicit-def: $sgpr8_sgpr9
                                        ; implicit-def: $sgpr16_sgpr17
	s_and_saveexec_b64 s[24:25], s[20:21]
	s_xor_b64 s[24:25], exec, s[24:25]
	s_cbranch_execz .LBB117_246
; %bb.126:                              ;   in Loop: Header=BB117_15 Depth=1
	s_cmp_eq_u32 s5, 1
	s_cselect_b64 s[6:7], -1, 0
	v_cmp_eq_u32_e32 vcc, 1, v5
	s_and_b64 s[6:7], s[6:7], vcc
	s_mov_b64 s[16:17], -1
                                        ; implicit-def: $sgpr36_sgpr37
                                        ; implicit-def: $sgpr40_sgpr41
                                        ; implicit-def: $sgpr38_sgpr39
	s_and_saveexec_b64 s[8:9], s[6:7]
	s_cbranch_execz .LBB117_152
; %bb.127:                              ;   in Loop: Header=BB117_15 Depth=1
	ds_read_b32 v4, v11 offset:4096
	s_waitcnt lgkmcnt(0)
	s_barrier
	v_readfirstlane_b32 s11, v4
	s_mov_b64 s[16:17], exec
	v_readlane_b32 s20, v54, 30
	v_readlane_b32 s21, v54, 31
	s_and_b64 s[20:21], s[16:17], s[20:21]
	s_mov_b64 exec, s[20:21]
	s_cbranch_execz .LBB117_129
; %bb.128:                              ;   in Loop: Header=BB117_15 Depth=1
	ds_write_b16 v20, v11
.LBB117_129:                            ;   in Loop: Header=BB117_15 Depth=1
	s_or_b64 exec, exec, s[16:17]
	v_and_b32_e32 v2, s4, v2
	v_lshl_or_b32 v2, 1, s74, v2
	v_or_b32_e32 v3, s53, v3
	s_cmp_eq_u32 s11, 0
	s_waitcnt lgkmcnt(0)
	s_barrier
	s_cbranch_scc1 .LBB117_138
; %bb.130:                              ;   in Loop: Header=BB117_15 Depth=1
	v_readlane_b32 s15, v54, 21
	s_add_i32 s15, s11, s15
	v_readlane_b32 s16, v54, 47
	s_mul_hi_u32 s16, s15, s16
	s_mul_i32 s16, s16, s33
	s_sub_i32 s16, s15, s16
	s_sub_i32 s17, s16, s33
	s_cmp_ge_u32 s16, s33
	s_cselect_b32 s16, s17, s16
	s_sub_i32 s17, s16, s33
	s_cmp_ge_u32 s16, s33
	s_cselect_b32 s16, s17, s16
	s_sub_i32 s15, s15, s16
	v_cmp_gt_u32_e32 vcc, s15, v0
	s_mov_b64 s[20:21], 0
                                        ; implicit-def: $vgpr4
	s_and_saveexec_b64 s[16:17], vcc
	s_cbranch_execz .LBB117_140
; %bb.131:                              ;   in Loop: Header=BB117_15 Depth=1
	s_mov_b64 s[36:37], 0
	v_mov_b32_e32 v4, v19
	v_mov_b32_e32 v10, v0
                                        ; implicit-def: $sgpr38_sgpr39
	s_branch .LBB117_133
.LBB117_132:                            ;   in Loop: Header=BB117_133 Depth=2
	s_or_b64 exec, exec, s[20:21]
	s_waitcnt lgkmcnt(0)
	s_barrier
	ds_read_b32 v38, v11 offset:3072
	v_add_u32_e32 v10, s33, v10
	v_cmp_le_u32_e64 s[20:21], s15, v10
	v_add_u32_e32 v4, s10, v4
	s_waitcnt lgkmcnt(0)
	v_and_b32_e32 v39, 0x7fff, v38
	v_cmp_ne_u16_e32 vcc, 0, v39
	s_or_b64 s[20:21], s[20:21], vcc
	s_and_b64 s[20:21], exec, s[20:21]
	s_or_b64 s[36:37], s[20:21], s[36:37]
	s_andn2_b64 s[20:21], s[38:39], exec
	s_and_b64 s[38:39], vcc, exec
	s_or_b64 s[38:39], s[20:21], s[38:39]
	s_barrier
	s_andn2_b64 exec, exec, s[36:37]
	s_cbranch_execz .LBB117_139
.LBB117_133:                            ;   Parent Loop BB117_15 Depth=1
                                        ; =>  This Inner Loop Header: Depth=2
	v_cmp_gt_u32_e32 vcc, s11, v10
	v_mov_b32_e32 v38, 0
	s_and_saveexec_b64 s[20:21], vcc
	s_cbranch_execz .LBB117_135
; %bb.134:                              ;   in Loop: Header=BB117_133 Depth=2
	ds_read_u16 v38, v4
.LBB117_135:                            ;   in Loop: Header=BB117_133 Depth=2
	s_or_b64 exec, exec, s[20:21]
	s_and_saveexec_b64 s[20:21], vcc
	s_cbranch_execz .LBB117_132
; %bb.136:                              ;   in Loop: Header=BB117_133 Depth=2
	s_waitcnt lgkmcnt(0)
	v_cmp_lt_i16_e32 vcc, -1, v38
	v_cndmask_b32_e32 v39, v29, v30, vcc
	v_lshlrev_b32_e32 v40, 16, v38
	v_xor_b32_sdwa v39, v39, v38 dst_sel:DWORD dst_unused:UNUSED_PAD src0_sel:DWORD src1_sel:WORD_0
	v_cmp_o_f32_e32 vcc, v40, v40
	v_cndmask_b32_e32 v39, v29, v39, vcc
	v_and_b32_e32 v39, v39, v3
	v_cmp_eq_u32_e32 vcc, v39, v2
	s_and_b64 exec, exec, vcc
	s_cbranch_execz .LBB117_132
; %bb.137:                              ;   in Loop: Header=BB117_133 Depth=2
	s_movk_i32 s40, 0x3f80
	v_perm_b32 v38, v38, s40, v33
	ds_write_b32 v11, v38 offset:3072
	s_branch .LBB117_132
.LBB117_138:                            ;   in Loop: Header=BB117_15 Depth=1
	s_mov_b64 s[36:37], -1
	s_mov_b64 s[20:21], 0
                                        ; implicit-def: $sgpr38_sgpr39
                                        ; implicit-def: $vgpr4
	s_mov_b64 s[40:41], s[36:37]
	s_cbranch_execnz .LBB117_141
	s_branch .LBB117_151
.LBB117_139:                            ;   in Loop: Header=BB117_15 Depth=1
	s_or_b64 exec, exec, s[36:37]
	v_lshrrev_b32_e32 v4, 16, v38
	s_and_b64 s[20:21], s[38:39], exec
.LBB117_140:                            ;   in Loop: Header=BB117_15 Depth=1
	s_or_b64 exec, exec, s[16:17]
	s_mov_b64 s[38:39], -1
	s_mov_b64 s[36:37], 0
	s_mov_b64 s[40:41], s[36:37]
	s_branch .LBB117_151
.LBB117_141:                            ;   in Loop: Header=BB117_15 Depth=1
	s_mov_b64 s[20:21], 0
                                        ; implicit-def: $vgpr4
	s_mov_b64 s[16:17], exec
	v_readlane_b32 s36, v54, 48
	v_readlane_b32 s37, v54, 49
	s_and_b64 s[36:37], s[16:17], s[36:37]
	s_mov_b64 exec, s[36:37]
	s_cbranch_execz .LBB117_150
; %bb.142:                              ;   in Loop: Header=BB117_15 Depth=1
	s_mov_b64 s[36:37], 0
	v_mov_b32_e32 v10, v12
	v_mov_b32_e32 v4, v0
                                        ; implicit-def: $sgpr38_sgpr39
	s_branch .LBB117_144
.LBB117_143:                            ;   in Loop: Header=BB117_144 Depth=2
	s_or_b64 exec, exec, s[20:21]
	s_waitcnt lgkmcnt(0)
	s_barrier
	s_waitcnt vmcnt(0)
	ds_read_b32 v38, v11 offset:3072
	v_add_u32_e32 v4, s33, v4
	v_cmp_le_u32_e64 s[20:21], s12, v4
	v_add_u32_e32 v10, s76, v10
	s_waitcnt lgkmcnt(0)
	v_and_b32_e32 v39, 0x7fff, v38
	v_cmp_ne_u16_e32 vcc, 0, v39
	s_or_b64 s[20:21], s[20:21], vcc
	s_and_b64 s[20:21], exec, s[20:21]
	s_or_b64 s[36:37], s[20:21], s[36:37]
	s_andn2_b64 s[20:21], s[38:39], exec
	s_and_b64 s[38:39], vcc, exec
	s_or_b64 s[38:39], s[20:21], s[38:39]
	s_barrier
	s_andn2_b64 exec, exec, s[36:37]
	s_cbranch_execz .LBB117_149
.LBB117_144:                            ;   Parent Loop BB117_15 Depth=1
                                        ; =>  This Inner Loop Header: Depth=2
	v_cmp_gt_u32_e32 vcc, s60, v4
	v_mov_b32_e32 v38, 0
	s_and_saveexec_b64 s[40:41], vcc
	s_cbranch_execz .LBB117_146
; %bb.145:                              ;   in Loop: Header=BB117_144 Depth=2
	v_lshlrev_b64 v[38:39], 1, v[10:11]
	v_mov_b32_e32 v40, s66
	v_add_co_u32_e64 v38, s[20:21], s64, v38
	v_addc_co_u32_e64 v39, s[20:21], v40, v39, s[20:21]
	global_load_ushort v38, v[38:39], off
.LBB117_146:                            ;   in Loop: Header=BB117_144 Depth=2
	s_or_b64 exec, exec, s[40:41]
	s_and_saveexec_b64 s[20:21], vcc
	s_cbranch_execz .LBB117_143
; %bb.147:                              ;   in Loop: Header=BB117_144 Depth=2
	s_waitcnt vmcnt(0)
	v_cmp_lt_i16_e32 vcc, -1, v38
	v_cndmask_b32_e32 v39, v29, v30, vcc
	v_lshlrev_b32_e32 v40, 16, v38
	v_xor_b32_sdwa v39, v39, v38 dst_sel:DWORD dst_unused:UNUSED_PAD src0_sel:DWORD src1_sel:WORD_0
	v_cmp_o_f32_e32 vcc, v40, v40
	v_cndmask_b32_e32 v39, v29, v39, vcc
	v_and_b32_e32 v39, v39, v3
	v_cmp_eq_u32_e32 vcc, v39, v2
	s_and_b64 exec, exec, vcc
	s_cbranch_execz .LBB117_143
; %bb.148:                              ;   in Loop: Header=BB117_144 Depth=2
	s_movk_i32 s11, 0x3f80
	v_perm_b32 v38, v38, s11, v33
	ds_write_b32 v11, v38 offset:3072
	s_branch .LBB117_143
.LBB117_149:                            ;   in Loop: Header=BB117_15 Depth=1
	s_or_b64 exec, exec, s[36:37]
	v_lshrrev_b32_e32 v4, 16, v38
	s_and_b64 s[20:21], s[38:39], exec
.LBB117_150:                            ;   in Loop: Header=BB117_15 Depth=1
	s_or_b64 exec, exec, s[16:17]
	s_mov_b64 s[40:41], -1
	s_mov_b64 s[36:37], 0
	s_mov_b64 s[38:39], 0
.LBB117_151:                            ;   in Loop: Header=BB117_15 Depth=1
	s_orn2_b64 s[16:17], s[20:21], exec
.LBB117_152:                            ;   in Loop: Header=BB117_15 Depth=1
	s_or_b64 exec, exec, s[8:9]
	s_mov_b64 s[20:21], 0
                                        ; implicit-def: $vgpr10
	s_and_saveexec_b64 s[42:43], s[16:17]
	s_cbranch_execz .LBB117_245
; %bb.153:                              ;   in Loop: Header=BB117_15 Depth=1
	s_xor_b64 s[8:9], s[6:7], -1
	s_mov_b64 s[16:17], 0
	v_mov_b32_e32 v38, 1
	v_mov_b32_e32 v10, 1
	s_and_saveexec_b64 s[6:7], s[8:9]
	s_cbranch_execz .LBB117_163
; %bb.154:                              ;   in Loop: Header=BB117_15 Depth=1
	v_cmp_ge_u32_e32 vcc, s5, v5
                                        ; implicit-def: $sgpr11
                                        ; implicit-def: $sgpr8_sgpr9
	s_and_saveexec_b64 s[16:17], vcc
	s_xor_b64 s[16:17], exec, s[16:17]
	s_cbranch_execz .LBB117_160
; %bb.155:                              ;   in Loop: Header=BB117_15 Depth=1
	ds_read_b32 v10, v11 offset:4096
	s_waitcnt lgkmcnt(0)
	v_cmp_ne_u32_e32 vcc, 0, v10
	s_cbranch_vccnz .LBB117_159
; %bb.156:                              ;   in Loop: Header=BB117_15 Depth=1
	s_mov_b64 s[8:9], exec
	v_readlane_b32 s20, v54, 6
	v_readlane_b32 s21, v54, 7
	s_and_b64 s[20:21], s[8:9], s[20:21]
	s_mov_b64 exec, s[20:21]
	s_cbranch_execz .LBB117_158
; %bb.157:                              ;   in Loop: Header=BB117_15 Depth=1
	v_mov_b32_e32 v10, s5
	ds_write_b32 v11, v10 offset:4100
.LBB117_158:                            ;   in Loop: Header=BB117_15 Depth=1
	s_or_b64 exec, exec, s[8:9]
	s_waitcnt lgkmcnt(0)
	s_barrier
.LBB117_159:                            ;   in Loop: Header=BB117_15 Depth=1
	v_and_b32_e32 v2, s4, v2
	v_lshl_or_b32 v2, 1, s74, v2
	v_or_b32_e32 v3, s53, v3
	s_mov_b64 s[8:9], 0
	s_mov_b32 s11, 8
.LBB117_160:                            ;   in Loop: Header=BB117_15 Depth=1
	s_or_saveexec_b64 s[16:17], s[16:17]
	v_mov_b32_e32 v10, s11
	s_xor_b64 exec, exec, s[16:17]
; %bb.161:                              ;   in Loop: Header=BB117_15 Depth=1
	v_subrev_u32_e32 v5, s5, v5
	v_mov_b32_e32 v10, 0
	s_or_b64 s[8:9], s[8:9], exec
; %bb.162:                              ;   in Loop: Header=BB117_15 Depth=1
	s_or_b64 exec, exec, s[16:17]
	s_and_b64 s[16:17], s[8:9], exec
	v_mov_b32_e32 v38, v5
.LBB117_163:                            ;   in Loop: Header=BB117_15 Depth=1
	s_or_b64 exec, exec, s[6:7]
	s_mov_b64 s[6:7], -1
                                        ; implicit-def: $sgpr8_sgpr9
                                        ; implicit-def: $sgpr20_sgpr21
                                        ; implicit-def: $sgpr46_sgpr47
	s_and_saveexec_b64 s[44:45], s[16:17]
	s_cbranch_execz .LBB117_244
; %bb.164:                              ;   in Loop: Header=BB117_15 Depth=1
	s_cmp_eq_u32 s75, 1
	s_cselect_b64 s[6:7], -1, 0
	v_cmp_eq_u32_e32 vcc, 1, v38
	s_and_b64 s[6:7], s[6:7], vcc
	s_mov_b64 s[20:21], -1
                                        ; implicit-def: $sgpr46_sgpr47
                                        ; implicit-def: $sgpr50_sgpr51
                                        ; implicit-def: $sgpr8_sgpr9
                                        ; kill: killed $sgpr8_sgpr9
	s_and_saveexec_b64 s[8:9], s[6:7]
	s_cbranch_execz .LBB117_190
; %bb.165:                              ;   in Loop: Header=BB117_15 Depth=1
	ds_read_b32 v4, v11 offset:4096
	s_waitcnt lgkmcnt(0)
	s_barrier
	v_readfirstlane_b32 s11, v4
	s_mov_b64 s[16:17], exec
	v_readlane_b32 s20, v54, 30
	v_readlane_b32 s21, v54, 31
	s_and_b64 s[20:21], s[16:17], s[20:21]
	s_mov_b64 exec, s[20:21]
	s_cbranch_execz .LBB117_167
; %bb.166:                              ;   in Loop: Header=BB117_15 Depth=1
	ds_write_b16 v20, v11
.LBB117_167:                            ;   in Loop: Header=BB117_15 Depth=1
	s_or_b64 exec, exec, s[16:17]
	v_and_b32_e32 v2, s4, v2
	v_lshl_or_b32 v2, 2, s74, v2
	v_or_b32_e32 v3, s53, v3
	s_cmp_eq_u32 s11, 0
	s_waitcnt lgkmcnt(0)
	s_barrier
	s_cbranch_scc1 .LBB117_176
; %bb.168:                              ;   in Loop: Header=BB117_15 Depth=1
	v_readlane_b32 s15, v54, 21
	s_add_i32 s15, s11, s15
	v_readlane_b32 s16, v54, 47
	s_mul_hi_u32 s16, s15, s16
	s_mul_i32 s16, s16, s33
	s_sub_i32 s16, s15, s16
	s_sub_i32 s17, s16, s33
	s_cmp_ge_u32 s16, s33
	s_cselect_b32 s16, s17, s16
	s_sub_i32 s17, s16, s33
	s_cmp_ge_u32 s16, s33
	s_cselect_b32 s16, s17, s16
	s_sub_i32 s15, s15, s16
	v_cmp_gt_u32_e32 vcc, s15, v0
	s_mov_b64 s[20:21], 0
                                        ; implicit-def: $vgpr4
	s_and_saveexec_b64 s[16:17], vcc
	s_cbranch_execz .LBB117_178
; %bb.169:                              ;   in Loop: Header=BB117_15 Depth=1
	s_mov_b64 s[46:47], 0
	v_mov_b32_e32 v4, v19
	v_mov_b32_e32 v5, v0
                                        ; implicit-def: $sgpr48_sgpr49
	s_branch .LBB117_171
.LBB117_170:                            ;   in Loop: Header=BB117_171 Depth=2
	s_or_b64 exec, exec, s[20:21]
	s_waitcnt lgkmcnt(0)
	s_barrier
	ds_read_b32 v10, v11 offset:3072
	v_add_u32_e32 v5, s33, v5
	v_cmp_le_u32_e64 s[20:21], s15, v5
	v_add_u32_e32 v4, s10, v4
	s_waitcnt lgkmcnt(0)
	v_and_b32_e32 v39, 0x7fff, v10
	v_cmp_ne_u16_e32 vcc, 0, v39
	s_or_b64 s[20:21], s[20:21], vcc
	s_and_b64 s[20:21], exec, s[20:21]
	s_or_b64 s[46:47], s[20:21], s[46:47]
	s_andn2_b64 s[20:21], s[48:49], exec
	s_and_b64 s[48:49], vcc, exec
	s_or_b64 s[48:49], s[20:21], s[48:49]
	s_barrier
	s_andn2_b64 exec, exec, s[46:47]
	s_cbranch_execz .LBB117_177
.LBB117_171:                            ;   Parent Loop BB117_15 Depth=1
                                        ; =>  This Inner Loop Header: Depth=2
	v_cmp_gt_u32_e32 vcc, s11, v5
	v_mov_b32_e32 v10, 0
	s_and_saveexec_b64 s[20:21], vcc
	s_cbranch_execz .LBB117_173
; %bb.172:                              ;   in Loop: Header=BB117_171 Depth=2
	ds_read_u16 v10, v4
.LBB117_173:                            ;   in Loop: Header=BB117_171 Depth=2
	s_or_b64 exec, exec, s[20:21]
	s_and_saveexec_b64 s[20:21], vcc
	s_cbranch_execz .LBB117_170
; %bb.174:                              ;   in Loop: Header=BB117_171 Depth=2
	s_waitcnt lgkmcnt(0)
	v_cmp_lt_i16_e32 vcc, -1, v10
	v_cndmask_b32_e32 v39, v29, v30, vcc
	v_lshlrev_b32_e32 v40, 16, v10
	v_xor_b32_sdwa v39, v39, v10 dst_sel:DWORD dst_unused:UNUSED_PAD src0_sel:DWORD src1_sel:WORD_0
	v_cmp_o_f32_e32 vcc, v40, v40
	v_cndmask_b32_e32 v39, v29, v39, vcc
	v_and_b32_e32 v39, v39, v3
	v_cmp_eq_u32_e32 vcc, v39, v2
	s_and_b64 exec, exec, vcc
	s_cbranch_execz .LBB117_170
; %bb.175:                              ;   in Loop: Header=BB117_171 Depth=2
	s_movk_i32 s50, 0x3f80
	v_perm_b32 v10, v10, s50, v33
	ds_write_b32 v11, v10 offset:3072
	s_branch .LBB117_170
.LBB117_176:                            ;   in Loop: Header=BB117_15 Depth=1
	s_mov_b64 s[46:47], -1
	s_mov_b64 s[20:21], 0
                                        ; implicit-def: $sgpr16_sgpr17
                                        ; implicit-def: $vgpr4
	s_mov_b64 s[50:51], s[46:47]
	s_cbranch_execnz .LBB117_179
	s_branch .LBB117_189
.LBB117_177:                            ;   in Loop: Header=BB117_15 Depth=1
	s_or_b64 exec, exec, s[46:47]
	v_lshrrev_b32_e32 v4, 16, v10
	s_and_b64 s[20:21], s[48:49], exec
.LBB117_178:                            ;   in Loop: Header=BB117_15 Depth=1
	s_or_b64 exec, exec, s[16:17]
	s_mov_b64 s[16:17], -1
	s_mov_b64 s[46:47], 0
	s_mov_b64 s[50:51], s[46:47]
	s_branch .LBB117_189
.LBB117_179:                            ;   in Loop: Header=BB117_15 Depth=1
	s_mov_b64 s[20:21], 0
                                        ; implicit-def: $vgpr4
	s_mov_b64 s[16:17], exec
	v_readlane_b32 s46, v54, 48
	v_readlane_b32 s47, v54, 49
	s_and_b64 s[46:47], s[16:17], s[46:47]
	s_mov_b64 exec, s[46:47]
	s_cbranch_execz .LBB117_188
; %bb.180:                              ;   in Loop: Header=BB117_15 Depth=1
	s_mov_b64 s[46:47], 0
	v_mov_b32_e32 v10, v12
	v_mov_b32_e32 v4, v0
                                        ; implicit-def: $sgpr48_sgpr49
	s_branch .LBB117_182
.LBB117_181:                            ;   in Loop: Header=BB117_182 Depth=2
	s_or_b64 exec, exec, s[20:21]
	s_waitcnt lgkmcnt(0)
	s_barrier
	s_waitcnt vmcnt(0)
	ds_read_b32 v5, v11 offset:3072
	v_add_u32_e32 v4, s33, v4
	v_cmp_le_u32_e64 s[20:21], s12, v4
	v_add_u32_e32 v10, s76, v10
	s_waitcnt lgkmcnt(0)
	v_and_b32_e32 v39, 0x7fff, v5
	v_cmp_ne_u16_e32 vcc, 0, v39
	s_or_b64 s[20:21], s[20:21], vcc
	s_and_b64 s[20:21], exec, s[20:21]
	s_or_b64 s[46:47], s[20:21], s[46:47]
	s_andn2_b64 s[20:21], s[48:49], exec
	s_and_b64 s[48:49], vcc, exec
	s_or_b64 s[48:49], s[20:21], s[48:49]
	s_barrier
	s_andn2_b64 exec, exec, s[46:47]
	s_cbranch_execz .LBB117_187
.LBB117_182:                            ;   Parent Loop BB117_15 Depth=1
                                        ; =>  This Inner Loop Header: Depth=2
	v_cmp_gt_u32_e32 vcc, s60, v4
	v_mov_b32_e32 v5, 0
	s_and_saveexec_b64 s[50:51], vcc
	s_cbranch_execz .LBB117_184
; %bb.183:                              ;   in Loop: Header=BB117_182 Depth=2
	v_lshlrev_b64 v[40:41], 1, v[10:11]
	v_mov_b32_e32 v5, s66
	v_add_co_u32_e64 v40, s[20:21], s64, v40
	v_addc_co_u32_e64 v41, s[20:21], v5, v41, s[20:21]
	global_load_ushort v5, v[40:41], off
.LBB117_184:                            ;   in Loop: Header=BB117_182 Depth=2
	s_or_b64 exec, exec, s[50:51]
	s_and_saveexec_b64 s[20:21], vcc
	s_cbranch_execz .LBB117_181
; %bb.185:                              ;   in Loop: Header=BB117_182 Depth=2
	s_waitcnt vmcnt(0)
	v_cmp_lt_i16_e32 vcc, -1, v5
	v_cndmask_b32_e32 v39, v29, v30, vcc
	v_lshlrev_b32_e32 v40, 16, v5
	v_xor_b32_sdwa v39, v39, v5 dst_sel:DWORD dst_unused:UNUSED_PAD src0_sel:DWORD src1_sel:WORD_0
	v_cmp_o_f32_e32 vcc, v40, v40
	v_cndmask_b32_e32 v39, v29, v39, vcc
	v_and_b32_e32 v39, v39, v3
	v_cmp_eq_u32_e32 vcc, v39, v2
	s_and_b64 exec, exec, vcc
	s_cbranch_execz .LBB117_181
; %bb.186:                              ;   in Loop: Header=BB117_182 Depth=2
	s_movk_i32 s11, 0x3f80
	v_perm_b32 v5, v5, s11, v33
	ds_write_b32 v11, v5 offset:3072
	s_branch .LBB117_181
.LBB117_187:                            ;   in Loop: Header=BB117_15 Depth=1
	s_or_b64 exec, exec, s[46:47]
	v_lshrrev_b32_e32 v4, 16, v5
	s_and_b64 s[20:21], s[48:49], exec
.LBB117_188:                            ;   in Loop: Header=BB117_15 Depth=1
	s_or_b64 exec, exec, s[16:17]
	s_mov_b64 s[50:51], -1
	s_mov_b64 s[46:47], 0
	s_mov_b64 s[16:17], 0
.LBB117_189:                            ;   in Loop: Header=BB117_15 Depth=1
	v_writelane_b32 v54, s16, 52
	s_orn2_b64 s[20:21], s[20:21], exec
	v_writelane_b32 v54, s17, 53
.LBB117_190:                            ;   in Loop: Header=BB117_15 Depth=1
	s_or_b64 exec, exec, s[8:9]
	s_mov_b64 s[16:17], 0
                                        ; implicit-def: $vgpr10
	s_and_saveexec_b64 s[48:49], s[20:21]
	s_cbranch_execz .LBB117_243
; %bb.191:                              ;   in Loop: Header=BB117_15 Depth=1
	s_xor_b64 s[16:17], s[6:7], -1
	s_mov_b64 s[8:9], 0
	v_mov_b32_e32 v5, 1
	v_mov_b32_e32 v10, 1
	s_and_saveexec_b64 s[6:7], s[16:17]
	s_cbranch_execz .LBB117_201
; %bb.192:                              ;   in Loop: Header=BB117_15 Depth=1
	v_cmp_ge_u32_e32 vcc, s75, v38
                                        ; implicit-def: $sgpr11
                                        ; implicit-def: $sgpr8_sgpr9
	s_and_saveexec_b64 s[16:17], vcc
	s_xor_b64 s[16:17], exec, s[16:17]
	s_cbranch_execz .LBB117_198
; %bb.193:                              ;   in Loop: Header=BB117_15 Depth=1
	ds_read_b32 v5, v11 offset:4096
	s_waitcnt lgkmcnt(0)
	v_cmp_ne_u32_e32 vcc, 0, v5
	s_cbranch_vccnz .LBB117_197
; %bb.194:                              ;   in Loop: Header=BB117_15 Depth=1
	s_mov_b64 s[8:9], exec
	v_readlane_b32 s20, v54, 6
	v_readlane_b32 s21, v54, 7
	s_and_b64 s[20:21], s[8:9], s[20:21]
	s_mov_b64 exec, s[20:21]
	s_cbranch_execz .LBB117_196
; %bb.195:                              ;   in Loop: Header=BB117_15 Depth=1
	v_mov_b32_e32 v5, s75
	ds_write_b32 v11, v5 offset:4100
.LBB117_196:                            ;   in Loop: Header=BB117_15 Depth=1
	s_or_b64 exec, exec, s[8:9]
	s_waitcnt lgkmcnt(0)
	s_barrier
.LBB117_197:                            ;   in Loop: Header=BB117_15 Depth=1
	v_and_b32_e32 v2, s4, v2
	v_lshl_or_b32 v2, 2, s74, v2
	v_or_b32_e32 v3, s53, v3
	s_mov_b64 s[8:9], 0
	s_mov_b32 s11, 8
.LBB117_198:                            ;   in Loop: Header=BB117_15 Depth=1
	s_or_saveexec_b64 s[16:17], s[16:17]
	v_mov_b32_e32 v10, s11
	s_xor_b64 exec, exec, s[16:17]
; %bb.199:                              ;   in Loop: Header=BB117_15 Depth=1
	v_subrev_u32_e32 v38, s75, v38
	v_mov_b32_e32 v10, 0
	s_or_b64 s[8:9], s[8:9], exec
; %bb.200:                              ;   in Loop: Header=BB117_15 Depth=1
	s_or_b64 exec, exec, s[16:17]
	s_and_b64 s[8:9], s[8:9], exec
	v_mov_b32_e32 v5, v38
.LBB117_201:                            ;   in Loop: Header=BB117_15 Depth=1
	s_or_b64 exec, exec, s[6:7]
	s_mov_b64 s[6:7], -1
                                        ; implicit-def: $sgpr20_sgpr21
                                        ; implicit-def: $sgpr56_sgpr57
                                        ; implicit-def: $sgpr54_sgpr55
	s_and_saveexec_b64 s[16:17], s[8:9]
	s_cbranch_execz .LBB117_242
; %bb.202:                              ;   in Loop: Header=BB117_15 Depth=1
	s_cmp_eq_u32 s14, 1
	s_cselect_b64 s[6:7], -1, 0
	v_cmp_eq_u32_e32 vcc, 1, v5
	s_and_b64 s[6:7], s[6:7], vcc
	s_mov_b64 s[58:59], -1
	v_writelane_b32 v54, s6, 54
                                        ; implicit-def: $sgpr20_sgpr21
                                        ; implicit-def: $sgpr56_sgpr57
                                        ; implicit-def: $sgpr54_sgpr55
	v_writelane_b32 v54, s7, 55
	s_and_saveexec_b64 s[8:9], s[6:7]
	s_cbranch_execz .LBB117_229
; %bb.203:                              ;   in Loop: Header=BB117_15 Depth=1
	ds_read_b32 v4, v11 offset:4096
	v_readlane_b32 s6, v54, 30
	v_readlane_b32 s7, v54, 31
	s_waitcnt lgkmcnt(0)
	s_barrier
	v_readfirstlane_b32 s11, v4
	s_and_saveexec_b64 s[20:21], s[6:7]
	s_cbranch_execz .LBB117_205
; %bb.204:                              ;   in Loop: Header=BB117_15 Depth=1
	ds_write_b16 v20, v11
.LBB117_205:                            ;   in Loop: Header=BB117_15 Depth=1
	s_or_b64 exec, exec, s[20:21]
	v_or_b32_e32 v2, s53, v2
	v_or_b32_e32 v3, s53, v3
	s_cmp_eq_u32 s11, 0
	s_waitcnt lgkmcnt(0)
	s_barrier
	s_cbranch_scc1 .LBB117_214
; %bb.206:                              ;   in Loop: Header=BB117_15 Depth=1
	v_readlane_b32 s6, v54, 21
	s_add_i32 s6, s11, s6
	v_readlane_b32 s7, v54, 47
	s_mul_hi_u32 s7, s6, s7
	s_mul_i32 s7, s7, s33
	s_sub_i32 s7, s6, s7
	s_sub_i32 s15, s7, s33
	s_cmp_ge_u32 s7, s33
	s_cselect_b32 s7, s15, s7
	s_sub_i32 s15, s7, s33
	s_cmp_ge_u32 s7, s33
	s_cselect_b32 s7, s15, s7
	s_sub_i32 s15, s6, s7
	v_cmp_gt_u32_e32 vcc, s15, v0
	s_mov_b64 s[58:59], 0
                                        ; implicit-def: $vgpr4
	s_and_saveexec_b64 s[54:55], vcc
	s_cbranch_execz .LBB117_216
; %bb.207:                              ;   in Loop: Header=BB117_15 Depth=1
	s_mov_b64 s[56:57], 0
	v_mov_b32_e32 v4, v19
	v_mov_b32_e32 v10, v0
                                        ; implicit-def: $sgpr58_sgpr59
	s_branch .LBB117_209
.LBB117_208:                            ;   in Loop: Header=BB117_209 Depth=2
	s_or_b64 exec, exec, s[20:21]
	s_waitcnt lgkmcnt(0)
	s_barrier
	ds_read_b32 v38, v11 offset:3072
	v_add_u32_e32 v10, s33, v10
	v_cmp_le_u32_e64 s[20:21], s15, v10
	v_add_u32_e32 v4, s10, v4
	s_waitcnt lgkmcnt(0)
	v_and_b32_e32 v39, 0x7fff, v38
	v_cmp_ne_u16_e32 vcc, 0, v39
	s_or_b64 s[6:7], s[20:21], vcc
	s_and_b64 s[6:7], exec, s[6:7]
	s_or_b64 s[56:57], s[6:7], s[56:57]
	s_andn2_b64 s[6:7], s[58:59], exec
	s_and_b64 s[20:21], vcc, exec
	s_or_b64 s[58:59], s[6:7], s[20:21]
	s_barrier
	s_andn2_b64 exec, exec, s[56:57]
	s_cbranch_execz .LBB117_215
.LBB117_209:                            ;   Parent Loop BB117_15 Depth=1
                                        ; =>  This Inner Loop Header: Depth=2
	v_cmp_gt_u32_e32 vcc, s11, v10
	v_mov_b32_e32 v38, 0
	s_and_saveexec_b64 s[20:21], vcc
	s_cbranch_execz .LBB117_211
; %bb.210:                              ;   in Loop: Header=BB117_209 Depth=2
	ds_read_u16 v38, v4
.LBB117_211:                            ;   in Loop: Header=BB117_209 Depth=2
	s_or_b64 exec, exec, s[20:21]
	s_and_saveexec_b64 s[20:21], vcc
	s_cbranch_execz .LBB117_208
; %bb.212:                              ;   in Loop: Header=BB117_209 Depth=2
	s_waitcnt lgkmcnt(0)
	v_cmp_lt_i16_e32 vcc, -1, v38
	v_cndmask_b32_e32 v39, v29, v30, vcc
	v_lshlrev_b32_e32 v40, 16, v38
	v_xor_b32_sdwa v39, v39, v38 dst_sel:DWORD dst_unused:UNUSED_PAD src0_sel:DWORD src1_sel:WORD_0
	v_cmp_o_f32_e32 vcc, v40, v40
	v_cndmask_b32_e32 v39, v29, v39, vcc
	v_and_b32_e32 v39, v39, v3
	v_cmp_eq_u32_e32 vcc, v39, v2
	s_and_b64 exec, exec, vcc
	s_cbranch_execz .LBB117_208
; %bb.213:                              ;   in Loop: Header=BB117_209 Depth=2
	s_movk_i32 s6, 0x3f80
	v_perm_b32 v38, v38, s6, v33
	ds_write_b32 v11, v38 offset:3072
	s_branch .LBB117_208
.LBB117_214:                            ;   in Loop: Header=BB117_15 Depth=1
	s_mov_b64 s[20:21], -1
	s_mov_b64 s[58:59], 0
                                        ; implicit-def: $sgpr54_sgpr55
                                        ; implicit-def: $vgpr4
	s_branch .LBB117_217
.LBB117_215:                            ;   in Loop: Header=BB117_15 Depth=1
	s_or_b64 exec, exec, s[56:57]
	v_lshrrev_b32_e32 v4, 16, v38
	s_and_b64 s[58:59], s[58:59], exec
.LBB117_216:                            ;   in Loop: Header=BB117_15 Depth=1
	s_or_b64 exec, exec, s[54:55]
	s_mov_b64 s[54:55], -1
	s_mov_b64 s[20:21], 0
.LBB117_217:                            ;   in Loop: Header=BB117_15 Depth=1
	s_and_b64 vcc, exec, s[20:21]
	s_mov_b64 s[56:57], s[20:21]
	s_cbranch_vccz .LBB117_228
; %bb.218:                              ;   in Loop: Header=BB117_15 Depth=1
	s_mov_b64 s[58:59], 0
                                        ; implicit-def: $vgpr4
	s_mov_b64 s[20:21], exec
	v_readlane_b32 s6, v54, 48
	v_readlane_b32 s7, v54, 49
	v_writelane_b32 v54, s20, 56
	s_and_b64 s[6:7], s[20:21], s[6:7]
	v_writelane_b32 v54, s21, 57
	s_mov_b64 exec, s[6:7]
	s_cbranch_execz .LBB117_227
; %bb.219:                              ;   in Loop: Header=BB117_15 Depth=1
	s_mov_b64 s[56:57], 0
	v_mov_b32_e32 v10, v12
	v_mov_b32_e32 v4, v0
                                        ; implicit-def: $sgpr58_sgpr59
	s_branch .LBB117_221
.LBB117_220:                            ;   in Loop: Header=BB117_221 Depth=2
	s_or_b64 exec, exec, s[20:21]
	s_waitcnt lgkmcnt(0)
	s_barrier
	s_waitcnt vmcnt(0)
	ds_read_b32 v38, v11 offset:3072
	v_add_u32_e32 v4, s33, v4
	v_cmp_le_u32_e64 s[20:21], s12, v4
	v_add_u32_e32 v10, s76, v10
	s_waitcnt lgkmcnt(0)
	v_and_b32_e32 v39, 0x7fff, v38
	v_cmp_ne_u16_e32 vcc, 0, v39
	s_or_b64 s[6:7], s[20:21], vcc
	s_and_b64 s[6:7], exec, s[6:7]
	s_or_b64 s[56:57], s[6:7], s[56:57]
	s_andn2_b64 s[6:7], s[58:59], exec
	s_and_b64 s[20:21], vcc, exec
	s_or_b64 s[58:59], s[6:7], s[20:21]
	s_barrier
	s_andn2_b64 exec, exec, s[56:57]
	s_cbranch_execz .LBB117_226
.LBB117_221:                            ;   Parent Loop BB117_15 Depth=1
                                        ; =>  This Inner Loop Header: Depth=2
	v_cmp_gt_u32_e32 vcc, s60, v4
	v_mov_b32_e32 v38, 0
	s_and_saveexec_b64 s[54:55], vcc
	s_cbranch_execz .LBB117_223
; %bb.222:                              ;   in Loop: Header=BB117_221 Depth=2
	v_lshlrev_b64 v[38:39], 1, v[10:11]
	v_mov_b32_e32 v40, s66
	v_add_co_u32_e64 v38, s[20:21], s64, v38
	v_addc_co_u32_e64 v39, s[20:21], v40, v39, s[20:21]
	global_load_ushort v38, v[38:39], off
.LBB117_223:                            ;   in Loop: Header=BB117_221 Depth=2
	s_or_b64 exec, exec, s[54:55]
	s_and_saveexec_b64 s[20:21], vcc
	s_cbranch_execz .LBB117_220
; %bb.224:                              ;   in Loop: Header=BB117_221 Depth=2
	s_waitcnt vmcnt(0)
	v_cmp_lt_i16_e32 vcc, -1, v38
	v_cndmask_b32_e32 v39, v29, v30, vcc
	v_lshlrev_b32_e32 v40, 16, v38
	v_xor_b32_sdwa v39, v39, v38 dst_sel:DWORD dst_unused:UNUSED_PAD src0_sel:DWORD src1_sel:WORD_0
	v_cmp_o_f32_e32 vcc, v40, v40
	v_cndmask_b32_e32 v39, v29, v39, vcc
	v_and_b32_e32 v39, v39, v3
	v_cmp_eq_u32_e32 vcc, v39, v2
	s_and_b64 exec, exec, vcc
	s_cbranch_execz .LBB117_220
; %bb.225:                              ;   in Loop: Header=BB117_221 Depth=2
	s_movk_i32 s6, 0x3f80
	v_perm_b32 v38, v38, s6, v33
	ds_write_b32 v11, v38 offset:3072
	s_branch .LBB117_220
.LBB117_226:                            ;   in Loop: Header=BB117_15 Depth=1
	s_or_b64 exec, exec, s[56:57]
	v_lshrrev_b32_e32 v4, 16, v38
	s_and_b64 s[58:59], s[58:59], exec
.LBB117_227:                            ;   in Loop: Header=BB117_15 Depth=1
	v_readlane_b32 s6, v54, 56
	v_readlane_b32 s7, v54, 57
	s_or_b64 exec, exec, s[6:7]
	s_mov_b64 s[56:57], -1
	s_mov_b64 s[20:21], 0
	s_mov_b64 s[54:55], 0
.LBB117_228:                            ;   in Loop: Header=BB117_15 Depth=1
	s_orn2_b64 s[58:59], s[58:59], exec
.LBB117_229:                            ;   in Loop: Header=BB117_15 Depth=1
	s_or_b64 exec, exec, s[8:9]
	s_mov_b64 vcc, 0
                                        ; implicit-def: $vgpr10
                                        ; implicit-def: $vgpr38
	s_and_saveexec_b64 s[8:9], s[58:59]
	s_cbranch_execz .LBB117_241
; %bb.230:                              ;   in Loop: Header=BB117_15 Depth=1
	v_readlane_b32 s6, v54, 54
	v_readlane_b32 s7, v54, 55
	s_xor_b64 s[58:59], s[6:7], -1
	v_mov_b32_e32 v10, 1
	v_mov_b32_e32 v38, 1
	s_and_saveexec_b64 s[6:7], s[58:59]
	s_cbranch_execz .LBB117_240
; %bb.231:                              ;   in Loop: Header=BB117_15 Depth=1
	v_cmp_ge_u32_e32 vcc, s14, v5
                                        ; implicit-def: $sgpr11
	s_and_saveexec_b64 s[58:59], vcc
	s_xor_b64 s[58:59], exec, s[58:59]
	s_cbranch_execz .LBB117_237
; %bb.232:                              ;   in Loop: Header=BB117_15 Depth=1
	ds_read_b32 v10, v11 offset:4096
	s_waitcnt lgkmcnt(0)
	v_cmp_ne_u32_e32 vcc, 0, v10
	s_cbranch_vccnz .LBB117_236
; %bb.233:                              ;   in Loop: Header=BB117_15 Depth=1
	v_writelane_b32 v54, s58, 58
	v_writelane_b32 v54, s59, 59
	s_mov_b64 s[58:59], exec
	v_writelane_b32 v54, s58, 60
	v_writelane_b32 v54, s59, 61
	v_readlane_b32 vcc_lo, v54, 6
	v_readlane_b32 s58, v54, 60
	v_readlane_b32 vcc_hi, v54, 7
	v_readlane_b32 s59, v54, 61
	s_and_b64 vcc, s[58:59], vcc
	s_mov_b64 exec, vcc
	s_cbranch_execz .LBB117_235
; %bb.234:                              ;   in Loop: Header=BB117_15 Depth=1
	v_mov_b32_e32 v10, s14
	ds_write_b32 v11, v10 offset:4100
.LBB117_235:                            ;   in Loop: Header=BB117_15 Depth=1
	v_readlane_b32 vcc_lo, v54, 60
	v_readlane_b32 vcc_hi, v54, 61
	s_or_b64 exec, exec, vcc
	v_readlane_b32 s58, v54, 58
	v_readlane_b32 s59, v54, 59
	s_waitcnt lgkmcnt(0)
	s_barrier
.LBB117_236:                            ;   in Loop: Header=BB117_15 Depth=1
	v_or_b32_e32 v2, s53, v2
	v_or_b32_e32 v3, s53, v3
	s_mov_b32 s11, 8
.LBB117_237:                            ;   in Loop: Header=BB117_15 Depth=1
	s_or_saveexec_b64 s[58:59], s[58:59]
	v_mov_b32_e32 v10, s11
	s_xor_b64 exec, exec, s[58:59]
; %bb.238:                              ;   in Loop: Header=BB117_15 Depth=1
	v_subrev_u32_e32 v5, s14, v5
	v_mov_b32_e32 v10, 8
; %bb.239:                              ;   in Loop: Header=BB117_15 Depth=1
	s_or_b64 exec, exec, s[58:59]
	v_mov_b32_e32 v38, v5
.LBB117_240:                            ;   in Loop: Header=BB117_15 Depth=1
	s_or_b64 exec, exec, s[6:7]
	s_mov_b64 vcc, exec
.LBB117_241:                            ;   in Loop: Header=BB117_15 Depth=1
	s_or_b64 exec, exec, s[8:9]
	s_orn2_b64 s[6:7], vcc, exec
	v_mov_b32_e32 v5, v38
.LBB117_242:                            ;   in Loop: Header=BB117_15 Depth=1
	s_or_b64 exec, exec, s[16:17]
	s_andn2_b64 s[8:9], s[46:47], exec
	s_and_b64 s[16:17], s[20:21], exec
	s_or_b64 s[46:47], s[8:9], s[16:17]
	s_andn2_b64 s[8:9], s[50:51], exec
	s_and_b64 s[16:17], s[56:57], exec
	s_or_b64 s[50:51], s[8:9], s[16:17]
	v_readlane_b32 s8, v54, 52
	v_readlane_b32 s9, v54, 53
	s_andn2_b64 s[8:9], s[8:9], exec
	s_and_b64 s[16:17], s[54:55], exec
	s_or_b64 s[8:9], s[8:9], s[16:17]
	v_writelane_b32 v54, s8, 52
	s_and_b64 s[16:17], s[6:7], exec
	v_mov_b32_e32 v38, v5
	v_writelane_b32 v54, s9, 53
.LBB117_243:                            ;   in Loop: Header=BB117_15 Depth=1
	s_or_b64 exec, exec, s[48:49]
	v_readlane_b32 s6, v54, 52
	v_readlane_b32 s7, v54, 53
	s_and_b64 s[46:47], s[46:47], exec
	s_and_b64 s[20:21], s[50:51], exec
	;; [unrolled: 1-line block ×3, first 2 shown]
	s_orn2_b64 s[6:7], s[16:17], exec
.LBB117_244:                            ;   in Loop: Header=BB117_15 Depth=1
	s_or_b64 exec, exec, s[44:45]
	s_andn2_b64 s[16:17], s[36:37], exec
	s_and_b64 s[36:37], s[46:47], exec
	s_or_b64 s[36:37], s[16:17], s[36:37]
	s_andn2_b64 s[16:17], s[40:41], exec
	s_and_b64 s[20:21], s[20:21], exec
	s_or_b64 s[40:41], s[16:17], s[20:21]
	;; [unrolled: 3-line block ×3, first 2 shown]
	s_and_b64 s[20:21], s[6:7], exec
	v_mov_b32_e32 v5, v38
.LBB117_245:                            ;   in Loop: Header=BB117_15 Depth=1
	s_or_b64 exec, exec, s[42:43]
	s_and_b64 s[16:17], s[36:37], exec
	s_and_b64 s[8:9], s[40:41], exec
	;; [unrolled: 1-line block ×3, first 2 shown]
	s_orn2_b64 s[36:37], s[20:21], exec
.LBB117_246:                            ;   in Loop: Header=BB117_15 Depth=1
	s_or_b64 exec, exec, s[24:25]
	s_mov_b64 s[24:25], 0
	s_mov_b64 s[20:21], 0
	s_and_saveexec_b64 s[38:39], s[36:37]
	s_xor_b64 s[36:37], exec, s[38:39]
; %bb.247:                              ;   in Loop: Header=BB117_15 Depth=1
	v_cmp_eq_u32_e32 vcc, 8, v10
	v_cmp_ne_u32_e64 s[20:21], 8, v10
	s_andn2_b64 s[16:17], s[16:17], exec
	s_andn2_b64 s[8:9], s[8:9], exec
	;; [unrolled: 1-line block ×3, first 2 shown]
	s_and_b64 s[20:21], s[20:21], exec
	s_and_b64 s[24:25], vcc, exec
; %bb.248:                              ;   in Loop: Header=BB117_15 Depth=1
	s_or_b64 exec, exec, s[36:37]
	s_andn2_b64 s[22:23], s[22:23], exec
	s_and_b64 s[16:17], s[16:17], exec
	s_or_b64 s[22:23], s[22:23], s[16:17]
	s_andn2_b64 s[16:17], s[28:29], exec
	s_and_b64 s[8:9], s[8:9], exec
	s_or_b64 s[28:29], s[16:17], s[8:9]
	s_andn2_b64 s[8:9], s[26:27], exec
	s_and_b64 s[6:7], s[6:7], exec
	s_or_b64 s[26:27], s[8:9], s[6:7]
	s_and_b64 s[20:21], s[20:21], exec
	s_and_b64 s[24:25], s[24:25], exec
.LBB117_249:                            ;   in Loop: Header=BB117_15 Depth=1
	s_or_b64 exec, exec, s[34:35]
	s_and_b64 vcc, exec, s[30:31]
	s_cbranch_vccz .LBB117_99
.LBB117_250:                            ;   in Loop: Header=BB117_15 Depth=1
	s_cmp_eq_u32 s14, 1
	s_cselect_b64 s[6:7], -1, 0
	s_and_b64 s[6:7], s[6:7], s[18:19]
	s_mov_b64 s[16:17], -1
                                        ; implicit-def: $sgpr30_sgpr31
                                        ; implicit-def: $sgpr34_sgpr35
                                        ; implicit-def: $sgpr22_sgpr23
	s_and_saveexec_b64 s[8:9], s[6:7]
	s_cbranch_execz .LBB117_276
; %bb.251:                              ;   in Loop: Header=BB117_15 Depth=1
	ds_read_b32 v2, v11 offset:4096
	s_waitcnt lgkmcnt(0)
	s_barrier
	v_readfirstlane_b32 s11, v2
	s_mov_b64 s[16:17], exec
	v_readlane_b32 s18, v54, 30
	v_readlane_b32 s19, v54, 31
	s_and_b64 s[18:19], s[16:17], s[18:19]
	s_mov_b64 exec, s[18:19]
	s_cbranch_execz .LBB117_253
; %bb.252:                              ;   in Loop: Header=BB117_15 Depth=1
	ds_write_b16 v20, v11
.LBB117_253:                            ;   in Loop: Header=BB117_15 Depth=1
	s_or_b64 exec, exec, s[16:17]
	v_or_b32_e32 v35, s53, v35
	v_or_b32_e32 v34, s53, v34
	s_cmp_eq_u32 s11, 0
	s_waitcnt lgkmcnt(0)
	s_barrier
	s_cbranch_scc1 .LBB117_262
; %bb.254:                              ;   in Loop: Header=BB117_15 Depth=1
	v_readlane_b32 s15, v54, 21
	s_add_i32 s15, s11, s15
	v_readlane_b32 s16, v54, 47
	s_mul_hi_u32 s16, s15, s16
	s_mul_i32 s16, s16, s33
	s_sub_i32 s16, s15, s16
	s_sub_i32 s17, s16, s33
	s_cmp_ge_u32 s16, s33
	s_cselect_b32 s16, s17, s16
	s_sub_i32 s17, s16, s33
	s_cmp_ge_u32 s16, s33
	s_cselect_b32 s16, s17, s16
	s_sub_i32 s15, s15, s16
	v_cmp_gt_u32_e32 vcc, s15, v0
	s_mov_b64 s[18:19], 0
                                        ; implicit-def: $vgpr36
	s_and_saveexec_b64 s[16:17], vcc
	s_cbranch_execz .LBB117_264
; %bb.255:                              ;   in Loop: Header=BB117_15 Depth=1
	s_mov_b64 s[22:23], 0
	v_mov_b32_e32 v2, v19
	v_mov_b32_e32 v3, v0
                                        ; implicit-def: $sgpr26_sgpr27
	s_branch .LBB117_257
.LBB117_256:                            ;   in Loop: Header=BB117_257 Depth=2
	s_or_b64 exec, exec, s[18:19]
	s_waitcnt lgkmcnt(0)
	s_barrier
	ds_read_b32 v4, v11 offset:3072
	v_add_u32_e32 v3, s33, v3
	v_cmp_le_u32_e64 s[18:19], s15, v3
	v_add_u32_e32 v2, s10, v2
	s_waitcnt lgkmcnt(0)
	v_and_b32_e32 v5, 0x7fff, v4
	v_cmp_ne_u16_e32 vcc, 0, v5
	s_or_b64 s[18:19], s[18:19], vcc
	s_and_b64 s[18:19], exec, s[18:19]
	s_or_b64 s[22:23], s[18:19], s[22:23]
	s_andn2_b64 s[18:19], s[26:27], exec
	s_and_b64 s[26:27], vcc, exec
	s_or_b64 s[26:27], s[18:19], s[26:27]
	s_barrier
	s_andn2_b64 exec, exec, s[22:23]
	s_cbranch_execz .LBB117_263
.LBB117_257:                            ;   Parent Loop BB117_15 Depth=1
                                        ; =>  This Inner Loop Header: Depth=2
	v_cmp_gt_u32_e32 vcc, s11, v3
	v_mov_b32_e32 v4, 0
	s_and_saveexec_b64 s[18:19], vcc
	s_cbranch_execz .LBB117_259
; %bb.258:                              ;   in Loop: Header=BB117_257 Depth=2
	ds_read_u16 v4, v2
.LBB117_259:                            ;   in Loop: Header=BB117_257 Depth=2
	s_or_b64 exec, exec, s[18:19]
	s_and_saveexec_b64 s[18:19], vcc
	s_cbranch_execz .LBB117_256
; %bb.260:                              ;   in Loop: Header=BB117_257 Depth=2
	s_waitcnt lgkmcnt(0)
	v_cmp_lt_i16_e32 vcc, -1, v4
	v_cndmask_b32_e32 v5, v29, v30, vcc
	v_lshlrev_b32_e32 v10, 16, v4
	v_xor_b32_sdwa v5, v5, v4 dst_sel:DWORD dst_unused:UNUSED_PAD src0_sel:DWORD src1_sel:WORD_0
	v_cmp_o_f32_e32 vcc, v10, v10
	v_cndmask_b32_e32 v5, v29, v5, vcc
	v_and_b32_e32 v5, v5, v34
	v_cmp_eq_u32_e32 vcc, v5, v35
	s_and_b64 exec, exec, vcc
	s_cbranch_execz .LBB117_256
; %bb.261:                              ;   in Loop: Header=BB117_257 Depth=2
	s_movk_i32 s28, 0x3f80
	v_perm_b32 v4, v4, s28, v33
	ds_write_b32 v11, v4 offset:3072
	s_branch .LBB117_256
.LBB117_262:                            ;   in Loop: Header=BB117_15 Depth=1
	s_mov_b64 s[30:31], -1
	s_mov_b64 s[18:19], 0
                                        ; implicit-def: $sgpr34_sgpr35
                                        ; implicit-def: $vgpr36
	s_mov_b64 s[22:23], s[30:31]
	s_cbranch_execnz .LBB117_265
	s_branch .LBB117_275
.LBB117_263:                            ;   in Loop: Header=BB117_15 Depth=1
	s_or_b64 exec, exec, s[22:23]
	v_lshrrev_b32_e32 v36, 16, v4
	s_and_b64 s[18:19], s[26:27], exec
.LBB117_264:                            ;   in Loop: Header=BB117_15 Depth=1
	s_or_b64 exec, exec, s[16:17]
	s_mov_b64 s[30:31], 0
	s_mov_b64 s[34:35], -1
	s_mov_b64 s[22:23], s[30:31]
	s_branch .LBB117_275
.LBB117_265:                            ;   in Loop: Header=BB117_15 Depth=1
	s_mov_b64 s[18:19], 0
                                        ; implicit-def: $vgpr36
	s_mov_b64 s[16:17], exec
	v_readlane_b32 s22, v54, 48
	v_readlane_b32 s23, v54, 49
	s_and_b64 s[22:23], s[16:17], s[22:23]
	s_mov_b64 exec, s[22:23]
	s_cbranch_execz .LBB117_274
; %bb.266:                              ;   in Loop: Header=BB117_15 Depth=1
	s_mov_b64 s[22:23], 0
	v_mov_b32_e32 v10, v12
	v_mov_b32_e32 v2, v0
                                        ; implicit-def: $sgpr26_sgpr27
	s_branch .LBB117_268
.LBB117_267:                            ;   in Loop: Header=BB117_268 Depth=2
	s_or_b64 exec, exec, s[18:19]
	s_waitcnt lgkmcnt(0)
	s_barrier
	s_waitcnt vmcnt(0)
	ds_read_b32 v3, v11 offset:3072
	v_add_u32_e32 v2, s33, v2
	v_cmp_le_u32_e64 s[18:19], s12, v2
	v_add_u32_e32 v10, s76, v10
	s_waitcnt lgkmcnt(0)
	v_and_b32_e32 v4, 0x7fff, v3
	v_cmp_ne_u16_e32 vcc, 0, v4
	s_or_b64 s[18:19], s[18:19], vcc
	s_and_b64 s[18:19], exec, s[18:19]
	s_or_b64 s[22:23], s[18:19], s[22:23]
	s_andn2_b64 s[18:19], s[26:27], exec
	s_and_b64 s[26:27], vcc, exec
	s_or_b64 s[26:27], s[18:19], s[26:27]
	s_barrier
	s_andn2_b64 exec, exec, s[22:23]
	s_cbranch_execz .LBB117_273
.LBB117_268:                            ;   Parent Loop BB117_15 Depth=1
                                        ; =>  This Inner Loop Header: Depth=2
	v_cmp_gt_u32_e32 vcc, s60, v2
	v_mov_b32_e32 v3, 0
	s_and_saveexec_b64 s[28:29], vcc
	s_cbranch_execz .LBB117_270
; %bb.269:                              ;   in Loop: Header=BB117_268 Depth=2
	v_lshlrev_b64 v[4:5], 1, v[10:11]
	v_mov_b32_e32 v3, s66
	v_add_co_u32_e64 v4, s[18:19], s64, v4
	v_addc_co_u32_e64 v5, s[18:19], v3, v5, s[18:19]
	global_load_ushort v3, v[4:5], off
.LBB117_270:                            ;   in Loop: Header=BB117_268 Depth=2
	s_or_b64 exec, exec, s[28:29]
	s_and_saveexec_b64 s[18:19], vcc
	s_cbranch_execz .LBB117_267
; %bb.271:                              ;   in Loop: Header=BB117_268 Depth=2
	s_waitcnt vmcnt(0)
	v_cmp_lt_i16_e32 vcc, -1, v3
	v_cndmask_b32_e32 v4, v29, v30, vcc
	v_lshlrev_b32_e32 v5, 16, v3
	v_xor_b32_sdwa v4, v4, v3 dst_sel:DWORD dst_unused:UNUSED_PAD src0_sel:DWORD src1_sel:WORD_0
	v_cmp_o_f32_e32 vcc, v5, v5
	v_cndmask_b32_e32 v4, v29, v4, vcc
	v_and_b32_e32 v4, v4, v34
	v_cmp_eq_u32_e32 vcc, v4, v35
	s_and_b64 exec, exec, vcc
	s_cbranch_execz .LBB117_267
; %bb.272:                              ;   in Loop: Header=BB117_268 Depth=2
	s_movk_i32 s11, 0x3f80
	v_perm_b32 v3, v3, s11, v33
	ds_write_b32 v11, v3 offset:3072
	s_branch .LBB117_267
.LBB117_273:                            ;   in Loop: Header=BB117_15 Depth=1
	s_or_b64 exec, exec, s[22:23]
	v_lshrrev_b32_e32 v36, 16, v3
	s_and_b64 s[18:19], s[26:27], exec
.LBB117_274:                            ;   in Loop: Header=BB117_15 Depth=1
	s_or_b64 exec, exec, s[16:17]
	s_mov_b64 s[34:35], 0
	s_mov_b64 s[30:31], -1
	s_mov_b64 s[22:23], 0
.LBB117_275:                            ;   in Loop: Header=BB117_15 Depth=1
	s_orn2_b64 s[16:17], s[18:19], exec
.LBB117_276:                            ;   in Loop: Header=BB117_15 Depth=1
	s_or_b64 exec, exec, s[8:9]
                                        ; implicit-def: $vgpr10
                                        ; implicit-def: $vgpr5
                                        ; implicit-def: $vgpr2
                                        ; implicit-def: $vgpr3
                                        ; implicit-def: $vgpr4
	s_and_saveexec_b64 s[26:27], s[16:17]
	s_cbranch_execz .LBB117_411
; %bb.277:                              ;   in Loop: Header=BB117_15 Depth=1
	s_xor_b64 s[8:9], s[6:7], -1
	s_mov_b64 s[18:19], 0
	v_mov_b32_e32 v5, 1
	v_mov_b32_e32 v10, 1
	s_and_saveexec_b64 s[6:7], s[8:9]
	s_cbranch_execz .LBB117_287
; %bb.278:                              ;   in Loop: Header=BB117_15 Depth=1
	v_cmp_ge_u32_e32 vcc, s14, v37
                                        ; implicit-def: $sgpr11
                                        ; implicit-def: $sgpr8_sgpr9
	s_and_saveexec_b64 s[16:17], vcc
	s_xor_b64 s[16:17], exec, s[16:17]
	s_cbranch_execz .LBB117_284
; %bb.279:                              ;   in Loop: Header=BB117_15 Depth=1
	ds_read_b32 v2, v11 offset:4096
	s_waitcnt lgkmcnt(0)
	v_cmp_ne_u32_e32 vcc, 0, v2
	s_cbranch_vccnz .LBB117_283
; %bb.280:                              ;   in Loop: Header=BB117_15 Depth=1
	s_mov_b64 s[8:9], exec
	v_readlane_b32 s18, v54, 6
	v_readlane_b32 s19, v54, 7
	s_and_b64 s[18:19], s[8:9], s[18:19]
	s_mov_b64 exec, s[18:19]
	s_cbranch_execz .LBB117_282
; %bb.281:                              ;   in Loop: Header=BB117_15 Depth=1
	v_mov_b32_e32 v2, s14
	ds_write_b32 v11, v2 offset:4100
.LBB117_282:                            ;   in Loop: Header=BB117_15 Depth=1
	s_or_b64 exec, exec, s[8:9]
	s_waitcnt lgkmcnt(0)
	s_barrier
.LBB117_283:                            ;   in Loop: Header=BB117_15 Depth=1
	v_or_b32_e32 v35, s53, v35
	v_or_b32_e32 v34, s53, v34
	s_mov_b64 s[8:9], 0
	s_mov_b32 s11, 5
.LBB117_284:                            ;   in Loop: Header=BB117_15 Depth=1
	s_or_saveexec_b64 s[16:17], s[16:17]
	v_mov_b32_e32 v10, s11
	s_xor_b64 exec, exec, s[16:17]
; %bb.285:                              ;   in Loop: Header=BB117_15 Depth=1
	v_subrev_u32_e32 v37, s14, v37
	v_mov_b32_e32 v10, 0
	s_or_b64 s[8:9], s[8:9], exec
; %bb.286:                              ;   in Loop: Header=BB117_15 Depth=1
	s_or_b64 exec, exec, s[16:17]
	s_and_b64 s[18:19], s[8:9], exec
	v_mov_b32_e32 v5, v37
.LBB117_287:                            ;   in Loop: Header=BB117_15 Depth=1
	s_or_b64 exec, exec, s[6:7]
	s_mov_b64 s[36:37], -1
                                        ; implicit-def: $sgpr6_sgpr7
                                        ; implicit-def: $sgpr8_sgpr9
                                        ; implicit-def: $sgpr16_sgpr17
	s_and_saveexec_b64 s[14:15], s[18:19]
	s_xor_b64 s[28:29], exec, s[14:15]
	s_cbranch_execz .LBB117_408
; %bb.288:                              ;   in Loop: Header=BB117_15 Depth=1
	s_cmp_eq_u32 s75, 1
	s_cselect_b64 s[6:7], -1, 0
	v_cmp_eq_u32_e32 vcc, 1, v5
	s_and_b64 s[6:7], s[6:7], vcc
	s_mov_b64 s[16:17], -1
                                        ; implicit-def: $sgpr36_sgpr37
                                        ; implicit-def: $sgpr38_sgpr39
                                        ; implicit-def: $sgpr40_sgpr41
	s_and_saveexec_b64 s[8:9], s[6:7]
	s_cbranch_execz .LBB117_314
; %bb.289:                              ;   in Loop: Header=BB117_15 Depth=1
	ds_read_b32 v2, v11 offset:4096
	s_waitcnt lgkmcnt(0)
	s_barrier
	v_readfirstlane_b32 s11, v2
	s_mov_b64 s[16:17], exec
	v_readlane_b32 s14, v54, 30
	v_readlane_b32 s15, v54, 31
	s_and_b64 s[14:15], s[16:17], s[14:15]
	s_mov_b64 exec, s[14:15]
	s_cbranch_execz .LBB117_291
; %bb.290:                              ;   in Loop: Header=BB117_15 Depth=1
	ds_write_b16 v20, v11
.LBB117_291:                            ;   in Loop: Header=BB117_15 Depth=1
	s_or_b64 exec, exec, s[16:17]
	v_and_b32_e32 v2, s4, v35
	v_lshl_or_b32 v35, 2, s74, v2
	v_or_b32_e32 v34, s53, v34
	s_cmp_eq_u32 s11, 0
	s_waitcnt lgkmcnt(0)
	s_barrier
	s_cbranch_scc1 .LBB117_300
; %bb.292:                              ;   in Loop: Header=BB117_15 Depth=1
	v_readlane_b32 s14, v54, 21
	s_add_i32 s14, s11, s14
	v_readlane_b32 s15, v54, 47
	s_mul_hi_u32 s15, s14, s15
	s_mul_i32 s15, s15, s33
	s_sub_i32 s15, s14, s15
	s_sub_i32 s16, s15, s33
	s_cmp_ge_u32 s15, s33
	s_cselect_b32 s15, s16, s15
	s_sub_i32 s16, s15, s33
	s_cmp_ge_u32 s15, s33
	s_cselect_b32 s15, s16, s15
	s_sub_i32 s14, s14, s15
	v_cmp_gt_u32_e32 vcc, s14, v0
	s_mov_b64 s[18:19], 0
                                        ; implicit-def: $vgpr36
	s_and_saveexec_b64 s[16:17], vcc
	s_cbranch_execz .LBB117_302
; %bb.293:                              ;   in Loop: Header=BB117_15 Depth=1
	s_mov_b64 s[36:37], 0
	v_mov_b32_e32 v2, v19
	v_mov_b32_e32 v3, v0
                                        ; implicit-def: $sgpr38_sgpr39
	s_branch .LBB117_295
.LBB117_294:                            ;   in Loop: Header=BB117_295 Depth=2
	s_or_b64 exec, exec, s[18:19]
	s_waitcnt lgkmcnt(0)
	s_barrier
	ds_read_b32 v4, v11 offset:3072
	v_add_u32_e32 v3, s33, v3
	v_cmp_le_u32_e64 s[18:19], s14, v3
	v_add_u32_e32 v2, s10, v2
	s_waitcnt lgkmcnt(0)
	v_and_b32_e32 v10, 0x7fff, v4
	v_cmp_ne_u16_e32 vcc, 0, v10
	s_or_b64 s[18:19], s[18:19], vcc
	s_and_b64 s[18:19], exec, s[18:19]
	s_or_b64 s[36:37], s[18:19], s[36:37]
	s_andn2_b64 s[18:19], s[38:39], exec
	s_and_b64 s[38:39], vcc, exec
	s_or_b64 s[38:39], s[18:19], s[38:39]
	s_barrier
	s_andn2_b64 exec, exec, s[36:37]
	s_cbranch_execz .LBB117_301
.LBB117_295:                            ;   Parent Loop BB117_15 Depth=1
                                        ; =>  This Inner Loop Header: Depth=2
	v_cmp_gt_u32_e32 vcc, s11, v3
	v_mov_b32_e32 v4, 0
	s_and_saveexec_b64 s[18:19], vcc
	s_cbranch_execz .LBB117_297
; %bb.296:                              ;   in Loop: Header=BB117_295 Depth=2
	ds_read_u16 v4, v2
.LBB117_297:                            ;   in Loop: Header=BB117_295 Depth=2
	s_or_b64 exec, exec, s[18:19]
	s_and_saveexec_b64 s[18:19], vcc
	s_cbranch_execz .LBB117_294
; %bb.298:                              ;   in Loop: Header=BB117_295 Depth=2
	s_waitcnt lgkmcnt(0)
	v_cmp_lt_i16_e32 vcc, -1, v4
	v_cndmask_b32_e32 v10, v29, v30, vcc
	v_lshlrev_b32_e32 v36, 16, v4
	v_xor_b32_sdwa v10, v10, v4 dst_sel:DWORD dst_unused:UNUSED_PAD src0_sel:DWORD src1_sel:WORD_0
	v_cmp_o_f32_e32 vcc, v36, v36
	v_cndmask_b32_e32 v10, v29, v10, vcc
	v_and_b32_e32 v10, v10, v34
	v_cmp_eq_u32_e32 vcc, v10, v35
	s_and_b64 exec, exec, vcc
	s_cbranch_execz .LBB117_294
; %bb.299:                              ;   in Loop: Header=BB117_295 Depth=2
	s_movk_i32 s15, 0x3f80
	v_perm_b32 v4, v4, s15, v33
	ds_write_b32 v11, v4 offset:3072
	s_branch .LBB117_294
.LBB117_300:                            ;   in Loop: Header=BB117_15 Depth=1
	s_mov_b64 s[36:37], -1
	s_mov_b64 s[18:19], 0
                                        ; implicit-def: $sgpr38_sgpr39
                                        ; implicit-def: $vgpr36
	s_mov_b64 s[40:41], s[36:37]
	s_cbranch_execnz .LBB117_303
	s_branch .LBB117_313
.LBB117_301:                            ;   in Loop: Header=BB117_15 Depth=1
	s_or_b64 exec, exec, s[36:37]
	v_lshrrev_b32_e32 v36, 16, v4
	s_and_b64 s[18:19], s[38:39], exec
.LBB117_302:                            ;   in Loop: Header=BB117_15 Depth=1
	s_or_b64 exec, exec, s[16:17]
	s_mov_b64 s[36:37], 0
	s_mov_b64 s[38:39], -1
	s_mov_b64 s[40:41], s[36:37]
	s_branch .LBB117_313
.LBB117_303:                            ;   in Loop: Header=BB117_15 Depth=1
	s_mov_b64 s[18:19], 0
                                        ; implicit-def: $vgpr36
	s_mov_b64 s[16:17], exec
	v_readlane_b32 s14, v54, 48
	v_readlane_b32 s15, v54, 49
	s_and_b64 s[14:15], s[16:17], s[14:15]
	s_mov_b64 exec, s[14:15]
	s_cbranch_execz .LBB117_312
; %bb.304:                              ;   in Loop: Header=BB117_15 Depth=1
	s_mov_b64 s[36:37], 0
	v_mov_b32_e32 v10, v12
	v_mov_b32_e32 v2, v0
                                        ; implicit-def: $sgpr38_sgpr39
	s_branch .LBB117_306
.LBB117_305:                            ;   in Loop: Header=BB117_306 Depth=2
	s_or_b64 exec, exec, s[18:19]
	s_waitcnt lgkmcnt(0)
	s_barrier
	s_waitcnt vmcnt(0)
	ds_read_b32 v3, v11 offset:3072
	v_add_u32_e32 v2, s33, v2
	v_cmp_le_u32_e64 s[18:19], s12, v2
	v_add_u32_e32 v10, s76, v10
	s_waitcnt lgkmcnt(0)
	v_and_b32_e32 v4, 0x7fff, v3
	v_cmp_ne_u16_e32 vcc, 0, v4
	s_or_b64 s[14:15], s[18:19], vcc
	s_and_b64 s[14:15], exec, s[14:15]
	s_or_b64 s[36:37], s[14:15], s[36:37]
	s_andn2_b64 s[14:15], s[38:39], exec
	s_and_b64 s[18:19], vcc, exec
	s_or_b64 s[38:39], s[14:15], s[18:19]
	s_barrier
	s_andn2_b64 exec, exec, s[36:37]
	s_cbranch_execz .LBB117_311
.LBB117_306:                            ;   Parent Loop BB117_15 Depth=1
                                        ; =>  This Inner Loop Header: Depth=2
	v_cmp_gt_u32_e32 vcc, s60, v2
	v_mov_b32_e32 v3, 0
	s_and_saveexec_b64 s[40:41], vcc
	s_cbranch_execz .LBB117_308
; %bb.307:                              ;   in Loop: Header=BB117_306 Depth=2
	v_lshlrev_b64 v[36:37], 1, v[10:11]
	v_mov_b32_e32 v3, s66
	v_add_co_u32_e64 v36, s[18:19], s64, v36
	v_addc_co_u32_e64 v37, s[18:19], v3, v37, s[18:19]
	global_load_ushort v3, v[36:37], off
.LBB117_308:                            ;   in Loop: Header=BB117_306 Depth=2
	s_or_b64 exec, exec, s[40:41]
	s_and_saveexec_b64 s[18:19], vcc
	s_cbranch_execz .LBB117_305
; %bb.309:                              ;   in Loop: Header=BB117_306 Depth=2
	s_waitcnt vmcnt(0)
	v_cmp_lt_i16_e32 vcc, -1, v3
	v_cndmask_b32_e32 v4, v29, v30, vcc
	v_lshlrev_b32_e32 v36, 16, v3
	v_xor_b32_sdwa v4, v4, v3 dst_sel:DWORD dst_unused:UNUSED_PAD src0_sel:DWORD src1_sel:WORD_0
	v_cmp_o_f32_e32 vcc, v36, v36
	v_cndmask_b32_e32 v4, v29, v4, vcc
	v_and_b32_e32 v4, v4, v34
	v_cmp_eq_u32_e32 vcc, v4, v35
	s_and_b64 exec, exec, vcc
	s_cbranch_execz .LBB117_305
; %bb.310:                              ;   in Loop: Header=BB117_306 Depth=2
	s_movk_i32 s11, 0x3f80
	v_perm_b32 v3, v3, s11, v33
	ds_write_b32 v11, v3 offset:3072
	s_branch .LBB117_305
.LBB117_311:                            ;   in Loop: Header=BB117_15 Depth=1
	s_or_b64 exec, exec, s[36:37]
	v_lshrrev_b32_e32 v36, 16, v3
	s_and_b64 s[18:19], s[38:39], exec
.LBB117_312:                            ;   in Loop: Header=BB117_15 Depth=1
	s_or_b64 exec, exec, s[16:17]
	s_mov_b64 s[38:39], 0
	s_mov_b64 s[36:37], -1
	s_mov_b64 s[40:41], 0
.LBB117_313:                            ;   in Loop: Header=BB117_15 Depth=1
	s_orn2_b64 s[16:17], s[18:19], exec
.LBB117_314:                            ;   in Loop: Header=BB117_15 Depth=1
	s_or_b64 exec, exec, s[8:9]
	s_mov_b64 s[18:19], 0
                                        ; implicit-def: $vgpr10
	s_and_saveexec_b64 s[42:43], s[16:17]
	s_cbranch_execz .LBB117_407
; %bb.315:                              ;   in Loop: Header=BB117_15 Depth=1
	s_xor_b64 s[8:9], s[6:7], -1
	s_mov_b64 s[16:17], 0
	v_mov_b32_e32 v2, 1
	v_mov_b32_e32 v10, 1
	s_and_saveexec_b64 s[6:7], s[8:9]
	s_cbranch_execz .LBB117_325
; %bb.316:                              ;   in Loop: Header=BB117_15 Depth=1
	v_cmp_ge_u32_e32 vcc, s75, v5
                                        ; implicit-def: $sgpr11
                                        ; implicit-def: $sgpr8_sgpr9
	s_and_saveexec_b64 s[14:15], vcc
	s_xor_b64 s[16:17], exec, s[14:15]
	s_cbranch_execz .LBB117_322
; %bb.317:                              ;   in Loop: Header=BB117_15 Depth=1
	ds_read_b32 v2, v11 offset:4096
	s_waitcnt lgkmcnt(0)
	v_cmp_ne_u32_e32 vcc, 0, v2
	s_cbranch_vccnz .LBB117_321
; %bb.318:                              ;   in Loop: Header=BB117_15 Depth=1
	s_mov_b64 s[8:9], exec
	v_readlane_b32 s14, v54, 6
	v_readlane_b32 s15, v54, 7
	s_and_b64 s[14:15], s[8:9], s[14:15]
	s_mov_b64 exec, s[14:15]
	s_cbranch_execz .LBB117_320
; %bb.319:                              ;   in Loop: Header=BB117_15 Depth=1
	v_mov_b32_e32 v2, s75
	ds_write_b32 v11, v2 offset:4100
.LBB117_320:                            ;   in Loop: Header=BB117_15 Depth=1
	s_or_b64 exec, exec, s[8:9]
	s_waitcnt lgkmcnt(0)
	s_barrier
.LBB117_321:                            ;   in Loop: Header=BB117_15 Depth=1
	v_and_b32_e32 v2, s4, v35
	v_lshl_or_b32 v35, 2, s74, v2
	v_or_b32_e32 v34, s53, v34
	s_mov_b64 s[8:9], 0
	s_mov_b32 s11, 5
.LBB117_322:                            ;   in Loop: Header=BB117_15 Depth=1
	s_or_saveexec_b64 s[16:17], s[16:17]
	v_mov_b32_e32 v10, s11
	s_xor_b64 exec, exec, s[16:17]
; %bb.323:                              ;   in Loop: Header=BB117_15 Depth=1
	v_subrev_u32_e32 v5, s75, v5
	v_mov_b32_e32 v10, 0
	s_or_b64 s[8:9], s[8:9], exec
; %bb.324:                              ;   in Loop: Header=BB117_15 Depth=1
	s_or_b64 exec, exec, s[16:17]
	s_and_b64 s[16:17], s[8:9], exec
	v_mov_b32_e32 v2, v5
.LBB117_325:                            ;   in Loop: Header=BB117_15 Depth=1
	s_or_b64 exec, exec, s[6:7]
	s_mov_b64 s[6:7], -1
                                        ; implicit-def: $sgpr8_sgpr9
                                        ; implicit-def: $sgpr18_sgpr19
                                        ; implicit-def: $sgpr46_sgpr47
	s_and_saveexec_b64 s[44:45], s[16:17]
	s_cbranch_execz .LBB117_406
; %bb.326:                              ;   in Loop: Header=BB117_15 Depth=1
	s_cmp_eq_u32 s5, 1
	s_cselect_b64 s[6:7], -1, 0
	v_cmp_eq_u32_e32 vcc, 1, v2
	s_and_b64 s[6:7], s[6:7], vcc
	s_mov_b64 s[18:19], -1
                                        ; implicit-def: $sgpr46_sgpr47
                                        ; implicit-def: $sgpr8_sgpr9
                                        ; kill: killed $sgpr8_sgpr9
                                        ; implicit-def: $sgpr50_sgpr51
	s_and_saveexec_b64 s[8:9], s[6:7]
	s_cbranch_execz .LBB117_352
; %bb.327:                              ;   in Loop: Header=BB117_15 Depth=1
	ds_read_b32 v3, v11 offset:4096
	s_waitcnt lgkmcnt(0)
	s_barrier
	v_readfirstlane_b32 s11, v3
	s_mov_b64 s[16:17], exec
	v_readlane_b32 s14, v54, 30
	v_readlane_b32 s15, v54, 31
	s_and_b64 s[14:15], s[16:17], s[14:15]
	s_mov_b64 exec, s[14:15]
	s_cbranch_execz .LBB117_329
; %bb.328:                              ;   in Loop: Header=BB117_15 Depth=1
	ds_write_b16 v20, v11
.LBB117_329:                            ;   in Loop: Header=BB117_15 Depth=1
	s_or_b64 exec, exec, s[16:17]
	v_and_b32_e32 v3, s4, v35
	v_lshl_or_b32 v35, 1, s74, v3
	v_or_b32_e32 v34, s53, v34
	s_cmp_eq_u32 s11, 0
	s_waitcnt lgkmcnt(0)
	s_barrier
	s_cbranch_scc1 .LBB117_338
; %bb.330:                              ;   in Loop: Header=BB117_15 Depth=1
	v_readlane_b32 s14, v54, 21
	s_add_i32 s14, s11, s14
	v_readlane_b32 s15, v54, 47
	s_mul_hi_u32 s15, s14, s15
	s_mul_i32 s15, s15, s33
	s_sub_i32 s15, s14, s15
	s_sub_i32 s16, s15, s33
	s_cmp_ge_u32 s15, s33
	s_cselect_b32 s15, s16, s15
	s_sub_i32 s16, s15, s33
	s_cmp_ge_u32 s15, s33
	s_cselect_b32 s15, s16, s15
	s_sub_i32 s14, s14, s15
	v_cmp_gt_u32_e32 vcc, s14, v0
	s_mov_b64 s[18:19], 0
                                        ; implicit-def: $vgpr36
	s_and_saveexec_b64 s[16:17], vcc
	s_cbranch_execz .LBB117_340
; %bb.331:                              ;   in Loop: Header=BB117_15 Depth=1
	s_mov_b64 s[46:47], 0
	v_mov_b32_e32 v3, v19
	v_mov_b32_e32 v4, v0
                                        ; implicit-def: $sgpr48_sgpr49
	s_branch .LBB117_333
.LBB117_332:                            ;   in Loop: Header=BB117_333 Depth=2
	s_or_b64 exec, exec, s[18:19]
	s_waitcnt lgkmcnt(0)
	s_barrier
	ds_read_b32 v5, v11 offset:3072
	v_add_u32_e32 v4, s33, v4
	v_cmp_le_u32_e64 s[18:19], s14, v4
	v_add_u32_e32 v3, s10, v3
	s_waitcnt lgkmcnt(0)
	v_and_b32_e32 v10, 0x7fff, v5
	v_cmp_ne_u16_e32 vcc, 0, v10
	s_or_b64 s[18:19], s[18:19], vcc
	s_and_b64 s[18:19], exec, s[18:19]
	s_or_b64 s[46:47], s[18:19], s[46:47]
	s_andn2_b64 s[18:19], s[48:49], exec
	s_and_b64 s[48:49], vcc, exec
	s_or_b64 s[48:49], s[18:19], s[48:49]
	s_barrier
	s_andn2_b64 exec, exec, s[46:47]
	s_cbranch_execz .LBB117_339
.LBB117_333:                            ;   Parent Loop BB117_15 Depth=1
                                        ; =>  This Inner Loop Header: Depth=2
	v_cmp_gt_u32_e32 vcc, s11, v4
	v_mov_b32_e32 v5, 0
	s_and_saveexec_b64 s[18:19], vcc
	s_cbranch_execz .LBB117_335
; %bb.334:                              ;   in Loop: Header=BB117_333 Depth=2
	ds_read_u16 v5, v3
.LBB117_335:                            ;   in Loop: Header=BB117_333 Depth=2
	s_or_b64 exec, exec, s[18:19]
	s_and_saveexec_b64 s[18:19], vcc
	s_cbranch_execz .LBB117_332
; %bb.336:                              ;   in Loop: Header=BB117_333 Depth=2
	s_waitcnt lgkmcnt(0)
	v_cmp_lt_i16_e32 vcc, -1, v5
	v_cndmask_b32_e32 v10, v29, v30, vcc
	v_lshlrev_b32_e32 v36, 16, v5
	v_xor_b32_sdwa v10, v10, v5 dst_sel:DWORD dst_unused:UNUSED_PAD src0_sel:DWORD src1_sel:WORD_0
	v_cmp_o_f32_e32 vcc, v36, v36
	v_cndmask_b32_e32 v10, v29, v10, vcc
	v_and_b32_e32 v10, v10, v34
	v_cmp_eq_u32_e32 vcc, v10, v35
	s_and_b64 exec, exec, vcc
	s_cbranch_execz .LBB117_332
; %bb.337:                              ;   in Loop: Header=BB117_333 Depth=2
	s_movk_i32 s15, 0x3f80
	v_perm_b32 v5, v5, s15, v33
	ds_write_b32 v11, v5 offset:3072
	s_branch .LBB117_332
.LBB117_338:                            ;   in Loop: Header=BB117_15 Depth=1
	s_mov_b64 s[46:47], -1
	s_mov_b64 s[18:19], 0
                                        ; implicit-def: $sgpr14_sgpr15
                                        ; kill: killed $sgpr14_sgpr15
                                        ; implicit-def: $vgpr36
	s_mov_b64 s[50:51], s[46:47]
	s_cbranch_execnz .LBB117_341
	s_branch .LBB117_351
.LBB117_339:                            ;   in Loop: Header=BB117_15 Depth=1
	s_or_b64 exec, exec, s[46:47]
	v_lshrrev_b32_e32 v36, 16, v5
	s_and_b64 s[18:19], s[48:49], exec
.LBB117_340:                            ;   in Loop: Header=BB117_15 Depth=1
	s_or_b64 exec, exec, s[16:17]
	s_mov_b64 s[14:15], -1
	s_mov_b64 s[46:47], 0
	v_writelane_b32 v54, s14, 50
	v_writelane_b32 v54, s15, 51
	s_mov_b64 s[50:51], s[46:47]
	s_branch .LBB117_351
.LBB117_341:                            ;   in Loop: Header=BB117_15 Depth=1
	s_mov_b64 s[18:19], 0
                                        ; implicit-def: $vgpr36
	s_mov_b64 s[16:17], exec
	v_readlane_b32 s14, v54, 48
	v_readlane_b32 s15, v54, 49
	s_and_b64 s[14:15], s[16:17], s[14:15]
	s_mov_b64 exec, s[14:15]
	s_cbranch_execz .LBB117_350
; %bb.342:                              ;   in Loop: Header=BB117_15 Depth=1
	s_mov_b64 s[46:47], 0
	v_mov_b32_e32 v10, v12
	v_mov_b32_e32 v3, v0
                                        ; implicit-def: $sgpr48_sgpr49
	s_branch .LBB117_344
.LBB117_343:                            ;   in Loop: Header=BB117_344 Depth=2
	s_or_b64 exec, exec, s[18:19]
	s_waitcnt lgkmcnt(0)
	s_barrier
	s_waitcnt vmcnt(0)
	ds_read_b32 v4, v11 offset:3072
	v_add_u32_e32 v3, s33, v3
	v_cmp_le_u32_e64 s[18:19], s12, v3
	v_add_u32_e32 v10, s76, v10
	s_waitcnt lgkmcnt(0)
	v_and_b32_e32 v5, 0x7fff, v4
	v_cmp_ne_u16_e32 vcc, 0, v5
	s_or_b64 s[14:15], s[18:19], vcc
	s_and_b64 s[14:15], exec, s[14:15]
	s_or_b64 s[46:47], s[14:15], s[46:47]
	s_andn2_b64 s[14:15], s[48:49], exec
	s_and_b64 s[18:19], vcc, exec
	s_or_b64 s[48:49], s[14:15], s[18:19]
	s_barrier
	s_andn2_b64 exec, exec, s[46:47]
	s_cbranch_execz .LBB117_349
.LBB117_344:                            ;   Parent Loop BB117_15 Depth=1
                                        ; =>  This Inner Loop Header: Depth=2
	v_cmp_gt_u32_e32 vcc, s60, v3
	v_mov_b32_e32 v4, 0
	s_and_saveexec_b64 s[50:51], vcc
	s_cbranch_execz .LBB117_346
; %bb.345:                              ;   in Loop: Header=BB117_344 Depth=2
	v_lshlrev_b64 v[4:5], 1, v[10:11]
	v_mov_b32_e32 v36, s66
	v_add_co_u32_e64 v4, s[18:19], s64, v4
	v_addc_co_u32_e64 v5, s[18:19], v36, v5, s[18:19]
	global_load_ushort v4, v[4:5], off
.LBB117_346:                            ;   in Loop: Header=BB117_344 Depth=2
	s_or_b64 exec, exec, s[50:51]
	s_and_saveexec_b64 s[18:19], vcc
	s_cbranch_execz .LBB117_343
; %bb.347:                              ;   in Loop: Header=BB117_344 Depth=2
	s_waitcnt vmcnt(0)
	v_cmp_lt_i16_e32 vcc, -1, v4
	v_cndmask_b32_e32 v5, v29, v30, vcc
	v_lshlrev_b32_e32 v36, 16, v4
	v_xor_b32_sdwa v5, v5, v4 dst_sel:DWORD dst_unused:UNUSED_PAD src0_sel:DWORD src1_sel:WORD_0
	v_cmp_o_f32_e32 vcc, v36, v36
	v_cndmask_b32_e32 v5, v29, v5, vcc
	v_and_b32_e32 v5, v5, v34
	v_cmp_eq_u32_e32 vcc, v5, v35
	s_and_b64 exec, exec, vcc
	s_cbranch_execz .LBB117_343
; %bb.348:                              ;   in Loop: Header=BB117_344 Depth=2
	s_movk_i32 s11, 0x3f80
	v_perm_b32 v4, v4, s11, v33
	ds_write_b32 v11, v4 offset:3072
	s_branch .LBB117_343
.LBB117_349:                            ;   in Loop: Header=BB117_15 Depth=1
	s_or_b64 exec, exec, s[46:47]
	v_lshrrev_b32_e32 v36, 16, v4
	s_and_b64 s[18:19], s[48:49], exec
.LBB117_350:                            ;   in Loop: Header=BB117_15 Depth=1
	s_or_b64 exec, exec, s[16:17]
	s_mov_b64 s[14:15], 0
	v_writelane_b32 v54, s14, 50
	s_mov_b64 s[46:47], -1
	s_mov_b64 s[50:51], 0
	v_writelane_b32 v54, s15, 51
.LBB117_351:                            ;   in Loop: Header=BB117_15 Depth=1
	s_orn2_b64 s[18:19], s[18:19], exec
.LBB117_352:                            ;   in Loop: Header=BB117_15 Depth=1
	s_or_b64 exec, exec, s[8:9]
	s_mov_b64 s[16:17], 0
                                        ; implicit-def: $vgpr10
	s_and_saveexec_b64 s[48:49], s[18:19]
	s_cbranch_execz .LBB117_405
; %bb.353:                              ;   in Loop: Header=BB117_15 Depth=1
	s_xor_b64 s[14:15], s[6:7], -1
	s_mov_b64 s[8:9], 0
	v_mov_b32_e32 v3, 1
	v_mov_b32_e32 v10, 1
	s_and_saveexec_b64 s[6:7], s[14:15]
	s_cbranch_execz .LBB117_363
; %bb.354:                              ;   in Loop: Header=BB117_15 Depth=1
	v_cmp_ge_u32_e32 vcc, s5, v2
                                        ; implicit-def: $sgpr11
                                        ; implicit-def: $sgpr8_sgpr9
	s_and_saveexec_b64 s[14:15], vcc
	s_xor_b64 s[16:17], exec, s[14:15]
	s_cbranch_execz .LBB117_360
; %bb.355:                              ;   in Loop: Header=BB117_15 Depth=1
	ds_read_b32 v3, v11 offset:4096
	s_waitcnt lgkmcnt(0)
	v_cmp_ne_u32_e32 vcc, 0, v3
	s_cbranch_vccnz .LBB117_359
; %bb.356:                              ;   in Loop: Header=BB117_15 Depth=1
	s_mov_b64 s[8:9], exec
	v_readlane_b32 s14, v54, 6
	v_readlane_b32 s15, v54, 7
	s_and_b64 s[14:15], s[8:9], s[14:15]
	s_mov_b64 exec, s[14:15]
	s_cbranch_execz .LBB117_358
; %bb.357:                              ;   in Loop: Header=BB117_15 Depth=1
	v_mov_b32_e32 v3, s5
	ds_write_b32 v11, v3 offset:4100
.LBB117_358:                            ;   in Loop: Header=BB117_15 Depth=1
	s_or_b64 exec, exec, s[8:9]
	s_waitcnt lgkmcnt(0)
	s_barrier
.LBB117_359:                            ;   in Loop: Header=BB117_15 Depth=1
	v_and_b32_e32 v3, s4, v35
	v_lshl_or_b32 v35, 1, s74, v3
	v_or_b32_e32 v34, s53, v34
	s_mov_b64 s[8:9], 0
	s_mov_b32 s11, 5
.LBB117_360:                            ;   in Loop: Header=BB117_15 Depth=1
	s_or_saveexec_b64 s[16:17], s[16:17]
	v_mov_b32_e32 v10, s11
	s_xor_b64 exec, exec, s[16:17]
; %bb.361:                              ;   in Loop: Header=BB117_15 Depth=1
	v_subrev_u32_e32 v2, s5, v2
	v_mov_b32_e32 v10, 0
	s_or_b64 s[8:9], s[8:9], exec
; %bb.362:                              ;   in Loop: Header=BB117_15 Depth=1
	s_or_b64 exec, exec, s[16:17]
	s_and_b64 s[8:9], s[8:9], exec
	v_mov_b32_e32 v3, v2
.LBB117_363:                            ;   in Loop: Header=BB117_15 Depth=1
	s_or_b64 exec, exec, s[6:7]
	s_mov_b64 s[6:7], -1
                                        ; implicit-def: $sgpr18_sgpr19
                                        ; implicit-def: $sgpr54_sgpr55
                                        ; implicit-def: $sgpr56_sgpr57
	s_and_saveexec_b64 s[16:17], s[8:9]
	s_cbranch_execz .LBB117_404
; %bb.364:                              ;   in Loop: Header=BB117_15 Depth=1
	s_cmp_eq_u32 s52, 1
	s_cselect_b64 s[6:7], -1, 0
	v_cmp_eq_u32_e32 vcc, 1, v3
	s_and_b64 s[6:7], s[6:7], vcc
	s_mov_b64 s[58:59], -1
                                        ; implicit-def: $sgpr18_sgpr19
                                        ; implicit-def: $sgpr54_sgpr55
                                        ; implicit-def: $sgpr56_sgpr57
	s_and_saveexec_b64 s[8:9], s[6:7]
	s_cbranch_execz .LBB117_391
; %bb.365:                              ;   in Loop: Header=BB117_15 Depth=1
	ds_read_b32 v2, v11 offset:4096
	s_waitcnt lgkmcnt(0)
	s_barrier
	v_readfirstlane_b32 s5, v2
	s_mov_b64 s[18:19], exec
	v_readlane_b32 s14, v54, 30
	v_readlane_b32 s15, v54, 31
	s_and_b64 s[14:15], s[18:19], s[14:15]
	s_mov_b64 exec, s[14:15]
	s_cbranch_execz .LBB117_367
; %bb.366:                              ;   in Loop: Header=BB117_15 Depth=1
	ds_write_b16 v20, v11
.LBB117_367:                            ;   in Loop: Header=BB117_15 Depth=1
	s_or_b64 exec, exec, s[18:19]
	v_and_b32_e32 v35, s4, v35
	v_or_b32_e32 v34, s53, v34
	s_cmp_eq_u32 s5, 0
	s_waitcnt lgkmcnt(0)
	s_barrier
	s_cbranch_scc1 .LBB117_376
; %bb.368:                              ;   in Loop: Header=BB117_15 Depth=1
	v_readlane_b32 s11, v54, 21
	s_add_i32 s11, s5, s11
	v_readlane_b32 s14, v54, 47
	s_mul_hi_u32 s14, s11, s14
	s_mul_i32 s14, s14, s33
	s_sub_i32 s14, s11, s14
	s_sub_i32 s15, s14, s33
	s_cmp_ge_u32 s14, s33
	s_cselect_b32 s14, s15, s14
	s_sub_i32 s15, s14, s33
	s_cmp_ge_u32 s14, s33
	s_cselect_b32 s14, s15, s14
	s_sub_i32 s11, s11, s14
	v_cmp_gt_u32_e32 vcc, s11, v0
	s_mov_b64 s[58:59], 0
                                        ; implicit-def: $vgpr36
	s_and_saveexec_b64 s[54:55], vcc
	s_cbranch_execz .LBB117_378
; %bb.369:                              ;   in Loop: Header=BB117_15 Depth=1
	s_mov_b64 s[56:57], 0
	v_mov_b32_e32 v2, v19
	v_mov_b32_e32 v4, v0
                                        ; implicit-def: $sgpr58_sgpr59
	s_branch .LBB117_371
.LBB117_370:                            ;   in Loop: Header=BB117_371 Depth=2
	s_or_b64 exec, exec, s[18:19]
	s_waitcnt lgkmcnt(0)
	s_barrier
	ds_read_b32 v5, v11 offset:3072
	v_add_u32_e32 v4, s33, v4
	v_cmp_le_u32_e64 s[18:19], s11, v4
	v_add_u32_e32 v2, s10, v2
	s_waitcnt lgkmcnt(0)
	v_and_b32_e32 v10, 0x7fff, v5
	v_cmp_ne_u16_e32 vcc, 0, v10
	s_or_b64 s[14:15], s[18:19], vcc
	s_and_b64 s[14:15], exec, s[14:15]
	s_or_b64 s[56:57], s[14:15], s[56:57]
	s_andn2_b64 s[14:15], s[58:59], exec
	s_and_b64 s[18:19], vcc, exec
	s_or_b64 s[58:59], s[14:15], s[18:19]
	s_barrier
	s_andn2_b64 exec, exec, s[56:57]
	s_cbranch_execz .LBB117_377
.LBB117_371:                            ;   Parent Loop BB117_15 Depth=1
                                        ; =>  This Inner Loop Header: Depth=2
	v_cmp_gt_u32_e32 vcc, s5, v4
	v_mov_b32_e32 v5, 0
	s_and_saveexec_b64 s[18:19], vcc
	s_cbranch_execz .LBB117_373
; %bb.372:                              ;   in Loop: Header=BB117_371 Depth=2
	ds_read_u16 v5, v2
.LBB117_373:                            ;   in Loop: Header=BB117_371 Depth=2
	s_or_b64 exec, exec, s[18:19]
	s_and_saveexec_b64 s[18:19], vcc
	s_cbranch_execz .LBB117_370
; %bb.374:                              ;   in Loop: Header=BB117_371 Depth=2
	s_waitcnt lgkmcnt(0)
	v_cmp_lt_i16_e32 vcc, -1, v5
	v_cndmask_b32_e32 v10, v29, v30, vcc
	v_lshlrev_b32_e32 v36, 16, v5
	v_xor_b32_sdwa v10, v10, v5 dst_sel:DWORD dst_unused:UNUSED_PAD src0_sel:DWORD src1_sel:WORD_0
	v_cmp_o_f32_e32 vcc, v36, v36
	v_cndmask_b32_e32 v10, v29, v10, vcc
	v_and_b32_e32 v10, v10, v34
	v_cmp_eq_u32_e32 vcc, v10, v35
	s_and_b64 exec, exec, vcc
	s_cbranch_execz .LBB117_370
; %bb.375:                              ;   in Loop: Header=BB117_371 Depth=2
	s_movk_i32 s14, 0x3f80
	v_perm_b32 v5, v5, s14, v33
	ds_write_b32 v11, v5 offset:3072
	s_branch .LBB117_370
.LBB117_376:                            ;   in Loop: Header=BB117_15 Depth=1
	s_mov_b64 s[18:19], -1
	s_mov_b64 s[58:59], 0
                                        ; implicit-def: $sgpr54_sgpr55
                                        ; implicit-def: $vgpr36
	s_branch .LBB117_379
.LBB117_377:                            ;   in Loop: Header=BB117_15 Depth=1
	s_or_b64 exec, exec, s[56:57]
	v_lshrrev_b32_e32 v36, 16, v5
	s_and_b64 s[58:59], s[58:59], exec
.LBB117_378:                            ;   in Loop: Header=BB117_15 Depth=1
	s_or_b64 exec, exec, s[54:55]
	s_mov_b64 s[18:19], 0
	s_mov_b64 s[54:55], -1
.LBB117_379:                            ;   in Loop: Header=BB117_15 Depth=1
	s_and_b64 vcc, exec, s[18:19]
	s_mov_b64 s[56:57], s[18:19]
	s_cbranch_vccz .LBB117_390
; %bb.380:                              ;   in Loop: Header=BB117_15 Depth=1
	s_mov_b64 s[58:59], 0
                                        ; implicit-def: $vgpr36
	s_mov_b64 s[74:75], exec
	v_readlane_b32 s14, v54, 48
	v_readlane_b32 s15, v54, 49
	s_and_b64 s[14:15], s[74:75], s[14:15]
	s_mov_b64 exec, s[14:15]
	s_cbranch_execz .LBB117_389
; %bb.381:                              ;   in Loop: Header=BB117_15 Depth=1
	s_mov_b64 s[56:57], 0
	v_mov_b32_e32 v10, v12
	v_mov_b32_e32 v2, v0
                                        ; implicit-def: $sgpr58_sgpr59
	s_branch .LBB117_383
.LBB117_382:                            ;   in Loop: Header=BB117_383 Depth=2
	s_or_b64 exec, exec, s[18:19]
	s_waitcnt lgkmcnt(0)
	s_barrier
	s_waitcnt vmcnt(0)
	ds_read_b32 v4, v11 offset:3072
	v_add_u32_e32 v2, s33, v2
	v_cmp_le_u32_e64 s[18:19], s12, v2
	v_add_u32_e32 v10, s76, v10
	s_waitcnt lgkmcnt(0)
	v_and_b32_e32 v5, 0x7fff, v4
	v_cmp_ne_u16_e32 vcc, 0, v5
	s_or_b64 s[14:15], s[18:19], vcc
	s_and_b64 s[14:15], exec, s[14:15]
	s_or_b64 s[56:57], s[14:15], s[56:57]
	s_andn2_b64 s[14:15], s[58:59], exec
	s_and_b64 s[18:19], vcc, exec
	s_or_b64 s[58:59], s[14:15], s[18:19]
	s_barrier
	s_andn2_b64 exec, exec, s[56:57]
	s_cbranch_execz .LBB117_388
.LBB117_383:                            ;   Parent Loop BB117_15 Depth=1
                                        ; =>  This Inner Loop Header: Depth=2
	v_cmp_gt_u32_e32 vcc, s60, v2
	v_mov_b32_e32 v4, 0
	s_and_saveexec_b64 s[54:55], vcc
	s_cbranch_execz .LBB117_385
; %bb.384:                              ;   in Loop: Header=BB117_383 Depth=2
	v_lshlrev_b64 v[4:5], 1, v[10:11]
	v_mov_b32_e32 v36, s66
	v_add_co_u32_e64 v4, s[18:19], s64, v4
	v_addc_co_u32_e64 v5, s[18:19], v36, v5, s[18:19]
	global_load_ushort v4, v[4:5], off
.LBB117_385:                            ;   in Loop: Header=BB117_383 Depth=2
	s_or_b64 exec, exec, s[54:55]
	s_and_saveexec_b64 s[18:19], vcc
	s_cbranch_execz .LBB117_382
; %bb.386:                              ;   in Loop: Header=BB117_383 Depth=2
	s_waitcnt vmcnt(0)
	v_cmp_lt_i16_e32 vcc, -1, v4
	v_cndmask_b32_e32 v5, v29, v30, vcc
	v_lshlrev_b32_e32 v36, 16, v4
	v_xor_b32_sdwa v5, v5, v4 dst_sel:DWORD dst_unused:UNUSED_PAD src0_sel:DWORD src1_sel:WORD_0
	v_cmp_o_f32_e32 vcc, v36, v36
	v_cndmask_b32_e32 v5, v29, v5, vcc
	v_and_b32_e32 v5, v5, v34
	v_cmp_eq_u32_e32 vcc, v5, v35
	s_and_b64 exec, exec, vcc
	s_cbranch_execz .LBB117_382
; %bb.387:                              ;   in Loop: Header=BB117_383 Depth=2
	s_movk_i32 s5, 0x3f80
	v_perm_b32 v4, v4, s5, v33
	ds_write_b32 v11, v4 offset:3072
	s_branch .LBB117_382
.LBB117_388:                            ;   in Loop: Header=BB117_15 Depth=1
	s_or_b64 exec, exec, s[56:57]
	v_lshrrev_b32_e32 v36, 16, v4
	s_and_b64 s[58:59], s[58:59], exec
.LBB117_389:                            ;   in Loop: Header=BB117_15 Depth=1
	s_or_b64 exec, exec, s[74:75]
	s_mov_b64 s[54:55], 0
	s_mov_b64 s[18:19], -1
	s_mov_b64 s[56:57], 0
.LBB117_390:                            ;   in Loop: Header=BB117_15 Depth=1
	s_orn2_b64 s[58:59], s[58:59], exec
.LBB117_391:                            ;   in Loop: Header=BB117_15 Depth=1
	s_or_b64 exec, exec, s[8:9]
	s_mov_b64 vcc, 0
                                        ; implicit-def: $vgpr10
                                        ; implicit-def: $vgpr2
	s_and_saveexec_b64 s[8:9], s[58:59]
	s_cbranch_execz .LBB117_403
; %bb.392:                              ;   in Loop: Header=BB117_15 Depth=1
	s_xor_b64 s[14:15], s[6:7], -1
	v_mov_b32_e32 v10, 1
	v_mov_b32_e32 v2, 1
	s_and_saveexec_b64 s[6:7], s[14:15]
	s_cbranch_execz .LBB117_402
; %bb.393:                              ;   in Loop: Header=BB117_15 Depth=1
	v_cmp_ge_u32_e32 vcc, s52, v3
                                        ; implicit-def: $sgpr5
	s_and_saveexec_b64 s[14:15], vcc
	s_xor_b64 s[58:59], exec, s[14:15]
	s_cbranch_execz .LBB117_399
; %bb.394:                              ;   in Loop: Header=BB117_15 Depth=1
	ds_read_b32 v2, v11 offset:4096
	s_waitcnt lgkmcnt(0)
	v_cmp_ne_u32_e32 vcc, 0, v2
	s_cbranch_vccnz .LBB117_398
; %bb.395:                              ;   in Loop: Header=BB117_15 Depth=1
	s_mov_b64 vcc, exec
	v_readlane_b32 s14, v54, 6
	v_readlane_b32 s15, v54, 7
	s_and_b64 s[14:15], vcc, s[14:15]
	s_mov_b64 exec, s[14:15]
	s_cbranch_execz .LBB117_397
; %bb.396:                              ;   in Loop: Header=BB117_15 Depth=1
	v_mov_b32_e32 v2, s52
	ds_write_b32 v11, v2 offset:4100
.LBB117_397:                            ;   in Loop: Header=BB117_15 Depth=1
	s_or_b64 exec, exec, vcc
	s_waitcnt lgkmcnt(0)
	s_barrier
.LBB117_398:                            ;   in Loop: Header=BB117_15 Depth=1
	v_and_b32_e32 v35, s4, v35
	v_or_b32_e32 v34, s53, v34
	s_mov_b32 s5, 5
.LBB117_399:                            ;   in Loop: Header=BB117_15 Depth=1
	s_or_saveexec_b64 s[58:59], s[58:59]
	v_mov_b32_e32 v10, s5
	s_xor_b64 exec, exec, s[58:59]
; %bb.400:                              ;   in Loop: Header=BB117_15 Depth=1
	v_subrev_u32_e32 v3, s52, v3
	v_mov_b32_e32 v10, 5
; %bb.401:                              ;   in Loop: Header=BB117_15 Depth=1
	s_or_b64 exec, exec, s[58:59]
	v_mov_b32_e32 v2, v3
.LBB117_402:                            ;   in Loop: Header=BB117_15 Depth=1
	s_or_b64 exec, exec, s[6:7]
	s_mov_b64 vcc, exec
.LBB117_403:                            ;   in Loop: Header=BB117_15 Depth=1
	s_or_b64 exec, exec, s[8:9]
	s_orn2_b64 s[6:7], vcc, exec
	v_mov_b32_e32 v3, v2
.LBB117_404:                            ;   in Loop: Header=BB117_15 Depth=1
	s_or_b64 exec, exec, s[16:17]
	s_andn2_b64 s[4:5], s[46:47], exec
	s_and_b64 s[8:9], s[18:19], exec
	s_or_b64 s[46:47], s[4:5], s[8:9]
	v_readlane_b32 s4, v54, 50
	v_readlane_b32 s5, v54, 51
	s_andn2_b64 s[4:5], s[4:5], exec
	s_and_b64 s[8:9], s[54:55], exec
	s_or_b64 s[4:5], s[4:5], s[8:9]
	v_writelane_b32 v54, s4, 50
	v_writelane_b32 v54, s5, 51
	s_andn2_b64 s[4:5], s[50:51], exec
	s_and_b64 s[8:9], s[56:57], exec
	s_or_b64 s[50:51], s[4:5], s[8:9]
	s_and_b64 s[16:17], s[6:7], exec
	v_mov_b32_e32 v2, v3
.LBB117_405:                            ;   in Loop: Header=BB117_15 Depth=1
	s_or_b64 exec, exec, s[48:49]
	v_readlane_b32 s4, v54, 50
	v_readlane_b32 s5, v54, 51
	s_and_b64 s[46:47], s[46:47], exec
	s_and_b64 s[18:19], s[4:5], exec
	;; [unrolled: 1-line block ×3, first 2 shown]
	s_orn2_b64 s[6:7], s[16:17], exec
.LBB117_406:                            ;   in Loop: Header=BB117_15 Depth=1
	s_or_b64 exec, exec, s[44:45]
	s_andn2_b64 s[4:5], s[36:37], exec
	s_and_b64 s[14:15], s[46:47], exec
	s_or_b64 s[36:37], s[4:5], s[14:15]
	s_andn2_b64 s[4:5], s[38:39], exec
	s_and_b64 s[14:15], s[18:19], exec
	s_or_b64 s[38:39], s[4:5], s[14:15]
	;; [unrolled: 3-line block ×3, first 2 shown]
	s_and_b64 s[18:19], s[6:7], exec
	v_mov_b32_e32 v5, v2
.LBB117_407:                            ;   in Loop: Header=BB117_15 Depth=1
	s_or_b64 exec, exec, s[42:43]
	s_and_b64 s[16:17], s[36:37], exec
	s_and_b64 s[8:9], s[38:39], exec
	s_and_b64 s[6:7], s[40:41], exec
	s_orn2_b64 s[36:37], s[18:19], exec
.LBB117_408:                            ;   in Loop: Header=BB117_15 Depth=1
	s_or_b64 exec, exec, s[28:29]
	s_mov_b64 s[18:19], s[24:25]
	s_mov_b64 s[28:29], s[20:21]
	s_and_saveexec_b64 s[38:39], s[36:37]
; %bb.409:                              ;   in Loop: Header=BB117_15 Depth=1
	v_cmp_ne_u32_e64 s[18:19], 5, v10
	v_cmp_eq_u32_e32 vcc, 5, v10
	s_andn2_b64 s[4:5], s[20:21], exec
	s_and_b64 s[14:15], s[18:19], exec
	s_or_b64 s[28:29], s[4:5], s[14:15]
	s_andn2_b64 s[4:5], s[24:25], exec
	s_and_b64 s[14:15], vcc, exec
	s_andn2_b64 s[16:17], s[16:17], exec
	s_andn2_b64 s[8:9], s[8:9], exec
	s_andn2_b64 s[6:7], s[6:7], exec
	s_or_b64 s[18:19], s[4:5], s[14:15]
; %bb.410:                              ;   in Loop: Header=BB117_15 Depth=1
	s_or_b64 exec, exec, s[38:39]
	s_andn2_b64 s[4:5], s[30:31], exec
	s_and_b64 s[14:15], s[16:17], exec
	s_or_b64 s[30:31], s[4:5], s[14:15]
	s_andn2_b64 s[4:5], s[34:35], exec
	s_and_b64 s[8:9], s[8:9], exec
	s_or_b64 s[34:35], s[4:5], s[8:9]
	;; [unrolled: 3-line block ×5, first 2 shown]
	v_mov_b32_e32 v2, v35
	v_mov_b32_e32 v3, v34
	;; [unrolled: 1-line block ×3, first 2 shown]
.LBB117_411:                            ;   in Loop: Header=BB117_15 Depth=1
	s_or_b64 exec, exec, s[26:27]
	s_mov_b64 s[28:29], s[22:23]
	s_mov_b64 s[26:27], s[22:23]
	s_and_saveexec_b64 s[6:7], s[24:25]
.LBB117_412:                            ;   in Loop: Header=BB117_15 Depth=1
	v_mov_b32_e32 v10, 0
	s_andn2_b64 s[22:23], s[22:23], exec
	s_andn2_b64 s[30:31], s[30:31], exec
	;; [unrolled: 1-line block ×5, first 2 shown]
	s_or_b64 s[20:21], s[20:21], exec
.LBB117_413:                            ;   in Loop: Header=BB117_15 Depth=1
	s_or_b64 exec, exec, s[6:7]
	s_andn2_b64 s[4:5], s[82:83], exec
	s_and_b64 s[6:7], s[22:23], exec
	s_or_b64 s[82:83], s[4:5], s[6:7]
	s_andn2_b64 s[4:5], s[80:81], exec
	s_and_b64 s[6:7], s[30:31], exec
	s_or_b64 s[80:81], s[4:5], s[6:7]
	;; [unrolled: 3-line block ×4, first 2 shown]
	s_andn2_b64 s[4:5], s[84:85], exec
	s_and_b64 s[6:7], s[26:27], exec
	s_mov_b64 s[8:9], -1
	s_or_b64 s[84:85], s[4:5], s[6:7]
                                        ; implicit-def: $vgpr34
                                        ; implicit-def: $vgpr35
                                        ; implicit-def: $vgpr37
                                        ; implicit-def: $vgpr36
	s_and_saveexec_b64 s[4:5], s[20:21]
	s_xor_b64 s[6:7], exec, s[4:5]
	s_cbranch_execz .LBB117_14
; %bb.414:                              ;   in Loop: Header=BB117_15 Depth=1
	v_cmp_eq_u32_e32 vcc, 0, v10
	s_mov_b64 s[16:17], -1
	s_and_saveexec_b64 s[18:19], vcc
	s_cbranch_execz .LBB117_13
; %bb.415:                              ;   in Loop: Header=BB117_15 Depth=1
	s_xor_b32 s63, s63, 1
	s_add_i32 s11, s62, -2
	s_cmp_eq_u32 s62, 0
	s_cselect_b64 s[4:5], -1, 0
	s_xor_b64 s[16:17], exec, -1
	s_orn2_b64 s[8:9], s[4:5], exec
	s_mov_b32 s62, s11
	s_branch .LBB117_13
.LBB117_416:
	s_or_b64 exec, exec, s[90:91]
	s_xor_b64 s[6:7], s[2:3], -1
	s_xor_b64 s[14:15], s[70:71], -1
	s_xor_b64 s[12:13], s[94:95], -1
	s_xor_b64 s[4:5], s[92:93], -1
	s_xor_b64 s[2:3], s[68:69], -1
	s_mov_b64 s[8:9], 0
	s_and_saveexec_b64 s[10:11], s[4:5]
	s_xor_b64 s[10:11], exec, s[10:11]
	s_cbranch_execnz .LBB117_421
; %bb.417:
	s_andn2_saveexec_b64 s[0:1], s[10:11]
	s_cbranch_execnz .LBB117_440
.LBB117_418:
	s_or_b64 exec, exec, s[0:1]
	s_and_saveexec_b64 s[0:1], s[8:9]
.LBB117_419:
	; divergent unreachable
.LBB117_420:
	s_endpgm
.LBB117_421:
	s_and_saveexec_b64 s[4:5], s[12:13]
	s_xor_b64 s[12:13], exec, s[4:5]
	s_cbranch_execz .LBB117_438
; %bb.422:
	s_and_saveexec_b64 s[4:5], s[14:15]
	s_xor_b64 s[14:15], exec, s[4:5]
	s_cbranch_execz .LBB117_436
; %bb.423:
	;; [unrolled: 4-line block ×3, first 2 shown]
	s_and_saveexec_b64 s[4:5], s[2:3]
	s_xor_b64 s[2:3], exec, s[4:5]
; %bb.425:
	v_and_b32_e32 v1, 0x8000, v2
	v_mov_b32_e32 v3, 0x8000
	v_mov_b32_e32 v4, 0xffff
	v_cmp_eq_u32_e32 vcc, 0, v1
	v_cndmask_b32_e32 v1, v3, v4, vcc
	v_xor_b32_e32 v4, v1, v2
; %bb.426:
	s_or_b64 exec, exec, s[2:3]
	s_mov_b64 s[2:3], exec
	v_readlane_b32 s4, v54, 6
	v_readlane_b32 s5, v54, 7
	;; [unrolled: 1-line block ×4, first 2 shown]
	s_and_b64 s[4:5], s[2:3], s[4:5]
	v_readlane_b32 s9, v54, 27
	v_readlane_b32 s41, v54, 12
	s_mov_b64 exec, s[4:5]
	s_cbranch_execz .LBB117_428
; %bb.427:
	v_mov_b32_e32 v1, 0
	ds_write_b32 v1, v1 offset:4108
.LBB117_428:
	s_or_b64 exec, exec, s[2:3]
	v_mov_b32_e32 v5, 0
	s_waitcnt lgkmcnt(0)
	s_barrier
	s_mov_b64 s[2:3], exec
	v_readlane_b32 s4, v54, 28
	v_readlane_b32 s5, v54, 29
	s_and_b64 s[4:5], s[2:3], s[4:5]
	s_mov_b64 exec, s[4:5]
	s_cbranch_execz .LBB117_430
; %bb.429:
	global_load_ushort v5, v[8:9], off
.LBB117_430:
	s_or_b64 exec, exec, s[2:3]
	v_readlane_b32 s2, v54, 1
	v_readlane_b32 s3, v54, 8
	s_mul_i32 s2, s2, s78
	s_mul_i32 s3, s3, s77
	s_add_i32 s30, s60, 63
	s_add_i32 s2, s2, s65
	;; [unrolled: 1-line block ×3, first 2 shown]
	s_mov_b32 s3, 0
	s_andn2_b32 s30, s30, 63
	s_lshl_b64 s[6:7], s[2:3], 1
	v_readlane_b32 s18, v54, 2
	s_load_dword s37, s[8:9], 0x1c8
	s_load_dword s38, s[8:9], 0x2a8
	v_mov_b32_e32 v1, 0xffff
	v_mov_b32_e32 v11, 0x8000
	v_cmp_lt_i16_e32 vcc, -1, v4
	v_readlane_b32 s19, v54, 3
	s_add_u32 s31, s18, s6
	s_mov_b32 s5, s3
	v_cndmask_b32_e32 v2, v1, v11, vcc
	v_lshlrev_b32_e32 v3, 16, v4
	s_addc_u32 s34, s19, s7
	s_lshl_b64 s[2:3], s[4:5], 3
	v_readlane_b32 s4, v54, 4
	v_xor_b32_sdwa v2, v2, v4 dst_sel:DWORD dst_unused:UNUSED_PAD src0_sel:DWORD src1_sel:WORD_0
	v_cmp_o_f32_e32 vcc, v3, v3
	v_readlane_b32 s5, v54, 5
	s_add_u32 s35, s4, s2
	v_cndmask_b32_e32 v10, v1, v2, vcc
	s_addc_u32 s36, s5, s3
	v_cmp_gt_u32_e32 vcc, s30, v0
	s_mov_b64 s[8:9], -1
	s_mov_b64 s[2:3], 0
	s_mov_b64 s[4:5], 0
	s_and_saveexec_b64 s[6:7], vcc
	s_cbranch_execnz .LBB117_441
; %bb.431:
	s_or_b64 exec, exec, s[6:7]
	s_and_saveexec_b64 s[6:7], s[8:9]
	s_cbranch_execnz .LBB117_458
.LBB117_432:
	s_or_b64 exec, exec, s[6:7]
	s_and_saveexec_b64 s[0:1], s[4:5]
	s_xor_b64 s[0:1], exec, s[0:1]
	s_cbranch_execnz .LBB117_483
.LBB117_433:
	s_or_b64 exec, exec, s[0:1]
	s_and_b64 s[8:9], s[2:3], exec
.LBB117_434:
	s_andn2_saveexec_b64 s[0:1], s[16:17]
	s_cbranch_execnz .LBB117_485
.LBB117_435:
	s_or_b64 exec, exec, s[0:1]
	s_and_b64 s[8:9], s[8:9], exec
.LBB117_436:
	s_andn2_saveexec_b64 s[0:1], s[14:15]
	s_cbranch_execnz .LBB117_484
.LBB117_437:
	s_or_b64 exec, exec, s[0:1]
	s_and_b64 s[8:9], s[8:9], exec
.LBB117_438:
	s_andn2_saveexec_b64 s[0:1], s[12:13]
	s_cbranch_execnz .LBB117_479
.LBB117_439:
	s_or_b64 exec, exec, s[0:1]
	s_and_b64 s[8:9], s[8:9], exec
	s_andn2_saveexec_b64 s[0:1], s[10:11]
	s_cbranch_execz .LBB117_418
.LBB117_440:
	s_or_b64 s[8:9], s[8:9], exec
	s_trap 2
	s_or_b64 exec, exec, s[0:1]
	s_and_saveexec_b64 s[0:1], s[8:9]
	s_cbranch_execnz .LBB117_419
	s_branch .LBB117_420
.LBB117_441:
	v_add_u32_e32 v2, s33, v0
	v_readlane_b32 s4, v54, 0
	v_mul_lo_u32 v2, s4, v2
	s_mov_b64 s[18:19], 0
	v_mov_b32_e32 v3, 0
	v_mov_b32_e32 v4, v0
                                        ; implicit-def: $sgpr20_sgpr21
                                        ; implicit-def: $vgpr14
	s_branch .LBB117_443
.LBB117_442:                            ;   in Loop: Header=BB117_443 Depth=1
	s_or_b64 exec, exec, s[22:23]
	s_xor_b64 s[4:5], s[26:27], -1
	s_and_b64 s[8:9], exec, s[8:9]
	s_or_b64 s[18:19], s[8:9], s[18:19]
	s_andn2_b64 s[8:9], s[20:21], exec
	s_and_b64 s[4:5], s[4:5], exec
	s_or_b64 s[20:21], s[8:9], s[4:5]
	v_mov_b32_e32 v4, v12
	s_waitcnt vmcnt(0)
	v_mov_b32_e32 v5, v15
	s_andn2_b64 exec, exec, s[18:19]
	s_cbranch_execz .LBB117_457
.LBB117_443:                            ; =>This Inner Loop Header: Depth=1
	v_add_u32_e32 v12, s33, v4
	v_cmp_gt_u32_e64 s[4:5], s60, v12
	v_mov_b32_e32 v15, 0
	s_and_saveexec_b64 s[8:9], s[4:5]
	s_cbranch_execz .LBB117_445
; %bb.444:                              ;   in Loop: Header=BB117_443 Depth=1
	v_lshlrev_b64 v[16:17], 1, v[2:3]
	v_mov_b32_e32 v15, s66
	v_add_co_u32_e64 v16, s[4:5], s64, v16
	v_addc_co_u32_e64 v17, s[4:5], v15, v17, s[4:5]
	global_load_ushort v15, v[16:17], off
.LBB117_445:                            ;   in Loop: Header=BB117_443 Depth=1
	s_or_b64 exec, exec, s[8:9]
	v_cmp_gt_u32_e64 s[4:5], s60, v4
	s_mov_b64 s[22:23], 0
	s_and_saveexec_b64 s[8:9], s[4:5]
	s_cbranch_execz .LBB117_447
; %bb.446:                              ;   in Loop: Header=BB117_443 Depth=1
	s_waitcnt vmcnt(0)
	v_cmp_lt_i16_e64 s[4:5], -1, v5
	v_cndmask_b32_e64 v16, v1, v11, s[4:5]
	v_lshlrev_b32_e32 v17, 16, v5
	v_xor_b32_sdwa v16, v16, v5 dst_sel:DWORD dst_unused:UNUSED_PAD src0_sel:DWORD src1_sel:WORD_0
	v_cmp_o_f32_e64 s[4:5], v17, v17
	v_cndmask_b32_e64 v16, v1, v16, s[4:5]
	v_cmp_gt_u32_e64 s[4:5], v16, v10
	v_cndmask_b32_e64 v17, 0, 1, s[4:5]
	v_cmp_lt_u32_e64 s[4:5], v16, v10
	v_cndmask_b32_e64 v16, 0, 1, s[4:5]
	v_cndmask_b32_e64 v16, v16, v17, s[40:41]
	v_and_b32_e32 v16, 1, v16
	v_cmp_eq_u32_e64 s[4:5], 1, v16
	s_and_b64 s[22:23], s[4:5], exec
.LBB117_447:                            ;   in Loop: Header=BB117_443 Depth=1
	s_or_b64 exec, exec, s[8:9]
	v_cndmask_b32_e64 v16, 0, 1, s[22:23]
	v_cmp_ne_u32_e64 s[4:5], 0, v16
	s_cmp_lg_u64 s[4:5], 0
	s_cselect_b64 s[8:9], -1, 0
	s_and_b64 s[8:9], s[0:1], s[8:9]
	s_and_saveexec_b64 s[24:25], s[8:9]
	s_cbranch_execz .LBB117_451
; %bb.448:                              ;   in Loop: Header=BB117_443 Depth=1
	s_mov_b64 s[28:29], exec
	s_waitcnt lgkmcnt(0)
	v_mbcnt_lo_u32_b32 v14, s28, 0
	v_mbcnt_hi_u32_b32 v14, s29, v14
	s_bcnt1_i32_b64 s39, s[4:5]
	v_cmp_eq_u32_e64 s[8:9], 0, v14
                                        ; implicit-def: $vgpr16
	s_and_saveexec_b64 s[26:27], s[8:9]
	s_cbranch_execz .LBB117_450
; %bb.449:                              ;   in Loop: Header=BB117_443 Depth=1
	s_bcnt1_i32_b64 s8, s[28:29]
	s_mul_i32 s8, s39, s8
	v_mov_b32_e32 v16, s8
	ds_add_rtn_u32 v16, v3, v16 offset:4108
.LBB117_450:                            ;   in Loop: Header=BB117_443 Depth=1
	s_or_b64 exec, exec, s[26:27]
	s_waitcnt lgkmcnt(0)
	v_readfirstlane_b32 s8, v16
	v_mov_b32_e32 v16, s8
	v_mad_u32_u24 v14, s39, v14, v16
.LBB117_451:                            ;   in Loop: Header=BB117_443 Depth=1
	s_or_b64 exec, exec, s[24:25]
	s_waitcnt lgkmcnt(0)
	ds_bpermute_b32 v14, v13, v14
	s_mov_b64 s[8:9], -1
	s_mov_b64 s[28:29], -1
                                        ; implicit-def: $sgpr26_sgpr27
	s_and_saveexec_b64 s[24:25], s[22:23]
	s_cbranch_execz .LBB117_455
; %bb.452:                              ;   in Loop: Header=BB117_443 Depth=1
	v_and_b32_e32 v17, s4, v6
	v_and_b32_e32 v16, s5, v7
	v_bcnt_u32_b32 v17, v17, 0
	v_bcnt_u32_b32 v16, v16, v17
	s_waitcnt lgkmcnt(0)
	v_add_u32_e32 v16, v14, v16
	v_cmp_gt_u32_e64 s[4:5], s61, v16
	s_mov_b64 s[22:23], 0
	s_and_saveexec_b64 s[26:27], s[4:5]
	s_cbranch_execz .LBB117_454
; %bb.453:                              ;   in Loop: Header=BB117_443 Depth=1
	v_mul_lo_u32 v18, v16, s37
	v_mov_b32_e32 v19, v3
	v_lshlrev_b64 v[18:19], 1, v[18:19]
	v_mov_b32_e32 v17, s34
	v_add_co_u32_e64 v18, s[4:5], s31, v18
	v_mul_lo_u32 v16, v16, s38
	v_addc_co_u32_e64 v19, s[4:5], v17, v19, s[4:5]
	v_mov_b32_e32 v17, v3
	v_lshlrev_b64 v[16:17], 3, v[16:17]
	s_waitcnt vmcnt(0)
	global_store_short v[18:19], v5, off
	v_mov_b32_e32 v18, s36
	v_add_co_u32_e64 v16, s[4:5], s35, v16
	s_mov_b64 s[22:23], exec
	v_mov_b32_e32 v5, v3
	v_addc_co_u32_e64 v17, s[4:5], v18, v17, s[4:5]
	global_store_dwordx2 v[16:17], v[4:5], off
.LBB117_454:                            ;   in Loop: Header=BB117_443 Depth=1
	s_or_b64 exec, exec, s[26:27]
	s_mov_b64 s[26:27], -1
	s_orn2_b64 s[28:29], s[22:23], exec
.LBB117_455:                            ;   in Loop: Header=BB117_443 Depth=1
	s_or_b64 exec, exec, s[24:25]
	s_and_saveexec_b64 s[22:23], s[28:29]
	s_cbranch_execz .LBB117_442
; %bb.456:                              ;   in Loop: Header=BB117_443 Depth=1
	v_cmp_le_u32_e64 s[4:5], s30, v12
	v_add_u32_e32 v2, s76, v2
	s_andn2_b64 s[26:27], s[26:27], exec
	s_orn2_b64 s[8:9], s[4:5], exec
	s_branch .LBB117_442
.LBB117_457:
	s_or_b64 exec, exec, s[18:19]
	s_mov_b64 s[4:5], exec
	s_orn2_b64 s[8:9], s[20:21], exec
	s_or_b64 exec, exec, s[6:7]
	s_and_saveexec_b64 s[6:7], s[8:9]
	s_cbranch_execz .LBB117_432
.LBB117_458:
	v_mov_b32_e32 v1, 0
	s_waitcnt lgkmcnt(0)
	s_barrier
	s_mov_b64 s[2:3], exec
	v_readlane_b32 s8, v54, 28
	v_readlane_b32 s9, v54, 29
	s_and_b64 s[8:9], s[2:3], s[8:9]
	s_mov_b64 exec, s[8:9]
	s_cbranch_execz .LBB117_460
; %bb.459:
	global_load_ushort v1, v[8:9], off
.LBB117_460:
	s_or_b64 exec, exec, s[2:3]
	s_mov_b64 s[2:3], 0
	s_and_saveexec_b64 s[8:9], vcc
	s_cbranch_execz .LBB117_482
; %bb.461:
	v_add_u32_e32 v2, s33, v0
	v_readlane_b32 s2, v54, 0
	v_mul_lo_u32 v2, s2, v2
	s_mov_b64 s[18:19], 0
	v_mov_b32_e32 v3, 0
	v_mov_b32_e32 v4, 0xffff
	s_waitcnt vmcnt(0)
	v_mov_b32_e32 v5, 0x8000
                                        ; implicit-def: $sgpr20_sgpr21
                                        ; implicit-def: $vgpr8
	s_branch .LBB117_464
.LBB117_462:                            ;   in Loop: Header=BB117_464 Depth=1
	s_or_b64 exec, exec, s[24:25]
	s_orn2_b64 s[26:27], s[26:27], exec
	s_orn2_b64 s[24:25], s[22:23], exec
	s_waitcnt vmcnt(0)
	v_mov_b32_e32 v1, v11
	v_mov_b32_e32 v0, v9
.LBB117_463:                            ;   in Loop: Header=BB117_464 Depth=1
	s_or_b64 exec, exec, s[2:3]
	s_xor_b64 s[2:3], s[26:27], -1
	s_and_b64 s[22:23], exec, s[24:25]
	s_or_b64 s[18:19], s[22:23], s[18:19]
	s_andn2_b64 s[20:21], s[20:21], exec
	s_and_b64 s[2:3], s[2:3], exec
	s_or_b64 s[20:21], s[20:21], s[2:3]
	s_andn2_b64 exec, exec, s[18:19]
	s_cbranch_execz .LBB117_480
.LBB117_464:                            ; =>This Inner Loop Header: Depth=1
	v_add_u32_e32 v9, s33, v0
	v_cmp_gt_u32_e32 vcc, s60, v9
	s_waitcnt vmcnt(0)
	v_mov_b32_e32 v11, 0
	s_and_saveexec_b64 s[2:3], vcc
	s_cbranch_execz .LBB117_466
; %bb.465:                              ;   in Loop: Header=BB117_464 Depth=1
	v_lshlrev_b64 v[14:15], 1, v[2:3]
	v_mov_b32_e32 v11, s66
	v_add_co_u32_e32 v14, vcc, s64, v14
	v_addc_co_u32_e32 v15, vcc, v11, v15, vcc
	global_load_ushort v11, v[14:15], off
.LBB117_466:                            ;   in Loop: Header=BB117_464 Depth=1
	s_or_b64 exec, exec, s[2:3]
	v_cmp_gt_u32_e32 vcc, s60, v0
	s_mov_b64 s[22:23], 0
	s_and_saveexec_b64 s[2:3], vcc
; %bb.467:                              ;   in Loop: Header=BB117_464 Depth=1
	v_cmp_lt_i16_e32 vcc, -1, v1
	v_cndmask_b32_e32 v12, v4, v5, vcc
	v_lshlrev_b32_e32 v14, 16, v1
	v_xor_b32_sdwa v12, v12, v1 dst_sel:DWORD dst_unused:UNUSED_PAD src0_sel:DWORD src1_sel:WORD_0
	v_cmp_o_f32_e32 vcc, v14, v14
	v_cndmask_b32_e32 v12, v4, v12, vcc
	v_cmp_eq_u32_e32 vcc, v12, v10
	s_and_b64 s[22:23], vcc, exec
; %bb.468:                              ;   in Loop: Header=BB117_464 Depth=1
	s_or_b64 exec, exec, s[2:3]
	v_cndmask_b32_e64 v12, 0, 1, s[22:23]
	v_cmp_ne_u32_e32 vcc, 0, v12
	s_cmp_lg_u64 vcc, 0
	s_cselect_b64 s[2:3], -1, 0
	s_and_b64 s[2:3], s[0:1], s[2:3]
	s_and_saveexec_b64 s[24:25], s[2:3]
	s_cbranch_execz .LBB117_472
; %bb.469:                              ;   in Loop: Header=BB117_464 Depth=1
	s_mov_b64 s[28:29], exec
	v_mbcnt_lo_u32_b32 v8, s28, 0
	v_mbcnt_hi_u32_b32 v8, s29, v8
	s_bcnt1_i32_b64 s39, vcc
	v_cmp_eq_u32_e64 s[2:3], 0, v8
                                        ; implicit-def: $vgpr12
	s_and_saveexec_b64 s[26:27], s[2:3]
	s_cbranch_execz .LBB117_471
; %bb.470:                              ;   in Loop: Header=BB117_464 Depth=1
	s_bcnt1_i32_b64 s2, s[28:29]
	s_mul_i32 s2, s39, s2
	v_mov_b32_e32 v12, s2
	ds_add_rtn_u32 v12, v3, v12 offset:4108
.LBB117_471:                            ;   in Loop: Header=BB117_464 Depth=1
	s_or_b64 exec, exec, s[26:27]
	s_waitcnt lgkmcnt(0)
	v_readfirstlane_b32 s2, v12
	v_mov_b32_e32 v12, s2
	v_mad_u32_u24 v8, s39, v8, v12
.LBB117_472:                            ;   in Loop: Header=BB117_464 Depth=1
	s_or_b64 exec, exec, s[24:25]
	ds_bpermute_b32 v8, v13, v8
	s_cmp_eq_u64 vcc, 0
	s_cselect_b64 s[26:27], -1, 0
	s_mov_b64 s[24:25], -1
	s_waitcnt lgkmcnt(0)
	v_cmp_gt_u32_e64 s[2:3], s61, v8
	s_or_b64 s[28:29], s[26:27], s[2:3]
	s_mov_b64 s[26:27], -1
	s_and_saveexec_b64 s[2:3], s[28:29]
	s_cbranch_execz .LBB117_463
; %bb.473:                              ;   in Loop: Header=BB117_464 Depth=1
	v_and_b32_e32 v14, vcc_lo, v6
	v_and_b32_e32 v12, vcc_hi, v7
	v_bcnt_u32_b32 v14, v14, 0
	v_bcnt_u32_b32 v12, v12, v14
	v_sub_u32_e32 v14, s61, v8
	v_cmp_gt_u32_e32 vcc, v14, v12
	s_and_b64 s[40:41], s[22:23], vcc
	s_mov_b64 s[22:23], -1
	s_mov_b64 s[28:29], -1
	s_and_saveexec_b64 s[24:25], s[40:41]
	s_cbranch_execz .LBB117_477
; %bb.474:                              ;   in Loop: Header=BB117_464 Depth=1
	v_add_u32_e32 v12, v8, v12
	v_cmp_gt_u32_e32 vcc, s61, v12
	s_mov_b64 s[28:29], 0
	s_and_saveexec_b64 s[26:27], vcc
	s_cbranch_execz .LBB117_476
; %bb.475:                              ;   in Loop: Header=BB117_464 Depth=1
	v_mul_lo_u32 v14, v12, s37
	v_mov_b32_e32 v15, v3
	v_lshlrev_b64 v[14:15], 1, v[14:15]
	v_mul_lo_u32 v16, v12, s38
	v_mov_b32_e32 v12, s34
	v_add_co_u32_e32 v14, vcc, s31, v14
	v_addc_co_u32_e32 v15, vcc, v12, v15, vcc
	v_mov_b32_e32 v17, v3
	global_store_short v[14:15], v1, off
	v_lshlrev_b64 v[14:15], 3, v[16:17]
	v_mov_b32_e32 v12, s36
	v_add_co_u32_e32 v14, vcc, s35, v14
	s_mov_b64 s[28:29], exec
	v_mov_b32_e32 v1, v3
	v_addc_co_u32_e32 v15, vcc, v12, v15, vcc
	global_store_dwordx2 v[14:15], v[0:1], off
.LBB117_476:                            ;   in Loop: Header=BB117_464 Depth=1
	s_or_b64 exec, exec, s[26:27]
	s_xor_b64 s[26:27], exec, -1
	s_orn2_b64 s[28:29], s[28:29], exec
.LBB117_477:                            ;   in Loop: Header=BB117_464 Depth=1
	s_or_b64 exec, exec, s[24:25]
	s_and_saveexec_b64 s[24:25], s[28:29]
	s_cbranch_execz .LBB117_462
; %bb.478:                              ;   in Loop: Header=BB117_464 Depth=1
	v_cmp_le_u32_e32 vcc, s30, v9
	v_add_u32_e32 v2, s76, v2
	s_or_b64 s[26:27], s[26:27], exec
	s_orn2_b64 s[22:23], vcc, exec
	s_branch .LBB117_462
.LBB117_479:
	s_or_b64 s[8:9], s[8:9], exec
	s_trap 2
	s_branch .LBB117_439
.LBB117_480:
	s_or_b64 exec, exec, s[18:19]
	s_mov_b64 s[0:1], 0
	s_and_saveexec_b64 s[2:3], s[20:21]
	s_xor_b64 s[2:3], exec, s[2:3]
	s_cbranch_execnz .LBB117_486
.LBB117_481:
	s_or_b64 exec, exec, s[2:3]
	s_and_b64 s[2:3], s[0:1], exec
.LBB117_482:
	s_or_b64 exec, exec, s[8:9]
	s_and_b64 s[2:3], s[2:3], exec
	s_andn2_b64 s[4:5], s[4:5], exec
	s_or_b64 exec, exec, s[6:7]
	s_and_saveexec_b64 s[0:1], s[4:5]
	s_xor_b64 s[0:1], exec, s[0:1]
	s_cbranch_execz .LBB117_433
.LBB117_483:
	s_trap 2
	s_or_b64 s[2:3], s[2:3], exec
	s_branch .LBB117_433
.LBB117_484:
	s_or_b64 s[8:9], s[8:9], exec
	s_trap 2
	s_branch .LBB117_437
.LBB117_485:
	s_trap 2
	s_or_b64 s[8:9], s[8:9], exec
	s_branch .LBB117_435
.LBB117_486:
	s_mov_b64 s[0:1], exec
	s_trap 2
	s_branch .LBB117_481
	.section	.rodata,"a",@progbits
	.p2align	6, 0x0
	.amdhsa_kernel _ZN2at6native6sbtopk10gatherTopKIN3c108BFloat16EjLin1ELb0EEEvNS_4cuda6detail10TensorInfoIKT_T0_EESA_SA_bSA_SA_NS7_IS8_SA_EESA_NS7_IlSA_EESA_PS8_
		.amdhsa_group_segment_fixed_size 4112
		.amdhsa_private_segment_fixed_size 0
		.amdhsa_kernarg_size 952
		.amdhsa_user_sgpr_count 6
		.amdhsa_user_sgpr_private_segment_buffer 1
		.amdhsa_user_sgpr_dispatch_ptr 0
		.amdhsa_user_sgpr_queue_ptr 0
		.amdhsa_user_sgpr_kernarg_segment_ptr 1
		.amdhsa_user_sgpr_dispatch_id 0
		.amdhsa_user_sgpr_flat_scratch_init 0
		.amdhsa_user_sgpr_kernarg_preload_length 0
		.amdhsa_user_sgpr_kernarg_preload_offset 0
		.amdhsa_user_sgpr_private_segment_size 0
		.amdhsa_uses_dynamic_stack 0
		.amdhsa_system_sgpr_private_segment_wavefront_offset 0
		.amdhsa_system_sgpr_workgroup_id_x 1
		.amdhsa_system_sgpr_workgroup_id_y 1
		.amdhsa_system_sgpr_workgroup_id_z 1
		.amdhsa_system_sgpr_workgroup_info 0
		.amdhsa_system_vgpr_workitem_id 0
		.amdhsa_next_free_vgpr 55
		.amdhsa_next_free_sgpr 96
		.amdhsa_accum_offset 56
		.amdhsa_reserve_vcc 1
		.amdhsa_reserve_flat_scratch 0
		.amdhsa_float_round_mode_32 0
		.amdhsa_float_round_mode_16_64 0
		.amdhsa_float_denorm_mode_32 3
		.amdhsa_float_denorm_mode_16_64 3
		.amdhsa_dx10_clamp 1
		.amdhsa_ieee_mode 1
		.amdhsa_fp16_overflow 0
		.amdhsa_tg_split 0
		.amdhsa_exception_fp_ieee_invalid_op 0
		.amdhsa_exception_fp_denorm_src 0
		.amdhsa_exception_fp_ieee_div_zero 0
		.amdhsa_exception_fp_ieee_overflow 0
		.amdhsa_exception_fp_ieee_underflow 0
		.amdhsa_exception_fp_ieee_inexact 0
		.amdhsa_exception_int_div_zero 0
	.end_amdhsa_kernel
	.section	.text._ZN2at6native6sbtopk10gatherTopKIN3c108BFloat16EjLin1ELb0EEEvNS_4cuda6detail10TensorInfoIKT_T0_EESA_SA_bSA_SA_NS7_IS8_SA_EESA_NS7_IlSA_EESA_PS8_,"axG",@progbits,_ZN2at6native6sbtopk10gatherTopKIN3c108BFloat16EjLin1ELb0EEEvNS_4cuda6detail10TensorInfoIKT_T0_EESA_SA_bSA_SA_NS7_IS8_SA_EESA_NS7_IlSA_EESA_PS8_,comdat
.Lfunc_end117:
	.size	_ZN2at6native6sbtopk10gatherTopKIN3c108BFloat16EjLin1ELb0EEEvNS_4cuda6detail10TensorInfoIKT_T0_EESA_SA_bSA_SA_NS7_IS8_SA_EESA_NS7_IlSA_EESA_PS8_, .Lfunc_end117-_ZN2at6native6sbtopk10gatherTopKIN3c108BFloat16EjLin1ELb0EEEvNS_4cuda6detail10TensorInfoIKT_T0_EESA_SA_bSA_SA_NS7_IS8_SA_EESA_NS7_IlSA_EESA_PS8_
                                        ; -- End function
	.section	.AMDGPU.csdata,"",@progbits
; Kernel info:
; codeLenInByte = 17536
; NumSgprs: 100
; NumVgprs: 55
; NumAgprs: 0
; TotalNumVgprs: 55
; ScratchSize: 0
; MemoryBound: 0
; FloatMode: 240
; IeeeMode: 1
; LDSByteSize: 4112 bytes/workgroup (compile time only)
; SGPRBlocks: 12
; VGPRBlocks: 6
; NumSGPRsForWavesPerEU: 100
; NumVGPRsForWavesPerEU: 55
; AccumOffset: 56
; Occupancy: 8
; WaveLimiterHint : 1
; COMPUTE_PGM_RSRC2:SCRATCH_EN: 0
; COMPUTE_PGM_RSRC2:USER_SGPR: 6
; COMPUTE_PGM_RSRC2:TRAP_HANDLER: 0
; COMPUTE_PGM_RSRC2:TGID_X_EN: 1
; COMPUTE_PGM_RSRC2:TGID_Y_EN: 1
; COMPUTE_PGM_RSRC2:TGID_Z_EN: 1
; COMPUTE_PGM_RSRC2:TIDIG_COMP_CNT: 0
; COMPUTE_PGM_RSRC3_GFX90A:ACCUM_OFFSET: 13
; COMPUTE_PGM_RSRC3_GFX90A:TG_SPLIT: 0
	.section	.text._ZN2at6native6mbtopk23computeBlockDigitCountsIhmjLi1EEEvNS_4cuda6detail10TensorInfoIKT_T0_EEjPjjS8_iijT1_PSB_Ps,"axG",@progbits,_ZN2at6native6mbtopk23computeBlockDigitCountsIhmjLi1EEEvNS_4cuda6detail10TensorInfoIKT_T0_EEjPjjS8_iijT1_PSB_Ps,comdat
	.protected	_ZN2at6native6mbtopk23computeBlockDigitCountsIhmjLi1EEEvNS_4cuda6detail10TensorInfoIKT_T0_EEjPjjS8_iijT1_PSB_Ps ; -- Begin function _ZN2at6native6mbtopk23computeBlockDigitCountsIhmjLi1EEEvNS_4cuda6detail10TensorInfoIKT_T0_EEjPjjS8_iijT1_PSB_Ps
	.globl	_ZN2at6native6mbtopk23computeBlockDigitCountsIhmjLi1EEEvNS_4cuda6detail10TensorInfoIKT_T0_EEjPjjS8_iijT1_PSB_Ps
	.p2align	8
	.type	_ZN2at6native6mbtopk23computeBlockDigitCountsIhmjLi1EEEvNS_4cuda6detail10TensorInfoIKT_T0_EEjPjjS8_iijT1_PSB_Ps,@function
_ZN2at6native6mbtopk23computeBlockDigitCountsIhmjLi1EEEvNS_4cuda6detail10TensorInfoIKT_T0_EEjPjjS8_iijT1_PSB_Ps: ; @_ZN2at6native6mbtopk23computeBlockDigitCountsIhmjLi1EEEvNS_4cuda6detail10TensorInfoIKT_T0_EEjPjjS8_iijT1_PSB_Ps
; %bb.0:
	s_load_dwordx4 s[0:3], s[4:5], 0x1c0
	s_load_dword s9, s[4:5], 0x1b0
	s_load_dwordx2 s[10:11], s[4:5], 0x1e0
	s_mov_b32 s13, 0
	s_waitcnt lgkmcnt(0)
	v_cvt_f32_u32_e32 v1, s2
	s_mul_i32 s8, s11, s8
	s_add_i32 s7, s8, s7
	v_rcp_iflag_f32_e32 v1, v1
	s_mul_i32 s14, s7, s10
	s_sub_i32 s11, 0, s2
	s_add_i32 s14, s14, s6
	v_mul_f32_e32 v1, 0x4f7ffffe, v1
	v_cvt_u32_f32_e32 v1, v1
	v_readfirstlane_b32 s6, v1
	s_mul_i32 s11, s11, s6
	s_mul_hi_u32 s7, s6, s11
	s_add_i32 s6, s6, s7
	s_mul_hi_u32 s6, s14, s6
	s_mul_i32 s7, s6, s2
	s_sub_i32 s7, s14, s7
	s_add_i32 s8, s6, 1
	s_sub_i32 s10, s7, s2
	s_cmp_ge_u32 s7, s2
	s_cselect_b32 s6, s8, s6
	s_cselect_b32 s7, s10, s7
	s_add_i32 s8, s6, 1
	s_cmp_ge_u32 s7, s2
	s_cselect_b32 s12, s8, s6
	s_cmp_ge_u32 s12, s9
	s_cbranch_scc1 .LBB118_29
; %bb.1:
	s_load_dwordx4 s[8:11], s[4:5], 0x1d0
	s_lshl_b64 s[6:7], s[12:13], 2
	s_movk_i32 s13, 0x100
	v_cmp_gt_u32_e32 vcc, s13, v0
	v_lshlrev_b32_e32 v1, 2, v0
	s_waitcnt lgkmcnt(0)
	s_add_u32 s8, s8, s6
	s_addc_u32 s9, s9, s7
	s_and_saveexec_b64 s[6:7], vcc
	s_cbranch_execz .LBB118_3
; %bb.2:
	v_mov_b32_e32 v2, 0
	ds_write_b32 v1, v2
.LBB118_3:
	s_or_b64 exec, exec, s[6:7]
	s_load_dword s13, s[4:5], 0x1a0
	s_mul_i32 s6, s12, s2
	s_sub_i32 s6, s14, s6
	s_add_i32 s7, s6, 1
	s_mul_i32 s6, s1, s6
	s_lshl_b32 s15, s6, 8
	s_waitcnt lgkmcnt(0)
	s_sub_i32 s6, s13, s15
	s_add_u32 s6, s6, 0xff
	s_addc_u32 s16, 0, 0
	v_mov_b32_e32 v2, s6
	v_alignbit_b32 v2, s16, v2, 8
	s_cmp_lt_u32 s7, s2
	v_readfirstlane_b32 s2, v2
	s_cselect_b32 s17, s1, s2
	s_cmp_lt_i32 s17, 1
	s_mov_b32 s16, 0
	s_barrier
	s_cbranch_scc1 .LBB118_25
; %bb.4:
	s_load_dwordx2 s[18:19], s[4:5], 0xd0
	s_load_dwordx2 s[6:7], s[4:5], 0x1b8
	;; [unrolled: 1-line block ×3, first 2 shown]
	s_load_dword s2, s[8:9], 0x0
	s_waitcnt lgkmcnt(0)
	s_mul_i32 s1, s19, s12
	s_mul_hi_u32 s4, s18, s12
	s_add_i32 s1, s4, s1
	s_mul_i32 s4, s18, s12
	s_add_u32 s4, s20, s4
	s_addc_u32 s5, s21, s1
	s_and_b32 s12, s0, 0xff
	s_cmp_lt_u32 s17, 4
	s_cbranch_scc1 .LBB118_19
; %bb.5:
	s_and_b32 s16, s17, 0x7ffffffc
	v_add_u32_e32 v2, s15, v0
	s_mov_b32 s18, 0
	v_mov_b32_e32 v3, 1
	s_branch .LBB118_7
.LBB118_6:                              ;   in Loop: Header=BB118_7 Depth=1
	s_or_b64 exec, exec, s[8:9]
	s_add_i32 s18, s18, 4
	s_cmp_eq_u32 s16, s18
	v_add_u32_e32 v2, 0x400, v2
	s_cbranch_scc1 .LBB118_19
.LBB118_7:                              ; =>This Inner Loop Header: Depth=1
	v_cmp_gt_u32_e64 s[0:1], s13, v2
	s_and_saveexec_b64 s[8:9], s[0:1]
	s_cbranch_execz .LBB118_10
; %bb.8:                                ;   in Loop: Header=BB118_7 Depth=1
	v_pk_mov_b32 v[4:5], s[4:5], s[4:5] op_sel:[0,1]
	v_mad_u64_u32 v[4:5], s[0:1], v2, s6, v[4:5]
	v_mov_b32_e32 v6, v5
	v_mad_u64_u32 v[6:7], s[0:1], v2, s7, v[6:7]
	v_mov_b32_e32 v5, v6
	global_load_ubyte v4, v[4:5], off
	s_waitcnt vmcnt(0)
	v_xor_b32_e32 v5, s2, v4
	v_and_b32_e32 v5, s3, v5
	v_cmp_eq_u32_e64 s[0:1], 0, v5
	s_and_b64 exec, exec, s[0:1]
	s_cbranch_execz .LBB118_10
; %bb.9:                                ;   in Loop: Header=BB118_7 Depth=1
	v_lshrrev_b32_e32 v4, s12, v4
	v_lshlrev_b32_e32 v4, 2, v4
	ds_add_u32 v4, v3
.LBB118_10:                             ;   in Loop: Header=BB118_7 Depth=1
	s_or_b64 exec, exec, s[8:9]
	v_add_u32_e32 v4, 0x100, v2
	v_cmp_gt_u32_e64 s[0:1], s13, v4
	s_and_saveexec_b64 s[8:9], s[0:1]
	s_cbranch_execz .LBB118_13
; %bb.11:                               ;   in Loop: Header=BB118_7 Depth=1
	v_pk_mov_b32 v[6:7], s[4:5], s[4:5] op_sel:[0,1]
	v_mad_u64_u32 v[6:7], s[0:1], v4, s6, v[6:7]
	v_mov_b32_e32 v8, v7
	v_mad_u64_u32 v[4:5], s[0:1], v4, s7, v[8:9]
	v_mov_b32_e32 v7, v4
	global_load_ubyte v4, v[6:7], off
	s_waitcnt vmcnt(0)
	v_xor_b32_e32 v5, s2, v4
	v_and_b32_e32 v5, s3, v5
	v_cmp_eq_u32_e64 s[0:1], 0, v5
	s_and_b64 exec, exec, s[0:1]
	s_cbranch_execz .LBB118_13
; %bb.12:                               ;   in Loop: Header=BB118_7 Depth=1
	v_lshrrev_b32_e32 v4, s12, v4
	v_lshlrev_b32_e32 v4, 2, v4
	ds_add_u32 v4, v3
.LBB118_13:                             ;   in Loop: Header=BB118_7 Depth=1
	s_or_b64 exec, exec, s[8:9]
	v_add_u32_e32 v4, 0x200, v2
	v_cmp_gt_u32_e64 s[0:1], s13, v4
	s_and_saveexec_b64 s[8:9], s[0:1]
	s_cbranch_execz .LBB118_16
; %bb.14:                               ;   in Loop: Header=BB118_7 Depth=1
	v_pk_mov_b32 v[6:7], s[4:5], s[4:5] op_sel:[0,1]
	v_mad_u64_u32 v[6:7], s[0:1], v4, s6, v[6:7]
	v_mov_b32_e32 v8, v7
	v_mad_u64_u32 v[4:5], s[0:1], v4, s7, v[8:9]
	v_mov_b32_e32 v7, v4
	global_load_ubyte v4, v[6:7], off
	s_waitcnt vmcnt(0)
	v_xor_b32_e32 v5, s2, v4
	v_and_b32_e32 v5, s3, v5
	v_cmp_eq_u32_e64 s[0:1], 0, v5
	s_and_b64 exec, exec, s[0:1]
	s_cbranch_execz .LBB118_16
; %bb.15:                               ;   in Loop: Header=BB118_7 Depth=1
	v_lshrrev_b32_e32 v4, s12, v4
	v_lshlrev_b32_e32 v4, 2, v4
	ds_add_u32 v4, v3
.LBB118_16:                             ;   in Loop: Header=BB118_7 Depth=1
	s_or_b64 exec, exec, s[8:9]
	v_add_u32_e32 v4, 0x300, v2
	v_cmp_gt_u32_e64 s[0:1], s13, v4
	s_and_saveexec_b64 s[8:9], s[0:1]
	s_cbranch_execz .LBB118_6
; %bb.17:                               ;   in Loop: Header=BB118_7 Depth=1
	v_pk_mov_b32 v[6:7], s[4:5], s[4:5] op_sel:[0,1]
	v_mad_u64_u32 v[6:7], s[0:1], v4, s6, v[6:7]
	v_mov_b32_e32 v8, v7
	v_mad_u64_u32 v[4:5], s[0:1], v4, s7, v[8:9]
	v_mov_b32_e32 v7, v4
	global_load_ubyte v4, v[6:7], off
	s_waitcnt vmcnt(0)
	v_xor_b32_e32 v5, s2, v4
	v_and_b32_e32 v5, s3, v5
	v_cmp_eq_u32_e64 s[0:1], 0, v5
	s_and_b64 exec, exec, s[0:1]
	s_cbranch_execz .LBB118_6
; %bb.18:                               ;   in Loop: Header=BB118_7 Depth=1
	v_lshrrev_b32_e32 v4, s12, v4
	v_lshlrev_b32_e32 v4, 2, v4
	ds_add_u32 v4, v3
	s_branch .LBB118_6
.LBB118_19:
	s_and_b32 s17, s17, 3
	s_cmp_eq_u32 s17, 0
	s_cbranch_scc1 .LBB118_25
; %bb.20:
	s_lshl_b32 s0, s16, 8
	s_add_i32 s0, s0, s15
	v_add_u32_e32 v2, s0, v0
	v_mov_b32_e32 v3, 1
	s_branch .LBB118_22
.LBB118_21:                             ;   in Loop: Header=BB118_22 Depth=1
	s_or_b64 exec, exec, s[8:9]
	s_add_i32 s17, s17, -1
	s_cmp_lg_u32 s17, 0
	v_add_u32_e32 v2, 0x100, v2
	s_cbranch_scc0 .LBB118_25
.LBB118_22:                             ; =>This Inner Loop Header: Depth=1
	v_cmp_gt_u32_e64 s[0:1], s13, v2
	s_and_saveexec_b64 s[8:9], s[0:1]
	s_cbranch_execz .LBB118_21
; %bb.23:                               ;   in Loop: Header=BB118_22 Depth=1
	v_pk_mov_b32 v[4:5], s[4:5], s[4:5] op_sel:[0,1]
	v_mad_u64_u32 v[4:5], s[0:1], v2, s6, v[4:5]
	v_mov_b32_e32 v6, v5
	v_mad_u64_u32 v[6:7], s[0:1], v2, s7, v[6:7]
	v_mov_b32_e32 v5, v6
	global_load_ubyte v4, v[4:5], off
	s_waitcnt vmcnt(0)
	v_xor_b32_e32 v5, s2, v4
	v_and_b32_e32 v5, s3, v5
	v_cmp_eq_u32_e64 s[0:1], 0, v5
	s_and_b64 exec, exec, s[0:1]
	s_cbranch_execz .LBB118_21
; %bb.24:                               ;   in Loop: Header=BB118_22 Depth=1
	v_lshrrev_b32_e32 v4, s12, v4
	v_lshlrev_b32_e32 v4, 2, v4
	ds_add_u32 v4, v3
	s_branch .LBB118_21
.LBB118_25:
	v_mov_b32_e32 v2, 0
	s_waitcnt lgkmcnt(0)
	s_barrier
	s_and_saveexec_b64 s[0:1], vcc
	s_cbranch_execz .LBB118_27
; %bb.26:
	ds_read_b32 v2, v1
.LBB118_27:
	s_or_b64 exec, exec, s[0:1]
	s_and_saveexec_b64 s[0:1], vcc
	s_cbranch_execz .LBB118_29
; %bb.28:
	v_lshl_or_b32 v0, s14, 8, v0
	v_mov_b32_e32 v1, 0
	v_lshlrev_b64 v[0:1], 1, v[0:1]
	v_mov_b32_e32 v3, s11
	v_add_co_u32_e32 v0, vcc, s10, v0
	v_addc_co_u32_e32 v1, vcc, v3, v1, vcc
	s_waitcnt lgkmcnt(0)
	global_store_short v[0:1], v2, off
.LBB118_29:
	s_endpgm
	.section	.rodata,"a",@progbits
	.p2align	6, 0x0
	.amdhsa_kernel _ZN2at6native6mbtopk23computeBlockDigitCountsIhmjLi1EEEvNS_4cuda6detail10TensorInfoIKT_T0_EEjPjjS8_iijT1_PSB_Ps
		.amdhsa_group_segment_fixed_size 1024
		.amdhsa_private_segment_fixed_size 0
		.amdhsa_kernarg_size 736
		.amdhsa_user_sgpr_count 6
		.amdhsa_user_sgpr_private_segment_buffer 1
		.amdhsa_user_sgpr_dispatch_ptr 0
		.amdhsa_user_sgpr_queue_ptr 0
		.amdhsa_user_sgpr_kernarg_segment_ptr 1
		.amdhsa_user_sgpr_dispatch_id 0
		.amdhsa_user_sgpr_flat_scratch_init 0
		.amdhsa_user_sgpr_kernarg_preload_length 0
		.amdhsa_user_sgpr_kernarg_preload_offset 0
		.amdhsa_user_sgpr_private_segment_size 0
		.amdhsa_uses_dynamic_stack 0
		.amdhsa_system_sgpr_private_segment_wavefront_offset 0
		.amdhsa_system_sgpr_workgroup_id_x 1
		.amdhsa_system_sgpr_workgroup_id_y 1
		.amdhsa_system_sgpr_workgroup_id_z 1
		.amdhsa_system_sgpr_workgroup_info 0
		.amdhsa_system_vgpr_workitem_id 0
		.amdhsa_next_free_vgpr 10
		.amdhsa_next_free_sgpr 22
		.amdhsa_accum_offset 12
		.amdhsa_reserve_vcc 1
		.amdhsa_reserve_flat_scratch 0
		.amdhsa_float_round_mode_32 0
		.amdhsa_float_round_mode_16_64 0
		.amdhsa_float_denorm_mode_32 3
		.amdhsa_float_denorm_mode_16_64 3
		.amdhsa_dx10_clamp 1
		.amdhsa_ieee_mode 1
		.amdhsa_fp16_overflow 0
		.amdhsa_tg_split 0
		.amdhsa_exception_fp_ieee_invalid_op 0
		.amdhsa_exception_fp_denorm_src 0
		.amdhsa_exception_fp_ieee_div_zero 0
		.amdhsa_exception_fp_ieee_overflow 0
		.amdhsa_exception_fp_ieee_underflow 0
		.amdhsa_exception_fp_ieee_inexact 0
		.amdhsa_exception_int_div_zero 0
	.end_amdhsa_kernel
	.section	.text._ZN2at6native6mbtopk23computeBlockDigitCountsIhmjLi1EEEvNS_4cuda6detail10TensorInfoIKT_T0_EEjPjjS8_iijT1_PSB_Ps,"axG",@progbits,_ZN2at6native6mbtopk23computeBlockDigitCountsIhmjLi1EEEvNS_4cuda6detail10TensorInfoIKT_T0_EEjPjjS8_iijT1_PSB_Ps,comdat
.Lfunc_end118:
	.size	_ZN2at6native6mbtopk23computeBlockDigitCountsIhmjLi1EEEvNS_4cuda6detail10TensorInfoIKT_T0_EEjPjjS8_iijT1_PSB_Ps, .Lfunc_end118-_ZN2at6native6mbtopk23computeBlockDigitCountsIhmjLi1EEEvNS_4cuda6detail10TensorInfoIKT_T0_EEjPjjS8_iijT1_PSB_Ps
                                        ; -- End function
	.section	.AMDGPU.csdata,"",@progbits
; Kernel info:
; codeLenInByte = 1100
; NumSgprs: 26
; NumVgprs: 10
; NumAgprs: 0
; TotalNumVgprs: 10
; ScratchSize: 0
; MemoryBound: 0
; FloatMode: 240
; IeeeMode: 1
; LDSByteSize: 1024 bytes/workgroup (compile time only)
; SGPRBlocks: 3
; VGPRBlocks: 1
; NumSGPRsForWavesPerEU: 26
; NumVGPRsForWavesPerEU: 10
; AccumOffset: 12
; Occupancy: 8
; WaveLimiterHint : 1
; COMPUTE_PGM_RSRC2:SCRATCH_EN: 0
; COMPUTE_PGM_RSRC2:USER_SGPR: 6
; COMPUTE_PGM_RSRC2:TRAP_HANDLER: 0
; COMPUTE_PGM_RSRC2:TGID_X_EN: 1
; COMPUTE_PGM_RSRC2:TGID_Y_EN: 1
; COMPUTE_PGM_RSRC2:TGID_Z_EN: 1
; COMPUTE_PGM_RSRC2:TIDIG_COMP_CNT: 0
; COMPUTE_PGM_RSRC3_GFX90A:ACCUM_OFFSET: 2
; COMPUTE_PGM_RSRC3_GFX90A:TG_SPLIT: 0
	.section	.text._ZN2at6native6mbtopk10gatherTopKIhmLi1EEEvNS_4cuda6detail10TensorInfoIKT_T0_EES8_S8_bjS8_NS5_IS6_S8_EES8_NS5_IlS8_EES8_jjPS6_PjSD_j,"axG",@progbits,_ZN2at6native6mbtopk10gatherTopKIhmLi1EEEvNS_4cuda6detail10TensorInfoIKT_T0_EES8_S8_bjS8_NS5_IS6_S8_EES8_NS5_IlS8_EES8_jjPS6_PjSD_j,comdat
	.protected	_ZN2at6native6mbtopk10gatherTopKIhmLi1EEEvNS_4cuda6detail10TensorInfoIKT_T0_EES8_S8_bjS8_NS5_IS6_S8_EES8_NS5_IlS8_EES8_jjPS6_PjSD_j ; -- Begin function _ZN2at6native6mbtopk10gatherTopKIhmLi1EEEvNS_4cuda6detail10TensorInfoIKT_T0_EES8_S8_bjS8_NS5_IS6_S8_EES8_NS5_IlS8_EES8_jjPS6_PjSD_j
	.globl	_ZN2at6native6mbtopk10gatherTopKIhmLi1EEEvNS_4cuda6detail10TensorInfoIKT_T0_EES8_S8_bjS8_NS5_IS6_S8_EES8_NS5_IlS8_EES8_jjPS6_PjSD_j
	.p2align	8
	.type	_ZN2at6native6mbtopk10gatherTopKIhmLi1EEEvNS_4cuda6detail10TensorInfoIKT_T0_EES8_S8_bjS8_NS5_IS6_S8_EES8_NS5_IlS8_EES8_jjPS6_PjSD_j,@function
_ZN2at6native6mbtopk10gatherTopKIhmLi1EEEvNS_4cuda6detail10TensorInfoIKT_T0_EES8_S8_bjS8_NS5_IS6_S8_EES8_NS5_IlS8_EES8_jjPS6_PjSD_j: ; @_ZN2at6native6mbtopk10gatherTopKIhmLi1EEEvNS_4cuda6detail10TensorInfoIKT_T0_EES8_S8_bjS8_NS5_IS6_S8_EES8_NS5_IlS8_EES8_jjPS6_PjSD_j
; %bb.0:
	s_load_dwordx2 s[0:1], s[4:5], 0x538
	s_load_dword s2, s[4:5], 0x530
	s_waitcnt lgkmcnt(0)
	s_mul_i32 s1, s1, s8
	s_add_i32 s1, s1, s7
	s_mul_i32 s0, s1, s0
	s_add_i32 s0, s0, s6
	s_cmp_ge_u32 s0, s2
	s_cbranch_scc1 .LBB119_42
; %bb.1:
	s_load_dwordx2 s[20:21], s[4:5], 0x510
	s_load_dwordx4 s[8:11], s[4:5], 0x1a0
	s_waitcnt lgkmcnt(0)
	v_cvt_f32_u32_e32 v1, s21
	s_sub_i32 s2, 0, s21
	s_lshl_b32 s1, s20, 8
	v_rcp_iflag_f32_e32 v1, v1
	v_mul_f32_e32 v1, 0x4f7ffffe, v1
	v_cvt_u32_f32_e32 v1, v1
	v_readfirstlane_b32 s3, v1
	s_mul_i32 s2, s2, s3
	s_mul_hi_u32 s2, s3, s2
	s_add_i32 s3, s3, s2
	s_mul_hi_u32 s2, s0, s3
	s_mul_i32 s3, s2, s21
	s_sub_i32 s3, s0, s3
	s_add_i32 s6, s2, 1
	s_sub_i32 s7, s3, s21
	s_cmp_ge_u32 s3, s21
	s_cselect_b32 s2, s6, s2
	s_cselect_b32 s3, s7, s3
	s_add_i32 s6, s2, 1
	s_cmp_ge_u32 s3, s21
	s_cselect_b32 s38, s6, s2
	s_mul_i32 s22, s38, s21
	s_sub_i32 s39, s0, s22
	s_add_i32 s0, s39, 1
	s_cmp_lt_u32 s0, s21
	s_mul_i32 s33, s39, s1
	s_cbranch_scc1 .LBB119_3
; %bb.2:
	s_sub_u32 s0, s8, s33
	s_subb_u32 s1, s9, 0
	s_add_u32 s0, s0, 0xff
	s_addc_u32 s1, s1, 0
	s_ashr_i32 s2, s1, 31
	s_lshr_b32 s2, s2, 24
	s_add_u32 s0, s0, s2
	s_addc_u32 s1, s1, 0
	v_mov_b32_e32 v1, s0
	v_alignbit_b32 v1, s1, v1, 8
	v_readfirstlane_b32 s20, v1
.LBB119_3:
	s_load_dwordx4 s[12:15], s[4:5], 0x518
	v_mov_b32_e32 v1, s38
	v_cmp_ne_u32_e64 s[0:1], 0, v0
	v_cmp_eq_u32_e64 s[2:3], 0, v0
	s_waitcnt lgkmcnt(0)
	global_load_ubyte v5, v1, s[12:13]
	s_load_dwordx2 s[6:7], s[4:5], 0x0
	s_load_dwordx2 s[28:29], s[4:5], 0xd0
	;; [unrolled: 1-line block ×4, first 2 shown]
	s_and_saveexec_b64 s[12:13], s[2:3]
	s_cbranch_execz .LBB119_19
; %bb.4:
	s_load_dwordx2 s[30:31], s[4:5], 0x528
	s_mov_b32 s23, 0
	s_lshl_b64 s[34:35], s[22:23], 2
	s_add_u32 s16, s14, s34
	s_addc_u32 s17, s15, s35
	s_waitcnt lgkmcnt(0)
	s_add_u32 s18, s30, s34
	s_addc_u32 s19, s31, s35
	s_mov_b32 s22, 0
	s_mov_b32 s40, 0
	s_cmp_lt_u32 s21, 4
	s_cbranch_scc1 .LBB119_16
; %bb.5:
	s_mov_b32 s41, 0
.LBB119_6:                              ; =>This Inner Loop Header: Depth=1
	s_add_u32 s16, s14, s34
	s_addc_u32 s17, s15, s35
	s_load_dwordx4 s[16:19], s[16:17], 0x0
	s_add_u32 s36, s30, s34
	s_addc_u32 s37, s31, s35
	s_cmp_ge_u32 s41, s39
	s_cbranch_scc0 .LBB119_13
; %bb.7:                                ;   in Loop: Header=BB119_6 Depth=1
	s_add_i32 s42, s41, 1
	s_cmp_ge_u32 s42, s39
	s_cbranch_scc0 .LBB119_14
.LBB119_8:                              ;   in Loop: Header=BB119_6 Depth=1
	s_add_i32 s42, s42, 1
	s_cmp_ge_u32 s42, s39
	s_cbranch_scc0 .LBB119_15
.LBB119_9:                              ;   in Loop: Header=BB119_6 Depth=1
	s_add_i32 s42, s42, 1
	s_cmp_ge_u32 s42, s39
	s_cbranch_scc1 .LBB119_11
.LBB119_10:                             ;   in Loop: Header=BB119_6 Depth=1
	s_load_dword s36, s[36:37], 0xc
	s_waitcnt lgkmcnt(0)
	s_add_i32 s23, s23, s19
	s_add_i32 s22, s36, s22
.LBB119_11:                             ;   in Loop: Header=BB119_6 Depth=1
	s_waitcnt lgkmcnt(0)
	s_add_i32 s16, s16, s40
	s_add_i32 s16, s16, s17
	;; [unrolled: 1-line block ×4, first 2 shown]
	s_add_u32 s14, s14, 16
	s_addc_u32 s15, s15, 0
	s_add_u32 s30, s30, 16
	s_addc_u32 s31, s31, 0
	s_add_i32 s37, s42, 4
	s_add_u32 s18, s30, s34
	s_addc_u32 s19, s31, s35
	s_add_u32 s16, s14, s34
	s_addc_u32 s17, s15, s35
	s_add_i32 s36, s42, 1
	s_cmp_ge_u32 s37, s21
	s_cbranch_scc1 .LBB119_17
; %bb.12:                               ;   in Loop: Header=BB119_6 Depth=1
	s_mov_b32 s41, s36
	s_branch .LBB119_6
.LBB119_13:                             ;   in Loop: Header=BB119_6 Depth=1
	s_load_dword s42, s[36:37], 0x0
	s_waitcnt lgkmcnt(0)
	s_add_i32 s23, s16, s23
	s_add_i32 s22, s42, s22
	s_add_i32 s42, s41, 1
	s_cmp_ge_u32 s42, s39
	s_cbranch_scc1 .LBB119_8
.LBB119_14:                             ;   in Loop: Header=BB119_6 Depth=1
	s_load_dword s43, s[36:37], 0x4
	s_waitcnt lgkmcnt(0)
	s_add_i32 s23, s23, s17
	s_add_i32 s22, s43, s22
	;; [unrolled: 1-line block ×3, first 2 shown]
	s_cmp_ge_u32 s42, s39
	s_cbranch_scc1 .LBB119_9
.LBB119_15:                             ;   in Loop: Header=BB119_6 Depth=1
	s_load_dword s43, s[36:37], 0x8
	s_waitcnt lgkmcnt(0)
	s_add_i32 s23, s23, s18
	s_add_i32 s22, s43, s22
	;; [unrolled: 1-line block ×3, first 2 shown]
	s_cmp_ge_u32 s42, s39
	s_cbranch_scc0 .LBB119_10
	s_branch .LBB119_11
.LBB119_16:
	s_mov_b32 s14, 0
	s_cmp_ge_u32 s14, s21
	s_cbranch_scc0 .LBB119_40
	s_branch .LBB119_18
.LBB119_17:
	s_add_i32 s14, s41, 4
	s_cmp_ge_u32 s14, s21
	s_cbranch_scc0 .LBB119_40
.LBB119_18:
	v_mov_b32_e32 v2, s22
	v_mov_b32_e32 v3, s40
	;; [unrolled: 1-line block ×4, first 2 shown]
	ds_write_b96 v1, v[2:4] offset:1056
.LBB119_19:
	s_or_b64 exec, exec, s[12:13]
	s_load_dwordx4 s[12:15], s[4:5], 0x1b8
	s_load_dwordx4 s[16:19], s[4:5], 0x360
	s_cmp_eq_u32 s20, 0
	s_waitcnt lgkmcnt(0)
	s_barrier
	s_cbranch_scc1 .LBB119_42
; %bb.20:
	s_mul_i32 s23, s27, s38
	s_mul_hi_u32 s27, s26, s38
	s_mul_i32 s21, s29, s38
	s_mul_hi_u32 s22, s28, s38
	s_add_i32 s27, s27, s23
	s_mul_i32 s23, s25, s38
	s_mul_hi_u32 s25, s24, s38
	v_mov_b32_e32 v1, 0
	s_add_i32 s21, s22, s21
	s_mul_i32 s22, s28, s38
	s_add_i32 s25, s25, s23
	ds_read_b96 v[2:4], v1 offset:1056
	s_add_u32 s22, s6, s22
	s_mul_i32 s26, s26, s38
	s_addc_u32 s23, s7, s21
	s_mul_i32 s24, s24, s38
	s_add_u32 s14, s14, s26
	s_addc_u32 s15, s15, s27
	s_lshl_b64 s[6:7], s[24:25], 3
	s_add_u32 s21, s18, s6
	s_load_dword s6, s[4:5], 0x1b0
	s_waitcnt lgkmcnt(0)
	v_add_u32_e32 v2, v2, v3
	v_lshrrev_b32_e32 v3, 5, v0
	v_add_lshl_u32 v8, v3, v0, 2
	v_lshlrev_b32_e32 v3, 2, v0
	v_lshrrev_b32_e32 v6, 3, v0
	s_addc_u32 s26, s19, s7
	s_load_dwordx2 s[18:19], s[4:5], 0x508
	v_add_lshl_u32 v9, v6, v3, 2
	v_add_u32_e32 v3, -1, v0
	v_lshrrev_b32_e32 v6, 5, v3
	v_add_lshl_u32 v10, v6, v3, 2
	v_mbcnt_lo_u32_b32 v3, -1, 0
	s_bitcmp1_b32 s6, 0
	v_mbcnt_hi_u32_b32 v11, -1, v3
	s_cselect_b64 s[4:5], -1, 0
	v_cmp_gt_u32_e64 s[6:7], 64, v0
	v_add_u32_e32 v0, s33, v0
	v_and_b32_e32 v12, 15, v11
	v_bfe_i32 v13, v11, 4, 1
	v_add_u32_e32 v14, -1, v11
	v_and_b32_e32 v15, 64, v11
                                        ; implicit-def: $vgpr16
	s_branch .LBB119_23
.LBB119_21:                             ;   in Loop: Header=BB119_23 Depth=1
	s_or_b64 exec, exec, s[24:25]
	v_add_u32_e32 v2, v3, v2
.LBB119_22:                             ;   in Loop: Header=BB119_23 Depth=1
	s_add_i32 s20, s20, -1
	v_add_u32_e32 v4, v17, v4
	s_cmp_lg_u32 s20, 0
	v_add_u32_e32 v0, 0x100, v0
	s_cbranch_scc0 .LBB119_42
.LBB119_23:                             ; =>This Inner Loop Header: Depth=1
	v_cmp_gt_u64_e32 vcc, s[8:9], v[0:1]
	v_mov_b32_e32 v3, v1
	v_mov_b32_e32 v6, v1
	s_and_saveexec_b64 s[24:25], vcc
	s_cbranch_execz .LBB119_25
; %bb.24:                               ;   in Loop: Header=BB119_23 Depth=1
	v_pk_mov_b32 v[6:7], s[22:23], s[22:23] op_sel:[0,1]
	v_mad_u64_u32 v[6:7], s[28:29], v0, s12, v[6:7]
	v_mov_b32_e32 v16, v7
	v_mad_u64_u32 v[16:17], s[28:29], v0, s13, v[16:17]
	v_mov_b32_e32 v7, v16
	global_load_ubyte v16, v[6:7], off
	s_waitcnt vmcnt(0)
	v_cmp_gt_u16_sdwa s[28:29], v16, v5 src0_sel:DWORD src1_sel:BYTE_0
	v_cndmask_b32_e64 v3, 0, 1, s[28:29]
	v_cmp_lt_u16_sdwa s[28:29], v16, v5 src0_sel:DWORD src1_sel:BYTE_0
	v_cndmask_b32_e64 v6, 0, 1, s[28:29]
	v_cndmask_b32_e64 v3, v6, v3, s[4:5]
	v_cmp_eq_u16_sdwa s[28:29], v16, v5 src0_sel:DWORD src1_sel:BYTE_0
	v_and_b32_e32 v3, 1, v3
	v_cndmask_b32_e64 v6, 0, 1, s[28:29]
.LBB119_25:                             ;   in Loop: Header=BB119_23 Depth=1
	s_or_b64 exec, exec, s[24:25]
	ds_write_b32 v8, v3
	s_waitcnt lgkmcnt(0)
	s_barrier
	s_and_saveexec_b64 s[24:25], s[6:7]
	s_cbranch_execz .LBB119_27
; %bb.26:                               ;   in Loop: Header=BB119_23 Depth=1
	ds_read2_b32 v[18:19], v9 offset1:1
	ds_read2_b32 v[20:21], v9 offset0:2 offset1:3
	v_cmp_ne_u32_e32 vcc, 0, v12
	; wave barrier
	s_waitcnt lgkmcnt(1)
	v_add_u32_e32 v7, v19, v18
	s_waitcnt lgkmcnt(0)
	v_add3_u32 v7, v7, v20, v21
	s_nop 1
	v_mov_b32_dpp v17, v7 row_shr:1 row_mask:0xf bank_mask:0xf
	v_cndmask_b32_e32 v17, 0, v17, vcc
	v_add_u32_e32 v7, v17, v7
	v_cmp_lt_u32_e32 vcc, 1, v12
	s_nop 0
	v_mov_b32_dpp v17, v7 row_shr:2 row_mask:0xf bank_mask:0xf
	v_cndmask_b32_e32 v17, 0, v17, vcc
	v_add_u32_e32 v7, v7, v17
	v_cmp_lt_u32_e32 vcc, 3, v12
	;; [unrolled: 5-line block ×4, first 2 shown]
	s_nop 0
	v_mov_b32_dpp v17, v7 row_bcast:15 row_mask:0xf bank_mask:0xf
	v_and_b32_e32 v17, v13, v17
	v_add_u32_e32 v7, v7, v17
	s_nop 1
	v_mov_b32_dpp v17, v7 row_bcast:31 row_mask:0xf bank_mask:0xf
	v_cndmask_b32_e32 v17, 0, v17, vcc
	v_cmp_lt_i32_e32 vcc, v14, v15
	v_add_u32_e32 v7, v7, v17
	v_cndmask_b32_e32 v17, v14, v11, vcc
	v_lshlrev_b32_e32 v17, 2, v17
	ds_bpermute_b32 v7, v17, v7
	s_waitcnt lgkmcnt(0)
	v_add_u32_e32 v7, v7, v18
	v_cndmask_b32_e64 v7, v7, v3, s[2:3]
	ds_write_b32 v9, v7
	; wave barrier
	ds_read2_b32 v[18:19], v9 offset0:1 offset1:2
	ds_read_b32 v17, v9 offset:12
	s_waitcnt lgkmcnt(1)
	v_add_u32_e32 v7, v18, v7
	v_add_u32_e32 v18, v19, v7
	ds_write2_b32 v9, v7, v18 offset0:1 offset1:2
	s_waitcnt lgkmcnt(1)
	v_add_u32_e32 v7, v17, v18
	ds_write_b32 v9, v7 offset:12
.LBB119_27:                             ;   in Loop: Header=BB119_23 Depth=1
	s_or_b64 exec, exec, s[24:25]
	v_mov_b32_e32 v7, 0
	s_waitcnt lgkmcnt(0)
	s_barrier
	s_and_saveexec_b64 s[24:25], s[0:1]
	s_cbranch_execz .LBB119_29
; %bb.28:                               ;   in Loop: Header=BB119_23 Depth=1
	ds_read_b32 v7, v10
.LBB119_29:                             ;   in Loop: Header=BB119_23 Depth=1
	s_or_b64 exec, exec, s[24:25]
	ds_read_b32 v17, v1 offset:1048
	v_cmp_ne_u32_e32 vcc, 0, v3
	s_waitcnt lgkmcnt(0)
	s_barrier
	s_and_saveexec_b64 s[24:25], vcc
	s_cbranch_execz .LBB119_31
; %bb.30:                               ;   in Loop: Header=BB119_23 Depth=1
	v_add_u32_e32 v3, v7, v4
	v_pk_mov_b32 v[18:19], s[14:15], s[14:15] op_sel:[0,1]
	v_mad_u64_u32 v[18:19], s[28:29], v3, s16, v[18:19]
	v_mov_b32_e32 v20, v19
	v_mad_u64_u32 v[20:21], s[28:29], v3, s17, v[20:21]
	v_mov_b32_e32 v19, v20
	global_store_byte v[18:19], v16, off
	v_mad_u64_u32 v[18:19], s[28:29], v3, s18, 0
	v_mov_b32_e32 v20, v19
	v_mad_u64_u32 v[20:21], s[28:29], v3, s19, v[20:21]
	v_mov_b32_e32 v19, v20
	v_lshlrev_b64 v[18:19], 3, v[18:19]
	v_mov_b32_e32 v3, s26
	v_add_co_u32_e32 v18, vcc, s21, v18
	v_addc_co_u32_e32 v19, vcc, v3, v19, vcc
	global_store_dwordx2 v[18:19], v[0:1], off
.LBB119_31:                             ;   in Loop: Header=BB119_23 Depth=1
	s_or_b64 exec, exec, s[24:25]
	v_mov_b32_e32 v3, v1
	v_cmp_le_u64_e32 vcc, s[10:11], v[2:3]
	s_cbranch_vccnz .LBB119_22
; %bb.32:                               ;   in Loop: Header=BB119_23 Depth=1
	ds_write_b32 v8, v6
	s_waitcnt lgkmcnt(0)
	s_barrier
	s_and_saveexec_b64 s[24:25], s[6:7]
	s_cbranch_execz .LBB119_34
; %bb.33:                               ;   in Loop: Header=BB119_23 Depth=1
	ds_read2_b32 v[18:19], v9 offset1:1
	ds_read2_b32 v[20:21], v9 offset0:2 offset1:3
	v_cmp_ne_u32_e32 vcc, 0, v12
	; wave barrier
	s_waitcnt lgkmcnt(1)
	v_add_u32_e32 v3, v19, v18
	s_waitcnt lgkmcnt(0)
	v_add3_u32 v3, v3, v20, v21
	s_nop 1
	v_mov_b32_dpp v7, v3 row_shr:1 row_mask:0xf bank_mask:0xf
	v_cndmask_b32_e32 v7, 0, v7, vcc
	v_add_u32_e32 v3, v7, v3
	v_cmp_lt_u32_e32 vcc, 1, v12
	s_nop 0
	v_mov_b32_dpp v7, v3 row_shr:2 row_mask:0xf bank_mask:0xf
	v_cndmask_b32_e32 v7, 0, v7, vcc
	v_add_u32_e32 v3, v3, v7
	v_cmp_lt_u32_e32 vcc, 3, v12
	;; [unrolled: 5-line block ×4, first 2 shown]
	s_nop 0
	v_mov_b32_dpp v7, v3 row_bcast:15 row_mask:0xf bank_mask:0xf
	v_and_b32_e32 v7, v13, v7
	v_add_u32_e32 v3, v3, v7
	s_nop 1
	v_mov_b32_dpp v7, v3 row_bcast:31 row_mask:0xf bank_mask:0xf
	v_cndmask_b32_e32 v7, 0, v7, vcc
	v_cmp_lt_i32_e32 vcc, v14, v15
	v_add_u32_e32 v3, v3, v7
	v_cndmask_b32_e32 v7, v14, v11, vcc
	v_lshlrev_b32_e32 v7, 2, v7
	ds_bpermute_b32 v3, v7, v3
	s_waitcnt lgkmcnt(0)
	v_add_u32_e32 v3, v3, v18
	v_cndmask_b32_e64 v3, v3, v6, s[2:3]
	ds_write_b32 v9, v3
	; wave barrier
	ds_read2_b32 v[18:19], v9 offset0:1 offset1:2
	ds_read_b32 v7, v9 offset:12
	s_waitcnt lgkmcnt(1)
	v_add_u32_e32 v3, v18, v3
	v_add_u32_e32 v18, v19, v3
	ds_write2_b32 v9, v3, v18 offset0:1 offset1:2
	s_waitcnt lgkmcnt(1)
	v_add_u32_e32 v3, v7, v18
	ds_write_b32 v9, v3 offset:12
.LBB119_34:                             ;   in Loop: Header=BB119_23 Depth=1
	s_or_b64 exec, exec, s[24:25]
	v_mov_b32_e32 v7, 0
	s_waitcnt lgkmcnt(0)
	s_barrier
	s_and_saveexec_b64 s[24:25], s[0:1]
	s_cbranch_execz .LBB119_36
; %bb.35:                               ;   in Loop: Header=BB119_23 Depth=1
	ds_read_b32 v7, v10
.LBB119_36:                             ;   in Loop: Header=BB119_23 Depth=1
	s_or_b64 exec, exec, s[24:25]
	ds_read_b32 v3, v1 offset:1048
	v_cmp_ne_u32_e32 vcc, 0, v6
	s_waitcnt lgkmcnt(0)
	s_barrier
	s_and_saveexec_b64 s[24:25], vcc
	s_cbranch_execz .LBB119_21
; %bb.37:                               ;   in Loop: Header=BB119_23 Depth=1
	v_add_u32_e32 v6, v7, v2
	v_mov_b32_e32 v7, v1
	v_cmp_gt_u64_e32 vcc, s[10:11], v[6:7]
	s_and_b64 exec, exec, vcc
	s_cbranch_execz .LBB119_21
; %bb.38:                               ;   in Loop: Header=BB119_23 Depth=1
	v_pk_mov_b32 v[18:19], s[14:15], s[14:15] op_sel:[0,1]
	v_mad_u64_u32 v[18:19], s[28:29], v6, s16, v[18:19]
	v_mov_b32_e32 v20, v19
	v_mad_u64_u32 v[20:21], s[28:29], v6, s17, v[20:21]
	v_mov_b32_e32 v19, v20
	global_store_byte v[18:19], v16, off
	v_mad_u64_u32 v[18:19], s[28:29], v6, s18, 0
	v_mov_b32_e32 v20, v19
	v_mad_u64_u32 v[6:7], s[28:29], v6, s19, v[20:21]
	v_mov_b32_e32 v19, v6
	v_lshlrev_b64 v[6:7], 3, v[18:19]
	v_mov_b32_e32 v18, s26
	v_add_co_u32_e32 v6, vcc, s21, v6
	v_addc_co_u32_e32 v7, vcc, v18, v7, vcc
	global_store_dwordx2 v[6:7], v[0:1], off
	s_branch .LBB119_21
.LBB119_39:                             ;   in Loop: Header=BB119_40 Depth=1
	s_add_u32 s16, s16, 4
	s_addc_u32 s17, s17, 0
	s_waitcnt lgkmcnt(0)
	s_add_i32 s40, s15, s40
	s_add_u32 s18, s18, 4
	s_addc_u32 s19, s19, 0
	s_add_i32 s14, s14, 1
	s_cmp_lt_u32 s14, s21
	s_cbranch_scc0 .LBB119_18
.LBB119_40:                             ; =>This Inner Loop Header: Depth=1
	s_load_dword s15, s[16:17], 0x0
	s_cmp_ge_u32 s14, s39
	s_cbranch_scc1 .LBB119_39
; %bb.41:                               ;   in Loop: Header=BB119_40 Depth=1
	s_load_dword s30, s[18:19], 0x0
	s_waitcnt lgkmcnt(0)
	s_add_i32 s23, s15, s23
	s_add_i32 s22, s30, s22
	s_branch .LBB119_39
.LBB119_42:
	s_endpgm
	.section	.rodata,"a",@progbits
	.p2align	6, 0x0
	.amdhsa_kernel _ZN2at6native6mbtopk10gatherTopKIhmLi1EEEvNS_4cuda6detail10TensorInfoIKT_T0_EES8_S8_bjS8_NS5_IS6_S8_EES8_NS5_IlS8_EES8_jjPS6_PjSD_j
		.amdhsa_group_segment_fixed_size 1068
		.amdhsa_private_segment_fixed_size 0
		.amdhsa_kernarg_size 1592
		.amdhsa_user_sgpr_count 6
		.amdhsa_user_sgpr_private_segment_buffer 1
		.amdhsa_user_sgpr_dispatch_ptr 0
		.amdhsa_user_sgpr_queue_ptr 0
		.amdhsa_user_sgpr_kernarg_segment_ptr 1
		.amdhsa_user_sgpr_dispatch_id 0
		.amdhsa_user_sgpr_flat_scratch_init 0
		.amdhsa_user_sgpr_kernarg_preload_length 0
		.amdhsa_user_sgpr_kernarg_preload_offset 0
		.amdhsa_user_sgpr_private_segment_size 0
		.amdhsa_uses_dynamic_stack 0
		.amdhsa_system_sgpr_private_segment_wavefront_offset 0
		.amdhsa_system_sgpr_workgroup_id_x 1
		.amdhsa_system_sgpr_workgroup_id_y 1
		.amdhsa_system_sgpr_workgroup_id_z 1
		.amdhsa_system_sgpr_workgroup_info 0
		.amdhsa_system_vgpr_workitem_id 0
		.amdhsa_next_free_vgpr 22
		.amdhsa_next_free_sgpr 44
		.amdhsa_accum_offset 24
		.amdhsa_reserve_vcc 1
		.amdhsa_reserve_flat_scratch 0
		.amdhsa_float_round_mode_32 0
		.amdhsa_float_round_mode_16_64 0
		.amdhsa_float_denorm_mode_32 3
		.amdhsa_float_denorm_mode_16_64 3
		.amdhsa_dx10_clamp 1
		.amdhsa_ieee_mode 1
		.amdhsa_fp16_overflow 0
		.amdhsa_tg_split 0
		.amdhsa_exception_fp_ieee_invalid_op 0
		.amdhsa_exception_fp_denorm_src 0
		.amdhsa_exception_fp_ieee_div_zero 0
		.amdhsa_exception_fp_ieee_overflow 0
		.amdhsa_exception_fp_ieee_underflow 0
		.amdhsa_exception_fp_ieee_inexact 0
		.amdhsa_exception_int_div_zero 0
	.end_amdhsa_kernel
	.section	.text._ZN2at6native6mbtopk10gatherTopKIhmLi1EEEvNS_4cuda6detail10TensorInfoIKT_T0_EES8_S8_bjS8_NS5_IS6_S8_EES8_NS5_IlS8_EES8_jjPS6_PjSD_j,"axG",@progbits,_ZN2at6native6mbtopk10gatherTopKIhmLi1EEEvNS_4cuda6detail10TensorInfoIKT_T0_EES8_S8_bjS8_NS5_IS6_S8_EES8_NS5_IlS8_EES8_jjPS6_PjSD_j,comdat
.Lfunc_end119:
	.size	_ZN2at6native6mbtopk10gatherTopKIhmLi1EEEvNS_4cuda6detail10TensorInfoIKT_T0_EES8_S8_bjS8_NS5_IS6_S8_EES8_NS5_IlS8_EES8_jjPS6_PjSD_j, .Lfunc_end119-_ZN2at6native6mbtopk10gatherTopKIhmLi1EEEvNS_4cuda6detail10TensorInfoIKT_T0_EES8_S8_bjS8_NS5_IS6_S8_EES8_NS5_IlS8_EES8_jjPS6_PjSD_j
                                        ; -- End function
	.section	.AMDGPU.csdata,"",@progbits
; Kernel info:
; codeLenInByte = 2120
; NumSgprs: 48
; NumVgprs: 22
; NumAgprs: 0
; TotalNumVgprs: 22
; ScratchSize: 0
; MemoryBound: 0
; FloatMode: 240
; IeeeMode: 1
; LDSByteSize: 1068 bytes/workgroup (compile time only)
; SGPRBlocks: 5
; VGPRBlocks: 2
; NumSGPRsForWavesPerEU: 48
; NumVGPRsForWavesPerEU: 22
; AccumOffset: 24
; Occupancy: 8
; WaveLimiterHint : 1
; COMPUTE_PGM_RSRC2:SCRATCH_EN: 0
; COMPUTE_PGM_RSRC2:USER_SGPR: 6
; COMPUTE_PGM_RSRC2:TRAP_HANDLER: 0
; COMPUTE_PGM_RSRC2:TGID_X_EN: 1
; COMPUTE_PGM_RSRC2:TGID_Y_EN: 1
; COMPUTE_PGM_RSRC2:TGID_Z_EN: 1
; COMPUTE_PGM_RSRC2:TIDIG_COMP_CNT: 0
; COMPUTE_PGM_RSRC3_GFX90A:ACCUM_OFFSET: 5
; COMPUTE_PGM_RSRC3_GFX90A:TG_SPLIT: 0
	.section	.text._ZN2at6native6sbtopk10gatherTopKIhmLi1ELb0EEEvNS_4cuda6detail10TensorInfoIKT_T0_EES8_S8_bS8_S8_NS5_IS6_S8_EES8_NS5_IlS8_EES8_PS6_,"axG",@progbits,_ZN2at6native6sbtopk10gatherTopKIhmLi1ELb0EEEvNS_4cuda6detail10TensorInfoIKT_T0_EES8_S8_bS8_S8_NS5_IS6_S8_EES8_NS5_IlS8_EES8_PS6_,comdat
	.protected	_ZN2at6native6sbtopk10gatherTopKIhmLi1ELb0EEEvNS_4cuda6detail10TensorInfoIKT_T0_EES8_S8_bS8_S8_NS5_IS6_S8_EES8_NS5_IlS8_EES8_PS6_ ; -- Begin function _ZN2at6native6sbtopk10gatherTopKIhmLi1ELb0EEEvNS_4cuda6detail10TensorInfoIKT_T0_EES8_S8_bS8_S8_NS5_IS6_S8_EES8_NS5_IlS8_EES8_PS6_
	.globl	_ZN2at6native6sbtopk10gatherTopKIhmLi1ELb0EEEvNS_4cuda6detail10TensorInfoIKT_T0_EES8_S8_bS8_S8_NS5_IS6_S8_EES8_NS5_IlS8_EES8_PS6_
	.p2align	8
	.type	_ZN2at6native6sbtopk10gatherTopKIhmLi1ELb0EEEvNS_4cuda6detail10TensorInfoIKT_T0_EES8_S8_bS8_S8_NS5_IS6_S8_EES8_NS5_IlS8_EES8_PS6_,@function
_ZN2at6native6sbtopk10gatherTopKIhmLi1ELb0EEEvNS_4cuda6detail10TensorInfoIKT_T0_EES8_S8_bS8_S8_NS5_IS6_S8_EES8_NS5_IlS8_EES8_PS6_: ; @_ZN2at6native6sbtopk10gatherTopKIhmLi1ELb0EEEvNS_4cuda6detail10TensorInfoIKT_T0_EES8_S8_bS8_S8_NS5_IS6_S8_EES8_NS5_IlS8_EES8_PS6_
; %bb.0:
	s_load_dwordx4 s[60:63], s[4:5], 0x1b8
	s_load_dwordx2 s[14:15], s[4:5], 0x520
	s_add_u32 s2, s4, 0x520
	s_addc_u32 s3, s5, 0
	s_mov_b32 s17, 0
	s_waitcnt lgkmcnt(0)
	v_mov_b32_e32 v2, s60
	s_mul_i32 s0, s15, s8
	s_add_i32 s0, s0, s7
	s_mul_i32 s0, s0, s14
	v_mov_b32_e32 v3, s61
	s_add_i32 s16, s0, s6
	v_cmp_ge_u64_e32 vcc, s[16:17], v[2:3]
	s_cbranch_vccnz .LBB120_464
; %bb.1:
	s_load_dwordx2 s[0:1], s[4:5], 0x440
                                        ; implicit-def: $vgpr48 : SGPR spill to VGPR lane
	v_cmp_eq_u32_e64 s[10:11], 0, v0
	s_waitcnt lgkmcnt(0)
	v_writelane_b32 v48, s0, 0
	v_writelane_b32 v48, s1, 1
	s_load_dwordx2 s[0:1], s[4:5], 0x370
	s_waitcnt lgkmcnt(0)
	v_writelane_b32 v48, s0, 2
	v_writelane_b32 v48, s1, 3
	s_load_dwordx2 s[0:1], s[4:5], 0x298
	s_waitcnt lgkmcnt(0)
	v_writelane_b32 v48, s0, 4
	v_writelane_b32 v48, s1, 5
	s_load_dwordx4 s[56:59], s[4:5], 0x1a0
	s_load_dwordx2 s[0:1], s[4:5], 0x1c8
	s_waitcnt lgkmcnt(0)
	v_writelane_b32 v48, s0, 6
	v_writelane_b32 v48, s1, 7
	s_load_dwordx2 s[0:1], s[4:5], 0xd0
	s_load_dwordx2 s[12:13], s[4:5], 0x0
	s_mov_b64 s[8:9], exec
	v_writelane_b32 v48, s10, 8
	v_writelane_b32 v48, s11, 9
	s_and_b64 s[10:11], s[8:9], s[10:11]
	s_mov_b64 exec, s[10:11]
	s_cbranch_execz .LBB120_3
; %bb.2:
	v_mov_b32_e32 v2, 0
	v_mov_b32_e32 v4, s56
	;; [unrolled: 1-line block ×4, first 2 shown]
	ds_write_b32 v2, v2 offset:5144
	ds_write_b128 v2, v[2:5] offset:5120
.LBB120_3:
	s_or_b64 exec, exec, s[8:9]
	v_writelane_b32 v48, s4, 10
	s_load_dword s7, s[4:5], 0x1b0
	s_waitcnt lgkmcnt(0)
	s_mul_i32 s1, s1, s16
	s_mul_hi_u32 s8, s0, s16
	v_writelane_b32 v48, s5, 11
	s_add_i32 s1, s8, s1
	s_mov_b32 s4, s16
	s_mul_i32 s0, s0, s16
	v_writelane_b32 v48, s4, 12
	s_add_u32 s12, s12, s0
	v_writelane_b32 v48, s5, 13
	s_addc_u32 s13, s13, s1
	v_writelane_b32 v48, s0, 14
	s_bitcmp1_b32 s7, 0
	v_writelane_b32 v48, s1, 15
	s_cselect_b64 s[0:1], -1, 0
	v_writelane_b32 v48, s0, 16
	v_writelane_b32 v48, s1, 17
	s_xor_b64 s[0:1], s[0:1], -1
	v_mbcnt_lo_u32_b32 v1, -1, 0
	v_writelane_b32 v48, s0, 18
	v_mbcnt_hi_u32_b32 v33, -1, v1
	v_writelane_b32 v48, s1, 19
	v_cmp_eq_u32_e64 s[0:1], 0, v33
	v_writelane_b32 v48, s0, 20
	v_cmp_gt_u32_e32 vcc, 64, v0
	v_cmp_gt_i32_e64 s[10:11], 4, v33
	v_writelane_b32 v48, s1, 21
	s_and_b64 s[0:1], vcc, s[10:11]
	v_mov_b32_e32 v2, 0xc00
	v_writelane_b32 v48, s0, 22
	v_mov_b32_e32 v3, 0
	v_writelane_b32 v48, s1, 23
	v_cmp_gt_u64_e64 s[0:1], s[56:57], v[2:3]
	v_mov_b32_e32 v15, 0
	v_writelane_b32 v48, s0, 24
	v_pk_mov_b32 v[4:5], s[12:13], s[12:13] op_sel:[0,1]
	v_writelane_b32 v48, s1, 25
	v_mov_b32_e32 v1, v15
	v_mad_u64_u32 v[2:3], s[0:1], v0, s62, 0
	v_mad_u64_u32 v[12:13], s[0:1], v0, s62, v[4:5]
	v_cmp_gt_u64_e64 s[0:1], s[56:57], v[0:1]
	v_writelane_b32 v48, s0, 26
	v_writelane_b32 v48, s1, 27
	v_cmp_gt_u32_e64 s[0:1], 2, v0
	v_writelane_b32 v48, s0, 28
	s_barrier
	v_writelane_b32 v48, s1, 29
	s_load_dword s0, s[2:3], 0xc
	v_lshrrev_b32_e32 v4, 4, v0
	v_and_b32_e32 v34, 60, v4
	v_lshlrev_b32_e32 v4, 2, v33
	v_lshlrev_b32_e32 v16, 2, v0
	s_waitcnt lgkmcnt(0)
	s_and_b32 s33, s0, 0xffff
	s_bfe_u32 s1, s0, 0xa0006
	v_cmp_gt_u16_e64 s[4:5], s0, 63
	v_writelane_b32 v48, s4, 30
	s_add_u32 s0, s33, -1
	v_writelane_b32 v48, s5, 31
	s_addc_u32 s4, 0, -1
	v_writelane_b32 v48, s0, 32
	s_add_u32 s0, s0, s56
	s_addc_u32 s5, s4, s57
	v_writelane_b32 v48, s0, 33
	s_cmp_lt_u32 s6, s14
	v_writelane_b32 v48, s4, 34
	s_cselect_b32 s0, 12, 18
	v_writelane_b32 v48, s4, 35
	s_add_u32 s2, s2, s0
	v_writelane_b32 v48, s5, 36
	s_addc_u32 s3, s3, 0
	v_writelane_b32 v48, s2, 37
	v_writelane_b32 v48, s3, 38
	s_add_i32 s0, s1, -1
	s_bfe_u32 s2, s33, 0x30006
	s_cmp_gt_u32 s0, 6
	s_cselect_b64 s[4:5], -1, 0
	v_writelane_b32 v48, s4, 39
	s_and_b32 s85, s1, 0x3f8
	v_writelane_b32 v48, s5, 40
	s_cmp_lg_u32 s2, 0
	v_and_b32_e32 v32, 0x100, v4
	v_lshlrev_b64 v[4:5], v33, -1
	v_writelane_b32 v48, s2, 41
	s_cselect_b64 s[0:1], -1, 0
	v_not_b32_e32 v11, v5
	v_writelane_b32 v48, s0, 42
	v_or_b32_e32 v5, 3, v16
	v_writelane_b32 v48, s1, 43
	v_mad_u64_u32 v[18:19], s[0:1], s62, v5, 0
	v_not_b32_e32 v10, v4
	v_mov_b32_e32 v4, v19
	v_mad_u64_u32 v[4:5], s[0:1], s63, v5, v[4:5]
	s_lshl_b64 s[0:1], s[62:63], 2
	v_writelane_b32 v48, s0, 44
	v_or_b32_e32 v5, 2, v16
	v_writelane_b32 v48, s1, 45
	v_mad_u64_u32 v[20:21], s[0:1], s62, v5, 0
	v_mov_b32_e32 v19, v4
	v_mov_b32_e32 v4, v21
	v_mad_u64_u32 v[4:5], s[0:1], s63, v5, v[4:5]
	v_mov_b32_e32 v21, v4
	v_pk_mov_b32 v[4:5], s[62:63], s[62:63] op_sel:[0,1]
	v_mad_u64_u32 v[22:23], s[0:1], s62, v16, v[4:5]
	v_mul_lo_u32 v6, v0, s63
	v_mov_b32_e32 v4, v23
	v_add_u32_e32 v3, v3, v6
	v_mad_u64_u32 v[4:5], s[0:1], s63, v16, v[4:5]
	s_mov_b32 s79, 0
	v_lshlrev_b64 v[24:25], 2, v[2:3]
	v_mov_b32_e32 v2, 0xc00
	s_mul_i32 s0, s63, s33
	s_mul_hi_u32 s1, s62, s33
	v_add_u32_e32 v13, v6, v13
	v_mov_b32_e32 v17, v15
	s_mov_b32 s86, s79
	s_mov_b32 s71, 6
	v_mov_b32_e32 v23, v4
	v_lshl_or_b32 v35, v33, 3, v2
	s_add_i32 s87, s1, s0
	s_mul_i32 s84, s62, s33
	s_mov_b64 s[94:95], 0
	v_pk_mov_b32 v[26:27], s[58:59], s[58:59] op_sel:[0,1]
	v_mov_b32_e32 v36, 0x4f800000
	v_mov_b32_e32 v39, 0
	;; [unrolled: 1-line block ×4, first 2 shown]
	s_mov_b32 s0, 0
                                        ; implicit-def: $sgpr66_sgpr67
                                        ; implicit-def: $sgpr68_sgpr69
                                        ; implicit-def: $sgpr60_sgpr61
                                        ; implicit-def: $sgpr2_sgpr3
                                        ; implicit-def: $sgpr72_sgpr73
                                        ; implicit-def: $sgpr22_sgpr23
                                        ; implicit-def: $sgpr88_sgpr89
                                        ; implicit-def: $sgpr90_sgpr91
	v_writelane_b32 v48, s0, 46
                                        ; implicit-def: $sgpr64_sgpr65
                                        ; implicit-def: $sgpr30_sgpr31
	s_branch .LBB120_6
.LBB120_4:                              ;   in Loop: Header=BB120_6 Depth=1
	s_or_b64 exec, exec, s[10:11]
	s_andn2_b64 s[0:1], s[30:31], exec
	s_and_b64 s[8:9], s[8:9], exec
	s_or_b64 s[30:31], s[0:1], s[8:9]
	s_andn2_b64 s[64:65], s[64:65], exec
	s_andn2_b64 s[90:91], s[90:91], exec
	;; [unrolled: 1-line block ×4, first 2 shown]
	s_orn2_b64 s[6:7], s[6:7], exec
	v_mov_b32_e32 v37, v29
	v_mov_b32_e32 v38, v28
	v_pk_mov_b32 v[26:27], v[2:3], v[2:3] op_sel:[0,1]
	v_mov_b32_e32 v39, v30
.LBB120_5:                              ;   in Loop: Header=BB120_6 Depth=1
	s_or_b64 exec, exec, s[4:5]
	s_and_b64 s[0:1], exec, s[6:7]
	s_or_b64 s[94:95], s[0:1], s[94:95]
	s_andn2_b64 s[0:1], s[72:73], exec
	s_and_b64 s[4:5], s[30:31], exec
	s_or_b64 s[72:73], s[0:1], s[4:5]
	s_andn2_b64 s[0:1], s[2:3], exec
	s_and_b64 s[2:3], s[64:65], exec
	;; [unrolled: 3-line block ×5, first 2 shown]
	s_or_b64 s[66:67], s[0:1], s[4:5]
	s_andn2_b64 exec, exec, s[94:95]
	s_cbranch_execz .LBB120_460
.LBB120_6:                              ; =>This Loop Header: Depth=1
                                        ;     Child Loop BB120_11 Depth 2
                                        ;     Child Loop BB120_26 Depth 2
	;; [unrolled: 1-line block ×24, first 2 shown]
	ds_read_b128 v[2:5], v15 offset:5120
	s_waitcnt lgkmcnt(0)
	v_readfirstlane_b32 s9, v3
	v_readfirstlane_b32 s8, v2
	s_cmp_lg_u64 s[8:9], 0
	s_cbranch_scc1 .LBB120_33
; %bb.7:                                ;   in Loop: Header=BB120_6 Depth=1
	v_readlane_b32 s0, v48, 24
	v_readlane_b32 s1, v48, 25
	s_and_b64 vcc, exec, s[0:1]
	s_cbranch_vccz .LBB120_19
; %bb.8:                                ;   in Loop: Header=BB120_6 Depth=1
	s_mov_b64 s[0:1], 0xc01
	v_cmp_gt_u64_e32 vcc, s[0:1], v[4:5]
	s_mov_b64 s[8:9], 0
	s_mov_b64 s[4:5], 0
	s_cbranch_vccz .LBB120_20
; %bb.9:                                ;   in Loop: Header=BB120_6 Depth=1
	v_readlane_b32 s0, v48, 37
	v_readlane_b32 s1, v48, 38
	s_nop 4
	global_load_ushort v6, v15, s[0:1]
	global_load_ubyte v7, v[12:13], off
	v_pk_mov_b32 v[2:3], s[12:13], s[12:13] op_sel:[0,1]
	s_waitcnt vmcnt(1)
	v_readfirstlane_b32 s0, v6
	s_and_b32 s0, 0xffff, s0
	v_add_u32_e32 v5, s0, v0
	v_mad_u64_u32 v[2:3], s[6:7], s62, v5, v[2:3]
	v_mov_b32_e32 v4, v3
	s_mul_i32 s1, s63, s0
	s_mul_hi_u32 s10, s62, s0
	v_mad_u64_u32 v[4:5], s[6:7], s63, v5, v[4:5]
	s_mul_i32 s0, s62, s0
	s_add_i32 s1, s10, s1
	v_mov_b32_e32 v3, v4
	v_pk_mov_b32 v[4:5], v[0:1], v[0:1] op_sel:[0,1]
	s_branch .LBB120_11
.LBB120_10:                             ;   in Loop: Header=BB120_11 Depth=2
	s_or_b64 exec, exec, s[6:7]
	v_mov_b32_e32 v7, s1
	v_add_co_u32_e32 v2, vcc, s0, v2
	v_addc_co_u32_e32 v3, vcc, v3, v7, vcc
	v_mov_b32_e32 v7, v8
	s_andn2_b64 exec, exec, s[4:5]
	s_cbranch_execz .LBB120_91
.LBB120_11:                             ;   Parent Loop BB120_6 Depth=1
                                        ; =>  This Inner Loop Header: Depth=2
	v_add_co_u32_sdwa v4, vcc, v4, v6 dst_sel:DWORD dst_unused:UNUSED_PAD src0_sel:DWORD src1_sel:WORD_0
	v_addc_co_u32_e32 v5, vcc, 0, v5, vcc
	v_cmp_gt_u64_e64 s[6:7], s[56:57], v[4:5]
	v_cmp_le_u64_e32 vcc, s[56:57], v[4:5]
	s_waitcnt lgkmcnt(0)
	v_mov_b32_e32 v9, 0
	v_mov_b32_e32 v8, 0
	s_and_saveexec_b64 s[10:11], s[6:7]
	s_cbranch_execz .LBB120_13
; %bb.12:                               ;   in Loop: Header=BB120_11 Depth=2
	global_load_ubyte v8, v[2:3], off
.LBB120_13:                             ;   in Loop: Header=BB120_11 Depth=2
	s_or_b64 exec, exec, s[10:11]
	s_waitcnt vmcnt(0)
	v_and_b32_e32 v14, v7, v37
	v_cmp_eq_u32_sdwa s[10:11], v14, v38 src0_sel:BYTE_0 src1_sel:DWORD
	s_cmp_lg_u64 s[10:11], 0
	v_readlane_b32 s14, v48, 20
	s_cselect_b64 s[6:7], -1, 0
	v_readlane_b32 s15, v48, 21
	s_and_b64 s[6:7], s[14:15], s[6:7]
	s_and_saveexec_b64 s[14:15], s[6:7]
	s_cbranch_execz .LBB120_17
; %bb.14:                               ;   in Loop: Header=BB120_11 Depth=2
	s_mov_b64 s[18:19], exec
	v_mbcnt_lo_u32_b32 v9, s18, 0
	v_mbcnt_hi_u32_b32 v9, s19, v9
	s_bcnt1_i32_b64 s20, s[10:11]
	v_cmp_eq_u32_e64 s[6:7], 0, v9
                                        ; implicit-def: $vgpr14
	s_and_saveexec_b64 s[16:17], s[6:7]
	s_cbranch_execz .LBB120_16
; %bb.15:                               ;   in Loop: Header=BB120_11 Depth=2
	s_bcnt1_i32_b64 s6, s[18:19]
	s_mul_i32 s6, s20, s6
	v_mov_b32_e32 v14, s6
	ds_add_rtn_u32 v14, v15, v14 offset:5144
.LBB120_16:                             ;   in Loop: Header=BB120_11 Depth=2
	s_or_b64 exec, exec, s[16:17]
	s_waitcnt lgkmcnt(0)
	v_readfirstlane_b32 s6, v14
	v_mov_b32_e32 v14, s6
	v_mad_u32_u24 v9, s20, v9, v14
.LBB120_17:                             ;   in Loop: Header=BB120_11 Depth=2
	s_or_b64 exec, exec, s[14:15]
	ds_bpermute_b32 v9, v32, v9
	s_and_b64 s[6:7], exec, vcc
	s_or_b64 s[4:5], s[6:7], s[4:5]
	s_and_saveexec_b64 s[6:7], s[10:11]
	s_cbranch_execz .LBB120_10
; %bb.18:                               ;   in Loop: Header=BB120_11 Depth=2
	v_and_b32_e32 v28, s10, v10
	v_and_b32_e32 v14, s11, v11
	v_bcnt_u32_b32 v28, v28, 0
	v_bcnt_u32_b32 v14, v14, v28
	s_waitcnt lgkmcnt(0)
	v_add_u32_e32 v9, v9, v14
	ds_write_b8 v9, v7
	s_branch .LBB120_10
.LBB120_19:                             ;   in Loop: Header=BB120_6 Depth=1
	s_mov_b64 s[8:9], -1
	s_mov_b64 s[4:5], 0
.LBB120_20:                             ;   in Loop: Header=BB120_6 Depth=1
	s_and_b64 vcc, exec, s[8:9]
	s_cbranch_vccz .LBB120_31
.LBB120_21:                             ;   in Loop: Header=BB120_6 Depth=1
	v_mov_b32_e32 v6, 0
	s_mov_b64 s[4:5], exec
	v_readlane_b32 s0, v48, 26
	v_readlane_b32 s1, v48, 27
	s_and_b64 s[0:1], s[4:5], s[0:1]
	s_mov_b64 exec, s[0:1]
	s_cbranch_execz .LBB120_23
; %bb.22:                               ;   in Loop: Header=BB120_6 Depth=1
	global_load_ubyte v6, v[12:13], off
.LBB120_23:                             ;   in Loop: Header=BB120_6 Depth=1
	s_or_b64 exec, exec, s[4:5]
	s_mov_b64 s[4:5], exec
	v_readlane_b32 s0, v48, 26
	v_readlane_b32 s1, v48, 27
	s_and_b64 s[0:1], s[4:5], s[0:1]
	s_mov_b64 exec, s[0:1]
	s_cbranch_execz .LBB120_28
; %bb.24:                               ;   in Loop: Header=BB120_6 Depth=1
	v_readlane_b32 s0, v48, 37
	v_readlane_b32 s1, v48, 38
	v_pk_mov_b32 v[2:3], s[12:13], s[12:13] op_sel:[0,1]
	s_mov_b64 s[8:9], 0
	v_mov_b32_e32 v8, v0
	s_nop 1
	global_load_ushort v7, v15, s[0:1]
	s_waitcnt vmcnt(0)
	v_readfirstlane_b32 s0, v7
	s_and_b32 s0, 0xffff, s0
	v_add_u32_e32 v5, s0, v0
	v_mad_u64_u32 v[2:3], s[6:7], s62, v5, v[2:3]
	v_mov_b32_e32 v4, v3
	s_mul_i32 s10, s63, s0
	s_mul_hi_u32 s11, s62, s0
	v_mad_u64_u32 v[4:5], s[6:7], s63, v5, v[4:5]
	s_mul_i32 s1, s62, s0
	s_add_i32 s14, s11, s10
	v_mov_b32_e32 v3, v4
	v_pk_mov_b32 v[4:5], v[0:1], v[0:1] op_sel:[0,1]
	s_branch .LBB120_26
.LBB120_25:                             ;   in Loop: Header=BB120_26 Depth=2
	s_or_b64 exec, exec, s[10:11]
	s_and_b64 s[6:7], exec, vcc
	ds_write_b8 v8, v6
	v_mov_b32_e32 v6, s14
	v_add_co_u32_e32 v2, vcc, s1, v2
	s_or_b64 s[8:9], s[6:7], s[8:9]
	v_add_u32_e32 v8, s0, v8
	v_addc_co_u32_e32 v3, vcc, v3, v6, vcc
	s_waitcnt vmcnt(0)
	v_mov_b32_e32 v6, v9
	s_andn2_b64 exec, exec, s[8:9]
	s_cbranch_execz .LBB120_28
.LBB120_26:                             ;   Parent Loop BB120_6 Depth=1
                                        ; =>  This Inner Loop Header: Depth=2
	v_add_co_u32_sdwa v4, vcc, v4, v7 dst_sel:DWORD dst_unused:UNUSED_PAD src0_sel:DWORD src1_sel:WORD_0
	v_addc_co_u32_e32 v5, vcc, 0, v5, vcc
	v_cmp_gt_u64_e64 s[6:7], s[56:57], v[4:5]
	v_cmp_le_u64_e32 vcc, s[56:57], v[4:5]
	v_mov_b32_e32 v9, 0
	s_and_saveexec_b64 s[10:11], s[6:7]
	s_cbranch_execz .LBB120_25
; %bb.27:                               ;   in Loop: Header=BB120_26 Depth=2
	global_load_ubyte v9, v[2:3], off
	s_branch .LBB120_25
.LBB120_28:                             ;   in Loop: Header=BB120_6 Depth=1
	s_or_b64 exec, exec, s[4:5]
	s_waitcnt lgkmcnt(0)
	s_barrier
	s_mov_b64 s[4:5], exec
	v_readlane_b32 s0, v48, 8
	v_readlane_b32 s1, v48, 9
	s_and_b64 s[0:1], s[4:5], s[0:1]
	s_mov_b64 exec, s[0:1]
	s_cbranch_execz .LBB120_30
; %bb.29:                               ;   in Loop: Header=BB120_6 Depth=1
	v_pk_mov_b32 v[2:3], s[56:57], s[56:57] op_sel:[0,1]
	ds_write_b64 v15, v[2:3] offset:5120
.LBB120_30:                             ;   in Loop: Header=BB120_6 Depth=1
	s_or_b64 exec, exec, s[4:5]
	s_mov_b64 s[4:5], -1
	s_waitcnt lgkmcnt(0)
	s_barrier
                                        ; implicit-def: $sgpr8_sgpr9
.LBB120_31:                             ;   in Loop: Header=BB120_6 Depth=1
	s_and_b64 vcc, exec, s[4:5]
	s_cbranch_vccz .LBB120_33
; %bb.32:                               ;   in Loop: Header=BB120_6 Depth=1
	ds_read_b64 v[2:3], v15 offset:5120
	s_waitcnt lgkmcnt(0)
	v_readfirstlane_b32 s8, v2
.LBB120_33:                             ;   in Loop: Header=BB120_6 Depth=1
	s_cmp_lt_i32 s8, 1
	v_writelane_b32 v48, s22, 47
	v_writelane_b32 v48, s23, 48
	s_cbranch_scc0 .LBB120_48
; %bb.34:                               ;   in Loop: Header=BB120_6 Depth=1
	v_readlane_b32 s0, v48, 37
	v_readlane_b32 s1, v48, 38
	s_nop 4
	global_load_ushort v2, v15, s[0:1]
	s_mov_b32 s0, s79
	s_waitcnt vmcnt(0)
	v_readfirstlane_b32 s1, v2
	s_and_b32 s9, s1, 0xffff
	s_lshl_b32 s78, s9, 2
	s_mov_b32 s1, s57
	s_cmp_lg_u64 s[0:1], 0
	s_cbranch_scc0 .LBB120_68
; %bb.35:                               ;   in Loop: Header=BB120_6 Depth=1
	v_cvt_f32_u32_e32 v2, s78
	s_sub_u32 s0, 0, s78
	s_subb_u32 s1, 0, 0
	v_mac_f32_e32 v2, 0, v36
	v_rcp_f32_e32 v2, v2
	v_mul_f32_e32 v2, 0x5f7ffffc, v2
	v_mul_f32_e32 v3, 0x2f800000, v2
	v_trunc_f32_e32 v3, v3
	v_mac_f32_e32 v2, 0xcf800000, v3
	v_cvt_u32_f32_e32 v3, v3
	v_cvt_u32_f32_e32 v2, v2
	v_readfirstlane_b32 s4, v3
	v_readfirstlane_b32 s5, v2
	s_mul_i32 s6, s0, s4
	s_mul_hi_u32 s10, s0, s5
	s_mul_i32 s7, s1, s5
	s_add_i32 s6, s10, s6
	s_mul_i32 s11, s0, s5
	s_add_i32 s6, s6, s7
	s_mul_hi_u32 s10, s5, s11
	s_mul_hi_u32 s7, s5, s6
	s_mul_i32 s5, s5, s6
	s_add_u32 s5, s10, s5
	s_addc_u32 s7, 0, s7
	s_mul_hi_u32 s14, s4, s11
	s_mul_i32 s11, s4, s11
	s_add_u32 s5, s5, s11
	s_mul_hi_u32 s10, s4, s6
	s_addc_u32 s5, s7, s14
	s_addc_u32 s7, s10, 0
	s_mul_i32 s6, s4, s6
	s_add_u32 s5, s5, s6
	s_addc_u32 s6, 0, s7
	v_add_co_u32_e32 v2, vcc, s5, v2
	s_cmp_lg_u64 vcc, 0
	s_addc_u32 s4, s4, s6
	v_readfirstlane_b32 s6, v2
	s_mul_i32 s5, s0, s4
	s_mul_hi_u32 s7, s0, s6
	s_add_i32 s5, s7, s5
	s_mul_i32 s1, s1, s6
	s_add_i32 s5, s5, s1
	s_mul_i32 s0, s0, s6
	s_mul_hi_u32 s7, s4, s0
	s_mul_i32 s10, s4, s0
	s_mul_i32 s14, s6, s5
	s_mul_hi_u32 s0, s6, s0
	s_mul_hi_u32 s11, s6, s5
	s_add_u32 s0, s0, s14
	s_addc_u32 s6, 0, s11
	s_add_u32 s0, s0, s10
	s_mul_hi_u32 s1, s4, s5
	s_addc_u32 s0, s6, s7
	s_addc_u32 s1, s1, 0
	s_mul_i32 s5, s4, s5
	s_add_u32 s0, s0, s5
	s_addc_u32 s1, 0, s1
	v_add_co_u32_e32 v2, vcc, s0, v2
	s_cmp_lg_u64 vcc, 0
	s_addc_u32 s0, s4, s1
	v_readfirstlane_b32 s5, v2
	s_mul_i32 s4, s56, s0
	s_mul_hi_u32 s6, s56, s5
	s_mul_hi_u32 s1, s56, s0
	s_add_u32 s4, s6, s4
	s_addc_u32 s1, 0, s1
	s_mul_hi_u32 s7, s57, s5
	s_mul_i32 s5, s57, s5
	s_add_u32 s4, s4, s5
	s_mul_hi_u32 s6, s57, s0
	s_addc_u32 s1, s1, s7
	s_addc_u32 s4, s6, 0
	s_mul_i32 s0, s57, s0
	s_add_u32 s0, s1, s0
	s_addc_u32 s1, 0, s4
	s_mul_hi_u32 s4, s78, s0
	s_mul_i32 s0, s78, s0
	s_mul_i32 s1, s78, s1
	v_mov_b32_e32 v2, s0
	s_add_i32 s4, s4, s1
	v_sub_co_u32_e32 v2, vcc, s56, v2
	s_cmp_lg_u64 vcc, 0
	s_subb_u32 s0, s57, s4
	v_subrev_co_u32_e32 v3, vcc, s78, v2
	s_cmp_lg_u64 vcc, 0
	s_subb_u32 s1, s0, 0
	v_subrev_co_u32_e32 v4, vcc, s78, v3
	s_cmp_lg_u64 vcc, 0
	s_subb_u32 s4, s1, 0
	v_cmp_le_u32_e32 vcc, s78, v3
	s_cmp_eq_u32 s1, 0
	v_cndmask_b32_e64 v5, 0, -1, vcc
	s_cselect_b64 vcc, -1, 0
	v_cndmask_b32_e32 v5, -1, v5, vcc
	v_mov_b32_e32 v6, s1
	v_mov_b32_e32 v7, s4
	v_cmp_ne_u32_e32 vcc, 0, v5
	v_cndmask_b32_e32 v5, v6, v7, vcc
	v_cndmask_b32_e32 v4, v3, v4, vcc
	v_cmp_le_u32_e32 vcc, s78, v2
	s_cmp_eq_u32 s0, 0
	v_cndmask_b32_e64 v3, 0, -1, vcc
	s_cselect_b64 vcc, -1, 0
	v_cndmask_b32_e32 v3, -1, v3, vcc
	v_mov_b32_e32 v6, s0
	v_cmp_ne_u32_e32 vcc, 0, v3
	v_cndmask_b32_e32 v3, v6, v5, vcc
	v_cndmask_b32_e32 v2, v2, v4, vcc
	s_cbranch_execnz .LBB120_37
.LBB120_36:                             ;   in Loop: Header=BB120_6 Depth=1
	v_cvt_f32_u32_e32 v2, s78
	s_sub_i32 s0, 0, s78
	v_rcp_iflag_f32_e32 v2, v2
	v_mul_f32_e32 v2, 0x4f7ffffe, v2
	v_cvt_u32_f32_e32 v2, v2
	v_mul_lo_u32 v3, s0, v2
	v_mul_hi_u32 v3, v2, v3
	v_add_u32_e32 v2, v2, v3
	v_mul_hi_u32 v2, s56, v2
	v_mul_lo_u32 v2, v2, s78
	v_sub_u32_e32 v2, s56, v2
	v_subrev_u32_e32 v3, s78, v2
	v_cmp_le_u32_e32 vcc, s78, v2
	v_cndmask_b32_e32 v2, v2, v3, vcc
	v_subrev_u32_e32 v3, s78, v2
	v_cmp_le_u32_e32 vcc, s78, v2
	v_cndmask_b32_e32 v14, v2, v3, vcc
	v_pk_mov_b32 v[2:3], v[14:15], v[14:15] op_sel:[0,1]
.LBB120_37:                             ;   in Loop: Header=BB120_6 Depth=1
	v_mov_b32_e32 v4, s57
	v_sub_co_u32_e32 v28, vcc, s56, v2
	v_subb_co_u32_e32 v29, vcc, v4, v3, vcc
	v_pk_mov_b32 v[2:3], 0, 0
	v_cmp_gt_u64_e32 vcc, v[28:29], v[16:17]
	s_mov_b64 s[82:83], 0
	v_pk_mov_b32 v[4:5], v[2:3], v[2:3] op_sel:[0,1]
	v_pk_mov_b32 v[6:7], v[2:3], v[2:3] op_sel:[0,1]
	;; [unrolled: 1-line block ×3, first 2 shown]
	s_and_saveexec_b64 s[10:11], vcc
	s_cbranch_execz .LBB120_41
; %bb.38:                               ;   in Loop: Header=BB120_6 Depth=1
	v_readlane_b32 s4, v48, 44
	v_readlane_b32 s5, v48, 45
	s_mul_i32 s0, s5, s9
	s_mul_hi_u32 s1, s4, s9
	s_mov_b32 s70, s84
	s_and_b32 s84, s71, 0xfe
	s_add_i32 s0, s1, s0
	s_mul_i32 s1, s4, s9
	s_mov_b64 s[74:75], s[12:13]
	s_mov_b64 s[4:5], 0
	;; [unrolled: 1-line block ×5, first 2 shown]
	v_pk_mov_b32 v[30:31], v[16:17], v[16:17] op_sel:[0,1]
.LBB120_39:                             ;   Parent Loop BB120_6 Depth=1
                                        ; =>  This Inner Loop Header: Depth=2
	v_add_co_u32_e64 v30, s[6:7], s78, v30
	v_addc_co_u32_e64 v31, s[6:7], 0, v31, s[6:7]
	v_mov_b32_e32 v7, s75
	v_add_co_u32_e32 v2, vcc, s74, v22
	v_add_co_u32_e64 v8, s[6:7], s74, v24
	v_add_co_u32_e64 v4, s[14:15], s74, v20
	;; [unrolled: 1-line block ×3, first 2 shown]
	v_addc_co_u32_e64 v9, s[6:7], v7, v25, s[6:7]
	v_addc_co_u32_e32 v3, vcc, v7, v23, vcc
	v_addc_co_u32_e64 v5, vcc, v7, v21, s[14:15]
	v_addc_co_u32_e64 v7, vcc, v7, v19, s[16:17]
	global_load_ubyte v8, v[8:9], off
	s_nop 0
	global_load_ubyte v2, v[2:3], off
	s_nop 0
	;; [unrolled: 2-line block ×3, first 2 shown]
	global_load_ubyte v4, v[6:7], off
	v_cmp_ge_u64_e32 vcc, v[30:31], v[28:29]
	s_waitcnt vmcnt(3)
	v_and_b32_e32 v5, v37, v8
	v_bfe_u32 v8, v8, s84, 2
	s_waitcnt vmcnt(2)
	v_and_b32_e32 v6, v37, v2
	v_bfe_u32 v2, v2, s84, 2
	v_cmp_eq_u32_e64 s[20:21], v5, v38
	v_cmp_eq_u32_e64 s[6:7], 0, v8
	s_waitcnt vmcnt(1)
	v_and_b32_e32 v7, v37, v3
	v_bfe_u32 v3, v3, s84, 2
	v_cmp_eq_u32_e64 s[18:19], v6, v38
	v_cmp_eq_u32_e64 s[34:35], 0, v2
	s_and_b64 s[6:7], s[20:21], s[6:7]
	s_waitcnt vmcnt(0)
	v_and_b32_e32 v9, v37, v4
	v_bfe_u32 v4, v4, s84, 2
	v_cmp_eq_u32_e64 s[16:17], v7, v38
	v_cmp_eq_u32_e64 s[36:37], 0, v3
	;; [unrolled: 1-line block ×5, first 2 shown]
	v_cndmask_b32_e64 v2, 0, 1, s[6:7]
	s_and_b64 s[6:7], s[18:19], s[34:35]
	v_cmp_eq_u32_e64 s[14:15], v9, v38
	v_cmp_eq_u32_e64 s[38:39], 0, v4
	;; [unrolled: 1-line block ×5, first 2 shown]
	v_cndmask_b32_e64 v3, 0, 1, s[6:7]
	s_and_b64 s[6:7], s[16:17], s[36:37]
	v_cmp_eq_u32_e64 s[46:47], 1, v4
	v_cmp_eq_u32_e64 s[54:55], 2, v4
	;; [unrolled: 1-line block ×3, first 2 shown]
	v_cndmask_b32_e64 v4, 0, 1, s[6:7]
	s_and_b64 s[6:7], s[14:15], s[38:39]
	v_cndmask_b32_e64 v5, 0, 1, s[6:7]
	v_cmp_ne_u32_e64 s[6:7], 0, v2
	v_cmp_ne_u32_e64 s[34:35], 0, v3
	;; [unrolled: 1-line block ×4, first 2 shown]
	s_bcnt1_i32_b64 s6, s[6:7]
	s_bcnt1_i32_b64 s7, s[34:35]
	;; [unrolled: 1-line block ×4, first 2 shown]
	s_add_u32 s6, s6, s80
	s_addc_u32 s36, 0, s81
	s_add_u32 s6, s6, s7
	s_addc_u32 s7, s36, 0
	;; [unrolled: 2-line block ×3, first 2 shown]
	v_cmp_eq_u32_e64 s[40:41], 1, v8
	s_add_u32 s80, s6, s35
	s_addc_u32 s81, s7, 0
	s_and_b64 s[6:7], s[20:21], s[40:41]
	v_cndmask_b32_e64 v4, 0, 1, s[6:7]
	s_and_b64 s[6:7], s[18:19], s[42:43]
	v_cndmask_b32_e64 v5, 0, 1, s[6:7]
	;; [unrolled: 2-line block ×4, first 2 shown]
	v_cmp_ne_u32_e64 s[6:7], 0, v4
	v_cmp_ne_u32_e64 s[34:35], 0, v5
	;; [unrolled: 1-line block ×4, first 2 shown]
	s_bcnt1_i32_b64 s6, s[6:7]
	s_bcnt1_i32_b64 s7, s[34:35]
	;; [unrolled: 1-line block ×4, first 2 shown]
	s_add_u32 s6, s6, s76
	s_addc_u32 s36, 0, s77
	s_add_u32 s6, s6, s7
	s_addc_u32 s7, s36, 0
	;; [unrolled: 2-line block ×3, first 2 shown]
	v_cmp_eq_u32_e64 s[48:49], 2, v8
	s_add_u32 s76, s6, s35
	s_addc_u32 s77, s7, 0
	s_and_b64 s[6:7], s[20:21], s[48:49]
	v_cndmask_b32_e64 v6, 0, 1, s[6:7]
	s_and_b64 s[6:7], s[18:19], s[50:51]
	v_cndmask_b32_e64 v7, 0, 1, s[6:7]
	s_and_b64 s[6:7], s[16:17], s[52:53]
	v_cmp_eq_u32_e64 s[28:29], 3, v8
	v_cndmask_b32_e64 v8, 0, 1, s[6:7]
	s_and_b64 s[6:7], s[14:15], s[54:55]
	v_cndmask_b32_e64 v9, 0, 1, s[6:7]
	v_cmp_ne_u32_e64 s[6:7], 0, v6
	v_cmp_ne_u32_e64 s[34:35], 0, v7
	;; [unrolled: 1-line block ×4, first 2 shown]
	s_bcnt1_i32_b64 s6, s[6:7]
	s_bcnt1_i32_b64 s7, s[34:35]
	;; [unrolled: 1-line block ×4, first 2 shown]
	s_add_u32 s6, s6, s92
	s_addc_u32 s36, 0, s93
	s_add_u32 s6, s6, s7
	s_addc_u32 s7, s36, 0
	;; [unrolled: 2-line block ×4, first 2 shown]
	s_and_b64 s[6:7], s[20:21], s[28:29]
	v_cndmask_b32_e64 v8, 0, 1, s[6:7]
	s_and_b64 s[6:7], s[18:19], s[26:27]
	v_cndmask_b32_e64 v9, 0, 1, s[6:7]
	s_and_b64 s[6:7], s[16:17], s[24:25]
	v_cndmask_b32_e64 v14, 0, 1, s[6:7]
	s_and_b64 s[6:7], s[14:15], s[22:23]
	v_cndmask_b32_e64 v40, 0, 1, s[6:7]
	v_cmp_ne_u32_e64 s[6:7], 0, v8
	v_cmp_ne_u32_e64 s[14:15], 0, v9
	;; [unrolled: 1-line block ×4, first 2 shown]
	s_bcnt1_i32_b64 s6, s[6:7]
	s_bcnt1_i32_b64 s7, s[14:15]
	;; [unrolled: 1-line block ×4, first 2 shown]
	s_add_u32 s4, s6, s4
	s_addc_u32 s5, 0, s5
	s_add_u32 s4, s4, s7
	s_addc_u32 s5, s5, 0
	;; [unrolled: 2-line block ×5, first 2 shown]
	v_pk_mov_b32 v[2:3], s[80:81], s[80:81] op_sel:[0,1]
	v_pk_mov_b32 v[4:5], s[76:77], s[76:77] op_sel:[0,1]
	;; [unrolled: 1-line block ×3, first 2 shown]
	s_or_b64 s[82:83], vcc, s[82:83]
	v_pk_mov_b32 v[8:9], s[4:5], s[4:5] op_sel:[0,1]
	s_andn2_b64 exec, exec, s[82:83]
	s_cbranch_execnz .LBB120_39
; %bb.40:                               ;   in Loop: Header=BB120_6 Depth=1
	s_or_b64 exec, exec, s[82:83]
	s_mov_b32 s84, s70
.LBB120_41:                             ;   in Loop: Header=BB120_6 Depth=1
	s_or_b64 exec, exec, s[10:11]
	v_add_co_u32_e32 v28, vcc, v28, v0
	v_addc_co_u32_e32 v29, vcc, 0, v29, vcc
	v_cmp_gt_u64_e32 vcc, s[56:57], v[28:29]
	v_mov_b32_e32 v14, 0
	s_and_saveexec_b64 s[4:5], vcc
	s_cbranch_execz .LBB120_43
; %bb.42:                               ;   in Loop: Header=BB120_6 Depth=1
	v_pk_mov_b32 v[30:31], s[12:13], s[12:13] op_sel:[0,1]
	v_mad_u64_u32 v[30:31], s[0:1], v28, s62, v[30:31]
	v_mul_lo_u32 v14, v28, s63
	v_mul_lo_u32 v40, v29, s62
	v_add3_u32 v31, v40, v31, v14
	global_load_ubyte v14, v[30:31], off
.LBB120_43:                             ;   in Loop: Header=BB120_6 Depth=1
	s_or_b64 exec, exec, s[4:5]
	s_and_saveexec_b64 s[4:5], vcc
	s_cbranch_execz .LBB120_50
; %bb.44:                               ;   in Loop: Header=BB120_6 Depth=1
	s_and_b32 s0, s71, 0xfe
	s_mov_b64 s[10:11], 0
	s_branch .LBB120_46
.LBB120_45:                             ;   in Loop: Header=BB120_46 Depth=2
	s_or_b64 exec, exec, s[14:15]
	s_waitcnt vmcnt(0)
	v_and_b32_e32 v14, 0xff, v14
	s_and_b64 s[6:7], exec, vcc
	v_and_b32_e32 v31, v37, v14
	v_bfe_u32 v14, v14, s0, 2
	s_or_b64 s[10:11], s[6:7], s[10:11]
	v_cmp_eq_u32_e32 vcc, v31, v38
	v_cmp_eq_u32_e64 s[6:7], 0, v14
	s_and_b64 s[6:7], vcc, s[6:7]
	v_cndmask_b32_e64 v31, 0, 1, s[6:7]
	v_cmp_ne_u32_e64 s[6:7], 0, v31
	s_bcnt1_i32_b64 s1, s[6:7]
	v_add_co_u32_e64 v2, s[6:7], s1, v2
	v_addc_co_u32_e64 v3, s[6:7], 0, v3, s[6:7]
	v_cmp_eq_u32_e64 s[6:7], 1, v14
	s_and_b64 s[6:7], vcc, s[6:7]
	v_cndmask_b32_e64 v31, 0, 1, s[6:7]
	v_cmp_ne_u32_e64 s[6:7], 0, v31
	s_bcnt1_i32_b64 s1, s[6:7]
	v_add_co_u32_e64 v4, s[6:7], s1, v4
	v_addc_co_u32_e64 v5, s[6:7], 0, v5, s[6:7]
	;; [unrolled: 7-line block ×3, first 2 shown]
	v_cmp_eq_u32_e64 s[6:7], 3, v14
	s_and_b64 s[6:7], vcc, s[6:7]
	v_cndmask_b32_e64 v14, 0, 1, s[6:7]
	v_cmp_ne_u32_e32 vcc, 0, v14
	s_bcnt1_i32_b64 s1, vcc
	v_add_co_u32_e32 v8, vcc, s1, v8
	v_addc_co_u32_e32 v9, vcc, 0, v9, vcc
	v_mov_b32_e32 v14, v30
	s_andn2_b64 exec, exec, s[10:11]
	s_cbranch_execz .LBB120_49
.LBB120_46:                             ;   Parent Loop BB120_6 Depth=1
                                        ; =>  This Inner Loop Header: Depth=2
	v_mov_b32_e32 v30, s79
	v_add_co_u32_e32 v28, vcc, s9, v28
	v_addc_co_u32_e32 v29, vcc, v29, v30, vcc
	v_cmp_gt_u64_e64 s[6:7], s[56:57], v[28:29]
	v_cmp_le_u64_e32 vcc, s[56:57], v[28:29]
	v_mov_b32_e32 v30, 0
	s_and_saveexec_b64 s[14:15], s[6:7]
	s_cbranch_execz .LBB120_45
; %bb.47:                               ;   in Loop: Header=BB120_46 Depth=2
	v_pk_mov_b32 v[30:31], s[12:13], s[12:13] op_sel:[0,1]
	v_mad_u64_u32 v[30:31], s[6:7], v28, s62, v[30:31]
	v_mul_lo_u32 v40, v28, s63
	v_mul_lo_u32 v41, v29, s62
	v_add3_u32 v31, v41, v31, v40
	global_load_ubyte v30, v[30:31], off
	s_branch .LBB120_45
.LBB120_48:                             ;   in Loop: Header=BB120_6 Depth=1
                                        ; implicit-def: $vgpr8_vgpr9
                                        ; implicit-def: $vgpr4_vgpr5
	s_cbranch_execnz .LBB120_51
	s_branch .LBB120_60
.LBB120_49:                             ;   in Loop: Header=BB120_6 Depth=1
	s_or_b64 exec, exec, s[10:11]
.LBB120_50:                             ;   in Loop: Header=BB120_6 Depth=1
	s_or_b64 exec, exec, s[4:5]
	s_branch .LBB120_60
.LBB120_51:                             ;   in Loop: Header=BB120_6 Depth=1
	v_readlane_b32 s0, v48, 37
	v_readlane_b32 s1, v48, 38
	s_mov_b64 s[10:11], 0
	s_nop 3
	global_load_ushort v14, v15, s[0:1]
	s_waitcnt vmcnt(0)
	v_readfirstlane_b32 s0, v14
	s_and_b32 s0, 0xffff, s0
	s_lshl_b32 s9, s0, 2
	v_cvt_f32_u32_e32 v2, s9
	s_sub_i32 s0, 0, s9
	v_rcp_iflag_f32_e32 v4, v2
	v_pk_mov_b32 v[2:3], 0, 0
	v_pk_mov_b32 v[6:7], v[2:3], v[2:3] op_sel:[0,1]
	v_mul_f32_e32 v4, 0x4f7ffffe, v4
	v_cvt_u32_f32_e32 v8, v4
	v_pk_mov_b32 v[4:5], v[2:3], v[2:3] op_sel:[0,1]
	v_readfirstlane_b32 s1, v8
	s_mul_i32 s0, s0, s1
	s_mul_hi_u32 s0, s1, s0
	s_add_i32 s1, s1, s0
	s_mul_hi_u32 s0, s8, s1
	s_mul_i32 s0, s0, s9
	s_sub_i32 s0, s8, s0
	s_sub_i32 s1, s0, s9
	s_cmp_ge_u32 s0, s9
	s_cselect_b32 s0, s1, s0
	s_sub_i32 s1, s0, s9
	s_cmp_ge_u32 s0, s9
	s_cselect_b32 s0, s1, s0
	s_sub_i32 s78, s8, s0
	v_cmp_gt_u32_e32 vcc, s78, v16
	v_pk_mov_b32 v[8:9], v[2:3], v[2:3] op_sel:[0,1]
	s_and_saveexec_b64 s[4:5], vcc
	s_cbranch_execz .LBB120_55
; %bb.52:                               ;   in Loop: Header=BB120_6 Depth=1
	s_and_b32 s0, s71, 0xfe
	v_mov_b32_e32 v30, v16
	s_mov_b64 s[74:75], 0
	s_mov_b64 s[76:77], 0
	;; [unrolled: 1-line block ×4, first 2 shown]
	v_pk_mov_b32 v[28:29], v[16:17], v[16:17] op_sel:[0,1]
.LBB120_53:                             ;   Parent Loop BB120_6 Depth=1
                                        ; =>  This Inner Loop Header: Depth=2
	ds_read_b32 v2, v30
	v_add_co_u32_e32 v28, vcc, s9, v28
	v_addc_co_u32_e32 v29, vcc, 0, v29, vcc
	s_waitcnt lgkmcnt(0)
	v_and_b32_e32 v4, 0xff, v2
	v_bfe_u32 v5, v2, 8, 8
	v_and_b32_e32 v6, v37, v4
	v_bfe_u32 v4, v4, s0, 2
	v_lshrrev_b32_e32 v3, 24, v2
	v_bfe_u32 v2, v2, 16, 8
	v_and_b32_e32 v7, v37, v5
	v_bfe_u32 v5, v5, s0, 2
	v_cmp_eq_u32_e64 s[20:21], v6, v38
	v_cmp_eq_u32_e64 s[6:7], 0, v4
	v_and_b32_e32 v8, v37, v2
	v_bfe_u32 v2, v2, s0, 2
	v_cmp_eq_u32_e64 s[18:19], v7, v38
	v_cmp_eq_u32_e64 s[34:35], 0, v5
	s_and_b64 s[6:7], s[20:21], s[6:7]
	v_and_b32_e32 v9, v37, v3
	v_bfe_u32 v3, v3, s0, 2
	v_cmp_eq_u32_e64 s[16:17], v8, v38
	v_cmp_eq_u32_e64 s[36:37], 0, v2
	;; [unrolled: 1-line block ×5, first 2 shown]
	v_cndmask_b32_e64 v2, 0, 1, s[6:7]
	s_and_b64 s[6:7], s[18:19], s[34:35]
	v_cmp_eq_u32_e64 s[14:15], v9, v38
	v_cmp_eq_u32_e64 s[38:39], 0, v3
	v_cmp_eq_u32_e64 s[46:47], 1, v3
	v_cmp_eq_u32_e64 s[54:55], 2, v3
	v_cmp_eq_u32_e64 s[22:23], 3, v3
	v_cndmask_b32_e64 v3, 0, 1, s[6:7]
	s_and_b64 s[6:7], s[16:17], s[36:37]
	v_cmp_eq_u32_e64 s[40:41], 1, v4
	v_cmp_eq_u32_e64 s[48:49], 2, v4
	;; [unrolled: 1-line block ×3, first 2 shown]
	v_cndmask_b32_e64 v4, 0, 1, s[6:7]
	s_and_b64 s[6:7], s[14:15], s[38:39]
	v_cmp_eq_u32_e64 s[42:43], 1, v5
	v_cmp_eq_u32_e64 s[50:51], 2, v5
	;; [unrolled: 1-line block ×3, first 2 shown]
	v_cndmask_b32_e64 v5, 0, 1, s[6:7]
	v_cmp_ne_u32_e64 s[6:7], 0, v2
	v_cmp_ne_u32_e64 s[34:35], 0, v3
	v_cmp_ne_u32_e64 s[36:37], 0, v4
	v_cmp_ne_u32_e64 s[38:39], 0, v5
	s_bcnt1_i32_b64 s1, s[6:7]
	s_bcnt1_i32_b64 s6, s[34:35]
	s_bcnt1_i32_b64 s7, s[36:37]
	s_bcnt1_i32_b64 s34, s[38:39]
	s_add_u32 s1, s1, s82
	s_addc_u32 s35, 0, s83
	s_add_u32 s1, s1, s6
	s_addc_u32 s6, s35, 0
	s_add_u32 s1, s1, s7
	s_addc_u32 s6, s6, 0
	s_add_u32 s82, s1, s34
	s_addc_u32 s83, s6, 0
	s_and_b64 s[6:7], s[20:21], s[40:41]
	v_cndmask_b32_e64 v4, 0, 1, s[6:7]
	s_and_b64 s[6:7], s[18:19], s[42:43]
	v_cndmask_b32_e64 v5, 0, 1, s[6:7]
	s_and_b64 s[6:7], s[16:17], s[44:45]
	v_cndmask_b32_e64 v6, 0, 1, s[6:7]
	s_and_b64 s[6:7], s[14:15], s[46:47]
	v_cndmask_b32_e64 v7, 0, 1, s[6:7]
	v_cmp_ne_u32_e64 s[6:7], 0, v4
	v_cmp_ne_u32_e64 s[34:35], 0, v5
	v_cmp_ne_u32_e64 s[36:37], 0, v6
	v_cmp_ne_u32_e64 s[38:39], 0, v7
	s_bcnt1_i32_b64 s1, s[6:7]
	s_bcnt1_i32_b64 s6, s[34:35]
	s_bcnt1_i32_b64 s7, s[36:37]
	s_bcnt1_i32_b64 s34, s[38:39]
	s_add_u32 s1, s1, s80
	s_addc_u32 s35, 0, s81
	s_add_u32 s1, s1, s6
	s_addc_u32 s6, s35, 0
	s_add_u32 s1, s1, s7
	s_addc_u32 s6, s6, 0
	s_add_u32 s80, s1, s34
	s_addc_u32 s81, s6, 0
	s_and_b64 s[6:7], s[20:21], s[48:49]
	v_cndmask_b32_e64 v6, 0, 1, s[6:7]
	s_and_b64 s[6:7], s[18:19], s[50:51]
	v_cndmask_b32_e64 v7, 0, 1, s[6:7]
	s_and_b64 s[6:7], s[16:17], s[52:53]
	v_cndmask_b32_e64 v8, 0, 1, s[6:7]
	s_and_b64 s[6:7], s[14:15], s[54:55]
	;; [unrolled: 24-line block ×3, first 2 shown]
	v_cndmask_b32_e64 v40, 0, 1, s[6:7]
	v_cmp_ne_u32_e64 s[6:7], 0, v8
	v_cmp_ne_u32_e64 s[14:15], 0, v9
	;; [unrolled: 1-line block ×4, first 2 shown]
	s_bcnt1_i32_b64 s1, s[6:7]
	s_bcnt1_i32_b64 s6, s[14:15]
	;; [unrolled: 1-line block ×4, first 2 shown]
	s_add_u32 s1, s1, s74
	s_addc_u32 s15, 0, s75
	s_add_u32 s1, s1, s6
	s_addc_u32 s6, s15, 0
	s_add_u32 s1, s1, s7
	s_addc_u32 s6, s6, 0
	s_add_u32 s74, s1, s14
	v_cmp_le_u64_e32 vcc, s[78:79], v[28:29]
	s_addc_u32 s75, s6, 0
	v_add_u32_e32 v30, s9, v30
	v_pk_mov_b32 v[2:3], s[82:83], s[82:83] op_sel:[0,1]
	v_pk_mov_b32 v[4:5], s[80:81], s[80:81] op_sel:[0,1]
	;; [unrolled: 1-line block ×3, first 2 shown]
	s_or_b64 s[10:11], vcc, s[10:11]
	v_pk_mov_b32 v[8:9], s[74:75], s[74:75] op_sel:[0,1]
	s_andn2_b64 exec, exec, s[10:11]
	s_cbranch_execnz .LBB120_53
; %bb.54:                               ;   in Loop: Header=BB120_6 Depth=1
	s_or_b64 exec, exec, s[10:11]
.LBB120_55:                             ;   in Loop: Header=BB120_6 Depth=1
	s_or_b64 exec, exec, s[4:5]
	v_and_b32_e32 v30, 0xffff, v14
	v_add_u32_e32 v14, s78, v0
	v_cmp_gt_u32_e32 vcc, s8, v14
	s_and_saveexec_b64 s[4:5], vcc
	s_cbranch_execz .LBB120_59
; %bb.56:                               ;   in Loop: Header=BB120_6 Depth=1
	s_and_b32 s78, s8, 0x7fffffff
	s_and_b32 s0, s71, 0xfe
	s_mov_b64 s[8:9], 0
	v_pk_mov_b32 v[28:29], v[14:15], v[14:15] op_sel:[0,1]
.LBB120_57:                             ;   Parent Loop BB120_6 Depth=1
                                        ; =>  This Inner Loop Header: Depth=2
	ds_read_u8 v31, v14
	v_add_co_u32_e32 v28, vcc, v28, v30
	v_addc_co_u32_e32 v29, vcc, 0, v29, vcc
	s_waitcnt lgkmcnt(0)
	v_and_b32_e32 v40, v37, v31
	v_bfe_u32 v31, v31, s0, 2
	v_cmp_eq_u32_e64 s[6:7], v40, v38
	v_cmp_eq_u32_e64 s[14:15], 0, v31
	;; [unrolled: 1-line block ×3, first 2 shown]
	s_and_b64 s[10:11], s[6:7], s[14:15]
	v_cmp_eq_u32_e64 s[18:19], 2, v31
	v_cmp_eq_u32_e64 s[20:21], 3, v31
	v_cndmask_b32_e64 v31, 0, 1, s[10:11]
	s_and_b64 s[10:11], s[6:7], s[16:17]
	v_cndmask_b32_e64 v40, 0, 1, s[10:11]
	s_and_b64 s[10:11], s[6:7], s[18:19]
	s_and_b64 s[6:7], s[6:7], s[20:21]
	v_cndmask_b32_e64 v41, 0, 1, s[10:11]
	v_cndmask_b32_e64 v42, 0, 1, s[6:7]
	v_cmp_ne_u32_e64 s[6:7], 0, v31
	v_cmp_ne_u32_e64 s[14:15], 0, v40
	;; [unrolled: 1-line block ×4, first 2 shown]
	v_cmp_le_u64_e32 vcc, s[78:79], v[28:29]
	s_bcnt1_i32_b64 s1, s[6:7]
	s_bcnt1_i32_b64 s6, s[14:15]
	;; [unrolled: 1-line block ×4, first 2 shown]
	s_or_b64 s[8:9], vcc, s[8:9]
	v_add_co_u32_e32 v2, vcc, s1, v2
	v_addc_co_u32_e32 v3, vcc, 0, v3, vcc
	v_add_co_u32_e32 v4, vcc, s6, v4
	v_addc_co_u32_e32 v5, vcc, 0, v5, vcc
	;; [unrolled: 2-line block ×3, first 2 shown]
	v_add_co_u32_e32 v8, vcc, s10, v8
	v_add_u32_e32 v14, v14, v30
	v_addc_co_u32_e32 v9, vcc, 0, v9, vcc
	s_andn2_b64 exec, exec, s[8:9]
	s_cbranch_execnz .LBB120_57
; %bb.58:                               ;   in Loop: Header=BB120_6 Depth=1
	s_or_b64 exec, exec, s[8:9]
.LBB120_59:                             ;   in Loop: Header=BB120_6 Depth=1
	s_or_b64 exec, exec, s[4:5]
.LBB120_60:                             ;   in Loop: Header=BB120_6 Depth=1
	v_readlane_b32 s0, v48, 46
	s_lshl_b32 s0, s0, 6
	s_mov_b64 s[4:5], exec
	v_readlane_b32 s6, v48, 20
	v_readlane_b32 s7, v48, 21
	s_and_b64 s[6:7], s[4:5], s[6:7]
	s_mov_b64 exec, s[6:7]
	s_cbranch_execz .LBB120_62
; %bb.61:                               ;   in Loop: Header=BB120_6 Depth=1
	s_waitcnt vmcnt(0)
	v_or_b32_e32 v14, s0, v34
	v_lshlrev_b32_e32 v14, 3, v14
	ds_write_b128 v14, v[2:5] offset:3072
	ds_write_b128 v14, v[6:9] offset:3088
.LBB120_62:                             ;   in Loop: Header=BB120_6 Depth=1
	s_or_b64 exec, exec, s[4:5]
	s_waitcnt lgkmcnt(0)
	s_barrier
	s_mov_b64 s[4:5], exec
	v_readlane_b32 s6, v48, 22
	v_readlane_b32 s7, v48, 23
	s_and_b64 s[6:7], s[4:5], s[6:7]
	s_mov_b64 exec, s[6:7]
	s_cbranch_execz .LBB120_74
; %bb.63:                               ;   in Loop: Header=BB120_6 Depth=1
	v_readlane_b32 s6, v48, 30
	v_readlane_b32 s7, v48, 31
	s_andn2_b64 vcc, exec, s[6:7]
	v_pk_mov_b32 v[2:3], 0, 0
	s_cbranch_vccnz .LBB120_73
; %bb.64:                               ;   in Loop: Header=BB120_6 Depth=1
	v_readlane_b32 s6, v48, 39
	v_readlane_b32 s7, v48, 40
	s_andn2_b64 vcc, exec, s[6:7]
	s_cbranch_vccnz .LBB120_69
; %bb.65:                               ;   in Loop: Header=BB120_6 Depth=1
	v_readlane_b32 s1, v48, 46
	v_lshl_add_u32 v4, s1, 9, v35
	s_mov_b32 s1, 0
	v_pk_mov_b32 v[2:3], 0, 0
.LBB120_66:                             ;   Parent Loop BB120_6 Depth=1
                                        ; =>  This Inner Loop Header: Depth=2
	s_waitcnt vmcnt(0)
	ds_read2_b64 v[6:9], v4 offset1:4
	ds_read2_b64 v[28:31], v4 offset0:8 offset1:12
	ds_read2_b64 v[40:43], v4 offset0:16 offset1:20
	;; [unrolled: 1-line block ×3, first 2 shown]
	s_add_i32 s1, s1, 8
	s_waitcnt lgkmcnt(3)
	v_add_co_u32_e32 v2, vcc, v6, v2
	v_addc_co_u32_e32 v3, vcc, v7, v3, vcc
	v_add_co_u32_e32 v2, vcc, v8, v2
	v_addc_co_u32_e32 v3, vcc, v9, v3, vcc
	s_waitcnt lgkmcnt(2)
	v_add_co_u32_e32 v2, vcc, v28, v2
	v_addc_co_u32_e32 v3, vcc, v29, v3, vcc
	v_add_co_u32_e32 v2, vcc, v30, v2
	v_addc_co_u32_e32 v3, vcc, v31, v3, vcc
	;; [unrolled: 5-line block ×3, first 2 shown]
	s_waitcnt lgkmcnt(0)
	v_add_co_u32_e32 v2, vcc, v44, v2
	v_addc_co_u32_e32 v3, vcc, v45, v3, vcc
	v_add_co_u32_e32 v2, vcc, v46, v2
	v_add_u32_e32 v4, 0x100, v4
	s_cmp_eq_u32 s85, s1
	v_addc_co_u32_e32 v3, vcc, v47, v3, vcc
	s_cbranch_scc0 .LBB120_66
; %bb.67:                               ;   in Loop: Header=BB120_6 Depth=1
	s_mov_b32 s1, s85
	s_branch .LBB120_70
.LBB120_68:                             ;   in Loop: Header=BB120_6 Depth=1
                                        ; implicit-def: $vgpr2_vgpr3
	s_branch .LBB120_36
.LBB120_69:                             ;   in Loop: Header=BB120_6 Depth=1
	s_mov_b32 s1, 0
	v_pk_mov_b32 v[2:3], 0, 0
.LBB120_70:                             ;   in Loop: Header=BB120_6 Depth=1
	v_readlane_b32 s6, v48, 42
	v_readlane_b32 s7, v48, 43
	s_andn2_b64 vcc, exec, s[6:7]
	s_cbranch_vccnz .LBB120_73
; %bb.71:                               ;   in Loop: Header=BB120_6 Depth=1
	v_readlane_b32 s6, v48, 46
	s_lshl_b32 s6, s6, 9
	s_lshl_b32 s1, s1, 5
	s_add_i32 s6, s6, s1
	v_add_u32_e32 v4, s6, v35
	v_readlane_b32 s1, v48, 41
.LBB120_72:                             ;   Parent Loop BB120_6 Depth=1
                                        ; =>  This Inner Loop Header: Depth=2
	s_waitcnt vmcnt(0)
	ds_read_b64 v[6:7], v4
	s_add_i32 s1, s1, -1
	v_add_u32_e32 v4, 32, v4
	s_cmp_lg_u32 s1, 0
	s_waitcnt lgkmcnt(0)
	v_add_co_u32_e32 v2, vcc, v6, v2
	v_addc_co_u32_e32 v3, vcc, v7, v3, vcc
	s_cbranch_scc1 .LBB120_72
.LBB120_73:                             ;   in Loop: Header=BB120_6 Depth=1
	v_add_lshl_u32 v4, s0, v33, 3
	ds_write_b64 v4, v[2:3] offset:3072
.LBB120_74:                             ;   in Loop: Header=BB120_6 Depth=1
	s_or_b64 exec, exec, s[4:5]
	s_lshl_b32 s0, s0, 3
	s_waitcnt vmcnt(0)
	v_mov_b32_e32 v6, s0
	s_waitcnt lgkmcnt(0)
	s_barrier
	ds_read_b128 v[2:5], v6 offset:3072
	ds_read_b128 v[6:9], v6 offset:3088
	s_and_b32 s93, s71, 0xfe
	v_readlane_b32 s0, v48, 18
	s_lshl_b32 s78, 3, s93
	v_readlane_b32 s1, v48, 19
	s_waitcnt lgkmcnt(1)
	v_readfirstlane_b32 s17, v3
	v_readfirstlane_b32 s16, v2
	;; [unrolled: 1-line block ×4, first 2 shown]
	s_waitcnt lgkmcnt(0)
	v_readfirstlane_b32 s23, v7
	v_readfirstlane_b32 s22, v6
	;; [unrolled: 1-line block ×4, first 2 shown]
	s_not_b32 s92, s78
	s_andn2_b64 vcc, exec, s[0:1]
	v_cmp_eq_u64_e64 s[14:15], 1, v[26:27]
	s_cbranch_vccnz .LBB120_89
; %bb.75:                               ;   in Loop: Header=BB120_6 Depth=1
	s_cmp_eq_u64 s[16:17], 1
	s_cselect_b64 s[0:1], -1, 0
	s_and_b64 s[6:7], s[0:1], s[14:15]
	s_mov_b64 s[4:5], -1
	v_mov_b32_e32 v28, v38
	v_mov_b32_e32 v29, v37
	;; [unrolled: 1-line block ×3, first 2 shown]
                                        ; implicit-def: $sgpr20_sgpr21
                                        ; implicit-def: $sgpr36_sgpr37
                                        ; implicit-def: $sgpr34_sgpr35
	s_and_saveexec_b64 s[8:9], s[6:7]
	s_cbranch_execz .LBB120_110
; %bb.76:                               ;   in Loop: Header=BB120_6 Depth=1
	ds_read_b64 v[2:3], v15 offset:5120
	s_waitcnt lgkmcnt(0)
	s_barrier
	v_readfirstlane_b32 s4, v2
	v_readfirstlane_b32 s5, v3
	s_mov_b64 s[10:11], exec
	v_readlane_b32 s0, v48, 28
	v_readlane_b32 s1, v48, 29
	s_and_b64 s[0:1], s[10:11], s[0:1]
	s_mov_b64 exec, s[0:1]
	s_cbranch_execz .LBB120_78
; %bb.77:                               ;   in Loop: Header=BB120_6 Depth=1
	ds_write_b8 v0, v15 offset:3072
.LBB120_78:                             ;   in Loop: Header=BB120_6 Depth=1
	s_or_b64 exec, exec, s[10:11]
	v_and_b32_e32 v28, s92, v38
	v_or_b32_e32 v29, s78, v37
	s_cmp_eq_u64 s[4:5], 0
	s_waitcnt lgkmcnt(0)
	s_barrier
	s_cbranch_scc1 .LBB120_94
; %bb.79:                               ;   in Loop: Header=BB120_6 Depth=1
	v_readlane_b32 s0, v48, 32
	s_add_u32 s0, s0, s4
	v_readlane_b32 s1, v48, 34
	s_addc_u32 s11, s1, s5
	s_mov_b32 s10, s79
	s_cmp_lg_u64 s[10:11], 0
	s_cbranch_scc0 .LBB120_136
; %bb.80:                               ;   in Loop: Header=BB120_6 Depth=1
	v_cvt_f32_u32_e32 v2, s33
	s_sub_u32 s1, 0, s33
	s_subb_u32 s10, 0, 0
	v_mac_f32_e32 v2, 0, v36
	v_rcp_f32_e32 v2, v2
	v_mul_f32_e32 v2, 0x5f7ffffc, v2
	v_mul_f32_e32 v3, 0x2f800000, v2
	v_trunc_f32_e32 v3, v3
	v_mac_f32_e32 v2, 0xcf800000, v3
	v_cvt_u32_f32_e32 v3, v3
	v_cvt_u32_f32_e32 v2, v2
	v_readfirstlane_b32 s20, v3
	v_readfirstlane_b32 s21, v2
	s_mul_i32 s26, s1, s20
	s_mul_hi_u32 s28, s1, s21
	s_mul_i32 s27, s10, s21
	s_add_i32 s26, s28, s26
	s_mul_i32 s29, s1, s21
	s_add_i32 s26, s26, s27
	s_mul_hi_u32 s28, s21, s29
	s_mul_hi_u32 s27, s21, s26
	s_mul_i32 s21, s21, s26
	s_add_u32 s21, s28, s21
	s_addc_u32 s27, 0, s27
	s_mul_hi_u32 s34, s20, s29
	s_mul_i32 s29, s20, s29
	s_add_u32 s21, s21, s29
	s_mul_hi_u32 s28, s20, s26
	s_addc_u32 s21, s27, s34
	s_addc_u32 s27, s28, 0
	s_mul_i32 s26, s20, s26
	s_add_u32 s21, s21, s26
	s_addc_u32 s26, 0, s27
	v_add_co_u32_e32 v2, vcc, s21, v2
	s_cmp_lg_u64 vcc, 0
	s_addc_u32 s20, s20, s26
	v_readfirstlane_b32 s26, v2
	s_mul_i32 s21, s1, s20
	s_mul_hi_u32 s27, s1, s26
	s_add_i32 s21, s27, s21
	s_mul_i32 s10, s10, s26
	s_add_i32 s21, s21, s10
	s_mul_i32 s1, s1, s26
	s_mul_hi_u32 s27, s20, s1
	s_mul_i32 s28, s20, s1
	s_mul_i32 s34, s26, s21
	s_mul_hi_u32 s1, s26, s1
	s_mul_hi_u32 s29, s26, s21
	s_add_u32 s1, s1, s34
	s_addc_u32 s26, 0, s29
	s_add_u32 s1, s1, s28
	s_mul_hi_u32 s10, s20, s21
	s_addc_u32 s1, s26, s27
	s_addc_u32 s10, s10, 0
	s_mul_i32 s21, s20, s21
	s_add_u32 s1, s1, s21
	s_addc_u32 s10, 0, s10
	v_add_co_u32_e32 v2, vcc, s1, v2
	s_cmp_lg_u64 vcc, 0
	s_addc_u32 s1, s20, s10
	v_readfirstlane_b32 s21, v2
	s_mul_i32 s20, s0, s1
	s_mul_hi_u32 s26, s0, s21
	s_mul_hi_u32 s10, s0, s1
	s_add_u32 s20, s26, s20
	s_addc_u32 s10, 0, s10
	s_mul_hi_u32 s27, s11, s21
	s_mul_i32 s21, s11, s21
	s_add_u32 s20, s20, s21
	s_mul_hi_u32 s26, s11, s1
	s_addc_u32 s10, s10, s27
	s_addc_u32 s20, s26, 0
	s_mul_i32 s1, s11, s1
	s_add_u32 s1, s10, s1
	s_addc_u32 s10, 0, s20
	s_mul_hi_u32 s20, s33, s1
	s_mul_i32 s1, s33, s1
	s_mul_i32 s10, s33, s10
	v_mov_b32_e32 v2, s1
	s_add_i32 s20, s20, s10
	v_sub_co_u32_e32 v2, vcc, s0, v2
	s_cmp_lg_u64 vcc, 0
	s_subb_u32 s1, s11, s20
	v_subrev_co_u32_e32 v3, vcc, s33, v2
	s_cmp_lg_u64 vcc, 0
	s_subb_u32 s10, s1, 0
	v_subrev_co_u32_e32 v4, vcc, s33, v3
	s_cmp_lg_u64 vcc, 0
	s_subb_u32 s20, s10, 0
	v_cmp_le_u32_e32 vcc, s33, v3
	s_cmp_eq_u32 s10, 0
	v_cndmask_b32_e64 v5, 0, -1, vcc
	s_cselect_b64 vcc, -1, 0
	v_cndmask_b32_e32 v5, -1, v5, vcc
	v_mov_b32_e32 v6, s10
	v_mov_b32_e32 v7, s20
	v_cmp_ne_u32_e32 vcc, 0, v5
	v_cndmask_b32_e32 v5, v6, v7, vcc
	v_cndmask_b32_e32 v4, v3, v4, vcc
	v_cmp_le_u32_e32 vcc, s33, v2
	s_cmp_eq_u32 s1, 0
	v_cndmask_b32_e64 v3, 0, -1, vcc
	s_cselect_b64 vcc, -1, 0
	v_cndmask_b32_e32 v3, -1, v3, vcc
	v_mov_b32_e32 v6, s1
	v_cmp_ne_u32_e32 vcc, 0, v3
	v_cndmask_b32_e32 v3, v6, v5, vcc
	v_cndmask_b32_e32 v2, v2, v4, vcc
	s_cbranch_execnz .LBB120_82
.LBB120_81:                             ;   in Loop: Header=BB120_6 Depth=1
	v_cvt_f32_u32_e32 v2, s33
	s_sub_i32 s1, 0, s33
	v_rcp_iflag_f32_e32 v2, v2
	v_mul_f32_e32 v2, 0x4f7ffffe, v2
	v_cvt_u32_f32_e32 v2, v2
	v_mul_lo_u32 v3, s1, v2
	v_mul_hi_u32 v3, v2, v3
	v_add_u32_e32 v2, v2, v3
	v_mul_hi_u32 v2, s0, v2
	v_mul_lo_u32 v2, v2, s33
	v_sub_u32_e32 v2, s0, v2
	v_subrev_u32_e32 v3, s33, v2
	v_cmp_le_u32_e32 vcc, s33, v2
	v_cndmask_b32_e32 v2, v2, v3, vcc
	v_subrev_u32_e32 v3, s33, v2
	v_cmp_le_u32_e32 vcc, s33, v2
	v_cndmask_b32_e32 v14, v2, v3, vcc
	v_pk_mov_b32 v[2:3], v[14:15], v[14:15] op_sel:[0,1]
.LBB120_82:                             ;   in Loop: Header=BB120_6 Depth=1
	v_mov_b32_e32 v4, s11
	v_sub_co_u32_e32 v2, vcc, s0, v2
	v_subb_co_u32_e32 v3, vcc, v4, v3, vcc
	v_cmp_gt_u64_e32 vcc, v[2:3], v[0:1]
	s_mov_b64 s[10:11], 0
                                        ; implicit-def: $vgpr30
	s_and_saveexec_b64 s[20:21], vcc
	s_cbranch_execz .LBB120_96
; %bb.83:                               ;   in Loop: Header=BB120_6 Depth=1
	v_mov_b32_e32 v6, v0
	v_pk_mov_b32 v[4:5], v[0:1], v[0:1] op_sel:[0,1]
                                        ; implicit-def: $sgpr26_sgpr27
	s_branch .LBB120_85
.LBB120_84:                             ;   in Loop: Header=BB120_85 Depth=2
	s_or_b64 exec, exec, s[28:29]
	s_waitcnt lgkmcnt(0)
	s_barrier
	ds_read_u16 v7, v15 offset:3072
	v_mov_b32_e32 v8, s86
	v_add_co_u32_e32 v4, vcc, s33, v4
	v_addc_co_u32_e32 v5, vcc, v5, v8, vcc
	s_waitcnt lgkmcnt(0)
	v_cmp_ne_u16_sdwa s[0:1], v7, v15 src0_sel:BYTE_0 src1_sel:DWORD
	v_cmp_ge_u64_e32 vcc, v[4:5], v[2:3]
	s_or_b64 s[28:29], vcc, s[0:1]
	s_and_b64 s[28:29], exec, s[28:29]
	s_or_b64 s[10:11], s[28:29], s[10:11]
	s_andn2_b64 s[26:27], s[26:27], exec
	s_and_b64 s[0:1], s[0:1], exec
	v_add_u32_e32 v6, s33, v6
	s_or_b64 s[26:27], s[26:27], s[0:1]
	s_barrier
	s_andn2_b64 exec, exec, s[10:11]
	s_cbranch_execz .LBB120_95
.LBB120_85:                             ;   Parent Loop BB120_6 Depth=1
                                        ; =>  This Inner Loop Header: Depth=2
	v_cmp_gt_u64_e32 vcc, s[4:5], v[4:5]
	v_mov_b32_e32 v7, 0
	s_and_saveexec_b64 s[28:29], vcc
	s_cbranch_execz .LBB120_87
; %bb.86:                               ;   in Loop: Header=BB120_85 Depth=2
	ds_read_u8 v7, v6
.LBB120_87:                             ;   in Loop: Header=BB120_85 Depth=2
	s_or_b64 exec, exec, s[28:29]
	s_waitcnt lgkmcnt(0)
	v_and_b32_e32 v8, v7, v29
	v_cmp_eq_u32_sdwa s[0:1], v8, v28 src0_sel:BYTE_0 src1_sel:DWORD
	s_and_b64 s[0:1], vcc, s[0:1]
	s_and_saveexec_b64 s[28:29], s[0:1]
	s_cbranch_execz .LBB120_84
; %bb.88:                               ;   in Loop: Header=BB120_85 Depth=2
	v_lshlrev_b16_e32 v7, 8, v7
	v_or_b32_e32 v7, 1, v7
	ds_write_b16 v15, v7 offset:3072
	s_branch .LBB120_84
.LBB120_89:                             ;   in Loop: Header=BB120_6 Depth=1
	s_mov_b64 s[28:29], 0
	s_mov_b64 s[26:27], 0
                                        ; implicit-def: $sgpr34_sgpr35
                                        ; implicit-def: $sgpr36_sgpr37
                                        ; implicit-def: $sgpr20_sgpr21
                                        ; implicit-def: $vgpr6
                                        ; implicit-def: $vgpr2_vgpr3
                                        ; implicit-def: $vgpr28
                                        ; implicit-def: $vgpr29
                                        ; implicit-def: $vgpr30
	s_cbranch_execnz .LBB120_268
.LBB120_90:                             ;   in Loop: Header=BB120_6 Depth=1
	s_mov_b64 s[14:15], s[20:21]
	s_mov_b64 s[38:39], s[20:21]
	s_and_saveexec_b64 s[4:5], s[28:29]
	s_cbranch_execnz .LBB120_456
	s_branch .LBB120_457
.LBB120_91:                             ;   in Loop: Header=BB120_6 Depth=1
	s_or_b64 exec, exec, s[4:5]
	s_waitcnt lgkmcnt(0)
	s_barrier
	s_mov_b64 s[4:5], exec
	v_readlane_b32 s0, v48, 8
	v_readlane_b32 s1, v48, 9
	s_and_b64 s[0:1], s[4:5], s[0:1]
	s_mov_b64 exec, s[0:1]
	s_cbranch_execz .LBB120_93
; %bb.92:                               ;   in Loop: Header=BB120_6 Depth=1
	ds_read_b32 v2, v15 offset:5144
	s_waitcnt lgkmcnt(0)
	v_ashrrev_i32_e32 v3, 31, v2
	ds_write_b64 v15, v[2:3] offset:5120
.LBB120_93:                             ;   in Loop: Header=BB120_6 Depth=1
	s_or_b64 exec, exec, s[4:5]
	s_waitcnt lgkmcnt(0)
	s_barrier
	s_mov_b64 s[4:5], -1
	s_and_b64 vcc, exec, s[8:9]
	s_cbranch_vccnz .LBB120_21
	s_branch .LBB120_31
.LBB120_94:                             ;   in Loop: Header=BB120_6 Depth=1
	s_mov_b64 s[20:21], -1
	s_mov_b64 s[10:11], 0
                                        ; implicit-def: $sgpr34_sgpr35
                                        ; implicit-def: $vgpr30
	s_mov_b64 s[36:37], s[20:21]
	s_cbranch_execnz .LBB120_97
	s_branch .LBB120_109
.LBB120_95:                             ;   in Loop: Header=BB120_6 Depth=1
	s_or_b64 exec, exec, s[10:11]
	v_lshrrev_b16_e32 v30, 8, v7
	s_and_b64 s[10:11], s[26:27], exec
.LBB120_96:                             ;   in Loop: Header=BB120_6 Depth=1
	s_or_b64 exec, exec, s[20:21]
	s_mov_b64 s[34:35], -1
	s_mov_b64 s[20:21], 0
	s_mov_b64 s[36:37], s[20:21]
	s_branch .LBB120_109
.LBB120_97:                             ;   in Loop: Header=BB120_6 Depth=1
	v_readlane_b32 s26, v48, 35
	v_readlane_b32 s27, v48, 36
	s_mov_b32 s26, s79
	s_cmp_lg_u64 s[26:27], 0
	v_writelane_b32 v48, s26, 35
	v_writelane_b32 v48, s27, 36
	s_cbranch_scc0 .LBB120_137
; %bb.98:                               ;   in Loop: Header=BB120_6 Depth=1
	v_cvt_f32_u32_e32 v2, s33
	s_sub_u32 s0, 0, s33
	s_subb_u32 s1, 0, 0
	v_mac_f32_e32 v2, 0, v36
	v_rcp_f32_e32 v2, v2
	v_mul_f32_e32 v2, 0x5f7ffffc, v2
	v_mul_f32_e32 v3, 0x2f800000, v2
	v_trunc_f32_e32 v3, v3
	v_mac_f32_e32 v2, 0xcf800000, v3
	v_cvt_u32_f32_e32 v3, v3
	v_cvt_u32_f32_e32 v2, v2
	v_readfirstlane_b32 s4, v3
	v_readfirstlane_b32 s5, v2
	s_mul_i32 s10, s0, s4
	s_mul_hi_u32 s20, s0, s5
	s_mul_i32 s11, s1, s5
	s_add_i32 s10, s20, s10
	s_mul_i32 s21, s0, s5
	s_add_i32 s10, s10, s11
	s_mul_hi_u32 s20, s5, s21
	s_mul_hi_u32 s11, s5, s10
	s_mul_i32 s5, s5, s10
	s_add_u32 s5, s20, s5
	s_addc_u32 s11, 0, s11
	s_mul_hi_u32 s26, s4, s21
	s_mul_i32 s21, s4, s21
	s_add_u32 s5, s5, s21
	s_mul_hi_u32 s20, s4, s10
	s_addc_u32 s5, s11, s26
	s_addc_u32 s11, s20, 0
	s_mul_i32 s10, s4, s10
	s_add_u32 s5, s5, s10
	s_addc_u32 s10, 0, s11
	v_add_co_u32_e32 v2, vcc, s5, v2
	s_cmp_lg_u64 vcc, 0
	s_addc_u32 s4, s4, s10
	v_readfirstlane_b32 s10, v2
	s_mul_i32 s5, s0, s4
	s_mul_hi_u32 s11, s0, s10
	s_add_i32 s5, s11, s5
	s_mul_i32 s1, s1, s10
	s_add_i32 s5, s5, s1
	s_mul_i32 s0, s0, s10
	s_mul_hi_u32 s11, s4, s0
	s_mul_i32 s20, s4, s0
	s_mul_i32 s26, s10, s5
	s_mul_hi_u32 s0, s10, s0
	s_mul_hi_u32 s21, s10, s5
	s_add_u32 s0, s0, s26
	s_addc_u32 s10, 0, s21
	s_add_u32 s0, s0, s20
	s_mul_hi_u32 s1, s4, s5
	s_addc_u32 s0, s10, s11
	s_addc_u32 s1, s1, 0
	s_mul_i32 s5, s4, s5
	s_add_u32 s0, s0, s5
	s_addc_u32 s1, 0, s1
	v_add_co_u32_e32 v2, vcc, s0, v2
	s_cmp_lg_u64 vcc, 0
	s_addc_u32 s0, s4, s1
	v_readlane_b32 s20, v48, 33
	v_readfirstlane_b32 s5, v2
	s_mul_i32 s4, s20, s0
	s_mul_hi_u32 s10, s20, s5
	s_mul_hi_u32 s1, s20, s0
	s_add_u32 s4, s10, s4
	s_addc_u32 s1, 0, s1
	s_mul_hi_u32 s11, s27, s5
	s_mul_i32 s5, s27, s5
	s_add_u32 s4, s4, s5
	s_mul_hi_u32 s10, s27, s0
	s_addc_u32 s1, s1, s11
	s_addc_u32 s4, s10, 0
	s_mul_i32 s0, s27, s0
	s_add_u32 s0, s1, s0
	s_addc_u32 s1, 0, s4
	s_mul_hi_u32 s4, s33, s0
	s_mul_i32 s0, s33, s0
	s_mul_i32 s1, s33, s1
	v_mov_b32_e32 v2, s0
	s_add_i32 s4, s4, s1
	v_sub_co_u32_e32 v2, vcc, s20, v2
	s_cmp_lg_u64 vcc, 0
	s_subb_u32 s0, s27, s4
	v_subrev_co_u32_e32 v3, vcc, s33, v2
	s_cmp_lg_u64 vcc, 0
	s_subb_u32 s1, s0, 0
	v_subrev_co_u32_e32 v4, vcc, s33, v3
	s_cmp_lg_u64 vcc, 0
	s_subb_u32 s4, s1, 0
	v_cmp_le_u32_e32 vcc, s33, v3
	s_cmp_eq_u32 s1, 0
	v_cndmask_b32_e64 v5, 0, -1, vcc
	s_cselect_b64 vcc, -1, 0
	v_cndmask_b32_e32 v5, -1, v5, vcc
	v_mov_b32_e32 v6, s1
	v_mov_b32_e32 v7, s4
	v_cmp_ne_u32_e32 vcc, 0, v5
	v_cndmask_b32_e32 v5, v6, v7, vcc
	v_cndmask_b32_e32 v4, v3, v4, vcc
	v_cmp_le_u32_e32 vcc, s33, v2
	s_cmp_eq_u32 s0, 0
	v_cndmask_b32_e64 v3, 0, -1, vcc
	s_cselect_b64 vcc, -1, 0
	v_cndmask_b32_e32 v3, -1, v3, vcc
	v_mov_b32_e32 v6, s0
	v_cmp_ne_u32_e32 vcc, 0, v3
	v_cndmask_b32_e32 v3, v6, v5, vcc
	v_cndmask_b32_e32 v2, v2, v4, vcc
	s_cbranch_execnz .LBB120_100
.LBB120_99:                             ;   in Loop: Header=BB120_6 Depth=1
	v_cvt_f32_u32_e32 v2, s33
	s_sub_i32 s0, 0, s33
	v_rcp_iflag_f32_e32 v2, v2
	v_mul_f32_e32 v2, 0x4f7ffffe, v2
	v_cvt_u32_f32_e32 v2, v2
	v_mul_lo_u32 v3, s0, v2
	v_mul_hi_u32 v3, v2, v3
	v_add_u32_e32 v2, v2, v3
	v_readlane_b32 s0, v48, 33
	v_mul_hi_u32 v2, s0, v2
	v_mul_lo_u32 v2, v2, s33
	v_sub_u32_e32 v2, s0, v2
	v_subrev_u32_e32 v3, s33, v2
	v_cmp_le_u32_e32 vcc, s33, v2
	v_cndmask_b32_e32 v2, v2, v3, vcc
	v_subrev_u32_e32 v3, s33, v2
	v_cmp_le_u32_e32 vcc, s33, v2
	v_cndmask_b32_e32 v14, v2, v3, vcc
	v_pk_mov_b32 v[2:3], v[14:15], v[14:15] op_sel:[0,1]
.LBB120_100:                            ;   in Loop: Header=BB120_6 Depth=1
	v_readlane_b32 s0, v48, 35
	v_readlane_b32 s1, v48, 36
	;; [unrolled: 1-line block ×3, first 2 shown]
	v_mov_b32_e32 v4, s1
	v_sub_co_u32_e32 v2, vcc, s0, v2
	v_subb_co_u32_e32 v3, vcc, v4, v3, vcc
	v_cmp_gt_u64_e32 vcc, v[2:3], v[0:1]
	s_mov_b64 s[10:11], 0
                                        ; implicit-def: $vgpr30
	s_and_saveexec_b64 s[4:5], vcc
	s_cbranch_execz .LBB120_108
; %bb.101:                              ;   in Loop: Header=BB120_6 Depth=1
	v_pk_mov_b32 v[4:5], v[12:13], v[12:13] op_sel:[0,1]
	v_pk_mov_b32 v[6:7], v[0:1], v[0:1] op_sel:[0,1]
                                        ; implicit-def: $sgpr20_sgpr21
	s_branch .LBB120_103
.LBB120_102:                            ;   in Loop: Header=BB120_103 Depth=2
	s_or_b64 exec, exec, s[26:27]
	s_waitcnt lgkmcnt(0)
	s_barrier
	ds_read_u16 v8, v15 offset:3072
	v_mov_b32_e32 v9, s86
	v_add_co_u32_e32 v6, vcc, s33, v6
	v_addc_co_u32_e32 v7, vcc, v7, v9, vcc
	s_waitcnt lgkmcnt(0)
	v_cmp_ne_u16_sdwa s[0:1], v8, v15 src0_sel:BYTE_0 src1_sel:DWORD
	v_cmp_ge_u64_e32 vcc, v[6:7], v[2:3]
	s_or_b64 s[26:27], vcc, s[0:1]
	s_and_b64 s[26:27], exec, s[26:27]
	s_or_b64 s[10:11], s[26:27], s[10:11]
	v_mov_b32_e32 v9, s87
	v_add_co_u32_e32 v4, vcc, s84, v4
	s_andn2_b64 s[20:21], s[20:21], exec
	s_and_b64 s[0:1], s[0:1], exec
	v_addc_co_u32_e32 v5, vcc, v5, v9, vcc
	s_or_b64 s[20:21], s[20:21], s[0:1]
	s_barrier
	s_andn2_b64 exec, exec, s[10:11]
	s_cbranch_execz .LBB120_107
.LBB120_103:                            ;   Parent Loop BB120_6 Depth=1
                                        ; =>  This Inner Loop Header: Depth=2
	v_cmp_gt_u64_e32 vcc, s[56:57], v[6:7]
	v_mov_b32_e32 v8, 0
	s_and_saveexec_b64 s[26:27], vcc
	s_cbranch_execz .LBB120_105
; %bb.104:                              ;   in Loop: Header=BB120_103 Depth=2
	global_load_ubyte v8, v[4:5], off
.LBB120_105:                            ;   in Loop: Header=BB120_103 Depth=2
	s_or_b64 exec, exec, s[26:27]
	s_waitcnt vmcnt(0)
	v_and_b32_e32 v9, v8, v29
	v_cmp_eq_u32_sdwa s[0:1], v9, v28 src0_sel:BYTE_0 src1_sel:DWORD
	s_and_b64 s[0:1], vcc, s[0:1]
	s_and_saveexec_b64 s[26:27], s[0:1]
	s_cbranch_execz .LBB120_102
; %bb.106:                              ;   in Loop: Header=BB120_103 Depth=2
	v_lshlrev_b16_e32 v8, 8, v8
	v_or_b32_e32 v8, 1, v8
	ds_write_b16 v15, v8 offset:3072
	s_branch .LBB120_102
.LBB120_107:                            ;   in Loop: Header=BB120_6 Depth=1
	s_or_b64 exec, exec, s[10:11]
	v_lshrrev_b16_e32 v30, 8, v8
	s_and_b64 s[10:11], s[20:21], exec
.LBB120_108:                            ;   in Loop: Header=BB120_6 Depth=1
	s_or_b64 exec, exec, s[4:5]
	s_mov_b64 s[36:37], -1
	s_mov_b64 s[20:21], 0
	s_mov_b64 s[34:35], 0
.LBB120_109:                            ;   in Loop: Header=BB120_6 Depth=1
	s_orn2_b64 s[4:5], s[10:11], exec
.LBB120_110:                            ;   in Loop: Header=BB120_6 Depth=1
	s_or_b64 exec, exec, s[8:9]
	s_mov_b64 s[38:39], 0
	s_mov_b64 s[28:29], 0
	;; [unrolled: 1-line block ×3, first 2 shown]
                                        ; implicit-def: $vgpr6
                                        ; implicit-def: $vgpr2_vgpr3
	s_and_saveexec_b64 s[40:41], s[4:5]
	s_cbranch_execz .LBB120_267
; %bb.111:                              ;   in Loop: Header=BB120_6 Depth=1
	v_mov_b32_e32 v2, 1
	s_xor_b64 s[0:1], s[6:7], -1
	s_mov_b64 s[6:7], 0
	v_mov_b32_e32 v3, 0
	v_mov_b32_e32 v6, 1
	s_and_saveexec_b64 s[4:5], s[0:1]
	s_cbranch_execz .LBB120_121
; %bb.112:                              ;   in Loop: Header=BB120_6 Depth=1
	v_cmp_ge_u64_e32 vcc, s[16:17], v[26:27]
                                        ; implicit-def: $sgpr0
                                        ; implicit-def: $sgpr6_sgpr7
	s_and_saveexec_b64 s[8:9], vcc
	s_xor_b64 s[8:9], exec, s[8:9]
	s_cbranch_execz .LBB120_118
; %bb.113:                              ;   in Loop: Header=BB120_6 Depth=1
	ds_read_b64 v[2:3], v15 offset:5120
	s_waitcnt lgkmcnt(0)
	v_cmp_ne_u64_e32 vcc, 0, v[2:3]
	s_cbranch_vccnz .LBB120_117
; %bb.114:                              ;   in Loop: Header=BB120_6 Depth=1
	s_mov_b64 s[6:7], exec
	v_readlane_b32 s0, v48, 8
	v_readlane_b32 s1, v48, 9
	s_and_b64 s[0:1], s[6:7], s[0:1]
	s_mov_b64 exec, s[0:1]
	s_cbranch_execz .LBB120_116
; %bb.115:                              ;   in Loop: Header=BB120_6 Depth=1
	v_pk_mov_b32 v[2:3], s[16:17], s[16:17] op_sel:[0,1]
	ds_write_b64 v15, v[2:3] offset:5128
.LBB120_116:                            ;   in Loop: Header=BB120_6 Depth=1
	s_or_b64 exec, exec, s[6:7]
	s_waitcnt lgkmcnt(0)
	s_barrier
.LBB120_117:                            ;   in Loop: Header=BB120_6 Depth=1
	v_and_b32_e32 v28, s92, v28
	v_or_b32_e32 v29, s78, v29
	s_mov_b64 s[6:7], 0
	s_mov_b32 s0, 8
.LBB120_118:                            ;   in Loop: Header=BB120_6 Depth=1
	s_or_saveexec_b64 s[8:9], s[8:9]
	v_mov_b32_e32 v6, s0
	v_pk_mov_b32 v[2:3], v[26:27], v[26:27] op_sel:[0,1]
	s_xor_b64 exec, exec, s[8:9]
; %bb.119:                              ;   in Loop: Header=BB120_6 Depth=1
	v_mov_b32_e32 v3, s17
	v_subrev_co_u32_e32 v2, vcc, s16, v26
	v_subb_co_u32_e32 v3, vcc, v27, v3, vcc
	v_mov_b32_e32 v6, 0
	s_or_b64 s[6:7], s[6:7], exec
; %bb.120:                              ;   in Loop: Header=BB120_6 Depth=1
	s_or_b64 exec, exec, s[8:9]
	s_and_b64 s[6:7], s[6:7], exec
.LBB120_121:                            ;   in Loop: Header=BB120_6 Depth=1
	s_or_b64 exec, exec, s[4:5]
	s_mov_b64 s[28:29], -1
                                        ; implicit-def: $sgpr4_sgpr5
                                        ; implicit-def: $sgpr8_sgpr9
                                        ; implicit-def: $sgpr10_sgpr11
	s_and_saveexec_b64 s[0:1], s[6:7]
	s_xor_b64 s[6:7], exec, s[0:1]
	s_cbranch_execz .LBB120_264
; %bb.122:                              ;   in Loop: Header=BB120_6 Depth=1
	s_cmp_eq_u64 s[18:19], 1
	s_cselect_b64 s[0:1], -1, 0
	v_cmp_eq_u64_e32 vcc, 1, v[2:3]
	s_and_b64 s[8:9], s[0:1], vcc
	s_mov_b64 s[4:5], -1
                                        ; implicit-def: $sgpr26_sgpr27
                                        ; implicit-def: $sgpr42_sgpr43
                                        ; implicit-def: $sgpr28_sgpr29
	s_and_saveexec_b64 s[44:45], s[8:9]
	s_cbranch_execz .LBB120_154
; %bb.123:                              ;   in Loop: Header=BB120_6 Depth=1
	ds_read_b64 v[4:5], v15 offset:5120
	s_waitcnt lgkmcnt(0)
	s_barrier
	v_readfirstlane_b32 s4, v4
	v_readfirstlane_b32 s5, v5
	s_mov_b64 s[10:11], exec
	v_readlane_b32 s0, v48, 28
	v_readlane_b32 s1, v48, 29
	s_and_b64 s[0:1], s[10:11], s[0:1]
	s_mov_b64 exec, s[0:1]
	s_cbranch_execz .LBB120_125
; %bb.124:                              ;   in Loop: Header=BB120_6 Depth=1
	ds_write_b8 v0, v15 offset:3072
.LBB120_125:                            ;   in Loop: Header=BB120_6 Depth=1
	s_or_b64 exec, exec, s[10:11]
	v_and_b32_e32 v4, s92, v28
	v_lshl_or_b32 v28, 1, s93, v4
	v_or_b32_e32 v29, s78, v29
	s_cmp_eq_u64 s[4:5], 0
	s_waitcnt lgkmcnt(0)
	s_barrier
	s_cbranch_scc1 .LBB120_138
; %bb.126:                              ;   in Loop: Header=BB120_6 Depth=1
	v_readlane_b32 s0, v48, 32
	s_add_u32 s0, s0, s4
	v_readlane_b32 s1, v48, 34
	s_addc_u32 s11, s1, s5
	s_mov_b32 s10, s79
	s_cmp_lg_u64 s[10:11], 0
	s_cbranch_scc0 .LBB120_180
; %bb.127:                              ;   in Loop: Header=BB120_6 Depth=1
	v_cvt_f32_u32_e32 v4, s33
	s_sub_u32 s1, 0, s33
	s_subb_u32 s10, 0, 0
	v_mac_f32_e32 v4, 0, v36
	v_rcp_f32_e32 v4, v4
	v_mul_f32_e32 v4, 0x5f7ffffc, v4
	v_mul_f32_e32 v5, 0x2f800000, v4
	v_trunc_f32_e32 v5, v5
	v_mac_f32_e32 v4, 0xcf800000, v5
	v_cvt_u32_f32_e32 v5, v5
	v_cvt_u32_f32_e32 v4, v4
	v_readfirstlane_b32 s26, v5
	v_readfirstlane_b32 s27, v4
	s_mul_i32 s28, s1, s26
	s_mul_hi_u32 s42, s1, s27
	s_mul_i32 s29, s10, s27
	s_add_i32 s28, s42, s28
	s_mul_i32 s43, s1, s27
	s_add_i32 s28, s28, s29
	s_mul_hi_u32 s42, s27, s43
	s_mul_hi_u32 s29, s27, s28
	s_mul_i32 s27, s27, s28
	s_add_u32 s27, s42, s27
	s_addc_u32 s29, 0, s29
	s_mul_hi_u32 s46, s26, s43
	s_mul_i32 s43, s26, s43
	s_add_u32 s27, s27, s43
	s_mul_hi_u32 s42, s26, s28
	s_addc_u32 s27, s29, s46
	s_addc_u32 s29, s42, 0
	s_mul_i32 s28, s26, s28
	s_add_u32 s27, s27, s28
	s_addc_u32 s28, 0, s29
	v_add_co_u32_e32 v4, vcc, s27, v4
	s_cmp_lg_u64 vcc, 0
	s_addc_u32 s26, s26, s28
	v_readfirstlane_b32 s28, v4
	s_mul_i32 s27, s1, s26
	s_mul_hi_u32 s29, s1, s28
	s_add_i32 s27, s29, s27
	s_mul_i32 s10, s10, s28
	s_add_i32 s27, s27, s10
	s_mul_i32 s1, s1, s28
	s_mul_hi_u32 s29, s26, s1
	s_mul_i32 s42, s26, s1
	s_mul_i32 s46, s28, s27
	s_mul_hi_u32 s1, s28, s1
	s_mul_hi_u32 s43, s28, s27
	s_add_u32 s1, s1, s46
	s_addc_u32 s28, 0, s43
	s_add_u32 s1, s1, s42
	s_mul_hi_u32 s10, s26, s27
	s_addc_u32 s1, s28, s29
	s_addc_u32 s10, s10, 0
	s_mul_i32 s27, s26, s27
	s_add_u32 s1, s1, s27
	s_addc_u32 s10, 0, s10
	v_add_co_u32_e32 v4, vcc, s1, v4
	s_cmp_lg_u64 vcc, 0
	s_addc_u32 s1, s26, s10
	v_readfirstlane_b32 s27, v4
	s_mul_i32 s26, s0, s1
	s_mul_hi_u32 s28, s0, s27
	s_mul_hi_u32 s10, s0, s1
	s_add_u32 s26, s28, s26
	s_addc_u32 s10, 0, s10
	s_mul_hi_u32 s29, s11, s27
	s_mul_i32 s27, s11, s27
	s_add_u32 s26, s26, s27
	s_mul_hi_u32 s28, s11, s1
	s_addc_u32 s10, s10, s29
	s_addc_u32 s26, s28, 0
	s_mul_i32 s1, s11, s1
	s_add_u32 s1, s10, s1
	s_addc_u32 s10, 0, s26
	s_mul_hi_u32 s26, s33, s1
	s_mul_i32 s1, s33, s1
	s_mul_i32 s10, s33, s10
	v_mov_b32_e32 v4, s1
	s_add_i32 s26, s26, s10
	v_sub_co_u32_e32 v4, vcc, s0, v4
	s_cmp_lg_u64 vcc, 0
	s_subb_u32 s1, s11, s26
	v_subrev_co_u32_e32 v5, vcc, s33, v4
	s_cmp_lg_u64 vcc, 0
	s_subb_u32 s10, s1, 0
	v_subrev_co_u32_e32 v6, vcc, s33, v5
	s_cmp_lg_u64 vcc, 0
	s_subb_u32 s26, s10, 0
	v_cmp_le_u32_e32 vcc, s33, v5
	s_cmp_eq_u32 s10, 0
	v_cndmask_b32_e64 v7, 0, -1, vcc
	s_cselect_b64 vcc, -1, 0
	v_cndmask_b32_e32 v7, -1, v7, vcc
	v_mov_b32_e32 v8, s10
	v_mov_b32_e32 v9, s26
	v_cmp_ne_u32_e32 vcc, 0, v7
	v_cndmask_b32_e32 v7, v8, v9, vcc
	v_cndmask_b32_e32 v6, v5, v6, vcc
	v_cmp_le_u32_e32 vcc, s33, v4
	s_cmp_eq_u32 s1, 0
	v_cndmask_b32_e64 v5, 0, -1, vcc
	s_cselect_b64 vcc, -1, 0
	v_cndmask_b32_e32 v5, -1, v5, vcc
	v_mov_b32_e32 v8, s1
	v_cmp_ne_u32_e32 vcc, 0, v5
	v_cndmask_b32_e32 v5, v8, v7, vcc
	v_cndmask_b32_e32 v4, v4, v6, vcc
	s_cbranch_execnz .LBB120_129
.LBB120_128:                            ;   in Loop: Header=BB120_6 Depth=1
	v_cvt_f32_u32_e32 v4, s33
	s_sub_i32 s1, 0, s33
	v_rcp_iflag_f32_e32 v4, v4
	v_mul_f32_e32 v4, 0x4f7ffffe, v4
	v_cvt_u32_f32_e32 v4, v4
	v_mul_lo_u32 v5, s1, v4
	v_mul_hi_u32 v5, v4, v5
	v_add_u32_e32 v4, v4, v5
	v_mul_hi_u32 v4, s0, v4
	v_mul_lo_u32 v4, v4, s33
	v_sub_u32_e32 v4, s0, v4
	v_subrev_u32_e32 v5, s33, v4
	v_cmp_le_u32_e32 vcc, s33, v4
	v_cndmask_b32_e32 v4, v4, v5, vcc
	v_subrev_u32_e32 v5, s33, v4
	v_cmp_le_u32_e32 vcc, s33, v4
	v_cndmask_b32_e32 v14, v4, v5, vcc
	v_pk_mov_b32 v[4:5], v[14:15], v[14:15] op_sel:[0,1]
.LBB120_129:                            ;   in Loop: Header=BB120_6 Depth=1
	v_mov_b32_e32 v6, s11
	v_sub_co_u32_e32 v4, vcc, s0, v4
	v_subb_co_u32_e32 v5, vcc, v6, v5, vcc
	v_cmp_gt_u64_e32 vcc, v[4:5], v[0:1]
	s_mov_b64 s[10:11], 0
                                        ; implicit-def: $vgpr30
	s_and_saveexec_b64 s[26:27], vcc
	s_cbranch_execz .LBB120_140
; %bb.130:                              ;   in Loop: Header=BB120_6 Depth=1
	v_mov_b32_e32 v8, v0
	v_pk_mov_b32 v[6:7], v[0:1], v[0:1] op_sel:[0,1]
                                        ; implicit-def: $sgpr28_sgpr29
	s_branch .LBB120_132
.LBB120_131:                            ;   in Loop: Header=BB120_132 Depth=2
	s_or_b64 exec, exec, s[42:43]
	s_waitcnt lgkmcnt(0)
	s_barrier
	ds_read_u16 v9, v15 offset:3072
	v_mov_b32_e32 v14, s86
	v_add_co_u32_e32 v6, vcc, s33, v6
	v_addc_co_u32_e32 v7, vcc, v7, v14, vcc
	s_waitcnt lgkmcnt(0)
	v_cmp_ne_u16_sdwa s[0:1], v9, v15 src0_sel:BYTE_0 src1_sel:DWORD
	v_cmp_ge_u64_e32 vcc, v[6:7], v[4:5]
	s_or_b64 s[42:43], vcc, s[0:1]
	s_and_b64 s[42:43], exec, s[42:43]
	s_or_b64 s[10:11], s[42:43], s[10:11]
	s_andn2_b64 s[28:29], s[28:29], exec
	s_and_b64 s[0:1], s[0:1], exec
	v_add_u32_e32 v8, s33, v8
	s_or_b64 s[28:29], s[28:29], s[0:1]
	s_barrier
	s_andn2_b64 exec, exec, s[10:11]
	s_cbranch_execz .LBB120_139
.LBB120_132:                            ;   Parent Loop BB120_6 Depth=1
                                        ; =>  This Inner Loop Header: Depth=2
	v_cmp_gt_u64_e32 vcc, s[4:5], v[6:7]
	v_mov_b32_e32 v9, 0
	s_and_saveexec_b64 s[42:43], vcc
	s_cbranch_execz .LBB120_134
; %bb.133:                              ;   in Loop: Header=BB120_132 Depth=2
	ds_read_u8 v9, v8
.LBB120_134:                            ;   in Loop: Header=BB120_132 Depth=2
	s_or_b64 exec, exec, s[42:43]
	s_waitcnt lgkmcnt(0)
	v_and_b32_e32 v14, v9, v29
	v_cmp_eq_u32_sdwa s[0:1], v14, v28 src0_sel:BYTE_0 src1_sel:DWORD
	s_and_b64 s[0:1], vcc, s[0:1]
	s_and_saveexec_b64 s[42:43], s[0:1]
	s_cbranch_execz .LBB120_131
; %bb.135:                              ;   in Loop: Header=BB120_132 Depth=2
	v_lshlrev_b16_e32 v9, 8, v9
	v_or_b32_e32 v9, 1, v9
	ds_write_b16 v15, v9 offset:3072
	s_branch .LBB120_131
.LBB120_136:                            ;   in Loop: Header=BB120_6 Depth=1
                                        ; implicit-def: $vgpr2_vgpr3
	s_branch .LBB120_81
.LBB120_137:                            ;   in Loop: Header=BB120_6 Depth=1
                                        ; implicit-def: $vgpr2_vgpr3
	s_branch .LBB120_99
.LBB120_138:                            ;   in Loop: Header=BB120_6 Depth=1
	s_mov_b64 s[26:27], -1
	s_mov_b64 s[10:11], 0
                                        ; implicit-def: $sgpr28_sgpr29
                                        ; implicit-def: $vgpr30
	s_mov_b64 s[42:43], s[26:27]
	s_cbranch_execnz .LBB120_141
	s_branch .LBB120_153
.LBB120_139:                            ;   in Loop: Header=BB120_6 Depth=1
	s_or_b64 exec, exec, s[10:11]
	v_lshrrev_b16_e32 v30, 8, v9
	s_and_b64 s[10:11], s[28:29], exec
.LBB120_140:                            ;   in Loop: Header=BB120_6 Depth=1
	s_or_b64 exec, exec, s[26:27]
	s_mov_b64 s[28:29], -1
	s_mov_b64 s[26:27], 0
	s_mov_b64 s[42:43], s[26:27]
	s_branch .LBB120_153
.LBB120_141:                            ;   in Loop: Header=BB120_6 Depth=1
	v_readlane_b32 s28, v48, 35
	v_readlane_b32 s29, v48, 36
	s_mov_b32 s28, s79
	s_cmp_lg_u64 s[28:29], 0
	v_writelane_b32 v48, s28, 35
	v_writelane_b32 v48, s29, 36
	s_cbranch_scc0 .LBB120_181
; %bb.142:                              ;   in Loop: Header=BB120_6 Depth=1
	v_cvt_f32_u32_e32 v4, s33
	s_sub_u32 s0, 0, s33
	s_subb_u32 s1, 0, 0
	v_mac_f32_e32 v4, 0, v36
	v_rcp_f32_e32 v4, v4
	v_mul_f32_e32 v4, 0x5f7ffffc, v4
	v_mul_f32_e32 v5, 0x2f800000, v4
	v_trunc_f32_e32 v5, v5
	v_mac_f32_e32 v4, 0xcf800000, v5
	v_cvt_u32_f32_e32 v5, v5
	v_cvt_u32_f32_e32 v4, v4
	v_readfirstlane_b32 s4, v5
	v_readfirstlane_b32 s5, v4
	s_mul_i32 s10, s0, s4
	s_mul_hi_u32 s26, s0, s5
	s_mul_i32 s11, s1, s5
	s_add_i32 s10, s26, s10
	s_mul_i32 s27, s0, s5
	s_add_i32 s10, s10, s11
	s_mul_hi_u32 s26, s5, s27
	s_mul_hi_u32 s11, s5, s10
	s_mul_i32 s5, s5, s10
	s_add_u32 s5, s26, s5
	s_addc_u32 s11, 0, s11
	s_mul_hi_u32 s28, s4, s27
	s_mul_i32 s27, s4, s27
	s_add_u32 s5, s5, s27
	s_mul_hi_u32 s26, s4, s10
	s_addc_u32 s5, s11, s28
	s_addc_u32 s11, s26, 0
	s_mul_i32 s10, s4, s10
	s_add_u32 s5, s5, s10
	s_addc_u32 s10, 0, s11
	v_add_co_u32_e32 v4, vcc, s5, v4
	s_cmp_lg_u64 vcc, 0
	s_addc_u32 s4, s4, s10
	v_readfirstlane_b32 s10, v4
	s_mul_i32 s5, s0, s4
	s_mul_hi_u32 s11, s0, s10
	s_add_i32 s5, s11, s5
	s_mul_i32 s1, s1, s10
	s_add_i32 s5, s5, s1
	s_mul_i32 s0, s0, s10
	s_mul_hi_u32 s11, s4, s0
	s_mul_i32 s26, s4, s0
	s_mul_i32 s28, s10, s5
	s_mul_hi_u32 s0, s10, s0
	s_mul_hi_u32 s27, s10, s5
	s_add_u32 s0, s0, s28
	s_addc_u32 s10, 0, s27
	s_add_u32 s0, s0, s26
	s_mul_hi_u32 s1, s4, s5
	s_addc_u32 s0, s10, s11
	s_addc_u32 s1, s1, 0
	s_mul_i32 s5, s4, s5
	s_add_u32 s0, s0, s5
	s_addc_u32 s1, 0, s1
	v_add_co_u32_e32 v4, vcc, s0, v4
	s_cmp_lg_u64 vcc, 0
	s_addc_u32 s0, s4, s1
	v_readlane_b32 s26, v48, 33
	v_readfirstlane_b32 s5, v4
	s_mul_i32 s4, s26, s0
	s_mul_hi_u32 s10, s26, s5
	s_mul_hi_u32 s1, s26, s0
	s_add_u32 s4, s10, s4
	s_addc_u32 s1, 0, s1
	s_mul_hi_u32 s11, s29, s5
	s_mul_i32 s5, s29, s5
	s_add_u32 s4, s4, s5
	s_mul_hi_u32 s10, s29, s0
	s_addc_u32 s1, s1, s11
	s_addc_u32 s4, s10, 0
	s_mul_i32 s0, s29, s0
	s_add_u32 s0, s1, s0
	s_addc_u32 s1, 0, s4
	s_mul_hi_u32 s4, s33, s0
	s_mul_i32 s0, s33, s0
	s_mul_i32 s1, s33, s1
	v_mov_b32_e32 v4, s0
	s_add_i32 s4, s4, s1
	v_sub_co_u32_e32 v4, vcc, s26, v4
	s_cmp_lg_u64 vcc, 0
	s_subb_u32 s0, s29, s4
	v_subrev_co_u32_e32 v5, vcc, s33, v4
	s_cmp_lg_u64 vcc, 0
	s_subb_u32 s1, s0, 0
	v_subrev_co_u32_e32 v6, vcc, s33, v5
	s_cmp_lg_u64 vcc, 0
	s_subb_u32 s4, s1, 0
	v_cmp_le_u32_e32 vcc, s33, v5
	s_cmp_eq_u32 s1, 0
	v_cndmask_b32_e64 v7, 0, -1, vcc
	s_cselect_b64 vcc, -1, 0
	v_cndmask_b32_e32 v7, -1, v7, vcc
	v_mov_b32_e32 v8, s1
	v_mov_b32_e32 v9, s4
	v_cmp_ne_u32_e32 vcc, 0, v7
	v_cndmask_b32_e32 v7, v8, v9, vcc
	v_cndmask_b32_e32 v6, v5, v6, vcc
	v_cmp_le_u32_e32 vcc, s33, v4
	s_cmp_eq_u32 s0, 0
	v_cndmask_b32_e64 v5, 0, -1, vcc
	s_cselect_b64 vcc, -1, 0
	v_cndmask_b32_e32 v5, -1, v5, vcc
	v_mov_b32_e32 v8, s0
	v_cmp_ne_u32_e32 vcc, 0, v5
	v_cndmask_b32_e32 v5, v8, v7, vcc
	v_cndmask_b32_e32 v4, v4, v6, vcc
	s_cbranch_execnz .LBB120_144
.LBB120_143:                            ;   in Loop: Header=BB120_6 Depth=1
	v_cvt_f32_u32_e32 v4, s33
	s_sub_i32 s0, 0, s33
	v_rcp_iflag_f32_e32 v4, v4
	v_mul_f32_e32 v4, 0x4f7ffffe, v4
	v_cvt_u32_f32_e32 v4, v4
	v_mul_lo_u32 v5, s0, v4
	v_mul_hi_u32 v5, v4, v5
	v_add_u32_e32 v4, v4, v5
	v_readlane_b32 s0, v48, 33
	v_mul_hi_u32 v4, s0, v4
	v_mul_lo_u32 v4, v4, s33
	v_sub_u32_e32 v4, s0, v4
	v_subrev_u32_e32 v5, s33, v4
	v_cmp_le_u32_e32 vcc, s33, v4
	v_cndmask_b32_e32 v4, v4, v5, vcc
	v_subrev_u32_e32 v5, s33, v4
	v_cmp_le_u32_e32 vcc, s33, v4
	v_cndmask_b32_e32 v14, v4, v5, vcc
	v_pk_mov_b32 v[4:5], v[14:15], v[14:15] op_sel:[0,1]
.LBB120_144:                            ;   in Loop: Header=BB120_6 Depth=1
	v_readlane_b32 s0, v48, 35
	v_readlane_b32 s1, v48, 36
	;; [unrolled: 1-line block ×3, first 2 shown]
	v_mov_b32_e32 v6, s1
	v_sub_co_u32_e32 v4, vcc, s0, v4
	v_subb_co_u32_e32 v5, vcc, v6, v5, vcc
	v_cmp_gt_u64_e32 vcc, v[4:5], v[0:1]
	s_mov_b64 s[10:11], 0
                                        ; implicit-def: $vgpr30
	s_and_saveexec_b64 s[4:5], vcc
	s_cbranch_execz .LBB120_152
; %bb.145:                              ;   in Loop: Header=BB120_6 Depth=1
	v_pk_mov_b32 v[6:7], v[12:13], v[12:13] op_sel:[0,1]
	v_pk_mov_b32 v[8:9], v[0:1], v[0:1] op_sel:[0,1]
                                        ; implicit-def: $sgpr26_sgpr27
	s_branch .LBB120_147
.LBB120_146:                            ;   in Loop: Header=BB120_147 Depth=2
	s_or_b64 exec, exec, s[28:29]
	s_waitcnt lgkmcnt(0)
	s_barrier
	ds_read_u16 v14, v15 offset:3072
	v_mov_b32_e32 v30, s86
	v_add_co_u32_e32 v8, vcc, s33, v8
	v_addc_co_u32_e32 v9, vcc, v9, v30, vcc
	s_waitcnt lgkmcnt(0)
	v_cmp_ne_u16_sdwa s[0:1], v14, v15 src0_sel:BYTE_0 src1_sel:DWORD
	v_cmp_ge_u64_e32 vcc, v[8:9], v[4:5]
	s_or_b64 s[28:29], vcc, s[0:1]
	s_and_b64 s[28:29], exec, s[28:29]
	s_or_b64 s[10:11], s[28:29], s[10:11]
	v_mov_b32_e32 v30, s87
	v_add_co_u32_e32 v6, vcc, s84, v6
	s_andn2_b64 s[26:27], s[26:27], exec
	s_and_b64 s[0:1], s[0:1], exec
	v_addc_co_u32_e32 v7, vcc, v7, v30, vcc
	s_or_b64 s[26:27], s[26:27], s[0:1]
	s_barrier
	s_andn2_b64 exec, exec, s[10:11]
	s_cbranch_execz .LBB120_151
.LBB120_147:                            ;   Parent Loop BB120_6 Depth=1
                                        ; =>  This Inner Loop Header: Depth=2
	v_cmp_gt_u64_e32 vcc, s[56:57], v[8:9]
	v_mov_b32_e32 v14, 0
	s_and_saveexec_b64 s[28:29], vcc
	s_cbranch_execz .LBB120_149
; %bb.148:                              ;   in Loop: Header=BB120_147 Depth=2
	global_load_ubyte v14, v[6:7], off
.LBB120_149:                            ;   in Loop: Header=BB120_147 Depth=2
	s_or_b64 exec, exec, s[28:29]
	s_waitcnt vmcnt(0)
	v_and_b32_e32 v30, v14, v29
	v_cmp_eq_u32_sdwa s[0:1], v30, v28 src0_sel:BYTE_0 src1_sel:DWORD
	s_and_b64 s[0:1], vcc, s[0:1]
	s_and_saveexec_b64 s[28:29], s[0:1]
	s_cbranch_execz .LBB120_146
; %bb.150:                              ;   in Loop: Header=BB120_147 Depth=2
	v_lshlrev_b16_e32 v14, 8, v14
	v_or_b32_e32 v14, 1, v14
	ds_write_b16 v15, v14 offset:3072
	s_branch .LBB120_146
.LBB120_151:                            ;   in Loop: Header=BB120_6 Depth=1
	s_or_b64 exec, exec, s[10:11]
	v_lshrrev_b16_e32 v30, 8, v14
	s_and_b64 s[10:11], s[26:27], exec
.LBB120_152:                            ;   in Loop: Header=BB120_6 Depth=1
	s_or_b64 exec, exec, s[4:5]
	s_mov_b64 s[42:43], -1
	s_mov_b64 s[26:27], 0
	s_mov_b64 s[28:29], 0
.LBB120_153:                            ;   in Loop: Header=BB120_6 Depth=1
	s_orn2_b64 s[4:5], s[10:11], exec
.LBB120_154:                            ;   in Loop: Header=BB120_6 Depth=1
	s_or_b64 exec, exec, s[44:45]
	s_mov_b64 s[46:47], 0
                                        ; implicit-def: $vgpr6
	s_and_saveexec_b64 s[44:45], s[4:5]
	s_cbranch_execz .LBB120_263
; %bb.155:                              ;   in Loop: Header=BB120_6 Depth=1
	v_mov_b32_e32 v4, 1
	s_xor_b64 s[0:1], s[8:9], -1
	s_mov_b64 s[48:49], 0
	v_mov_b32_e32 v5, 0
	v_mov_b32_e32 v6, 1
	s_and_saveexec_b64 s[4:5], s[0:1]
	s_cbranch_execz .LBB120_165
; %bb.156:                              ;   in Loop: Header=BB120_6 Depth=1
	v_cmp_ge_u64_e32 vcc, s[18:19], v[2:3]
                                        ; implicit-def: $sgpr0
                                        ; implicit-def: $sgpr8_sgpr9
	s_and_saveexec_b64 s[10:11], vcc
	s_xor_b64 s[10:11], exec, s[10:11]
	s_cbranch_execz .LBB120_162
; %bb.157:                              ;   in Loop: Header=BB120_6 Depth=1
	ds_read_b64 v[4:5], v15 offset:5120
	s_waitcnt lgkmcnt(0)
	v_cmp_ne_u64_e32 vcc, 0, v[4:5]
	s_cbranch_vccnz .LBB120_161
; %bb.158:                              ;   in Loop: Header=BB120_6 Depth=1
	s_mov_b64 s[8:9], exec
	v_readlane_b32 s0, v48, 8
	v_readlane_b32 s1, v48, 9
	s_and_b64 s[0:1], s[8:9], s[0:1]
	s_mov_b64 exec, s[0:1]
	s_cbranch_execz .LBB120_160
; %bb.159:                              ;   in Loop: Header=BB120_6 Depth=1
	v_pk_mov_b32 v[4:5], s[18:19], s[18:19] op_sel:[0,1]
	ds_write_b64 v15, v[4:5] offset:5128
.LBB120_160:                            ;   in Loop: Header=BB120_6 Depth=1
	s_or_b64 exec, exec, s[8:9]
	s_waitcnt lgkmcnt(0)
	s_barrier
.LBB120_161:                            ;   in Loop: Header=BB120_6 Depth=1
	v_and_b32_e32 v4, s92, v28
	v_lshl_or_b32 v28, 1, s93, v4
	v_or_b32_e32 v29, s78, v29
	s_mov_b64 s[8:9], 0
	s_mov_b32 s0, 8
.LBB120_162:                            ;   in Loop: Header=BB120_6 Depth=1
	s_or_saveexec_b64 s[10:11], s[10:11]
	v_mov_b32_e32 v6, s0
	s_xor_b64 exec, exec, s[10:11]
; %bb.163:                              ;   in Loop: Header=BB120_6 Depth=1
	v_mov_b32_e32 v4, s19
	v_subrev_co_u32_e32 v2, vcc, s18, v2
	v_subb_co_u32_e32 v3, vcc, v3, v4, vcc
	v_mov_b32_e32 v6, 0
	s_or_b64 s[8:9], s[8:9], exec
; %bb.164:                              ;   in Loop: Header=BB120_6 Depth=1
	s_or_b64 exec, exec, s[10:11]
	s_and_b64 s[48:49], s[8:9], exec
	v_pk_mov_b32 v[4:5], v[2:3], v[2:3] op_sel:[0,1]
.LBB120_165:                            ;   in Loop: Header=BB120_6 Depth=1
	s_or_b64 exec, exec, s[4:5]
	s_mov_b64 s[4:5], -1
                                        ; implicit-def: $sgpr8_sgpr9
                                        ; implicit-def: $sgpr10_sgpr11
                                        ; implicit-def: $sgpr52_sgpr53
	s_and_saveexec_b64 s[46:47], s[48:49]
	s_cbranch_execz .LBB120_262
; %bb.166:                              ;   in Loop: Header=BB120_6 Depth=1
	s_cmp_eq_u64 s[22:23], 1
	s_cselect_b64 s[0:1], -1, 0
	v_cmp_eq_u64_e32 vcc, 1, v[4:5]
	s_and_b64 s[54:55], s[0:1], vcc
	s_mov_b64 s[10:11], -1
                                        ; implicit-def: $sgpr8_sgpr9
                                        ; implicit-def: $sgpr50_sgpr51
                                        ; implicit-def: $sgpr48_sgpr49
	s_and_saveexec_b64 s[52:53], s[54:55]
	s_cbranch_execz .LBB120_198
; %bb.167:                              ;   in Loop: Header=BB120_6 Depth=1
	ds_read_b64 v[2:3], v15 offset:5120
	s_waitcnt lgkmcnt(0)
	s_barrier
	v_readfirstlane_b32 s4, v2
	v_readfirstlane_b32 s5, v3
	s_mov_b64 s[8:9], exec
	v_readlane_b32 s0, v48, 28
	v_readlane_b32 s1, v48, 29
	s_and_b64 s[0:1], s[8:9], s[0:1]
	s_mov_b64 exec, s[0:1]
	s_cbranch_execz .LBB120_169
; %bb.168:                              ;   in Loop: Header=BB120_6 Depth=1
	ds_write_b8 v0, v15 offset:3072
.LBB120_169:                            ;   in Loop: Header=BB120_6 Depth=1
	s_or_b64 exec, exec, s[8:9]
	v_and_b32_e32 v2, s92, v28
	v_lshl_or_b32 v28, 2, s93, v2
	v_or_b32_e32 v29, s78, v29
	s_cmp_eq_u64 s[4:5], 0
	s_waitcnt lgkmcnt(0)
	s_barrier
	s_cbranch_scc1 .LBB120_182
; %bb.170:                              ;   in Loop: Header=BB120_6 Depth=1
	v_readlane_b32 s0, v48, 32
	s_add_u32 s0, s0, s4
	v_readlane_b32 s1, v48, 34
	s_addc_u32 s9, s1, s5
	s_mov_b32 s8, s79
	s_cmp_lg_u64 s[8:9], 0
	s_cbranch_scc0 .LBB120_216
; %bb.171:                              ;   in Loop: Header=BB120_6 Depth=1
	v_cvt_f32_u32_e32 v2, s33
	s_sub_u32 s1, 0, s33
	s_subb_u32 s8, 0, 0
	v_mac_f32_e32 v2, 0, v36
	v_rcp_f32_e32 v2, v2
	v_mul_f32_e32 v2, 0x5f7ffffc, v2
	v_mul_f32_e32 v3, 0x2f800000, v2
	v_trunc_f32_e32 v3, v3
	v_mac_f32_e32 v2, 0xcf800000, v3
	v_cvt_u32_f32_e32 v3, v3
	v_cvt_u32_f32_e32 v2, v2
	v_readfirstlane_b32 s10, v3
	v_readfirstlane_b32 s11, v2
	s_mul_i32 s48, s1, s10
	s_mul_hi_u32 s50, s1, s11
	s_mul_i32 s49, s8, s11
	s_add_i32 s48, s50, s48
	s_mul_i32 s51, s1, s11
	s_add_i32 s48, s48, s49
	s_mul_hi_u32 s50, s11, s51
	s_mul_hi_u32 s49, s11, s48
	s_mul_i32 s11, s11, s48
	s_add_u32 s11, s50, s11
	s_addc_u32 s49, 0, s49
	s_mul_hi_u32 s74, s10, s51
	s_mul_i32 s51, s10, s51
	s_add_u32 s11, s11, s51
	s_mul_hi_u32 s50, s10, s48
	s_addc_u32 s11, s49, s74
	s_addc_u32 s49, s50, 0
	s_mul_i32 s48, s10, s48
	s_add_u32 s11, s11, s48
	s_addc_u32 s48, 0, s49
	v_add_co_u32_e32 v2, vcc, s11, v2
	s_cmp_lg_u64 vcc, 0
	s_addc_u32 s10, s10, s48
	v_readfirstlane_b32 s48, v2
	s_mul_i32 s11, s1, s10
	s_mul_hi_u32 s49, s1, s48
	s_add_i32 s11, s49, s11
	s_mul_i32 s8, s8, s48
	s_add_i32 s11, s11, s8
	s_mul_i32 s1, s1, s48
	s_mul_hi_u32 s49, s10, s1
	s_mul_i32 s50, s10, s1
	s_mul_i32 s74, s48, s11
	s_mul_hi_u32 s1, s48, s1
	s_mul_hi_u32 s51, s48, s11
	s_add_u32 s1, s1, s74
	s_addc_u32 s48, 0, s51
	s_add_u32 s1, s1, s50
	s_mul_hi_u32 s8, s10, s11
	s_addc_u32 s1, s48, s49
	s_addc_u32 s8, s8, 0
	s_mul_i32 s11, s10, s11
	s_add_u32 s1, s1, s11
	s_addc_u32 s8, 0, s8
	v_add_co_u32_e32 v2, vcc, s1, v2
	s_cmp_lg_u64 vcc, 0
	s_addc_u32 s1, s10, s8
	v_readfirstlane_b32 s11, v2
	s_mul_i32 s10, s0, s1
	s_mul_hi_u32 s48, s0, s11
	s_mul_hi_u32 s8, s0, s1
	s_add_u32 s10, s48, s10
	s_addc_u32 s8, 0, s8
	s_mul_hi_u32 s49, s9, s11
	s_mul_i32 s11, s9, s11
	s_add_u32 s10, s10, s11
	s_mul_hi_u32 s48, s9, s1
	s_addc_u32 s8, s8, s49
	s_addc_u32 s10, s48, 0
	s_mul_i32 s1, s9, s1
	s_add_u32 s1, s8, s1
	s_addc_u32 s8, 0, s10
	s_mul_hi_u32 s10, s33, s1
	s_mul_i32 s1, s33, s1
	s_mul_i32 s8, s33, s8
	v_mov_b32_e32 v2, s1
	s_add_i32 s10, s10, s8
	v_sub_co_u32_e32 v2, vcc, s0, v2
	s_cmp_lg_u64 vcc, 0
	s_subb_u32 s1, s9, s10
	v_subrev_co_u32_e32 v3, vcc, s33, v2
	s_cmp_lg_u64 vcc, 0
	s_subb_u32 s8, s1, 0
	v_subrev_co_u32_e32 v6, vcc, s33, v3
	s_cmp_lg_u64 vcc, 0
	s_subb_u32 s10, s8, 0
	v_cmp_le_u32_e32 vcc, s33, v3
	s_cmp_eq_u32 s8, 0
	v_cndmask_b32_e64 v7, 0, -1, vcc
	s_cselect_b64 vcc, -1, 0
	v_cndmask_b32_e32 v7, -1, v7, vcc
	v_mov_b32_e32 v8, s8
	v_mov_b32_e32 v9, s10
	v_cmp_ne_u32_e32 vcc, 0, v7
	v_cndmask_b32_e32 v7, v8, v9, vcc
	v_cndmask_b32_e32 v6, v3, v6, vcc
	v_cmp_le_u32_e32 vcc, s33, v2
	s_cmp_eq_u32 s1, 0
	v_cndmask_b32_e64 v3, 0, -1, vcc
	s_cselect_b64 vcc, -1, 0
	v_cndmask_b32_e32 v3, -1, v3, vcc
	v_mov_b32_e32 v8, s1
	v_cmp_ne_u32_e32 vcc, 0, v3
	v_cndmask_b32_e32 v3, v8, v7, vcc
	v_cndmask_b32_e32 v2, v2, v6, vcc
	s_cbranch_execnz .LBB120_173
.LBB120_172:                            ;   in Loop: Header=BB120_6 Depth=1
	v_cvt_f32_u32_e32 v2, s33
	s_sub_i32 s1, 0, s33
	v_rcp_iflag_f32_e32 v2, v2
	v_mul_f32_e32 v2, 0x4f7ffffe, v2
	v_cvt_u32_f32_e32 v2, v2
	v_mul_lo_u32 v3, s1, v2
	v_mul_hi_u32 v3, v2, v3
	v_add_u32_e32 v2, v2, v3
	v_mul_hi_u32 v2, s0, v2
	v_mul_lo_u32 v2, v2, s33
	v_sub_u32_e32 v2, s0, v2
	v_subrev_u32_e32 v3, s33, v2
	v_cmp_le_u32_e32 vcc, s33, v2
	v_cndmask_b32_e32 v2, v2, v3, vcc
	v_subrev_u32_e32 v3, s33, v2
	v_cmp_le_u32_e32 vcc, s33, v2
	v_cndmask_b32_e32 v14, v2, v3, vcc
	v_pk_mov_b32 v[2:3], v[14:15], v[14:15] op_sel:[0,1]
.LBB120_173:                            ;   in Loop: Header=BB120_6 Depth=1
	v_mov_b32_e32 v6, s9
	v_sub_co_u32_e32 v2, vcc, s0, v2
	v_subb_co_u32_e32 v3, vcc, v6, v3, vcc
	v_cmp_gt_u64_e32 vcc, v[2:3], v[0:1]
	s_mov_b64 s[10:11], 0
                                        ; implicit-def: $vgpr30
	s_and_saveexec_b64 s[8:9], vcc
	s_cbranch_execz .LBB120_184
; %bb.174:                              ;   in Loop: Header=BB120_6 Depth=1
	v_mov_b32_e32 v8, v0
	v_pk_mov_b32 v[6:7], v[0:1], v[0:1] op_sel:[0,1]
                                        ; implicit-def: $sgpr48_sgpr49
	s_branch .LBB120_176
.LBB120_175:                            ;   in Loop: Header=BB120_176 Depth=2
	s_or_b64 exec, exec, s[50:51]
	s_waitcnt lgkmcnt(0)
	s_barrier
	ds_read_u16 v9, v15 offset:3072
	v_mov_b32_e32 v14, s86
	v_add_co_u32_e32 v6, vcc, s33, v6
	v_addc_co_u32_e32 v7, vcc, v7, v14, vcc
	s_waitcnt lgkmcnt(0)
	v_cmp_ne_u16_sdwa s[0:1], v9, v15 src0_sel:BYTE_0 src1_sel:DWORD
	v_cmp_ge_u64_e32 vcc, v[6:7], v[2:3]
	s_or_b64 s[50:51], vcc, s[0:1]
	s_and_b64 s[50:51], exec, s[50:51]
	s_or_b64 s[10:11], s[50:51], s[10:11]
	s_andn2_b64 s[48:49], s[48:49], exec
	s_and_b64 s[0:1], s[0:1], exec
	v_add_u32_e32 v8, s33, v8
	s_or_b64 s[48:49], s[48:49], s[0:1]
	s_barrier
	s_andn2_b64 exec, exec, s[10:11]
	s_cbranch_execz .LBB120_183
.LBB120_176:                            ;   Parent Loop BB120_6 Depth=1
                                        ; =>  This Inner Loop Header: Depth=2
	v_cmp_gt_u64_e32 vcc, s[4:5], v[6:7]
	v_mov_b32_e32 v9, 0
	s_and_saveexec_b64 s[50:51], vcc
	s_cbranch_execz .LBB120_178
; %bb.177:                              ;   in Loop: Header=BB120_176 Depth=2
	ds_read_u8 v9, v8
.LBB120_178:                            ;   in Loop: Header=BB120_176 Depth=2
	s_or_b64 exec, exec, s[50:51]
	s_waitcnt lgkmcnt(0)
	v_and_b32_e32 v14, v9, v29
	v_cmp_eq_u32_sdwa s[0:1], v14, v28 src0_sel:BYTE_0 src1_sel:DWORD
	s_and_b64 s[0:1], vcc, s[0:1]
	s_and_saveexec_b64 s[50:51], s[0:1]
	s_cbranch_execz .LBB120_175
; %bb.179:                              ;   in Loop: Header=BB120_176 Depth=2
	v_lshlrev_b16_e32 v9, 8, v9
	v_or_b32_e32 v9, 1, v9
	ds_write_b16 v15, v9 offset:3072
	s_branch .LBB120_175
.LBB120_180:                            ;   in Loop: Header=BB120_6 Depth=1
                                        ; implicit-def: $vgpr4_vgpr5
	s_branch .LBB120_128
.LBB120_181:                            ;   in Loop: Header=BB120_6 Depth=1
                                        ; implicit-def: $vgpr4_vgpr5
	s_branch .LBB120_143
.LBB120_182:                            ;   in Loop: Header=BB120_6 Depth=1
	s_mov_b64 s[8:9], -1
	s_mov_b64 s[10:11], 0
                                        ; implicit-def: $sgpr48_sgpr49
                                        ; implicit-def: $vgpr30
	s_mov_b64 s[50:51], s[8:9]
	s_cbranch_execnz .LBB120_185
	s_branch .LBB120_197
.LBB120_183:                            ;   in Loop: Header=BB120_6 Depth=1
	s_or_b64 exec, exec, s[10:11]
	v_lshrrev_b16_e32 v30, 8, v9
	s_and_b64 s[10:11], s[48:49], exec
.LBB120_184:                            ;   in Loop: Header=BB120_6 Depth=1
	s_or_b64 exec, exec, s[8:9]
	s_mov_b64 s[48:49], -1
	s_mov_b64 s[8:9], 0
	s_mov_b64 s[50:51], s[8:9]
	s_branch .LBB120_197
.LBB120_185:                            ;   in Loop: Header=BB120_6 Depth=1
	v_readlane_b32 s48, v48, 35
	v_readlane_b32 s49, v48, 36
	s_mov_b32 s48, s79
	s_cmp_lg_u64 s[48:49], 0
	v_writelane_b32 v48, s48, 35
	v_writelane_b32 v48, s49, 36
	s_cbranch_scc0 .LBB120_217
; %bb.186:                              ;   in Loop: Header=BB120_6 Depth=1
	v_cvt_f32_u32_e32 v2, s33
	s_sub_u32 s0, 0, s33
	s_subb_u32 s1, 0, 0
	v_mac_f32_e32 v2, 0, v36
	v_rcp_f32_e32 v2, v2
	v_mul_f32_e32 v2, 0x5f7ffffc, v2
	v_mul_f32_e32 v3, 0x2f800000, v2
	v_trunc_f32_e32 v3, v3
	v_mac_f32_e32 v2, 0xcf800000, v3
	v_cvt_u32_f32_e32 v3, v3
	v_cvt_u32_f32_e32 v2, v2
	v_readfirstlane_b32 s4, v3
	v_readfirstlane_b32 s5, v2
	s_mul_i32 s8, s0, s4
	s_mul_hi_u32 s10, s0, s5
	s_mul_i32 s9, s1, s5
	s_add_i32 s8, s10, s8
	s_mul_i32 s11, s0, s5
	s_add_i32 s8, s8, s9
	s_mul_hi_u32 s10, s5, s11
	s_mul_hi_u32 s9, s5, s8
	s_mul_i32 s5, s5, s8
	s_add_u32 s5, s10, s5
	s_addc_u32 s9, 0, s9
	s_mul_hi_u32 s48, s4, s11
	s_mul_i32 s11, s4, s11
	s_add_u32 s5, s5, s11
	s_mul_hi_u32 s10, s4, s8
	s_addc_u32 s5, s9, s48
	s_addc_u32 s9, s10, 0
	s_mul_i32 s8, s4, s8
	s_add_u32 s5, s5, s8
	s_addc_u32 s8, 0, s9
	v_add_co_u32_e32 v2, vcc, s5, v2
	s_cmp_lg_u64 vcc, 0
	s_addc_u32 s4, s4, s8
	v_readfirstlane_b32 s8, v2
	s_mul_i32 s5, s0, s4
	s_mul_hi_u32 s9, s0, s8
	s_add_i32 s5, s9, s5
	s_mul_i32 s1, s1, s8
	s_add_i32 s5, s5, s1
	s_mul_i32 s0, s0, s8
	s_mul_hi_u32 s9, s4, s0
	s_mul_i32 s10, s4, s0
	s_mul_i32 s48, s8, s5
	s_mul_hi_u32 s0, s8, s0
	s_mul_hi_u32 s11, s8, s5
	s_add_u32 s0, s0, s48
	s_addc_u32 s8, 0, s11
	s_add_u32 s0, s0, s10
	s_mul_hi_u32 s1, s4, s5
	s_addc_u32 s0, s8, s9
	s_addc_u32 s1, s1, 0
	s_mul_i32 s5, s4, s5
	s_add_u32 s0, s0, s5
	s_addc_u32 s1, 0, s1
	v_add_co_u32_e32 v2, vcc, s0, v2
	s_cmp_lg_u64 vcc, 0
	s_addc_u32 s0, s4, s1
	v_readlane_b32 s10, v48, 33
	v_readfirstlane_b32 s5, v2
	s_mul_i32 s4, s10, s0
	s_mul_hi_u32 s8, s10, s5
	s_mul_hi_u32 s1, s10, s0
	s_add_u32 s4, s8, s4
	s_addc_u32 s1, 0, s1
	s_mul_hi_u32 s9, s49, s5
	s_mul_i32 s5, s49, s5
	s_add_u32 s4, s4, s5
	s_mul_hi_u32 s8, s49, s0
	s_addc_u32 s1, s1, s9
	s_addc_u32 s4, s8, 0
	s_mul_i32 s0, s49, s0
	s_add_u32 s0, s1, s0
	s_addc_u32 s1, 0, s4
	s_mul_hi_u32 s4, s33, s0
	s_mul_i32 s0, s33, s0
	s_mul_i32 s1, s33, s1
	v_mov_b32_e32 v2, s0
	s_add_i32 s4, s4, s1
	v_sub_co_u32_e32 v2, vcc, s10, v2
	s_cmp_lg_u64 vcc, 0
	s_subb_u32 s0, s49, s4
	v_subrev_co_u32_e32 v3, vcc, s33, v2
	s_cmp_lg_u64 vcc, 0
	s_subb_u32 s1, s0, 0
	v_subrev_co_u32_e32 v6, vcc, s33, v3
	s_cmp_lg_u64 vcc, 0
	s_subb_u32 s4, s1, 0
	v_cmp_le_u32_e32 vcc, s33, v3
	s_cmp_eq_u32 s1, 0
	v_cndmask_b32_e64 v7, 0, -1, vcc
	s_cselect_b64 vcc, -1, 0
	v_cndmask_b32_e32 v7, -1, v7, vcc
	v_mov_b32_e32 v8, s1
	v_mov_b32_e32 v9, s4
	v_cmp_ne_u32_e32 vcc, 0, v7
	v_cndmask_b32_e32 v7, v8, v9, vcc
	v_cndmask_b32_e32 v6, v3, v6, vcc
	v_cmp_le_u32_e32 vcc, s33, v2
	s_cmp_eq_u32 s0, 0
	v_cndmask_b32_e64 v3, 0, -1, vcc
	s_cselect_b64 vcc, -1, 0
	v_cndmask_b32_e32 v3, -1, v3, vcc
	v_mov_b32_e32 v8, s0
	v_cmp_ne_u32_e32 vcc, 0, v3
	v_cndmask_b32_e32 v3, v8, v7, vcc
	v_cndmask_b32_e32 v2, v2, v6, vcc
	s_cbranch_execnz .LBB120_188
.LBB120_187:                            ;   in Loop: Header=BB120_6 Depth=1
	v_cvt_f32_u32_e32 v2, s33
	s_sub_i32 s0, 0, s33
	v_rcp_iflag_f32_e32 v2, v2
	v_mul_f32_e32 v2, 0x4f7ffffe, v2
	v_cvt_u32_f32_e32 v2, v2
	v_mul_lo_u32 v3, s0, v2
	v_mul_hi_u32 v3, v2, v3
	v_add_u32_e32 v2, v2, v3
	v_readlane_b32 s0, v48, 33
	v_mul_hi_u32 v2, s0, v2
	v_mul_lo_u32 v2, v2, s33
	v_sub_u32_e32 v2, s0, v2
	v_subrev_u32_e32 v3, s33, v2
	v_cmp_le_u32_e32 vcc, s33, v2
	v_cndmask_b32_e32 v2, v2, v3, vcc
	v_subrev_u32_e32 v3, s33, v2
	v_cmp_le_u32_e32 vcc, s33, v2
	v_cndmask_b32_e32 v14, v2, v3, vcc
	v_pk_mov_b32 v[2:3], v[14:15], v[14:15] op_sel:[0,1]
.LBB120_188:                            ;   in Loop: Header=BB120_6 Depth=1
	v_readlane_b32 s0, v48, 35
	v_readlane_b32 s1, v48, 36
	;; [unrolled: 1-line block ×3, first 2 shown]
	v_mov_b32_e32 v6, s1
	v_sub_co_u32_e32 v2, vcc, s0, v2
	v_subb_co_u32_e32 v3, vcc, v6, v3, vcc
	v_cmp_gt_u64_e32 vcc, v[2:3], v[0:1]
	s_mov_b64 s[10:11], 0
                                        ; implicit-def: $vgpr30
	s_and_saveexec_b64 s[4:5], vcc
	s_cbranch_execz .LBB120_196
; %bb.189:                              ;   in Loop: Header=BB120_6 Depth=1
	s_mov_b64 s[8:9], 0
	v_pk_mov_b32 v[6:7], v[12:13], v[12:13] op_sel:[0,1]
	v_pk_mov_b32 v[8:9], v[0:1], v[0:1] op_sel:[0,1]
                                        ; implicit-def: $sgpr10_sgpr11
	s_branch .LBB120_191
.LBB120_190:                            ;   in Loop: Header=BB120_191 Depth=2
	s_or_b64 exec, exec, s[48:49]
	s_waitcnt lgkmcnt(0)
	s_barrier
	ds_read_u16 v14, v15 offset:3072
	v_mov_b32_e32 v30, s86
	v_add_co_u32_e32 v8, vcc, s33, v8
	v_addc_co_u32_e32 v9, vcc, v9, v30, vcc
	s_waitcnt lgkmcnt(0)
	v_cmp_ne_u16_sdwa s[0:1], v14, v15 src0_sel:BYTE_0 src1_sel:DWORD
	v_cmp_ge_u64_e32 vcc, v[8:9], v[2:3]
	s_or_b64 s[48:49], vcc, s[0:1]
	s_and_b64 s[48:49], exec, s[48:49]
	s_or_b64 s[8:9], s[48:49], s[8:9]
	v_mov_b32_e32 v30, s87
	v_add_co_u32_e32 v6, vcc, s84, v6
	s_andn2_b64 s[10:11], s[10:11], exec
	s_and_b64 s[0:1], s[0:1], exec
	v_addc_co_u32_e32 v7, vcc, v7, v30, vcc
	s_or_b64 s[10:11], s[10:11], s[0:1]
	s_barrier
	s_andn2_b64 exec, exec, s[8:9]
	s_cbranch_execz .LBB120_195
.LBB120_191:                            ;   Parent Loop BB120_6 Depth=1
                                        ; =>  This Inner Loop Header: Depth=2
	v_cmp_gt_u64_e32 vcc, s[56:57], v[8:9]
	v_mov_b32_e32 v14, 0
	s_and_saveexec_b64 s[48:49], vcc
	s_cbranch_execz .LBB120_193
; %bb.192:                              ;   in Loop: Header=BB120_191 Depth=2
	global_load_ubyte v14, v[6:7], off
.LBB120_193:                            ;   in Loop: Header=BB120_191 Depth=2
	s_or_b64 exec, exec, s[48:49]
	s_waitcnt vmcnt(0)
	v_and_b32_e32 v30, v14, v29
	v_cmp_eq_u32_sdwa s[0:1], v30, v28 src0_sel:BYTE_0 src1_sel:DWORD
	s_and_b64 s[0:1], vcc, s[0:1]
	s_and_saveexec_b64 s[48:49], s[0:1]
	s_cbranch_execz .LBB120_190
; %bb.194:                              ;   in Loop: Header=BB120_191 Depth=2
	v_lshlrev_b16_e32 v14, 8, v14
	v_or_b32_e32 v14, 1, v14
	ds_write_b16 v15, v14 offset:3072
	s_branch .LBB120_190
.LBB120_195:                            ;   in Loop: Header=BB120_6 Depth=1
	s_or_b64 exec, exec, s[8:9]
	v_lshrrev_b16_e32 v30, 8, v14
	s_and_b64 s[10:11], s[10:11], exec
.LBB120_196:                            ;   in Loop: Header=BB120_6 Depth=1
	s_or_b64 exec, exec, s[4:5]
	s_mov_b64 s[50:51], -1
	s_mov_b64 s[8:9], 0
	s_mov_b64 s[48:49], 0
.LBB120_197:                            ;   in Loop: Header=BB120_6 Depth=1
	s_orn2_b64 s[10:11], s[10:11], exec
.LBB120_198:                            ;   in Loop: Header=BB120_6 Depth=1
	s_or_b64 exec, exec, s[52:53]
	s_mov_b64 s[4:5], 0
                                        ; implicit-def: $vgpr6
	s_and_saveexec_b64 s[52:53], s[10:11]
	s_cbranch_execz .LBB120_261
; %bb.199:                              ;   in Loop: Header=BB120_6 Depth=1
	v_mov_b32_e32 v2, 1
	s_xor_b64 s[0:1], s[54:55], -1
	s_mov_b64 s[80:81], 0
	v_mov_b32_e32 v3, 0
	v_mov_b32_e32 v6, 1
	s_and_saveexec_b64 s[4:5], s[0:1]
	s_cbranch_execz .LBB120_209
; %bb.200:                              ;   in Loop: Header=BB120_6 Depth=1
	v_cmp_ge_u64_e32 vcc, s[22:23], v[4:5]
                                        ; implicit-def: $sgpr0
                                        ; implicit-def: $sgpr10_sgpr11
	s_and_saveexec_b64 s[54:55], vcc
	s_xor_b64 s[54:55], exec, s[54:55]
	s_cbranch_execz .LBB120_206
; %bb.201:                              ;   in Loop: Header=BB120_6 Depth=1
	ds_read_b64 v[2:3], v15 offset:5120
	s_waitcnt lgkmcnt(0)
	v_cmp_ne_u64_e32 vcc, 0, v[2:3]
	s_cbranch_vccnz .LBB120_205
; %bb.202:                              ;   in Loop: Header=BB120_6 Depth=1
	s_mov_b64 s[10:11], exec
	v_readlane_b32 s0, v48, 8
	v_readlane_b32 s1, v48, 9
	s_and_b64 s[0:1], s[10:11], s[0:1]
	s_mov_b64 exec, s[0:1]
	s_cbranch_execz .LBB120_204
; %bb.203:                              ;   in Loop: Header=BB120_6 Depth=1
	v_pk_mov_b32 v[2:3], s[22:23], s[22:23] op_sel:[0,1]
	ds_write_b64 v15, v[2:3] offset:5128
.LBB120_204:                            ;   in Loop: Header=BB120_6 Depth=1
	s_or_b64 exec, exec, s[10:11]
	s_waitcnt lgkmcnt(0)
	s_barrier
.LBB120_205:                            ;   in Loop: Header=BB120_6 Depth=1
	v_and_b32_e32 v2, s92, v28
	v_lshl_or_b32 v28, 2, s93, v2
	v_or_b32_e32 v29, s78, v29
	s_mov_b64 s[10:11], 0
	s_mov_b32 s0, 8
.LBB120_206:                            ;   in Loop: Header=BB120_6 Depth=1
	s_or_saveexec_b64 s[54:55], s[54:55]
	v_mov_b32_e32 v6, s0
	s_xor_b64 exec, exec, s[54:55]
; %bb.207:                              ;   in Loop: Header=BB120_6 Depth=1
	v_mov_b32_e32 v2, s23
	v_subrev_co_u32_e32 v4, vcc, s22, v4
	v_subb_co_u32_e32 v5, vcc, v5, v2, vcc
	v_mov_b32_e32 v6, 0
	s_or_b64 s[10:11], s[10:11], exec
; %bb.208:                              ;   in Loop: Header=BB120_6 Depth=1
	s_or_b64 exec, exec, s[54:55]
	s_and_b64 s[80:81], s[10:11], exec
	v_pk_mov_b32 v[2:3], v[4:5], v[4:5] op_sel:[0,1]
.LBB120_209:                            ;   in Loop: Header=BB120_6 Depth=1
	s_or_b64 exec, exec, s[4:5]
	s_mov_b64 s[76:77], -1
                                        ; implicit-def: $sgpr4_sgpr5
                                        ; implicit-def: $sgpr74_sgpr75
                                        ; implicit-def: $sgpr10_sgpr11
	s_and_saveexec_b64 s[54:55], s[80:81]
	s_cbranch_execz .LBB120_260
; %bb.210:                              ;   in Loop: Header=BB120_6 Depth=1
	s_cmp_eq_u64 s[24:25], 1
	s_cselect_b64 s[0:1], -1, 0
	v_cmp_eq_u64_e32 vcc, 1, v[2:3]
	s_and_b64 vcc, s[0:1], vcc
	s_mov_b64 s[80:81], -1
                                        ; implicit-def: $sgpr4_sgpr5
                                        ; implicit-def: $sgpr74_sgpr75
                                        ; implicit-def: $sgpr10_sgpr11
	s_and_saveexec_b64 s[82:83], vcc
	s_cbranch_execz .LBB120_247
; %bb.211:                              ;   in Loop: Header=BB120_6 Depth=1
	ds_read_b64 v[4:5], v15 offset:5120
	s_waitcnt lgkmcnt(0)
	s_barrier
	v_readfirstlane_b32 s4, v4
	v_readfirstlane_b32 s5, v5
	s_mov_b64 s[10:11], exec
	v_readlane_b32 s0, v48, 28
	v_readlane_b32 s1, v48, 29
	s_and_b64 s[0:1], s[10:11], s[0:1]
	s_mov_b64 exec, s[0:1]
	s_cbranch_execz .LBB120_213
; %bb.212:                              ;   in Loop: Header=BB120_6 Depth=1
	ds_write_b8 v0, v15 offset:3072
.LBB120_213:                            ;   in Loop: Header=BB120_6 Depth=1
	s_or_b64 exec, exec, s[10:11]
	v_or_b32_e32 v28, s78, v28
	v_or_b32_e32 v29, s78, v29
	s_cmp_eq_u64 s[4:5], 0
	v_writelane_b32 v48, vcc_lo, 49
	s_waitcnt lgkmcnt(0)
	s_barrier
	v_writelane_b32 v48, vcc_hi, 50
	s_cbranch_scc1 .LBB120_218
; %bb.214:                              ;   in Loop: Header=BB120_6 Depth=1
	v_writelane_b32 v48, s82, 51
	v_writelane_b32 v48, s83, 52
	v_readlane_b32 s0, v48, 32
	s_add_u32 s0, s0, s4
	v_readlane_b32 s1, v48, 34
	s_addc_u32 s11, s1, s5
	s_mov_b32 s10, s79
	s_cmp_lg_u64 s[10:11], 0
	s_cbranch_scc0 .LBB120_219
; %bb.215:                              ;   in Loop: Header=BB120_6 Depth=1
	v_cvt_f32_u32_e32 v4, s33
	s_sub_u32 s1, 0, s33
	s_subb_u32 s10, 0, 0
	v_mac_f32_e32 v4, 0, v36
	v_rcp_f32_e32 v4, v4
	v_mul_f32_e32 v4, 0x5f7ffffc, v4
	v_mul_f32_e32 v5, 0x2f800000, v4
	v_trunc_f32_e32 v5, v5
	v_mac_f32_e32 v4, 0xcf800000, v5
	v_cvt_u32_f32_e32 v5, v5
	v_cvt_u32_f32_e32 v4, v4
	v_readfirstlane_b32 s74, v5
	v_readfirstlane_b32 s75, v4
	s_mul_i32 s76, s1, s74
	s_mul_hi_u32 s80, s1, s75
	s_mul_i32 s77, s10, s75
	s_add_i32 s76, s80, s76
	s_mul_i32 s81, s1, s75
	s_add_i32 s76, s76, s77
	s_mul_hi_u32 s80, s75, s81
	s_mul_hi_u32 s77, s75, s76
	s_mul_i32 s75, s75, s76
	s_add_u32 s75, s80, s75
	s_addc_u32 s77, 0, s77
	s_mul_hi_u32 s82, s74, s81
	s_mul_i32 s81, s74, s81
	s_add_u32 s75, s75, s81
	s_mul_hi_u32 s80, s74, s76
	s_addc_u32 s75, s77, s82
	s_addc_u32 s77, s80, 0
	s_mul_i32 s76, s74, s76
	s_add_u32 s75, s75, s76
	s_addc_u32 s76, 0, s77
	v_add_co_u32_e32 v4, vcc, s75, v4
	s_cmp_lg_u64 vcc, 0
	s_addc_u32 s74, s74, s76
	v_readfirstlane_b32 s76, v4
	s_mul_i32 s75, s1, s74
	s_mul_hi_u32 s77, s1, s76
	s_add_i32 s75, s77, s75
	s_mul_i32 s10, s10, s76
	s_add_i32 s75, s75, s10
	s_mul_i32 s1, s1, s76
	s_mul_hi_u32 s77, s74, s1
	s_mul_i32 s80, s74, s1
	s_mul_i32 s82, s76, s75
	s_mul_hi_u32 s1, s76, s1
	s_mul_hi_u32 s81, s76, s75
	s_add_u32 s1, s1, s82
	s_addc_u32 s76, 0, s81
	s_add_u32 s1, s1, s80
	s_mul_hi_u32 s10, s74, s75
	s_addc_u32 s1, s76, s77
	s_addc_u32 s10, s10, 0
	s_mul_i32 s75, s74, s75
	s_add_u32 s1, s1, s75
	s_addc_u32 s10, 0, s10
	v_add_co_u32_e32 v4, vcc, s1, v4
	s_cmp_lg_u64 vcc, 0
	s_addc_u32 s1, s74, s10
	v_readfirstlane_b32 s75, v4
	s_mul_i32 s74, s0, s1
	s_mul_hi_u32 s76, s0, s75
	s_mul_hi_u32 s10, s0, s1
	s_add_u32 s74, s76, s74
	s_addc_u32 s10, 0, s10
	s_mul_hi_u32 s77, s11, s75
	s_mul_i32 s75, s11, s75
	s_add_u32 s74, s74, s75
	s_mul_hi_u32 s76, s11, s1
	s_addc_u32 s10, s10, s77
	s_addc_u32 s74, s76, 0
	s_mul_i32 s1, s11, s1
	s_add_u32 s1, s10, s1
	s_addc_u32 s10, 0, s74
	s_mul_hi_u32 s74, s33, s1
	s_mul_i32 s1, s33, s1
	s_mul_i32 s10, s33, s10
	v_mov_b32_e32 v4, s1
	s_add_i32 s74, s74, s10
	v_sub_co_u32_e32 v4, vcc, s0, v4
	s_cmp_lg_u64 vcc, 0
	s_subb_u32 s1, s11, s74
	v_subrev_co_u32_e32 v5, vcc, s33, v4
	s_cmp_lg_u64 vcc, 0
	s_subb_u32 s10, s1, 0
	v_subrev_co_u32_e32 v6, vcc, s33, v5
	s_cmp_lg_u64 vcc, 0
	s_subb_u32 s74, s10, 0
	v_cmp_le_u32_e32 vcc, s33, v5
	s_cmp_eq_u32 s10, 0
	v_cndmask_b32_e64 v7, 0, -1, vcc
	s_cselect_b64 vcc, -1, 0
	v_cndmask_b32_e32 v7, -1, v7, vcc
	v_mov_b32_e32 v8, s10
	v_mov_b32_e32 v9, s74
	v_cmp_ne_u32_e32 vcc, 0, v7
	v_cndmask_b32_e32 v7, v8, v9, vcc
	v_cndmask_b32_e32 v6, v5, v6, vcc
	v_cmp_le_u32_e32 vcc, s33, v4
	s_cmp_eq_u32 s1, 0
	v_cndmask_b32_e64 v5, 0, -1, vcc
	s_cselect_b64 vcc, -1, 0
	v_cndmask_b32_e32 v5, -1, v5, vcc
	v_mov_b32_e32 v8, s1
	v_cmp_ne_u32_e32 vcc, 0, v5
	v_cndmask_b32_e32 v5, v8, v7, vcc
	v_cndmask_b32_e32 v4, v4, v6, vcc
	s_mov_b64 s[74:75], 0
	s_branch .LBB120_220
.LBB120_216:                            ;   in Loop: Header=BB120_6 Depth=1
                                        ; implicit-def: $vgpr2_vgpr3
	s_andn2_b64 vcc, exec, s[10:11]
	s_cbranch_vccz .LBB120_172
	s_branch .LBB120_173
.LBB120_217:                            ;   in Loop: Header=BB120_6 Depth=1
                                        ; implicit-def: $vgpr2_vgpr3
	s_branch .LBB120_187
.LBB120_218:                            ;   in Loop: Header=BB120_6 Depth=1
	s_mov_b64 s[4:5], -1
	s_mov_b64 s[76:77], 0
                                        ; implicit-def: $sgpr10_sgpr11
                                        ; implicit-def: $vgpr30
	s_branch .LBB120_231
.LBB120_219:                            ;   in Loop: Header=BB120_6 Depth=1
	s_mov_b64 s[74:75], -1
                                        ; implicit-def: $vgpr4_vgpr5
.LBB120_220:                            ;   in Loop: Header=BB120_6 Depth=1
	s_andn2_b64 vcc, exec, s[74:75]
	s_cbranch_vccnz .LBB120_222
; %bb.221:                              ;   in Loop: Header=BB120_6 Depth=1
	v_cvt_f32_u32_e32 v4, s33
	s_sub_i32 s1, 0, s33
	v_rcp_iflag_f32_e32 v4, v4
	v_mul_f32_e32 v4, 0x4f7ffffe, v4
	v_cvt_u32_f32_e32 v4, v4
	v_mul_lo_u32 v5, s1, v4
	v_mul_hi_u32 v5, v4, v5
	v_add_u32_e32 v4, v4, v5
	v_mul_hi_u32 v4, s0, v4
	v_mul_lo_u32 v4, v4, s33
	v_sub_u32_e32 v4, s0, v4
	v_subrev_u32_e32 v5, s33, v4
	v_cmp_le_u32_e32 vcc, s33, v4
	v_cndmask_b32_e32 v4, v4, v5, vcc
	v_subrev_u32_e32 v5, s33, v4
	v_cmp_le_u32_e32 vcc, s33, v4
	v_cndmask_b32_e32 v14, v4, v5, vcc
	v_pk_mov_b32 v[4:5], v[14:15], v[14:15] op_sel:[0,1]
.LBB120_222:                            ;   in Loop: Header=BB120_6 Depth=1
	v_mov_b32_e32 v6, s11
	v_sub_co_u32_e32 v4, vcc, s0, v4
	v_subb_co_u32_e32 v5, vcc, v6, v5, vcc
	v_cmp_gt_u64_e32 vcc, v[4:5], v[0:1]
	s_mov_b64 s[76:77], 0
                                        ; implicit-def: $vgpr30
	s_and_saveexec_b64 s[10:11], vcc
	v_readlane_b32 s82, v48, 51
	v_readlane_b32 s83, v48, 52
	s_cbranch_execz .LBB120_230
; %bb.223:                              ;   in Loop: Header=BB120_6 Depth=1
	s_mov_b64 s[74:75], 0
	v_mov_b32_e32 v8, v0
	v_pk_mov_b32 v[6:7], v[0:1], v[0:1] op_sel:[0,1]
                                        ; implicit-def: $sgpr76_sgpr77
	s_branch .LBB120_225
.LBB120_224:                            ;   in Loop: Header=BB120_225 Depth=2
	s_or_b64 exec, exec, s[80:81]
	s_waitcnt lgkmcnt(0)
	s_barrier
	ds_read_u16 v9, v15 offset:3072
	v_mov_b32_e32 v14, s86
	v_add_co_u32_e32 v6, vcc, s33, v6
	v_addc_co_u32_e32 v7, vcc, v7, v14, vcc
	s_waitcnt lgkmcnt(0)
	v_cmp_ne_u16_sdwa s[0:1], v9, v15 src0_sel:BYTE_0 src1_sel:DWORD
	v_cmp_ge_u64_e32 vcc, v[6:7], v[4:5]
	s_or_b64 s[80:81], vcc, s[0:1]
	s_and_b64 s[80:81], exec, s[80:81]
	s_or_b64 s[74:75], s[80:81], s[74:75]
	s_andn2_b64 s[76:77], s[76:77], exec
	s_and_b64 s[0:1], s[0:1], exec
	v_add_u32_e32 v8, s33, v8
	s_or_b64 s[76:77], s[76:77], s[0:1]
	s_barrier
	s_andn2_b64 exec, exec, s[74:75]
	s_cbranch_execz .LBB120_229
.LBB120_225:                            ;   Parent Loop BB120_6 Depth=1
                                        ; =>  This Inner Loop Header: Depth=2
	v_cmp_gt_u64_e32 vcc, s[4:5], v[6:7]
	v_mov_b32_e32 v9, 0
	s_and_saveexec_b64 s[80:81], vcc
	s_cbranch_execz .LBB120_227
; %bb.226:                              ;   in Loop: Header=BB120_225 Depth=2
	ds_read_u8 v9, v8
.LBB120_227:                            ;   in Loop: Header=BB120_225 Depth=2
	s_or_b64 exec, exec, s[80:81]
	s_waitcnt lgkmcnt(0)
	v_and_b32_e32 v14, v9, v29
	v_cmp_eq_u32_sdwa s[0:1], v14, v28 src0_sel:BYTE_0 src1_sel:DWORD
	s_and_b64 s[0:1], vcc, s[0:1]
	s_and_saveexec_b64 s[80:81], s[0:1]
	s_cbranch_execz .LBB120_224
; %bb.228:                              ;   in Loop: Header=BB120_225 Depth=2
	v_lshlrev_b16_e32 v9, 8, v9
	v_or_b32_e32 v9, 1, v9
	ds_write_b16 v15, v9 offset:3072
	s_branch .LBB120_224
.LBB120_229:                            ;   in Loop: Header=BB120_6 Depth=1
	s_or_b64 exec, exec, s[74:75]
	v_lshrrev_b16_e32 v30, 8, v9
	s_and_b64 s[76:77], s[76:77], exec
.LBB120_230:                            ;   in Loop: Header=BB120_6 Depth=1
	s_or_b64 exec, exec, s[10:11]
	s_mov_b64 s[10:11], -1
	s_mov_b64 s[4:5], 0
.LBB120_231:                            ;   in Loop: Header=BB120_6 Depth=1
	s_and_b64 vcc, exec, s[4:5]
	s_mov_b64 s[74:75], s[4:5]
	s_cbranch_vccz .LBB120_246
; %bb.232:                              ;   in Loop: Header=BB120_6 Depth=1
	v_readlane_b32 s76, v48, 35
	v_readlane_b32 s77, v48, 36
	s_mov_b32 s76, s79
	s_cmp_lg_u64 s[76:77], 0
	v_writelane_b32 v48, s76, 35
	v_writelane_b32 v48, s77, 36
	s_cbranch_scc0 .LBB120_234
; %bb.233:                              ;   in Loop: Header=BB120_6 Depth=1
	v_cvt_f32_u32_e32 v4, s33
	s_sub_u32 s0, 0, s33
	s_subb_u32 s1, 0, 0
	v_readlane_b32 s70, v48, 33
	v_mac_f32_e32 v4, 0, v36
	v_rcp_f32_e32 v4, v4
	v_mul_f32_e32 v4, 0x5f7ffffc, v4
	v_mul_f32_e32 v5, 0x2f800000, v4
	v_trunc_f32_e32 v5, v5
	v_mac_f32_e32 v4, 0xcf800000, v5
	v_cvt_u32_f32_e32 v5, v5
	v_cvt_u32_f32_e32 v4, v4
	v_readfirstlane_b32 s4, v5
	v_readfirstlane_b32 s5, v4
	s_mul_i32 s10, s0, s4
	s_mul_hi_u32 s74, s0, s5
	s_mul_i32 s11, s1, s5
	s_add_i32 s10, s74, s10
	s_mul_i32 s75, s0, s5
	s_add_i32 s10, s10, s11
	s_mul_hi_u32 s74, s5, s75
	s_mul_hi_u32 s11, s5, s10
	s_mul_i32 s5, s5, s10
	s_add_u32 s5, s74, s5
	s_addc_u32 s11, 0, s11
	s_mul_hi_u32 s76, s4, s75
	s_mul_i32 s75, s4, s75
	s_add_u32 s5, s5, s75
	s_mul_hi_u32 s74, s4, s10
	s_addc_u32 s5, s11, s76
	s_addc_u32 s11, s74, 0
	s_mul_i32 s10, s4, s10
	s_add_u32 s5, s5, s10
	s_addc_u32 s10, 0, s11
	v_add_co_u32_e32 v4, vcc, s5, v4
	s_cmp_lg_u64 vcc, 0
	s_addc_u32 s4, s4, s10
	v_readfirstlane_b32 s10, v4
	s_mul_i32 s5, s0, s4
	s_mul_hi_u32 s11, s0, s10
	s_add_i32 s5, s11, s5
	s_mul_i32 s1, s1, s10
	s_add_i32 s5, s5, s1
	s_mul_i32 s0, s0, s10
	s_mul_hi_u32 s11, s4, s0
	s_mul_i32 s74, s4, s0
	s_mul_i32 s76, s10, s5
	s_mul_hi_u32 s0, s10, s0
	s_mul_hi_u32 s75, s10, s5
	s_add_u32 s0, s0, s76
	s_addc_u32 s10, 0, s75
	s_add_u32 s0, s0, s74
	s_mul_hi_u32 s1, s4, s5
	s_addc_u32 s0, s10, s11
	s_addc_u32 s1, s1, 0
	s_mul_i32 s5, s4, s5
	s_add_u32 s0, s0, s5
	s_addc_u32 s1, 0, s1
	v_add_co_u32_e32 v4, vcc, s0, v4
	s_cmp_lg_u64 vcc, 0
	s_addc_u32 s0, s4, s1
	v_readfirstlane_b32 s5, v4
	s_mul_i32 s4, s70, s0
	s_mul_hi_u32 s10, s70, s5
	s_mul_hi_u32 s1, s70, s0
	s_add_u32 s4, s10, s4
	s_addc_u32 s1, 0, s1
	s_mul_hi_u32 s11, s77, s5
	s_mul_i32 s5, s77, s5
	s_add_u32 s4, s4, s5
	s_mul_hi_u32 s10, s77, s0
	s_addc_u32 s1, s1, s11
	s_addc_u32 s4, s10, 0
	s_mul_i32 s0, s77, s0
	s_add_u32 s0, s1, s0
	s_addc_u32 s1, 0, s4
	s_mul_hi_u32 s4, s33, s0
	s_mul_i32 s0, s33, s0
	s_mul_i32 s1, s33, s1
	v_mov_b32_e32 v4, s0
	s_add_i32 s4, s4, s1
	v_sub_co_u32_e32 v4, vcc, s70, v4
	s_cmp_lg_u64 vcc, 0
	s_subb_u32 s0, s77, s4
	v_subrev_co_u32_e32 v5, vcc, s33, v4
	s_cmp_lg_u64 vcc, 0
	s_subb_u32 s1, s0, 0
	v_subrev_co_u32_e32 v6, vcc, s33, v5
	s_cmp_lg_u64 vcc, 0
	s_subb_u32 s4, s1, 0
	v_cmp_le_u32_e32 vcc, s33, v5
	s_cmp_eq_u32 s1, 0
	v_cndmask_b32_e64 v7, 0, -1, vcc
	s_cselect_b64 vcc, -1, 0
	v_cndmask_b32_e32 v7, -1, v7, vcc
	v_mov_b32_e32 v8, s1
	v_mov_b32_e32 v9, s4
	v_cmp_ne_u32_e32 vcc, 0, v7
	v_cndmask_b32_e32 v7, v8, v9, vcc
	v_cndmask_b32_e32 v6, v5, v6, vcc
	v_cmp_le_u32_e32 vcc, s33, v4
	s_cmp_eq_u32 s0, 0
	v_cndmask_b32_e64 v5, 0, -1, vcc
	s_cselect_b64 vcc, -1, 0
	v_cndmask_b32_e32 v5, -1, v5, vcc
	v_mov_b32_e32 v8, s0
	v_cmp_ne_u32_e32 vcc, 0, v5
	v_cndmask_b32_e32 v5, v8, v7, vcc
	v_cndmask_b32_e32 v4, v4, v6, vcc
	s_mov_b64 s[4:5], 0
	s_branch .LBB120_235
.LBB120_234:                            ;   in Loop: Header=BB120_6 Depth=1
	s_mov_b64 s[4:5], -1
                                        ; implicit-def: $vgpr4_vgpr5
.LBB120_235:                            ;   in Loop: Header=BB120_6 Depth=1
	s_andn2_b64 vcc, exec, s[4:5]
	s_cbranch_vccnz .LBB120_237
; %bb.236:                              ;   in Loop: Header=BB120_6 Depth=1
	v_cvt_f32_u32_e32 v4, s33
	s_sub_i32 s0, 0, s33
	v_rcp_iflag_f32_e32 v4, v4
	v_mul_f32_e32 v4, 0x4f7ffffe, v4
	v_cvt_u32_f32_e32 v4, v4
	v_mul_lo_u32 v5, s0, v4
	v_mul_hi_u32 v5, v4, v5
	v_add_u32_e32 v4, v4, v5
	v_readlane_b32 s0, v48, 33
	v_mul_hi_u32 v4, s0, v4
	v_mul_lo_u32 v4, v4, s33
	v_sub_u32_e32 v4, s0, v4
	v_subrev_u32_e32 v5, s33, v4
	v_cmp_le_u32_e32 vcc, s33, v4
	v_cndmask_b32_e32 v4, v4, v5, vcc
	v_subrev_u32_e32 v5, s33, v4
	v_cmp_le_u32_e32 vcc, s33, v4
	v_cndmask_b32_e32 v14, v4, v5, vcc
	v_pk_mov_b32 v[4:5], v[14:15], v[14:15] op_sel:[0,1]
.LBB120_237:                            ;   in Loop: Header=BB120_6 Depth=1
	v_readlane_b32 s0, v48, 35
	v_readlane_b32 s1, v48, 36
	;; [unrolled: 1-line block ×3, first 2 shown]
	v_mov_b32_e32 v6, s1
	v_sub_co_u32_e32 v4, vcc, s0, v4
	v_subb_co_u32_e32 v5, vcc, v6, v5, vcc
	v_cmp_gt_u64_e32 vcc, v[4:5], v[0:1]
	s_mov_b64 s[76:77], 0
                                        ; implicit-def: $vgpr30
	s_and_saveexec_b64 s[4:5], vcc
	s_cbranch_execz .LBB120_245
; %bb.238:                              ;   in Loop: Header=BB120_6 Depth=1
	s_mov_b64 s[10:11], 0
	v_pk_mov_b32 v[6:7], v[12:13], v[12:13] op_sel:[0,1]
	v_pk_mov_b32 v[8:9], v[0:1], v[0:1] op_sel:[0,1]
                                        ; implicit-def: $sgpr74_sgpr75
	s_branch .LBB120_240
.LBB120_239:                            ;   in Loop: Header=BB120_240 Depth=2
	s_or_b64 exec, exec, s[76:77]
	s_waitcnt lgkmcnt(0)
	s_barrier
	ds_read_u16 v14, v15 offset:3072
	v_mov_b32_e32 v30, s86
	v_add_co_u32_e32 v8, vcc, s33, v8
	v_addc_co_u32_e32 v9, vcc, v9, v30, vcc
	s_waitcnt lgkmcnt(0)
	v_cmp_ne_u16_sdwa s[0:1], v14, v15 src0_sel:BYTE_0 src1_sel:DWORD
	v_cmp_ge_u64_e32 vcc, v[8:9], v[4:5]
	s_or_b64 s[76:77], vcc, s[0:1]
	s_and_b64 s[76:77], exec, s[76:77]
	s_or_b64 s[10:11], s[76:77], s[10:11]
	v_mov_b32_e32 v30, s87
	v_add_co_u32_e32 v6, vcc, s84, v6
	s_andn2_b64 s[74:75], s[74:75], exec
	s_and_b64 s[0:1], s[0:1], exec
	v_addc_co_u32_e32 v7, vcc, v7, v30, vcc
	s_or_b64 s[74:75], s[74:75], s[0:1]
	s_barrier
	s_andn2_b64 exec, exec, s[10:11]
	s_cbranch_execz .LBB120_244
.LBB120_240:                            ;   Parent Loop BB120_6 Depth=1
                                        ; =>  This Inner Loop Header: Depth=2
	v_cmp_gt_u64_e32 vcc, s[56:57], v[8:9]
	v_mov_b32_e32 v14, 0
	s_and_saveexec_b64 s[76:77], vcc
	s_cbranch_execz .LBB120_242
; %bb.241:                              ;   in Loop: Header=BB120_240 Depth=2
	global_load_ubyte v14, v[6:7], off
.LBB120_242:                            ;   in Loop: Header=BB120_240 Depth=2
	s_or_b64 exec, exec, s[76:77]
	s_waitcnt vmcnt(0)
	v_and_b32_e32 v30, v14, v29
	v_cmp_eq_u32_sdwa s[0:1], v30, v28 src0_sel:BYTE_0 src1_sel:DWORD
	s_and_b64 s[0:1], vcc, s[0:1]
	s_and_saveexec_b64 s[76:77], s[0:1]
	s_cbranch_execz .LBB120_239
; %bb.243:                              ;   in Loop: Header=BB120_240 Depth=2
	v_lshlrev_b16_e32 v14, 8, v14
	v_or_b32_e32 v14, 1, v14
	ds_write_b16 v15, v14 offset:3072
	s_branch .LBB120_239
.LBB120_244:                            ;   in Loop: Header=BB120_6 Depth=1
	s_or_b64 exec, exec, s[10:11]
	v_lshrrev_b16_e32 v30, 8, v14
	s_and_b64 s[76:77], s[74:75], exec
.LBB120_245:                            ;   in Loop: Header=BB120_6 Depth=1
	s_or_b64 exec, exec, s[4:5]
	s_mov_b64 s[74:75], -1
	s_mov_b64 s[4:5], 0
	s_mov_b64 s[10:11], 0
.LBB120_246:                            ;   in Loop: Header=BB120_6 Depth=1
	v_readlane_b32 vcc_lo, v48, 49
	s_orn2_b64 s[80:81], s[76:77], exec
	v_readlane_b32 vcc_hi, v48, 50
.LBB120_247:                            ;   in Loop: Header=BB120_6 Depth=1
	s_or_b64 exec, exec, s[82:83]
	s_mov_b64 s[82:83], 0
                                        ; implicit-def: $vgpr6
                                        ; implicit-def: $vgpr4_vgpr5
	s_and_saveexec_b64 s[76:77], s[80:81]
	s_cbranch_execz .LBB120_259
; %bb.248:                              ;   in Loop: Header=BB120_6 Depth=1
	v_mov_b32_e32 v4, 1
	s_xor_b64 s[0:1], vcc, -1
	v_mov_b32_e32 v6, 1
	v_mov_b32_e32 v5, 0
	s_and_saveexec_b64 s[80:81], s[0:1]
	s_cbranch_execz .LBB120_258
; %bb.249:                              ;   in Loop: Header=BB120_6 Depth=1
	v_cmp_ge_u64_e32 vcc, s[24:25], v[2:3]
                                        ; implicit-def: $sgpr0
	s_and_saveexec_b64 s[82:83], vcc
	s_xor_b64 s[82:83], exec, s[82:83]
	s_cbranch_execz .LBB120_255
; %bb.250:                              ;   in Loop: Header=BB120_6 Depth=1
	ds_read_b64 v[4:5], v15 offset:5120
	s_waitcnt lgkmcnt(0)
	v_cmp_ne_u64_e32 vcc, 0, v[4:5]
	s_cbranch_vccnz .LBB120_254
; %bb.251:                              ;   in Loop: Header=BB120_6 Depth=1
	s_mov_b64 vcc, exec
	v_readlane_b32 s0, v48, 8
	v_readlane_b32 s1, v48, 9
	s_and_b64 s[0:1], vcc, s[0:1]
	s_mov_b64 exec, s[0:1]
	s_cbranch_execz .LBB120_253
; %bb.252:                              ;   in Loop: Header=BB120_6 Depth=1
	v_pk_mov_b32 v[4:5], s[24:25], s[24:25] op_sel:[0,1]
	ds_write_b64 v15, v[4:5] offset:5128
.LBB120_253:                            ;   in Loop: Header=BB120_6 Depth=1
	s_or_b64 exec, exec, vcc
	s_waitcnt lgkmcnt(0)
	s_barrier
.LBB120_254:                            ;   in Loop: Header=BB120_6 Depth=1
	v_or_b32_e32 v28, s78, v28
	v_or_b32_e32 v29, s78, v29
	s_mov_b32 s0, 8
.LBB120_255:                            ;   in Loop: Header=BB120_6 Depth=1
	s_or_saveexec_b64 s[82:83], s[82:83]
	v_mov_b32_e32 v6, s0
	s_xor_b64 exec, exec, s[82:83]
; %bb.256:                              ;   in Loop: Header=BB120_6 Depth=1
	v_mov_b32_e32 v4, s25
	v_subrev_co_u32_e32 v2, vcc, s24, v2
	v_subb_co_u32_e32 v3, vcc, v3, v4, vcc
	v_mov_b32_e32 v6, 8
; %bb.257:                              ;   in Loop: Header=BB120_6 Depth=1
	s_or_b64 exec, exec, s[82:83]
	v_pk_mov_b32 v[4:5], v[2:3], v[2:3] op_sel:[0,1]
.LBB120_258:                            ;   in Loop: Header=BB120_6 Depth=1
	s_or_b64 exec, exec, s[80:81]
	s_mov_b64 s[82:83], exec
.LBB120_259:                            ;   in Loop: Header=BB120_6 Depth=1
	s_or_b64 exec, exec, s[76:77]
	s_orn2_b64 s[76:77], s[82:83], exec
	v_pk_mov_b32 v[2:3], v[4:5], v[4:5] op_sel:[0,1]
.LBB120_260:                            ;   in Loop: Header=BB120_6 Depth=1
	s_or_b64 exec, exec, s[54:55]
	s_andn2_b64 s[0:1], s[8:9], exec
	s_and_b64 s[4:5], s[4:5], exec
	s_or_b64 s[8:9], s[0:1], s[4:5]
	s_andn2_b64 s[0:1], s[50:51], exec
	s_and_b64 s[4:5], s[74:75], exec
	s_or_b64 s[50:51], s[0:1], s[4:5]
	;; [unrolled: 3-line block ×3, first 2 shown]
	s_and_b64 s[4:5], s[76:77], exec
	v_pk_mov_b32 v[4:5], v[2:3], v[2:3] op_sel:[0,1]
.LBB120_261:                            ;   in Loop: Header=BB120_6 Depth=1
	s_or_b64 exec, exec, s[52:53]
	s_and_b64 s[52:53], s[8:9], exec
	s_and_b64 s[10:11], s[50:51], exec
	;; [unrolled: 1-line block ×3, first 2 shown]
	s_orn2_b64 s[4:5], s[4:5], exec
.LBB120_262:                            ;   in Loop: Header=BB120_6 Depth=1
	s_or_b64 exec, exec, s[46:47]
	s_andn2_b64 s[0:1], s[26:27], exec
	s_and_b64 s[26:27], s[52:53], exec
	s_or_b64 s[26:27], s[0:1], s[26:27]
	s_andn2_b64 s[0:1], s[42:43], exec
	s_and_b64 s[10:11], s[10:11], exec
	s_or_b64 s[42:43], s[0:1], s[10:11]
	;; [unrolled: 3-line block ×3, first 2 shown]
	s_and_b64 s[46:47], s[4:5], exec
	v_pk_mov_b32 v[2:3], v[4:5], v[4:5] op_sel:[0,1]
.LBB120_263:                            ;   in Loop: Header=BB120_6 Depth=1
	s_or_b64 exec, exec, s[44:45]
	s_and_b64 s[10:11], s[26:27], exec
	s_and_b64 s[8:9], s[42:43], exec
	;; [unrolled: 1-line block ×3, first 2 shown]
	s_orn2_b64 s[28:29], s[46:47], exec
.LBB120_264:                            ;   in Loop: Header=BB120_6 Depth=1
	s_or_b64 exec, exec, s[6:7]
	s_mov_b64 s[6:7], 0
	s_mov_b64 s[26:27], 0
	s_and_saveexec_b64 s[0:1], s[28:29]
	s_xor_b64 s[28:29], exec, s[0:1]
; %bb.265:                              ;   in Loop: Header=BB120_6 Depth=1
	v_cmp_eq_u32_e32 vcc, 8, v6
	v_cmp_ne_u32_e64 s[6:7], 8, v6
	s_andn2_b64 s[10:11], s[10:11], exec
	s_andn2_b64 s[8:9], s[8:9], exec
	;; [unrolled: 1-line block ×3, first 2 shown]
	s_and_b64 s[26:27], s[6:7], exec
	s_and_b64 s[6:7], vcc, exec
; %bb.266:                              ;   in Loop: Header=BB120_6 Depth=1
	s_or_b64 exec, exec, s[28:29]
	s_andn2_b64 s[0:1], s[20:21], exec
	s_and_b64 s[10:11], s[10:11], exec
	s_or_b64 s[20:21], s[0:1], s[10:11]
	s_andn2_b64 s[0:1], s[36:37], exec
	s_and_b64 s[8:9], s[8:9], exec
	s_or_b64 s[36:37], s[0:1], s[8:9]
	;; [unrolled: 3-line block ×3, first 2 shown]
	s_and_b64 s[26:27], s[26:27], exec
	s_and_b64 s[28:29], s[6:7], exec
.LBB120_267:                            ;   in Loop: Header=BB120_6 Depth=1
	s_or_b64 exec, exec, s[40:41]
	s_and_b64 vcc, exec, s[38:39]
	s_cbranch_vccz .LBB120_90
.LBB120_268:                            ;   in Loop: Header=BB120_6 Depth=1
	s_cmp_eq_u64 s[24:25], 1
	s_cselect_b64 s[0:1], -1, 0
	s_and_b64 s[6:7], s[0:1], s[14:15]
	s_mov_b64 s[4:5], -1
                                        ; implicit-def: $sgpr14_sgpr15
                                        ; implicit-def: $sgpr38_sgpr39
                                        ; implicit-def: $sgpr20_sgpr21
	s_and_saveexec_b64 s[8:9], s[6:7]
	s_cbranch_execz .LBB120_298
; %bb.269:                              ;   in Loop: Header=BB120_6 Depth=1
	ds_read_b64 v[2:3], v15 offset:5120
	s_waitcnt lgkmcnt(0)
	s_barrier
	v_readfirstlane_b32 s4, v2
	v_readfirstlane_b32 s5, v3
	s_mov_b64 s[10:11], exec
	v_readlane_b32 s0, v48, 28
	v_readlane_b32 s1, v48, 29
	s_and_b64 s[0:1], s[10:11], s[0:1]
	s_mov_b64 exec, s[0:1]
	s_cbranch_execz .LBB120_271
; %bb.270:                              ;   in Loop: Header=BB120_6 Depth=1
	ds_write_b8 v0, v15 offset:3072
.LBB120_271:                            ;   in Loop: Header=BB120_6 Depth=1
	s_or_b64 exec, exec, s[10:11]
	v_or_b32_e32 v38, s78, v38
	v_or_b32_e32 v37, s78, v37
	s_cmp_eq_u64 s[4:5], 0
	s_waitcnt lgkmcnt(0)
	s_barrier
	s_cbranch_scc1 .LBB120_282
; %bb.272:                              ;   in Loop: Header=BB120_6 Depth=1
	v_readlane_b32 s0, v48, 32
	s_add_u32 s0, s0, s4
	v_readlane_b32 s1, v48, 34
	s_addc_u32 s11, s1, s5
	s_mov_b32 s10, s79
	s_cmp_lg_u64 s[10:11], 0
	s_cbranch_scc0 .LBB120_324
; %bb.273:                              ;   in Loop: Header=BB120_6 Depth=1
	v_cvt_f32_u32_e32 v2, s33
	s_sub_u32 s1, 0, s33
	s_subb_u32 s10, 0, 0
	v_mac_f32_e32 v2, 0, v36
	v_rcp_f32_e32 v2, v2
	v_mul_f32_e32 v2, 0x5f7ffffc, v2
	v_mul_f32_e32 v3, 0x2f800000, v2
	v_trunc_f32_e32 v3, v3
	v_mac_f32_e32 v2, 0xcf800000, v3
	v_cvt_u32_f32_e32 v3, v3
	v_cvt_u32_f32_e32 v2, v2
	v_readfirstlane_b32 s14, v3
	v_readfirstlane_b32 s15, v2
	s_mul_i32 s20, s1, s14
	s_mul_hi_u32 s34, s1, s15
	s_mul_i32 s21, s10, s15
	s_add_i32 s20, s34, s20
	s_mul_i32 s35, s1, s15
	s_add_i32 s20, s20, s21
	s_mul_hi_u32 s34, s15, s35
	s_mul_hi_u32 s21, s15, s20
	s_mul_i32 s15, s15, s20
	s_add_u32 s15, s34, s15
	s_addc_u32 s21, 0, s21
	s_mul_hi_u32 s36, s14, s35
	s_mul_i32 s35, s14, s35
	s_add_u32 s15, s15, s35
	s_mul_hi_u32 s34, s14, s20
	s_addc_u32 s15, s21, s36
	s_addc_u32 s21, s34, 0
	s_mul_i32 s20, s14, s20
	s_add_u32 s15, s15, s20
	s_addc_u32 s20, 0, s21
	v_add_co_u32_e32 v2, vcc, s15, v2
	s_cmp_lg_u64 vcc, 0
	s_addc_u32 s14, s14, s20
	v_readfirstlane_b32 s20, v2
	s_mul_i32 s15, s1, s14
	s_mul_hi_u32 s21, s1, s20
	s_add_i32 s15, s21, s15
	s_mul_i32 s10, s10, s20
	s_add_i32 s15, s15, s10
	s_mul_i32 s1, s1, s20
	s_mul_hi_u32 s21, s14, s1
	s_mul_i32 s34, s14, s1
	s_mul_i32 s36, s20, s15
	s_mul_hi_u32 s1, s20, s1
	s_mul_hi_u32 s35, s20, s15
	s_add_u32 s1, s1, s36
	s_addc_u32 s20, 0, s35
	s_add_u32 s1, s1, s34
	s_mul_hi_u32 s10, s14, s15
	s_addc_u32 s1, s20, s21
	s_addc_u32 s10, s10, 0
	s_mul_i32 s15, s14, s15
	s_add_u32 s1, s1, s15
	s_addc_u32 s10, 0, s10
	v_add_co_u32_e32 v2, vcc, s1, v2
	s_cmp_lg_u64 vcc, 0
	s_addc_u32 s1, s14, s10
	v_readfirstlane_b32 s15, v2
	s_mul_i32 s14, s0, s1
	s_mul_hi_u32 s20, s0, s15
	s_mul_hi_u32 s10, s0, s1
	s_add_u32 s14, s20, s14
	s_addc_u32 s10, 0, s10
	s_mul_hi_u32 s21, s11, s15
	s_mul_i32 s15, s11, s15
	s_add_u32 s14, s14, s15
	s_mul_hi_u32 s20, s11, s1
	s_addc_u32 s10, s10, s21
	s_addc_u32 s14, s20, 0
	s_mul_i32 s1, s11, s1
	s_add_u32 s1, s10, s1
	s_addc_u32 s10, 0, s14
	s_mul_hi_u32 s14, s33, s1
	s_mul_i32 s1, s33, s1
	s_mul_i32 s10, s33, s10
	v_mov_b32_e32 v2, s1
	s_add_i32 s14, s14, s10
	v_sub_co_u32_e32 v2, vcc, s0, v2
	s_cmp_lg_u64 vcc, 0
	s_subb_u32 s1, s11, s14
	v_subrev_co_u32_e32 v3, vcc, s33, v2
	s_cmp_lg_u64 vcc, 0
	s_subb_u32 s10, s1, 0
	v_subrev_co_u32_e32 v4, vcc, s33, v3
	s_cmp_lg_u64 vcc, 0
	s_subb_u32 s14, s10, 0
	v_cmp_le_u32_e32 vcc, s33, v3
	s_cmp_eq_u32 s10, 0
	v_cndmask_b32_e64 v5, 0, -1, vcc
	s_cselect_b64 vcc, -1, 0
	v_cndmask_b32_e32 v5, -1, v5, vcc
	v_mov_b32_e32 v6, s10
	v_mov_b32_e32 v7, s14
	v_cmp_ne_u32_e32 vcc, 0, v5
	v_cndmask_b32_e32 v5, v6, v7, vcc
	v_cndmask_b32_e32 v4, v3, v4, vcc
	v_cmp_le_u32_e32 vcc, s33, v2
	s_cmp_eq_u32 s1, 0
	v_cndmask_b32_e64 v3, 0, -1, vcc
	s_cselect_b64 vcc, -1, 0
	v_cndmask_b32_e32 v3, -1, v3, vcc
	v_mov_b32_e32 v6, s1
	v_cmp_ne_u32_e32 vcc, 0, v3
	v_cndmask_b32_e32 v3, v6, v5, vcc
	v_cndmask_b32_e32 v2, v2, v4, vcc
	s_cbranch_execnz .LBB120_275
.LBB120_274:                            ;   in Loop: Header=BB120_6 Depth=1
	v_cvt_f32_u32_e32 v2, s33
	s_sub_i32 s1, 0, s33
	v_rcp_iflag_f32_e32 v2, v2
	v_mul_f32_e32 v2, 0x4f7ffffe, v2
	v_cvt_u32_f32_e32 v2, v2
	v_mul_lo_u32 v3, s1, v2
	v_mul_hi_u32 v3, v2, v3
	v_add_u32_e32 v2, v2, v3
	v_mul_hi_u32 v2, s0, v2
	v_mul_lo_u32 v2, v2, s33
	v_sub_u32_e32 v2, s0, v2
	v_subrev_u32_e32 v3, s33, v2
	v_cmp_le_u32_e32 vcc, s33, v2
	v_cndmask_b32_e32 v2, v2, v3, vcc
	v_subrev_u32_e32 v3, s33, v2
	v_cmp_le_u32_e32 vcc, s33, v2
	v_cndmask_b32_e32 v14, v2, v3, vcc
	v_pk_mov_b32 v[2:3], v[14:15], v[14:15] op_sel:[0,1]
.LBB120_275:                            ;   in Loop: Header=BB120_6 Depth=1
	v_mov_b32_e32 v4, s11
	v_sub_co_u32_e32 v2, vcc, s0, v2
	v_subb_co_u32_e32 v3, vcc, v4, v3, vcc
	v_cmp_gt_u64_e32 vcc, v[2:3], v[0:1]
	s_mov_b64 s[10:11], 0
                                        ; implicit-def: $vgpr39
	s_and_saveexec_b64 s[14:15], vcc
	s_cbranch_execz .LBB120_284
; %bb.276:                              ;   in Loop: Header=BB120_6 Depth=1
	v_mov_b32_e32 v6, v0
	v_pk_mov_b32 v[4:5], v[0:1], v[0:1] op_sel:[0,1]
                                        ; implicit-def: $sgpr20_sgpr21
	s_branch .LBB120_278
.LBB120_277:                            ;   in Loop: Header=BB120_278 Depth=2
	s_or_b64 exec, exec, s[34:35]
	s_waitcnt lgkmcnt(0)
	s_barrier
	ds_read_u16 v7, v15 offset:3072
	v_mov_b32_e32 v8, s86
	v_add_co_u32_e32 v4, vcc, s33, v4
	v_addc_co_u32_e32 v5, vcc, v5, v8, vcc
	s_waitcnt lgkmcnt(0)
	v_cmp_ne_u16_sdwa s[0:1], v7, v15 src0_sel:BYTE_0 src1_sel:DWORD
	v_cmp_ge_u64_e32 vcc, v[4:5], v[2:3]
	s_or_b64 s[34:35], vcc, s[0:1]
	s_and_b64 s[34:35], exec, s[34:35]
	s_or_b64 s[10:11], s[34:35], s[10:11]
	s_andn2_b64 s[20:21], s[20:21], exec
	s_and_b64 s[0:1], s[0:1], exec
	v_add_u32_e32 v6, s33, v6
	s_or_b64 s[20:21], s[20:21], s[0:1]
	s_barrier
	s_andn2_b64 exec, exec, s[10:11]
	s_cbranch_execz .LBB120_283
.LBB120_278:                            ;   Parent Loop BB120_6 Depth=1
                                        ; =>  This Inner Loop Header: Depth=2
	v_cmp_gt_u64_e32 vcc, s[4:5], v[4:5]
	v_mov_b32_e32 v7, 0
	s_and_saveexec_b64 s[34:35], vcc
	s_cbranch_execz .LBB120_280
; %bb.279:                              ;   in Loop: Header=BB120_278 Depth=2
	ds_read_u8 v7, v6
.LBB120_280:                            ;   in Loop: Header=BB120_278 Depth=2
	s_or_b64 exec, exec, s[34:35]
	s_waitcnt lgkmcnt(0)
	v_and_b32_e32 v8, v7, v37
	v_cmp_eq_u32_sdwa s[0:1], v8, v38 src0_sel:BYTE_0 src1_sel:DWORD
	s_and_b64 s[0:1], vcc, s[0:1]
	s_and_saveexec_b64 s[34:35], s[0:1]
	s_cbranch_execz .LBB120_277
; %bb.281:                              ;   in Loop: Header=BB120_278 Depth=2
	v_lshlrev_b16_e32 v7, 8, v7
	v_or_b32_e32 v7, 1, v7
	ds_write_b16 v15, v7 offset:3072
	s_branch .LBB120_277
.LBB120_282:                            ;   in Loop: Header=BB120_6 Depth=1
	s_mov_b64 s[14:15], -1
	s_mov_b64 s[10:11], 0
                                        ; implicit-def: $sgpr38_sgpr39
                                        ; implicit-def: $vgpr39
	s_mov_b64 s[20:21], s[14:15]
	s_cbranch_execnz .LBB120_285
	s_branch .LBB120_297
.LBB120_283:                            ;   in Loop: Header=BB120_6 Depth=1
	s_or_b64 exec, exec, s[10:11]
	v_lshrrev_b16_e32 v39, 8, v7
	s_and_b64 s[10:11], s[20:21], exec
.LBB120_284:                            ;   in Loop: Header=BB120_6 Depth=1
	s_or_b64 exec, exec, s[14:15]
	s_mov_b64 s[14:15], 0
	s_mov_b64 s[38:39], -1
	s_mov_b64 s[20:21], s[14:15]
	s_branch .LBB120_297
.LBB120_285:                            ;   in Loop: Header=BB120_6 Depth=1
	v_readlane_b32 s20, v48, 35
	v_readlane_b32 s21, v48, 36
	s_mov_b32 s20, s79
	s_cmp_lg_u64 s[20:21], 0
	v_writelane_b32 v48, s20, 35
	v_writelane_b32 v48, s21, 36
	s_cbranch_scc0 .LBB120_325
; %bb.286:                              ;   in Loop: Header=BB120_6 Depth=1
	v_cvt_f32_u32_e32 v2, s33
	s_sub_u32 s0, 0, s33
	s_subb_u32 s1, 0, 0
	v_mac_f32_e32 v2, 0, v36
	v_rcp_f32_e32 v2, v2
	v_mul_f32_e32 v2, 0x5f7ffffc, v2
	v_mul_f32_e32 v3, 0x2f800000, v2
	v_trunc_f32_e32 v3, v3
	v_mac_f32_e32 v2, 0xcf800000, v3
	v_cvt_u32_f32_e32 v3, v3
	v_cvt_u32_f32_e32 v2, v2
	v_readfirstlane_b32 s4, v3
	v_readfirstlane_b32 s5, v2
	s_mul_i32 s10, s0, s4
	s_mul_hi_u32 s14, s0, s5
	s_mul_i32 s11, s1, s5
	s_add_i32 s10, s14, s10
	s_mul_i32 s15, s0, s5
	s_add_i32 s10, s10, s11
	s_mul_hi_u32 s14, s5, s15
	s_mul_hi_u32 s11, s5, s10
	s_mul_i32 s5, s5, s10
	s_add_u32 s5, s14, s5
	s_addc_u32 s11, 0, s11
	s_mul_hi_u32 s20, s4, s15
	s_mul_i32 s15, s4, s15
	s_add_u32 s5, s5, s15
	s_mul_hi_u32 s14, s4, s10
	s_addc_u32 s5, s11, s20
	s_addc_u32 s11, s14, 0
	s_mul_i32 s10, s4, s10
	s_add_u32 s5, s5, s10
	s_addc_u32 s10, 0, s11
	v_add_co_u32_e32 v2, vcc, s5, v2
	s_cmp_lg_u64 vcc, 0
	s_addc_u32 s4, s4, s10
	v_readfirstlane_b32 s10, v2
	s_mul_i32 s5, s0, s4
	s_mul_hi_u32 s11, s0, s10
	s_add_i32 s5, s11, s5
	s_mul_i32 s1, s1, s10
	s_add_i32 s5, s5, s1
	s_mul_i32 s0, s0, s10
	s_mul_hi_u32 s11, s4, s0
	s_mul_i32 s14, s4, s0
	s_mul_i32 s20, s10, s5
	s_mul_hi_u32 s0, s10, s0
	s_mul_hi_u32 s15, s10, s5
	s_add_u32 s0, s0, s20
	s_addc_u32 s10, 0, s15
	s_add_u32 s0, s0, s14
	s_mul_hi_u32 s1, s4, s5
	s_addc_u32 s0, s10, s11
	s_addc_u32 s1, s1, 0
	s_mul_i32 s5, s4, s5
	s_add_u32 s0, s0, s5
	s_addc_u32 s1, 0, s1
	v_add_co_u32_e32 v2, vcc, s0, v2
	s_cmp_lg_u64 vcc, 0
	s_addc_u32 s0, s4, s1
	v_readlane_b32 s14, v48, 33
	v_readfirstlane_b32 s5, v2
	s_mul_i32 s4, s14, s0
	s_mul_hi_u32 s10, s14, s5
	s_mul_hi_u32 s1, s14, s0
	s_add_u32 s4, s10, s4
	s_addc_u32 s1, 0, s1
	s_mul_hi_u32 s11, s21, s5
	s_mul_i32 s5, s21, s5
	s_add_u32 s4, s4, s5
	s_mul_hi_u32 s10, s21, s0
	s_addc_u32 s1, s1, s11
	s_addc_u32 s4, s10, 0
	s_mul_i32 s0, s21, s0
	s_add_u32 s0, s1, s0
	s_addc_u32 s1, 0, s4
	s_mul_hi_u32 s4, s33, s0
	s_mul_i32 s0, s33, s0
	s_mul_i32 s1, s33, s1
	v_mov_b32_e32 v2, s0
	s_add_i32 s4, s4, s1
	v_sub_co_u32_e32 v2, vcc, s14, v2
	s_cmp_lg_u64 vcc, 0
	s_subb_u32 s0, s21, s4
	v_subrev_co_u32_e32 v3, vcc, s33, v2
	s_cmp_lg_u64 vcc, 0
	s_subb_u32 s1, s0, 0
	v_subrev_co_u32_e32 v4, vcc, s33, v3
	s_cmp_lg_u64 vcc, 0
	s_subb_u32 s4, s1, 0
	v_cmp_le_u32_e32 vcc, s33, v3
	s_cmp_eq_u32 s1, 0
	v_cndmask_b32_e64 v5, 0, -1, vcc
	s_cselect_b64 vcc, -1, 0
	v_cndmask_b32_e32 v5, -1, v5, vcc
	v_mov_b32_e32 v6, s1
	v_mov_b32_e32 v7, s4
	v_cmp_ne_u32_e32 vcc, 0, v5
	v_cndmask_b32_e32 v5, v6, v7, vcc
	v_cndmask_b32_e32 v4, v3, v4, vcc
	v_cmp_le_u32_e32 vcc, s33, v2
	s_cmp_eq_u32 s0, 0
	v_cndmask_b32_e64 v3, 0, -1, vcc
	s_cselect_b64 vcc, -1, 0
	v_cndmask_b32_e32 v3, -1, v3, vcc
	v_mov_b32_e32 v6, s0
	v_cmp_ne_u32_e32 vcc, 0, v3
	v_cndmask_b32_e32 v3, v6, v5, vcc
	v_cndmask_b32_e32 v2, v2, v4, vcc
	s_cbranch_execnz .LBB120_288
.LBB120_287:                            ;   in Loop: Header=BB120_6 Depth=1
	v_cvt_f32_u32_e32 v2, s33
	s_sub_i32 s0, 0, s33
	v_rcp_iflag_f32_e32 v2, v2
	v_mul_f32_e32 v2, 0x4f7ffffe, v2
	v_cvt_u32_f32_e32 v2, v2
	v_mul_lo_u32 v3, s0, v2
	v_mul_hi_u32 v3, v2, v3
	v_add_u32_e32 v2, v2, v3
	v_readlane_b32 s0, v48, 33
	v_mul_hi_u32 v2, s0, v2
	v_mul_lo_u32 v2, v2, s33
	v_sub_u32_e32 v2, s0, v2
	v_subrev_u32_e32 v3, s33, v2
	v_cmp_le_u32_e32 vcc, s33, v2
	v_cndmask_b32_e32 v2, v2, v3, vcc
	v_subrev_u32_e32 v3, s33, v2
	v_cmp_le_u32_e32 vcc, s33, v2
	v_cndmask_b32_e32 v14, v2, v3, vcc
	v_pk_mov_b32 v[2:3], v[14:15], v[14:15] op_sel:[0,1]
.LBB120_288:                            ;   in Loop: Header=BB120_6 Depth=1
	v_readlane_b32 s0, v48, 35
	v_readlane_b32 s1, v48, 36
	;; [unrolled: 1-line block ×3, first 2 shown]
	v_mov_b32_e32 v4, s1
	v_sub_co_u32_e32 v2, vcc, s0, v2
	v_subb_co_u32_e32 v3, vcc, v4, v3, vcc
	v_cmp_gt_u64_e32 vcc, v[2:3], v[0:1]
	s_mov_b64 s[10:11], 0
                                        ; implicit-def: $vgpr39
	s_and_saveexec_b64 s[4:5], vcc
	s_cbranch_execz .LBB120_296
; %bb.289:                              ;   in Loop: Header=BB120_6 Depth=1
	v_pk_mov_b32 v[4:5], v[12:13], v[12:13] op_sel:[0,1]
	v_pk_mov_b32 v[6:7], v[0:1], v[0:1] op_sel:[0,1]
                                        ; implicit-def: $sgpr14_sgpr15
	s_branch .LBB120_291
.LBB120_290:                            ;   in Loop: Header=BB120_291 Depth=2
	s_or_b64 exec, exec, s[20:21]
	s_waitcnt lgkmcnt(0)
	s_barrier
	ds_read_u16 v8, v15 offset:3072
	v_mov_b32_e32 v9, s86
	v_add_co_u32_e32 v6, vcc, s33, v6
	v_addc_co_u32_e32 v7, vcc, v7, v9, vcc
	s_waitcnt lgkmcnt(0)
	v_cmp_ne_u16_sdwa s[0:1], v8, v15 src0_sel:BYTE_0 src1_sel:DWORD
	v_cmp_ge_u64_e32 vcc, v[6:7], v[2:3]
	s_or_b64 s[20:21], vcc, s[0:1]
	s_and_b64 s[20:21], exec, s[20:21]
	s_or_b64 s[10:11], s[20:21], s[10:11]
	v_mov_b32_e32 v9, s87
	v_add_co_u32_e32 v4, vcc, s84, v4
	s_andn2_b64 s[14:15], s[14:15], exec
	s_and_b64 s[0:1], s[0:1], exec
	v_addc_co_u32_e32 v5, vcc, v5, v9, vcc
	s_or_b64 s[14:15], s[14:15], s[0:1]
	s_barrier
	s_andn2_b64 exec, exec, s[10:11]
	s_cbranch_execz .LBB120_295
.LBB120_291:                            ;   Parent Loop BB120_6 Depth=1
                                        ; =>  This Inner Loop Header: Depth=2
	v_cmp_gt_u64_e32 vcc, s[56:57], v[6:7]
	v_mov_b32_e32 v8, 0
	s_and_saveexec_b64 s[20:21], vcc
	s_cbranch_execz .LBB120_293
; %bb.292:                              ;   in Loop: Header=BB120_291 Depth=2
	global_load_ubyte v8, v[4:5], off
.LBB120_293:                            ;   in Loop: Header=BB120_291 Depth=2
	s_or_b64 exec, exec, s[20:21]
	s_waitcnt vmcnt(0)
	v_and_b32_e32 v9, v8, v37
	v_cmp_eq_u32_sdwa s[0:1], v9, v38 src0_sel:BYTE_0 src1_sel:DWORD
	s_and_b64 s[0:1], vcc, s[0:1]
	s_and_saveexec_b64 s[20:21], s[0:1]
	s_cbranch_execz .LBB120_290
; %bb.294:                              ;   in Loop: Header=BB120_291 Depth=2
	v_lshlrev_b16_e32 v8, 8, v8
	v_or_b32_e32 v8, 1, v8
	ds_write_b16 v15, v8 offset:3072
	s_branch .LBB120_290
.LBB120_295:                            ;   in Loop: Header=BB120_6 Depth=1
	s_or_b64 exec, exec, s[10:11]
	v_lshrrev_b16_e32 v39, 8, v8
	s_and_b64 s[10:11], s[14:15], exec
.LBB120_296:                            ;   in Loop: Header=BB120_6 Depth=1
	s_or_b64 exec, exec, s[4:5]
	s_mov_b64 s[38:39], 0
	s_mov_b64 s[14:15], -1
	s_mov_b64 s[20:21], 0
.LBB120_297:                            ;   in Loop: Header=BB120_6 Depth=1
	s_orn2_b64 s[4:5], s[10:11], exec
.LBB120_298:                            ;   in Loop: Header=BB120_6 Depth=1
	s_or_b64 exec, exec, s[8:9]
                                        ; implicit-def: $vgpr6
                                        ; implicit-def: $vgpr2_vgpr3
                                        ; implicit-def: $vgpr28
                                        ; implicit-def: $vgpr29
                                        ; implicit-def: $vgpr30
	s_and_saveexec_b64 s[34:35], s[4:5]
	s_cbranch_execz .LBB120_455
; %bb.299:                              ;   in Loop: Header=BB120_6 Depth=1
	v_mov_b32_e32 v2, 1
	s_xor_b64 s[0:1], s[6:7], -1
	s_mov_b64 s[6:7], 0
	v_mov_b32_e32 v3, 0
	v_mov_b32_e32 v6, 1
	s_and_saveexec_b64 s[4:5], s[0:1]
	s_cbranch_execz .LBB120_309
; %bb.300:                              ;   in Loop: Header=BB120_6 Depth=1
	v_cmp_ge_u64_e32 vcc, s[24:25], v[26:27]
                                        ; implicit-def: $sgpr0
                                        ; implicit-def: $sgpr6_sgpr7
	s_and_saveexec_b64 s[8:9], vcc
	s_xor_b64 s[8:9], exec, s[8:9]
	s_cbranch_execz .LBB120_306
; %bb.301:                              ;   in Loop: Header=BB120_6 Depth=1
	ds_read_b64 v[2:3], v15 offset:5120
	s_waitcnt lgkmcnt(0)
	v_cmp_ne_u64_e32 vcc, 0, v[2:3]
	s_cbranch_vccnz .LBB120_305
; %bb.302:                              ;   in Loop: Header=BB120_6 Depth=1
	s_mov_b64 s[6:7], exec
	v_readlane_b32 s0, v48, 8
	v_readlane_b32 s1, v48, 9
	s_and_b64 s[0:1], s[6:7], s[0:1]
	s_mov_b64 exec, s[0:1]
	s_cbranch_execz .LBB120_304
; %bb.303:                              ;   in Loop: Header=BB120_6 Depth=1
	v_pk_mov_b32 v[2:3], s[24:25], s[24:25] op_sel:[0,1]
	ds_write_b64 v15, v[2:3] offset:5128
.LBB120_304:                            ;   in Loop: Header=BB120_6 Depth=1
	s_or_b64 exec, exec, s[6:7]
	s_waitcnt lgkmcnt(0)
	s_barrier
.LBB120_305:                            ;   in Loop: Header=BB120_6 Depth=1
	v_or_b32_e32 v38, s78, v38
	v_or_b32_e32 v37, s78, v37
	s_mov_b64 s[6:7], 0
	s_mov_b32 s0, 5
.LBB120_306:                            ;   in Loop: Header=BB120_6 Depth=1
	s_or_saveexec_b64 s[8:9], s[8:9]
	v_mov_b32_e32 v6, s0
	s_xor_b64 exec, exec, s[8:9]
; %bb.307:                              ;   in Loop: Header=BB120_6 Depth=1
	v_mov_b32_e32 v2, s25
	v_subrev_co_u32_e32 v26, vcc, s24, v26
	v_subb_co_u32_e32 v27, vcc, v27, v2, vcc
	v_mov_b32_e32 v6, 0
	s_or_b64 s[6:7], s[6:7], exec
; %bb.308:                              ;   in Loop: Header=BB120_6 Depth=1
	s_or_b64 exec, exec, s[8:9]
	s_and_b64 s[6:7], s[6:7], exec
	v_pk_mov_b32 v[2:3], v[26:27], v[26:27] op_sel:[0,1]
.LBB120_309:                            ;   in Loop: Header=BB120_6 Depth=1
	s_or_b64 exec, exec, s[4:5]
	s_mov_b64 s[24:25], -1
                                        ; implicit-def: $sgpr4_sgpr5
                                        ; implicit-def: $sgpr8_sgpr9
                                        ; implicit-def: $sgpr10_sgpr11
	s_and_saveexec_b64 s[0:1], s[6:7]
	s_xor_b64 s[6:7], exec, s[0:1]
	s_cbranch_execz .LBB120_452
; %bb.310:                              ;   in Loop: Header=BB120_6 Depth=1
	s_cmp_eq_u64 s[22:23], 1
	s_cselect_b64 s[0:1], -1, 0
	v_cmp_eq_u64_e32 vcc, 1, v[2:3]
	s_and_b64 s[8:9], s[0:1], vcc
	s_mov_b64 s[4:5], -1
                                        ; implicit-def: $sgpr24_sgpr25
                                        ; implicit-def: $sgpr36_sgpr37
                                        ; implicit-def: $sgpr40_sgpr41
	s_and_saveexec_b64 s[42:43], s[8:9]
	s_cbranch_execz .LBB120_342
; %bb.311:                              ;   in Loop: Header=BB120_6 Depth=1
	ds_read_b64 v[4:5], v15 offset:5120
	s_waitcnt lgkmcnt(0)
	s_barrier
	v_readfirstlane_b32 s4, v4
	v_readfirstlane_b32 s5, v5
	s_mov_b64 s[10:11], exec
	v_readlane_b32 s0, v48, 28
	v_readlane_b32 s1, v48, 29
	s_and_b64 s[0:1], s[10:11], s[0:1]
	s_mov_b64 exec, s[0:1]
	s_cbranch_execz .LBB120_313
; %bb.312:                              ;   in Loop: Header=BB120_6 Depth=1
	ds_write_b8 v0, v15 offset:3072
.LBB120_313:                            ;   in Loop: Header=BB120_6 Depth=1
	s_or_b64 exec, exec, s[10:11]
	v_and_b32_e32 v4, s92, v38
	v_lshl_or_b32 v38, 2, s93, v4
	v_or_b32_e32 v37, s78, v37
	s_cmp_eq_u64 s[4:5], 0
	s_waitcnt lgkmcnt(0)
	s_barrier
	s_cbranch_scc1 .LBB120_326
; %bb.314:                              ;   in Loop: Header=BB120_6 Depth=1
	v_readlane_b32 s0, v48, 32
	s_add_u32 s0, s0, s4
	v_readlane_b32 s1, v48, 34
	s_addc_u32 s11, s1, s5
	s_mov_b32 s10, s79
	s_cmp_lg_u64 s[10:11], 0
	s_cbranch_scc0 .LBB120_368
; %bb.315:                              ;   in Loop: Header=BB120_6 Depth=1
	v_cvt_f32_u32_e32 v4, s33
	s_sub_u32 s1, 0, s33
	s_subb_u32 s10, 0, 0
	v_mac_f32_e32 v4, 0, v36
	v_rcp_f32_e32 v4, v4
	v_mul_f32_e32 v4, 0x5f7ffffc, v4
	v_mul_f32_e32 v5, 0x2f800000, v4
	v_trunc_f32_e32 v5, v5
	v_mac_f32_e32 v4, 0xcf800000, v5
	v_cvt_u32_f32_e32 v5, v5
	v_cvt_u32_f32_e32 v4, v4
	v_readfirstlane_b32 s24, v5
	v_readfirstlane_b32 s25, v4
	s_mul_i32 s36, s1, s24
	s_mul_hi_u32 s40, s1, s25
	s_mul_i32 s37, s10, s25
	s_add_i32 s36, s40, s36
	s_mul_i32 s41, s1, s25
	s_add_i32 s36, s36, s37
	s_mul_hi_u32 s40, s25, s41
	s_mul_hi_u32 s37, s25, s36
	s_mul_i32 s25, s25, s36
	s_add_u32 s25, s40, s25
	s_addc_u32 s37, 0, s37
	s_mul_hi_u32 s44, s24, s41
	s_mul_i32 s41, s24, s41
	s_add_u32 s25, s25, s41
	s_mul_hi_u32 s40, s24, s36
	s_addc_u32 s25, s37, s44
	s_addc_u32 s37, s40, 0
	s_mul_i32 s36, s24, s36
	s_add_u32 s25, s25, s36
	s_addc_u32 s36, 0, s37
	v_add_co_u32_e32 v4, vcc, s25, v4
	s_cmp_lg_u64 vcc, 0
	s_addc_u32 s24, s24, s36
	v_readfirstlane_b32 s36, v4
	s_mul_i32 s25, s1, s24
	s_mul_hi_u32 s37, s1, s36
	s_add_i32 s25, s37, s25
	s_mul_i32 s10, s10, s36
	s_add_i32 s25, s25, s10
	s_mul_i32 s1, s1, s36
	s_mul_hi_u32 s37, s24, s1
	s_mul_i32 s40, s24, s1
	s_mul_i32 s44, s36, s25
	s_mul_hi_u32 s1, s36, s1
	s_mul_hi_u32 s41, s36, s25
	s_add_u32 s1, s1, s44
	s_addc_u32 s36, 0, s41
	s_add_u32 s1, s1, s40
	s_mul_hi_u32 s10, s24, s25
	s_addc_u32 s1, s36, s37
	s_addc_u32 s10, s10, 0
	s_mul_i32 s25, s24, s25
	s_add_u32 s1, s1, s25
	s_addc_u32 s10, 0, s10
	v_add_co_u32_e32 v4, vcc, s1, v4
	s_cmp_lg_u64 vcc, 0
	s_addc_u32 s1, s24, s10
	v_readfirstlane_b32 s25, v4
	s_mul_i32 s24, s0, s1
	s_mul_hi_u32 s36, s0, s25
	s_mul_hi_u32 s10, s0, s1
	s_add_u32 s24, s36, s24
	s_addc_u32 s10, 0, s10
	s_mul_hi_u32 s37, s11, s25
	s_mul_i32 s25, s11, s25
	s_add_u32 s24, s24, s25
	s_mul_hi_u32 s36, s11, s1
	s_addc_u32 s10, s10, s37
	s_addc_u32 s24, s36, 0
	s_mul_i32 s1, s11, s1
	s_add_u32 s1, s10, s1
	s_addc_u32 s10, 0, s24
	s_mul_hi_u32 s24, s33, s1
	s_mul_i32 s1, s33, s1
	s_mul_i32 s10, s33, s10
	v_mov_b32_e32 v4, s1
	s_add_i32 s24, s24, s10
	v_sub_co_u32_e32 v4, vcc, s0, v4
	s_cmp_lg_u64 vcc, 0
	s_subb_u32 s1, s11, s24
	v_subrev_co_u32_e32 v5, vcc, s33, v4
	s_cmp_lg_u64 vcc, 0
	s_subb_u32 s10, s1, 0
	v_subrev_co_u32_e32 v6, vcc, s33, v5
	s_cmp_lg_u64 vcc, 0
	s_subb_u32 s24, s10, 0
	v_cmp_le_u32_e32 vcc, s33, v5
	s_cmp_eq_u32 s10, 0
	v_cndmask_b32_e64 v7, 0, -1, vcc
	s_cselect_b64 vcc, -1, 0
	v_cndmask_b32_e32 v7, -1, v7, vcc
	v_mov_b32_e32 v8, s10
	v_mov_b32_e32 v9, s24
	v_cmp_ne_u32_e32 vcc, 0, v7
	v_cndmask_b32_e32 v7, v8, v9, vcc
	v_cndmask_b32_e32 v6, v5, v6, vcc
	v_cmp_le_u32_e32 vcc, s33, v4
	s_cmp_eq_u32 s1, 0
	v_cndmask_b32_e64 v5, 0, -1, vcc
	s_cselect_b64 vcc, -1, 0
	v_cndmask_b32_e32 v5, -1, v5, vcc
	v_mov_b32_e32 v8, s1
	v_cmp_ne_u32_e32 vcc, 0, v5
	v_cndmask_b32_e32 v5, v8, v7, vcc
	v_cndmask_b32_e32 v4, v4, v6, vcc
	s_cbranch_execnz .LBB120_317
.LBB120_316:                            ;   in Loop: Header=BB120_6 Depth=1
	v_cvt_f32_u32_e32 v4, s33
	s_sub_i32 s1, 0, s33
	v_rcp_iflag_f32_e32 v4, v4
	v_mul_f32_e32 v4, 0x4f7ffffe, v4
	v_cvt_u32_f32_e32 v4, v4
	v_mul_lo_u32 v5, s1, v4
	v_mul_hi_u32 v5, v4, v5
	v_add_u32_e32 v4, v4, v5
	v_mul_hi_u32 v4, s0, v4
	v_mul_lo_u32 v4, v4, s33
	v_sub_u32_e32 v4, s0, v4
	v_subrev_u32_e32 v5, s33, v4
	v_cmp_le_u32_e32 vcc, s33, v4
	v_cndmask_b32_e32 v4, v4, v5, vcc
	v_subrev_u32_e32 v5, s33, v4
	v_cmp_le_u32_e32 vcc, s33, v4
	v_cndmask_b32_e32 v14, v4, v5, vcc
	v_pk_mov_b32 v[4:5], v[14:15], v[14:15] op_sel:[0,1]
.LBB120_317:                            ;   in Loop: Header=BB120_6 Depth=1
	v_mov_b32_e32 v6, s11
	v_sub_co_u32_e32 v4, vcc, s0, v4
	v_subb_co_u32_e32 v5, vcc, v6, v5, vcc
	v_cmp_gt_u64_e32 vcc, v[4:5], v[0:1]
	s_mov_b64 s[10:11], 0
                                        ; implicit-def: $vgpr39
	s_and_saveexec_b64 s[24:25], vcc
	s_cbranch_execz .LBB120_328
; %bb.318:                              ;   in Loop: Header=BB120_6 Depth=1
	v_mov_b32_e32 v8, v0
	v_pk_mov_b32 v[6:7], v[0:1], v[0:1] op_sel:[0,1]
                                        ; implicit-def: $sgpr36_sgpr37
	s_branch .LBB120_320
.LBB120_319:                            ;   in Loop: Header=BB120_320 Depth=2
	s_or_b64 exec, exec, s[40:41]
	s_waitcnt lgkmcnt(0)
	s_barrier
	ds_read_u16 v9, v15 offset:3072
	v_mov_b32_e32 v14, s86
	v_add_co_u32_e32 v6, vcc, s33, v6
	v_addc_co_u32_e32 v7, vcc, v7, v14, vcc
	s_waitcnt lgkmcnt(0)
	v_cmp_ne_u16_sdwa s[0:1], v9, v15 src0_sel:BYTE_0 src1_sel:DWORD
	v_cmp_ge_u64_e32 vcc, v[6:7], v[4:5]
	s_or_b64 s[40:41], vcc, s[0:1]
	s_and_b64 s[40:41], exec, s[40:41]
	s_or_b64 s[10:11], s[40:41], s[10:11]
	s_andn2_b64 s[36:37], s[36:37], exec
	s_and_b64 s[0:1], s[0:1], exec
	v_add_u32_e32 v8, s33, v8
	s_or_b64 s[36:37], s[36:37], s[0:1]
	s_barrier
	s_andn2_b64 exec, exec, s[10:11]
	s_cbranch_execz .LBB120_327
.LBB120_320:                            ;   Parent Loop BB120_6 Depth=1
                                        ; =>  This Inner Loop Header: Depth=2
	v_cmp_gt_u64_e32 vcc, s[4:5], v[6:7]
	v_mov_b32_e32 v9, 0
	s_and_saveexec_b64 s[40:41], vcc
	s_cbranch_execz .LBB120_322
; %bb.321:                              ;   in Loop: Header=BB120_320 Depth=2
	ds_read_u8 v9, v8
.LBB120_322:                            ;   in Loop: Header=BB120_320 Depth=2
	s_or_b64 exec, exec, s[40:41]
	s_waitcnt lgkmcnt(0)
	v_and_b32_e32 v14, v9, v37
	v_cmp_eq_u32_sdwa s[0:1], v14, v38 src0_sel:BYTE_0 src1_sel:DWORD
	s_and_b64 s[0:1], vcc, s[0:1]
	s_and_saveexec_b64 s[40:41], s[0:1]
	s_cbranch_execz .LBB120_319
; %bb.323:                              ;   in Loop: Header=BB120_320 Depth=2
	v_lshlrev_b16_e32 v9, 8, v9
	v_or_b32_e32 v9, 1, v9
	ds_write_b16 v15, v9 offset:3072
	s_branch .LBB120_319
.LBB120_324:                            ;   in Loop: Header=BB120_6 Depth=1
                                        ; implicit-def: $vgpr2_vgpr3
	s_branch .LBB120_274
.LBB120_325:                            ;   in Loop: Header=BB120_6 Depth=1
                                        ; implicit-def: $vgpr2_vgpr3
	s_branch .LBB120_287
.LBB120_326:                            ;   in Loop: Header=BB120_6 Depth=1
	s_mov_b64 s[24:25], -1
	s_mov_b64 s[10:11], 0
                                        ; implicit-def: $sgpr36_sgpr37
                                        ; implicit-def: $vgpr39
	s_mov_b64 s[40:41], s[24:25]
	s_cbranch_execnz .LBB120_329
	s_branch .LBB120_341
.LBB120_327:                            ;   in Loop: Header=BB120_6 Depth=1
	s_or_b64 exec, exec, s[10:11]
	v_lshrrev_b16_e32 v39, 8, v9
	s_and_b64 s[10:11], s[36:37], exec
.LBB120_328:                            ;   in Loop: Header=BB120_6 Depth=1
	s_or_b64 exec, exec, s[24:25]
	s_mov_b64 s[24:25], 0
	s_mov_b64 s[36:37], -1
	s_mov_b64 s[40:41], s[24:25]
	s_branch .LBB120_341
.LBB120_329:                            ;   in Loop: Header=BB120_6 Depth=1
	v_readlane_b32 s36, v48, 35
	v_readlane_b32 s37, v48, 36
	s_mov_b32 s36, s79
	s_cmp_lg_u64 s[36:37], 0
	v_writelane_b32 v48, s36, 35
	v_writelane_b32 v48, s37, 36
	s_cbranch_scc0 .LBB120_369
; %bb.330:                              ;   in Loop: Header=BB120_6 Depth=1
	v_cvt_f32_u32_e32 v4, s33
	s_sub_u32 s0, 0, s33
	s_subb_u32 s1, 0, 0
	v_mac_f32_e32 v4, 0, v36
	v_rcp_f32_e32 v4, v4
	v_mul_f32_e32 v4, 0x5f7ffffc, v4
	v_mul_f32_e32 v5, 0x2f800000, v4
	v_trunc_f32_e32 v5, v5
	v_mac_f32_e32 v4, 0xcf800000, v5
	v_cvt_u32_f32_e32 v5, v5
	v_cvt_u32_f32_e32 v4, v4
	v_readfirstlane_b32 s4, v5
	v_readfirstlane_b32 s5, v4
	s_mul_i32 s10, s0, s4
	s_mul_hi_u32 s24, s0, s5
	s_mul_i32 s11, s1, s5
	s_add_i32 s10, s24, s10
	s_mul_i32 s25, s0, s5
	s_add_i32 s10, s10, s11
	s_mul_hi_u32 s24, s5, s25
	s_mul_hi_u32 s11, s5, s10
	s_mul_i32 s5, s5, s10
	s_add_u32 s5, s24, s5
	s_addc_u32 s11, 0, s11
	s_mul_hi_u32 s36, s4, s25
	s_mul_i32 s25, s4, s25
	s_add_u32 s5, s5, s25
	s_mul_hi_u32 s24, s4, s10
	s_addc_u32 s5, s11, s36
	s_addc_u32 s11, s24, 0
	s_mul_i32 s10, s4, s10
	s_add_u32 s5, s5, s10
	s_addc_u32 s10, 0, s11
	v_add_co_u32_e32 v4, vcc, s5, v4
	s_cmp_lg_u64 vcc, 0
	s_addc_u32 s4, s4, s10
	v_readfirstlane_b32 s10, v4
	s_mul_i32 s5, s0, s4
	s_mul_hi_u32 s11, s0, s10
	s_add_i32 s5, s11, s5
	s_mul_i32 s1, s1, s10
	s_add_i32 s5, s5, s1
	s_mul_i32 s0, s0, s10
	s_mul_hi_u32 s11, s4, s0
	s_mul_i32 s24, s4, s0
	s_mul_i32 s36, s10, s5
	s_mul_hi_u32 s0, s10, s0
	s_mul_hi_u32 s25, s10, s5
	s_add_u32 s0, s0, s36
	s_addc_u32 s10, 0, s25
	s_add_u32 s0, s0, s24
	s_mul_hi_u32 s1, s4, s5
	s_addc_u32 s0, s10, s11
	s_addc_u32 s1, s1, 0
	s_mul_i32 s5, s4, s5
	s_add_u32 s0, s0, s5
	s_addc_u32 s1, 0, s1
	v_add_co_u32_e32 v4, vcc, s0, v4
	s_cmp_lg_u64 vcc, 0
	s_addc_u32 s0, s4, s1
	v_readlane_b32 s24, v48, 33
	v_readfirstlane_b32 s5, v4
	s_mul_i32 s4, s24, s0
	s_mul_hi_u32 s10, s24, s5
	s_mul_hi_u32 s1, s24, s0
	s_add_u32 s4, s10, s4
	s_addc_u32 s1, 0, s1
	s_mul_hi_u32 s11, s37, s5
	s_mul_i32 s5, s37, s5
	s_add_u32 s4, s4, s5
	s_mul_hi_u32 s10, s37, s0
	s_addc_u32 s1, s1, s11
	s_addc_u32 s4, s10, 0
	s_mul_i32 s0, s37, s0
	s_add_u32 s0, s1, s0
	s_addc_u32 s1, 0, s4
	s_mul_hi_u32 s4, s33, s0
	s_mul_i32 s0, s33, s0
	s_mul_i32 s1, s33, s1
	v_mov_b32_e32 v4, s0
	s_add_i32 s4, s4, s1
	v_sub_co_u32_e32 v4, vcc, s24, v4
	s_cmp_lg_u64 vcc, 0
	s_subb_u32 s0, s37, s4
	v_subrev_co_u32_e32 v5, vcc, s33, v4
	s_cmp_lg_u64 vcc, 0
	s_subb_u32 s1, s0, 0
	v_subrev_co_u32_e32 v6, vcc, s33, v5
	s_cmp_lg_u64 vcc, 0
	s_subb_u32 s4, s1, 0
	v_cmp_le_u32_e32 vcc, s33, v5
	s_cmp_eq_u32 s1, 0
	v_cndmask_b32_e64 v7, 0, -1, vcc
	s_cselect_b64 vcc, -1, 0
	v_cndmask_b32_e32 v7, -1, v7, vcc
	v_mov_b32_e32 v8, s1
	v_mov_b32_e32 v9, s4
	v_cmp_ne_u32_e32 vcc, 0, v7
	v_cndmask_b32_e32 v7, v8, v9, vcc
	v_cndmask_b32_e32 v6, v5, v6, vcc
	v_cmp_le_u32_e32 vcc, s33, v4
	s_cmp_eq_u32 s0, 0
	v_cndmask_b32_e64 v5, 0, -1, vcc
	s_cselect_b64 vcc, -1, 0
	v_cndmask_b32_e32 v5, -1, v5, vcc
	v_mov_b32_e32 v8, s0
	v_cmp_ne_u32_e32 vcc, 0, v5
	v_cndmask_b32_e32 v5, v8, v7, vcc
	v_cndmask_b32_e32 v4, v4, v6, vcc
	s_cbranch_execnz .LBB120_332
.LBB120_331:                            ;   in Loop: Header=BB120_6 Depth=1
	v_cvt_f32_u32_e32 v4, s33
	s_sub_i32 s0, 0, s33
	v_rcp_iflag_f32_e32 v4, v4
	v_mul_f32_e32 v4, 0x4f7ffffe, v4
	v_cvt_u32_f32_e32 v4, v4
	v_mul_lo_u32 v5, s0, v4
	v_mul_hi_u32 v5, v4, v5
	v_add_u32_e32 v4, v4, v5
	v_readlane_b32 s0, v48, 33
	v_mul_hi_u32 v4, s0, v4
	v_mul_lo_u32 v4, v4, s33
	v_sub_u32_e32 v4, s0, v4
	v_subrev_u32_e32 v5, s33, v4
	v_cmp_le_u32_e32 vcc, s33, v4
	v_cndmask_b32_e32 v4, v4, v5, vcc
	v_subrev_u32_e32 v5, s33, v4
	v_cmp_le_u32_e32 vcc, s33, v4
	v_cndmask_b32_e32 v14, v4, v5, vcc
	v_pk_mov_b32 v[4:5], v[14:15], v[14:15] op_sel:[0,1]
.LBB120_332:                            ;   in Loop: Header=BB120_6 Depth=1
	v_readlane_b32 s0, v48, 35
	v_readlane_b32 s1, v48, 36
	v_readlane_b32 s0, v48, 33
	v_mov_b32_e32 v6, s1
	v_sub_co_u32_e32 v4, vcc, s0, v4
	v_subb_co_u32_e32 v5, vcc, v6, v5, vcc
	v_cmp_gt_u64_e32 vcc, v[4:5], v[0:1]
	s_mov_b64 s[10:11], 0
                                        ; implicit-def: $vgpr39
	s_and_saveexec_b64 s[4:5], vcc
	s_cbranch_execz .LBB120_340
; %bb.333:                              ;   in Loop: Header=BB120_6 Depth=1
	v_pk_mov_b32 v[6:7], v[12:13], v[12:13] op_sel:[0,1]
	v_pk_mov_b32 v[8:9], v[0:1], v[0:1] op_sel:[0,1]
                                        ; implicit-def: $sgpr24_sgpr25
	s_branch .LBB120_335
.LBB120_334:                            ;   in Loop: Header=BB120_335 Depth=2
	s_or_b64 exec, exec, s[36:37]
	s_waitcnt lgkmcnt(0)
	s_barrier
	ds_read_u16 v14, v15 offset:3072
	v_mov_b32_e32 v26, s86
	v_add_co_u32_e32 v8, vcc, s33, v8
	v_addc_co_u32_e32 v9, vcc, v9, v26, vcc
	s_waitcnt lgkmcnt(0)
	v_cmp_ne_u16_sdwa s[0:1], v14, v15 src0_sel:BYTE_0 src1_sel:DWORD
	v_cmp_ge_u64_e32 vcc, v[8:9], v[4:5]
	s_or_b64 s[36:37], vcc, s[0:1]
	s_and_b64 s[36:37], exec, s[36:37]
	s_or_b64 s[10:11], s[36:37], s[10:11]
	v_mov_b32_e32 v26, s87
	v_add_co_u32_e32 v6, vcc, s84, v6
	s_andn2_b64 s[24:25], s[24:25], exec
	s_and_b64 s[0:1], s[0:1], exec
	v_addc_co_u32_e32 v7, vcc, v7, v26, vcc
	s_or_b64 s[24:25], s[24:25], s[0:1]
	s_barrier
	s_andn2_b64 exec, exec, s[10:11]
	s_cbranch_execz .LBB120_339
.LBB120_335:                            ;   Parent Loop BB120_6 Depth=1
                                        ; =>  This Inner Loop Header: Depth=2
	v_cmp_gt_u64_e32 vcc, s[56:57], v[8:9]
	v_mov_b32_e32 v14, 0
	s_and_saveexec_b64 s[36:37], vcc
	s_cbranch_execz .LBB120_337
; %bb.336:                              ;   in Loop: Header=BB120_335 Depth=2
	global_load_ubyte v14, v[6:7], off
.LBB120_337:                            ;   in Loop: Header=BB120_335 Depth=2
	s_or_b64 exec, exec, s[36:37]
	s_waitcnt vmcnt(0)
	v_and_b32_e32 v26, v14, v37
	v_cmp_eq_u32_sdwa s[0:1], v26, v38 src0_sel:BYTE_0 src1_sel:DWORD
	s_and_b64 s[0:1], vcc, s[0:1]
	s_and_saveexec_b64 s[36:37], s[0:1]
	s_cbranch_execz .LBB120_334
; %bb.338:                              ;   in Loop: Header=BB120_335 Depth=2
	v_lshlrev_b16_e32 v14, 8, v14
	v_or_b32_e32 v14, 1, v14
	ds_write_b16 v15, v14 offset:3072
	s_branch .LBB120_334
.LBB120_339:                            ;   in Loop: Header=BB120_6 Depth=1
	s_or_b64 exec, exec, s[10:11]
	v_lshrrev_b16_e32 v39, 8, v14
	s_and_b64 s[10:11], s[24:25], exec
.LBB120_340:                            ;   in Loop: Header=BB120_6 Depth=1
	s_or_b64 exec, exec, s[4:5]
	s_mov_b64 s[36:37], 0
	s_mov_b64 s[24:25], -1
	s_mov_b64 s[40:41], 0
.LBB120_341:                            ;   in Loop: Header=BB120_6 Depth=1
	s_orn2_b64 s[4:5], s[10:11], exec
.LBB120_342:                            ;   in Loop: Header=BB120_6 Depth=1
	s_or_b64 exec, exec, s[42:43]
	s_mov_b64 s[44:45], 0
                                        ; implicit-def: $vgpr6
	s_and_saveexec_b64 s[42:43], s[4:5]
	s_cbranch_execz .LBB120_451
; %bb.343:                              ;   in Loop: Header=BB120_6 Depth=1
	v_mov_b32_e32 v4, 1
	s_xor_b64 s[0:1], s[8:9], -1
	v_mov_b32_e32 v5, 0
	v_mov_b32_e32 v6, 1
	s_and_saveexec_b64 s[4:5], s[0:1]
	s_cbranch_execz .LBB120_353
; %bb.344:                              ;   in Loop: Header=BB120_6 Depth=1
	v_cmp_ge_u64_e32 vcc, s[22:23], v[2:3]
                                        ; implicit-def: $sgpr0
                                        ; implicit-def: $sgpr8_sgpr9
	s_and_saveexec_b64 s[10:11], vcc
	s_xor_b64 s[10:11], exec, s[10:11]
	s_cbranch_execz .LBB120_350
; %bb.345:                              ;   in Loop: Header=BB120_6 Depth=1
	ds_read_b64 v[4:5], v15 offset:5120
	s_waitcnt lgkmcnt(0)
	v_cmp_ne_u64_e32 vcc, 0, v[4:5]
	s_cbranch_vccnz .LBB120_349
; %bb.346:                              ;   in Loop: Header=BB120_6 Depth=1
	s_mov_b64 s[8:9], exec
	v_readlane_b32 s0, v48, 8
	v_readlane_b32 s1, v48, 9
	s_and_b64 s[0:1], s[8:9], s[0:1]
	s_mov_b64 exec, s[0:1]
	s_cbranch_execz .LBB120_348
; %bb.347:                              ;   in Loop: Header=BB120_6 Depth=1
	v_pk_mov_b32 v[4:5], s[22:23], s[22:23] op_sel:[0,1]
	ds_write_b64 v15, v[4:5] offset:5128
.LBB120_348:                            ;   in Loop: Header=BB120_6 Depth=1
	s_or_b64 exec, exec, s[8:9]
	s_waitcnt lgkmcnt(0)
	s_barrier
.LBB120_349:                            ;   in Loop: Header=BB120_6 Depth=1
	v_and_b32_e32 v4, s92, v38
	v_lshl_or_b32 v38, 2, s93, v4
	v_or_b32_e32 v37, s78, v37
	s_mov_b64 s[8:9], 0
	s_mov_b32 s0, 5
.LBB120_350:                            ;   in Loop: Header=BB120_6 Depth=1
	s_or_saveexec_b64 s[10:11], s[10:11]
	v_mov_b32_e32 v6, s0
	s_xor_b64 exec, exec, s[10:11]
; %bb.351:                              ;   in Loop: Header=BB120_6 Depth=1
	v_mov_b32_e32 v4, s23
	v_subrev_co_u32_e32 v2, vcc, s22, v2
	v_subb_co_u32_e32 v3, vcc, v3, v4, vcc
	v_mov_b32_e32 v6, 0
	s_or_b64 s[8:9], s[8:9], exec
; %bb.352:                              ;   in Loop: Header=BB120_6 Depth=1
	s_or_b64 exec, exec, s[10:11]
	s_and_b64 s[44:45], s[8:9], exec
	v_pk_mov_b32 v[4:5], v[2:3], v[2:3] op_sel:[0,1]
.LBB120_353:                            ;   in Loop: Header=BB120_6 Depth=1
	s_or_b64 exec, exec, s[4:5]
	s_mov_b64 s[4:5], -1
                                        ; implicit-def: $sgpr8_sgpr9
                                        ; implicit-def: $sgpr10_sgpr11
                                        ; implicit-def: $sgpr48_sgpr49
	s_and_saveexec_b64 s[22:23], s[44:45]
	s_cbranch_execz .LBB120_450
; %bb.354:                              ;   in Loop: Header=BB120_6 Depth=1
	s_cmp_eq_u64 s[18:19], 1
	s_cselect_b64 s[0:1], -1, 0
	v_cmp_eq_u64_e32 vcc, 1, v[4:5]
	s_and_b64 s[50:51], s[0:1], vcc
	s_mov_b64 s[10:11], -1
                                        ; implicit-def: $sgpr8_sgpr9
                                        ; implicit-def: $sgpr44_sgpr45
                                        ; implicit-def: $sgpr46_sgpr47
	s_and_saveexec_b64 s[48:49], s[50:51]
	s_cbranch_execz .LBB120_386
; %bb.355:                              ;   in Loop: Header=BB120_6 Depth=1
	ds_read_b64 v[2:3], v15 offset:5120
	s_waitcnt lgkmcnt(0)
	s_barrier
	v_readfirstlane_b32 s4, v2
	v_readfirstlane_b32 s5, v3
	s_mov_b64 s[8:9], exec
	v_readlane_b32 s0, v48, 28
	v_readlane_b32 s1, v48, 29
	s_and_b64 s[0:1], s[8:9], s[0:1]
	s_mov_b64 exec, s[0:1]
	s_cbranch_execz .LBB120_357
; %bb.356:                              ;   in Loop: Header=BB120_6 Depth=1
	ds_write_b8 v0, v15 offset:3072
.LBB120_357:                            ;   in Loop: Header=BB120_6 Depth=1
	s_or_b64 exec, exec, s[8:9]
	v_and_b32_e32 v2, s92, v38
	v_lshl_or_b32 v38, 1, s93, v2
	v_or_b32_e32 v37, s78, v37
	s_cmp_eq_u64 s[4:5], 0
	s_waitcnt lgkmcnt(0)
	s_barrier
	s_cbranch_scc1 .LBB120_370
; %bb.358:                              ;   in Loop: Header=BB120_6 Depth=1
	v_readlane_b32 s0, v48, 32
	s_add_u32 s0, s0, s4
	v_readlane_b32 s1, v48, 34
	s_addc_u32 s9, s1, s5
	s_mov_b32 s8, s79
	s_cmp_lg_u64 s[8:9], 0
	s_cbranch_scc0 .LBB120_404
; %bb.359:                              ;   in Loop: Header=BB120_6 Depth=1
	v_cvt_f32_u32_e32 v2, s33
	s_sub_u32 s1, 0, s33
	s_subb_u32 s8, 0, 0
	v_mac_f32_e32 v2, 0, v36
	v_rcp_f32_e32 v2, v2
	v_mul_f32_e32 v2, 0x5f7ffffc, v2
	v_mul_f32_e32 v3, 0x2f800000, v2
	v_trunc_f32_e32 v3, v3
	v_mac_f32_e32 v2, 0xcf800000, v3
	v_cvt_u32_f32_e32 v3, v3
	v_cvt_u32_f32_e32 v2, v2
	v_readfirstlane_b32 s10, v3
	v_readfirstlane_b32 s11, v2
	s_mul_i32 s44, s1, s10
	s_mul_hi_u32 s46, s1, s11
	s_mul_i32 s45, s8, s11
	s_add_i32 s44, s46, s44
	s_mul_i32 s47, s1, s11
	s_add_i32 s44, s44, s45
	s_mul_hi_u32 s46, s11, s47
	s_mul_hi_u32 s45, s11, s44
	s_mul_i32 s11, s11, s44
	s_add_u32 s11, s46, s11
	s_addc_u32 s45, 0, s45
	s_mul_hi_u32 s52, s10, s47
	s_mul_i32 s47, s10, s47
	s_add_u32 s11, s11, s47
	s_mul_hi_u32 s46, s10, s44
	s_addc_u32 s11, s45, s52
	s_addc_u32 s45, s46, 0
	s_mul_i32 s44, s10, s44
	s_add_u32 s11, s11, s44
	s_addc_u32 s44, 0, s45
	v_add_co_u32_e32 v2, vcc, s11, v2
	s_cmp_lg_u64 vcc, 0
	s_addc_u32 s10, s10, s44
	v_readfirstlane_b32 s44, v2
	s_mul_i32 s11, s1, s10
	s_mul_hi_u32 s45, s1, s44
	s_add_i32 s11, s45, s11
	s_mul_i32 s8, s8, s44
	s_add_i32 s11, s11, s8
	s_mul_i32 s1, s1, s44
	s_mul_hi_u32 s45, s10, s1
	s_mul_i32 s46, s10, s1
	s_mul_i32 s52, s44, s11
	s_mul_hi_u32 s1, s44, s1
	s_mul_hi_u32 s47, s44, s11
	s_add_u32 s1, s1, s52
	s_addc_u32 s44, 0, s47
	s_add_u32 s1, s1, s46
	s_mul_hi_u32 s8, s10, s11
	s_addc_u32 s1, s44, s45
	s_addc_u32 s8, s8, 0
	s_mul_i32 s11, s10, s11
	s_add_u32 s1, s1, s11
	s_addc_u32 s8, 0, s8
	v_add_co_u32_e32 v2, vcc, s1, v2
	s_cmp_lg_u64 vcc, 0
	s_addc_u32 s1, s10, s8
	v_readfirstlane_b32 s11, v2
	s_mul_i32 s10, s0, s1
	s_mul_hi_u32 s44, s0, s11
	s_mul_hi_u32 s8, s0, s1
	s_add_u32 s10, s44, s10
	s_addc_u32 s8, 0, s8
	s_mul_hi_u32 s45, s9, s11
	s_mul_i32 s11, s9, s11
	s_add_u32 s10, s10, s11
	s_mul_hi_u32 s44, s9, s1
	s_addc_u32 s8, s8, s45
	s_addc_u32 s10, s44, 0
	s_mul_i32 s1, s9, s1
	s_add_u32 s1, s8, s1
	s_addc_u32 s8, 0, s10
	s_mul_hi_u32 s10, s33, s1
	s_mul_i32 s1, s33, s1
	s_mul_i32 s8, s33, s8
	v_mov_b32_e32 v2, s1
	s_add_i32 s10, s10, s8
	v_sub_co_u32_e32 v2, vcc, s0, v2
	s_cmp_lg_u64 vcc, 0
	s_subb_u32 s1, s9, s10
	v_subrev_co_u32_e32 v3, vcc, s33, v2
	s_cmp_lg_u64 vcc, 0
	s_subb_u32 s8, s1, 0
	v_subrev_co_u32_e32 v6, vcc, s33, v3
	s_cmp_lg_u64 vcc, 0
	s_subb_u32 s10, s8, 0
	v_cmp_le_u32_e32 vcc, s33, v3
	s_cmp_eq_u32 s8, 0
	v_cndmask_b32_e64 v7, 0, -1, vcc
	s_cselect_b64 vcc, -1, 0
	v_cndmask_b32_e32 v7, -1, v7, vcc
	v_mov_b32_e32 v8, s8
	v_mov_b32_e32 v9, s10
	v_cmp_ne_u32_e32 vcc, 0, v7
	v_cndmask_b32_e32 v7, v8, v9, vcc
	v_cndmask_b32_e32 v6, v3, v6, vcc
	v_cmp_le_u32_e32 vcc, s33, v2
	s_cmp_eq_u32 s1, 0
	v_cndmask_b32_e64 v3, 0, -1, vcc
	s_cselect_b64 vcc, -1, 0
	v_cndmask_b32_e32 v3, -1, v3, vcc
	v_mov_b32_e32 v8, s1
	v_cmp_ne_u32_e32 vcc, 0, v3
	v_cndmask_b32_e32 v3, v8, v7, vcc
	v_cndmask_b32_e32 v2, v2, v6, vcc
	s_cbranch_execnz .LBB120_361
.LBB120_360:                            ;   in Loop: Header=BB120_6 Depth=1
	v_cvt_f32_u32_e32 v2, s33
	s_sub_i32 s1, 0, s33
	v_rcp_iflag_f32_e32 v2, v2
	v_mul_f32_e32 v2, 0x4f7ffffe, v2
	v_cvt_u32_f32_e32 v2, v2
	v_mul_lo_u32 v3, s1, v2
	v_mul_hi_u32 v3, v2, v3
	v_add_u32_e32 v2, v2, v3
	v_mul_hi_u32 v2, s0, v2
	v_mul_lo_u32 v2, v2, s33
	v_sub_u32_e32 v2, s0, v2
	v_subrev_u32_e32 v3, s33, v2
	v_cmp_le_u32_e32 vcc, s33, v2
	v_cndmask_b32_e32 v2, v2, v3, vcc
	v_subrev_u32_e32 v3, s33, v2
	v_cmp_le_u32_e32 vcc, s33, v2
	v_cndmask_b32_e32 v14, v2, v3, vcc
	v_pk_mov_b32 v[2:3], v[14:15], v[14:15] op_sel:[0,1]
.LBB120_361:                            ;   in Loop: Header=BB120_6 Depth=1
	v_mov_b32_e32 v6, s9
	v_sub_co_u32_e32 v2, vcc, s0, v2
	v_subb_co_u32_e32 v3, vcc, v6, v3, vcc
	v_cmp_gt_u64_e32 vcc, v[2:3], v[0:1]
	s_mov_b64 s[10:11], 0
                                        ; implicit-def: $vgpr39
	s_and_saveexec_b64 s[8:9], vcc
	s_cbranch_execz .LBB120_372
; %bb.362:                              ;   in Loop: Header=BB120_6 Depth=1
	v_mov_b32_e32 v8, v0
	v_pk_mov_b32 v[6:7], v[0:1], v[0:1] op_sel:[0,1]
                                        ; implicit-def: $sgpr44_sgpr45
	s_branch .LBB120_364
.LBB120_363:                            ;   in Loop: Header=BB120_364 Depth=2
	s_or_b64 exec, exec, s[46:47]
	s_waitcnt lgkmcnt(0)
	s_barrier
	ds_read_u16 v9, v15 offset:3072
	v_mov_b32_e32 v14, s86
	v_add_co_u32_e32 v6, vcc, s33, v6
	v_addc_co_u32_e32 v7, vcc, v7, v14, vcc
	s_waitcnt lgkmcnt(0)
	v_cmp_ne_u16_sdwa s[0:1], v9, v15 src0_sel:BYTE_0 src1_sel:DWORD
	v_cmp_ge_u64_e32 vcc, v[6:7], v[2:3]
	s_or_b64 s[46:47], vcc, s[0:1]
	s_and_b64 s[46:47], exec, s[46:47]
	s_or_b64 s[10:11], s[46:47], s[10:11]
	s_andn2_b64 s[44:45], s[44:45], exec
	s_and_b64 s[0:1], s[0:1], exec
	v_add_u32_e32 v8, s33, v8
	s_or_b64 s[44:45], s[44:45], s[0:1]
	s_barrier
	s_andn2_b64 exec, exec, s[10:11]
	s_cbranch_execz .LBB120_371
.LBB120_364:                            ;   Parent Loop BB120_6 Depth=1
                                        ; =>  This Inner Loop Header: Depth=2
	v_cmp_gt_u64_e32 vcc, s[4:5], v[6:7]
	v_mov_b32_e32 v9, 0
	s_and_saveexec_b64 s[46:47], vcc
	s_cbranch_execz .LBB120_366
; %bb.365:                              ;   in Loop: Header=BB120_364 Depth=2
	ds_read_u8 v9, v8
.LBB120_366:                            ;   in Loop: Header=BB120_364 Depth=2
	s_or_b64 exec, exec, s[46:47]
	s_waitcnt lgkmcnt(0)
	v_and_b32_e32 v14, v9, v37
	v_cmp_eq_u32_sdwa s[0:1], v14, v38 src0_sel:BYTE_0 src1_sel:DWORD
	s_and_b64 s[0:1], vcc, s[0:1]
	s_and_saveexec_b64 s[46:47], s[0:1]
	s_cbranch_execz .LBB120_363
; %bb.367:                              ;   in Loop: Header=BB120_364 Depth=2
	v_lshlrev_b16_e32 v9, 8, v9
	v_or_b32_e32 v9, 1, v9
	ds_write_b16 v15, v9 offset:3072
	s_branch .LBB120_363
.LBB120_368:                            ;   in Loop: Header=BB120_6 Depth=1
                                        ; implicit-def: $vgpr4_vgpr5
	s_branch .LBB120_316
.LBB120_369:                            ;   in Loop: Header=BB120_6 Depth=1
                                        ; implicit-def: $vgpr4_vgpr5
	s_branch .LBB120_331
.LBB120_370:                            ;   in Loop: Header=BB120_6 Depth=1
	s_mov_b64 s[8:9], -1
	s_mov_b64 s[10:11], 0
                                        ; implicit-def: $sgpr44_sgpr45
                                        ; implicit-def: $vgpr39
	s_mov_b64 s[46:47], s[8:9]
	s_cbranch_execnz .LBB120_373
	s_branch .LBB120_385
.LBB120_371:                            ;   in Loop: Header=BB120_6 Depth=1
	s_or_b64 exec, exec, s[10:11]
	v_lshrrev_b16_e32 v39, 8, v9
	s_and_b64 s[10:11], s[44:45], exec
.LBB120_372:                            ;   in Loop: Header=BB120_6 Depth=1
	s_or_b64 exec, exec, s[8:9]
	s_mov_b64 s[8:9], 0
	s_mov_b64 s[44:45], -1
	s_mov_b64 s[46:47], s[8:9]
	s_branch .LBB120_385
.LBB120_373:                            ;   in Loop: Header=BB120_6 Depth=1
	v_readlane_b32 s44, v48, 35
	v_readlane_b32 s45, v48, 36
	s_mov_b32 s44, s79
	s_cmp_lg_u64 s[44:45], 0
	v_writelane_b32 v48, s44, 35
	v_writelane_b32 v48, s45, 36
	s_cbranch_scc0 .LBB120_405
; %bb.374:                              ;   in Loop: Header=BB120_6 Depth=1
	v_cvt_f32_u32_e32 v2, s33
	s_sub_u32 s0, 0, s33
	s_subb_u32 s1, 0, 0
	v_mac_f32_e32 v2, 0, v36
	v_rcp_f32_e32 v2, v2
	v_mul_f32_e32 v2, 0x5f7ffffc, v2
	v_mul_f32_e32 v3, 0x2f800000, v2
	v_trunc_f32_e32 v3, v3
	v_mac_f32_e32 v2, 0xcf800000, v3
	v_cvt_u32_f32_e32 v3, v3
	v_cvt_u32_f32_e32 v2, v2
	v_readfirstlane_b32 s4, v3
	v_readfirstlane_b32 s5, v2
	s_mul_i32 s8, s0, s4
	s_mul_hi_u32 s10, s0, s5
	s_mul_i32 s9, s1, s5
	s_add_i32 s8, s10, s8
	s_mul_i32 s11, s0, s5
	s_add_i32 s8, s8, s9
	s_mul_hi_u32 s10, s5, s11
	s_mul_hi_u32 s9, s5, s8
	s_mul_i32 s5, s5, s8
	s_add_u32 s5, s10, s5
	s_addc_u32 s9, 0, s9
	s_mul_hi_u32 s44, s4, s11
	s_mul_i32 s11, s4, s11
	s_add_u32 s5, s5, s11
	s_mul_hi_u32 s10, s4, s8
	s_addc_u32 s5, s9, s44
	s_addc_u32 s9, s10, 0
	s_mul_i32 s8, s4, s8
	s_add_u32 s5, s5, s8
	s_addc_u32 s8, 0, s9
	v_add_co_u32_e32 v2, vcc, s5, v2
	s_cmp_lg_u64 vcc, 0
	s_addc_u32 s4, s4, s8
	v_readfirstlane_b32 s8, v2
	s_mul_i32 s5, s0, s4
	s_mul_hi_u32 s9, s0, s8
	s_add_i32 s5, s9, s5
	s_mul_i32 s1, s1, s8
	s_add_i32 s5, s5, s1
	s_mul_i32 s0, s0, s8
	s_mul_hi_u32 s9, s4, s0
	s_mul_i32 s10, s4, s0
	s_mul_i32 s44, s8, s5
	s_mul_hi_u32 s0, s8, s0
	s_mul_hi_u32 s11, s8, s5
	s_add_u32 s0, s0, s44
	s_addc_u32 s8, 0, s11
	s_add_u32 s0, s0, s10
	s_mul_hi_u32 s1, s4, s5
	s_addc_u32 s0, s8, s9
	s_addc_u32 s1, s1, 0
	s_mul_i32 s5, s4, s5
	s_add_u32 s0, s0, s5
	s_addc_u32 s1, 0, s1
	v_add_co_u32_e32 v2, vcc, s0, v2
	s_cmp_lg_u64 vcc, 0
	s_addc_u32 s0, s4, s1
	v_readlane_b32 s10, v48, 33
	v_readfirstlane_b32 s5, v2
	s_mul_i32 s4, s10, s0
	s_mul_hi_u32 s8, s10, s5
	s_mul_hi_u32 s1, s10, s0
	s_add_u32 s4, s8, s4
	s_addc_u32 s1, 0, s1
	s_mul_hi_u32 s9, s45, s5
	s_mul_i32 s5, s45, s5
	s_add_u32 s4, s4, s5
	s_mul_hi_u32 s8, s45, s0
	s_addc_u32 s1, s1, s9
	s_addc_u32 s4, s8, 0
	s_mul_i32 s0, s45, s0
	s_add_u32 s0, s1, s0
	s_addc_u32 s1, 0, s4
	s_mul_hi_u32 s4, s33, s0
	s_mul_i32 s0, s33, s0
	s_mul_i32 s1, s33, s1
	v_mov_b32_e32 v2, s0
	s_add_i32 s4, s4, s1
	v_sub_co_u32_e32 v2, vcc, s10, v2
	s_cmp_lg_u64 vcc, 0
	s_subb_u32 s0, s45, s4
	v_subrev_co_u32_e32 v3, vcc, s33, v2
	s_cmp_lg_u64 vcc, 0
	s_subb_u32 s1, s0, 0
	v_subrev_co_u32_e32 v6, vcc, s33, v3
	s_cmp_lg_u64 vcc, 0
	s_subb_u32 s4, s1, 0
	v_cmp_le_u32_e32 vcc, s33, v3
	s_cmp_eq_u32 s1, 0
	v_cndmask_b32_e64 v7, 0, -1, vcc
	s_cselect_b64 vcc, -1, 0
	v_cndmask_b32_e32 v7, -1, v7, vcc
	v_mov_b32_e32 v8, s1
	v_mov_b32_e32 v9, s4
	v_cmp_ne_u32_e32 vcc, 0, v7
	v_cndmask_b32_e32 v7, v8, v9, vcc
	v_cndmask_b32_e32 v6, v3, v6, vcc
	v_cmp_le_u32_e32 vcc, s33, v2
	s_cmp_eq_u32 s0, 0
	v_cndmask_b32_e64 v3, 0, -1, vcc
	s_cselect_b64 vcc, -1, 0
	v_cndmask_b32_e32 v3, -1, v3, vcc
	v_mov_b32_e32 v8, s0
	v_cmp_ne_u32_e32 vcc, 0, v3
	v_cndmask_b32_e32 v3, v8, v7, vcc
	v_cndmask_b32_e32 v2, v2, v6, vcc
	s_cbranch_execnz .LBB120_376
.LBB120_375:                            ;   in Loop: Header=BB120_6 Depth=1
	v_cvt_f32_u32_e32 v2, s33
	s_sub_i32 s0, 0, s33
	v_rcp_iflag_f32_e32 v2, v2
	v_mul_f32_e32 v2, 0x4f7ffffe, v2
	v_cvt_u32_f32_e32 v2, v2
	v_mul_lo_u32 v3, s0, v2
	v_mul_hi_u32 v3, v2, v3
	v_add_u32_e32 v2, v2, v3
	v_readlane_b32 s0, v48, 33
	v_mul_hi_u32 v2, s0, v2
	v_mul_lo_u32 v2, v2, s33
	v_sub_u32_e32 v2, s0, v2
	v_subrev_u32_e32 v3, s33, v2
	v_cmp_le_u32_e32 vcc, s33, v2
	v_cndmask_b32_e32 v2, v2, v3, vcc
	v_subrev_u32_e32 v3, s33, v2
	v_cmp_le_u32_e32 vcc, s33, v2
	v_cndmask_b32_e32 v14, v2, v3, vcc
	v_pk_mov_b32 v[2:3], v[14:15], v[14:15] op_sel:[0,1]
.LBB120_376:                            ;   in Loop: Header=BB120_6 Depth=1
	v_readlane_b32 s0, v48, 35
	v_readlane_b32 s1, v48, 36
	v_readlane_b32 s0, v48, 33
	v_mov_b32_e32 v6, s1
	v_sub_co_u32_e32 v2, vcc, s0, v2
	v_subb_co_u32_e32 v3, vcc, v6, v3, vcc
	v_cmp_gt_u64_e32 vcc, v[2:3], v[0:1]
	s_mov_b64 s[10:11], 0
                                        ; implicit-def: $vgpr39
	s_and_saveexec_b64 s[4:5], vcc
	s_cbranch_execz .LBB120_384
; %bb.377:                              ;   in Loop: Header=BB120_6 Depth=1
	s_mov_b64 s[8:9], 0
	v_pk_mov_b32 v[6:7], v[12:13], v[12:13] op_sel:[0,1]
	v_pk_mov_b32 v[8:9], v[0:1], v[0:1] op_sel:[0,1]
                                        ; implicit-def: $sgpr10_sgpr11
	s_branch .LBB120_379
.LBB120_378:                            ;   in Loop: Header=BB120_379 Depth=2
	s_or_b64 exec, exec, s[44:45]
	s_waitcnt lgkmcnt(0)
	s_barrier
	ds_read_u16 v14, v15 offset:3072
	v_mov_b32_e32 v26, s86
	v_add_co_u32_e32 v8, vcc, s33, v8
	v_addc_co_u32_e32 v9, vcc, v9, v26, vcc
	s_waitcnt lgkmcnt(0)
	v_cmp_ne_u16_sdwa s[0:1], v14, v15 src0_sel:BYTE_0 src1_sel:DWORD
	v_cmp_ge_u64_e32 vcc, v[8:9], v[2:3]
	s_or_b64 s[44:45], vcc, s[0:1]
	s_and_b64 s[44:45], exec, s[44:45]
	s_or_b64 s[8:9], s[44:45], s[8:9]
	v_mov_b32_e32 v26, s87
	v_add_co_u32_e32 v6, vcc, s84, v6
	s_andn2_b64 s[10:11], s[10:11], exec
	s_and_b64 s[0:1], s[0:1], exec
	v_addc_co_u32_e32 v7, vcc, v7, v26, vcc
	s_or_b64 s[10:11], s[10:11], s[0:1]
	s_barrier
	s_andn2_b64 exec, exec, s[8:9]
	s_cbranch_execz .LBB120_383
.LBB120_379:                            ;   Parent Loop BB120_6 Depth=1
                                        ; =>  This Inner Loop Header: Depth=2
	v_cmp_gt_u64_e32 vcc, s[56:57], v[8:9]
	v_mov_b32_e32 v14, 0
	s_and_saveexec_b64 s[44:45], vcc
	s_cbranch_execz .LBB120_381
; %bb.380:                              ;   in Loop: Header=BB120_379 Depth=2
	global_load_ubyte v14, v[6:7], off
.LBB120_381:                            ;   in Loop: Header=BB120_379 Depth=2
	s_or_b64 exec, exec, s[44:45]
	s_waitcnt vmcnt(0)
	v_and_b32_e32 v26, v14, v37
	v_cmp_eq_u32_sdwa s[0:1], v26, v38 src0_sel:BYTE_0 src1_sel:DWORD
	s_and_b64 s[0:1], vcc, s[0:1]
	s_and_saveexec_b64 s[44:45], s[0:1]
	s_cbranch_execz .LBB120_378
; %bb.382:                              ;   in Loop: Header=BB120_379 Depth=2
	v_lshlrev_b16_e32 v14, 8, v14
	v_or_b32_e32 v14, 1, v14
	ds_write_b16 v15, v14 offset:3072
	s_branch .LBB120_378
.LBB120_383:                            ;   in Loop: Header=BB120_6 Depth=1
	s_or_b64 exec, exec, s[8:9]
	v_lshrrev_b16_e32 v39, 8, v14
	s_and_b64 s[10:11], s[10:11], exec
.LBB120_384:                            ;   in Loop: Header=BB120_6 Depth=1
	s_or_b64 exec, exec, s[4:5]
	s_mov_b64 s[44:45], 0
	s_mov_b64 s[8:9], -1
	s_mov_b64 s[46:47], 0
.LBB120_385:                            ;   in Loop: Header=BB120_6 Depth=1
	s_orn2_b64 s[10:11], s[10:11], exec
.LBB120_386:                            ;   in Loop: Header=BB120_6 Depth=1
	s_or_b64 exec, exec, s[48:49]
	s_mov_b64 s[4:5], 0
                                        ; implicit-def: $vgpr6
	s_and_saveexec_b64 s[48:49], s[10:11]
	s_cbranch_execz .LBB120_449
; %bb.387:                              ;   in Loop: Header=BB120_6 Depth=1
	v_mov_b32_e32 v2, 1
	s_xor_b64 s[0:1], s[50:51], -1
	s_mov_b64 s[52:53], 0
	v_mov_b32_e32 v3, 0
	v_mov_b32_e32 v6, 1
	s_and_saveexec_b64 s[4:5], s[0:1]
	s_cbranch_execz .LBB120_397
; %bb.388:                              ;   in Loop: Header=BB120_6 Depth=1
	v_cmp_ge_u64_e32 vcc, s[18:19], v[4:5]
                                        ; implicit-def: $sgpr0
                                        ; implicit-def: $sgpr10_sgpr11
	s_and_saveexec_b64 s[50:51], vcc
	s_xor_b64 s[50:51], exec, s[50:51]
	s_cbranch_execz .LBB120_394
; %bb.389:                              ;   in Loop: Header=BB120_6 Depth=1
	ds_read_b64 v[2:3], v15 offset:5120
	s_waitcnt lgkmcnt(0)
	v_cmp_ne_u64_e32 vcc, 0, v[2:3]
	s_cbranch_vccnz .LBB120_393
; %bb.390:                              ;   in Loop: Header=BB120_6 Depth=1
	s_mov_b64 s[10:11], exec
	v_readlane_b32 s0, v48, 8
	v_readlane_b32 s1, v48, 9
	s_and_b64 s[0:1], s[10:11], s[0:1]
	s_mov_b64 exec, s[0:1]
	s_cbranch_execz .LBB120_392
; %bb.391:                              ;   in Loop: Header=BB120_6 Depth=1
	v_pk_mov_b32 v[2:3], s[18:19], s[18:19] op_sel:[0,1]
	ds_write_b64 v15, v[2:3] offset:5128
.LBB120_392:                            ;   in Loop: Header=BB120_6 Depth=1
	s_or_b64 exec, exec, s[10:11]
	s_waitcnt lgkmcnt(0)
	s_barrier
.LBB120_393:                            ;   in Loop: Header=BB120_6 Depth=1
	v_and_b32_e32 v2, s92, v38
	v_lshl_or_b32 v38, 1, s93, v2
	v_or_b32_e32 v37, s78, v37
	s_mov_b64 s[10:11], 0
	s_mov_b32 s0, 5
.LBB120_394:                            ;   in Loop: Header=BB120_6 Depth=1
	s_or_saveexec_b64 s[50:51], s[50:51]
	v_mov_b32_e32 v6, s0
	s_xor_b64 exec, exec, s[50:51]
; %bb.395:                              ;   in Loop: Header=BB120_6 Depth=1
	v_mov_b32_e32 v2, s19
	v_subrev_co_u32_e32 v4, vcc, s18, v4
	v_subb_co_u32_e32 v5, vcc, v5, v2, vcc
	v_mov_b32_e32 v6, 0
	s_or_b64 s[10:11], s[10:11], exec
; %bb.396:                              ;   in Loop: Header=BB120_6 Depth=1
	s_or_b64 exec, exec, s[50:51]
	s_and_b64 s[52:53], s[10:11], exec
	v_pk_mov_b32 v[2:3], v[4:5], v[4:5] op_sel:[0,1]
.LBB120_397:                            ;   in Loop: Header=BB120_6 Depth=1
	s_or_b64 exec, exec, s[4:5]
	s_mov_b64 s[50:51], -1
                                        ; implicit-def: $sgpr4_sgpr5
                                        ; implicit-def: $sgpr10_sgpr11
                                        ; implicit-def: $sgpr54_sgpr55
	s_and_saveexec_b64 s[18:19], s[52:53]
	s_cbranch_execz .LBB120_448
; %bb.398:                              ;   in Loop: Header=BB120_6 Depth=1
	s_cmp_eq_u64 s[16:17], 1
	s_cselect_b64 s[0:1], -1, 0
	v_cmp_eq_u64_e32 vcc, 1, v[2:3]
	s_and_b64 s[50:51], s[0:1], vcc
	s_mov_b64 s[74:75], -1
                                        ; implicit-def: $sgpr4_sgpr5
                                        ; implicit-def: $sgpr10_sgpr11
                                        ; implicit-def: $sgpr54_sgpr55
	s_and_saveexec_b64 s[52:53], s[50:51]
	s_cbranch_execz .LBB120_435
; %bb.399:                              ;   in Loop: Header=BB120_6 Depth=1
	ds_read_b64 v[4:5], v15 offset:5120
	s_waitcnt lgkmcnt(0)
	s_barrier
	v_readfirstlane_b32 s4, v4
	v_readfirstlane_b32 s5, v5
	s_mov_b64 s[10:11], exec
	v_readlane_b32 s0, v48, 28
	v_readlane_b32 s1, v48, 29
	s_and_b64 s[0:1], s[10:11], s[0:1]
	s_mov_b64 exec, s[0:1]
	s_cbranch_execz .LBB120_401
; %bb.400:                              ;   in Loop: Header=BB120_6 Depth=1
	ds_write_b8 v0, v15 offset:3072
.LBB120_401:                            ;   in Loop: Header=BB120_6 Depth=1
	s_or_b64 exec, exec, s[10:11]
	v_and_b32_e32 v38, s92, v38
	v_or_b32_e32 v37, s78, v37
	s_cmp_eq_u64 s[4:5], 0
	s_waitcnt lgkmcnt(0)
	s_barrier
	s_cbranch_scc1 .LBB120_406
; %bb.402:                              ;   in Loop: Header=BB120_6 Depth=1
	v_readlane_b32 s0, v48, 32
	s_add_u32 s0, s0, s4
	v_readlane_b32 s1, v48, 34
	s_addc_u32 s11, s1, s5
	s_mov_b32 s10, s79
	s_cmp_lg_u64 s[10:11], 0
	s_cbranch_scc0 .LBB120_407
; %bb.403:                              ;   in Loop: Header=BB120_6 Depth=1
	v_cvt_f32_u32_e32 v4, s33
	s_sub_u32 s1, 0, s33
	s_subb_u32 s10, 0, 0
	v_mac_f32_e32 v4, 0, v36
	v_rcp_f32_e32 v4, v4
	v_mul_f32_e32 v4, 0x5f7ffffc, v4
	v_mul_f32_e32 v5, 0x2f800000, v4
	v_trunc_f32_e32 v5, v5
	v_mac_f32_e32 v4, 0xcf800000, v5
	v_cvt_u32_f32_e32 v5, v5
	v_cvt_u32_f32_e32 v4, v4
	v_readfirstlane_b32 s54, v5
	v_readfirstlane_b32 s55, v4
	s_mul_i32 s74, s1, s54
	s_mul_hi_u32 s76, s1, s55
	s_mul_i32 s75, s10, s55
	s_add_i32 s74, s76, s74
	s_mul_i32 s77, s1, s55
	s_add_i32 s74, s74, s75
	s_mul_hi_u32 s76, s55, s77
	s_mul_hi_u32 s75, s55, s74
	s_mul_i32 s55, s55, s74
	s_add_u32 s55, s76, s55
	s_addc_u32 s75, 0, s75
	s_mul_hi_u32 s80, s54, s77
	s_mul_i32 s77, s54, s77
	s_add_u32 s55, s55, s77
	s_mul_hi_u32 s76, s54, s74
	s_addc_u32 s55, s75, s80
	s_addc_u32 s75, s76, 0
	s_mul_i32 s74, s54, s74
	s_add_u32 s55, s55, s74
	s_addc_u32 s74, 0, s75
	v_add_co_u32_e32 v4, vcc, s55, v4
	s_cmp_lg_u64 vcc, 0
	s_addc_u32 s54, s54, s74
	v_readfirstlane_b32 s74, v4
	s_mul_i32 s55, s1, s54
	s_mul_hi_u32 s75, s1, s74
	s_add_i32 s55, s75, s55
	s_mul_i32 s10, s10, s74
	s_add_i32 s55, s55, s10
	s_mul_i32 s1, s1, s74
	s_mul_hi_u32 s75, s54, s1
	s_mul_i32 s76, s54, s1
	s_mul_i32 s80, s74, s55
	s_mul_hi_u32 s1, s74, s1
	s_mul_hi_u32 s77, s74, s55
	s_add_u32 s1, s1, s80
	s_addc_u32 s74, 0, s77
	s_add_u32 s1, s1, s76
	s_mul_hi_u32 s10, s54, s55
	s_addc_u32 s1, s74, s75
	s_addc_u32 s10, s10, 0
	s_mul_i32 s55, s54, s55
	s_add_u32 s1, s1, s55
	s_addc_u32 s10, 0, s10
	v_add_co_u32_e32 v4, vcc, s1, v4
	s_cmp_lg_u64 vcc, 0
	s_addc_u32 s1, s54, s10
	v_readfirstlane_b32 s55, v4
	s_mul_i32 s54, s0, s1
	s_mul_hi_u32 s74, s0, s55
	s_mul_hi_u32 s10, s0, s1
	s_add_u32 s54, s74, s54
	s_addc_u32 s10, 0, s10
	s_mul_hi_u32 s75, s11, s55
	s_mul_i32 s55, s11, s55
	s_add_u32 s54, s54, s55
	s_mul_hi_u32 s74, s11, s1
	s_addc_u32 s10, s10, s75
	s_addc_u32 s54, s74, 0
	s_mul_i32 s1, s11, s1
	s_add_u32 s1, s10, s1
	s_addc_u32 s10, 0, s54
	s_mul_hi_u32 s54, s33, s1
	s_mul_i32 s1, s33, s1
	s_mul_i32 s10, s33, s10
	v_mov_b32_e32 v4, s1
	s_add_i32 s54, s54, s10
	v_sub_co_u32_e32 v4, vcc, s0, v4
	s_cmp_lg_u64 vcc, 0
	s_subb_u32 s1, s11, s54
	v_subrev_co_u32_e32 v5, vcc, s33, v4
	s_cmp_lg_u64 vcc, 0
	s_subb_u32 s10, s1, 0
	v_subrev_co_u32_e32 v6, vcc, s33, v5
	s_cmp_lg_u64 vcc, 0
	s_subb_u32 s54, s10, 0
	v_cmp_le_u32_e32 vcc, s33, v5
	s_cmp_eq_u32 s10, 0
	v_cndmask_b32_e64 v7, 0, -1, vcc
	s_cselect_b64 vcc, -1, 0
	v_cndmask_b32_e32 v7, -1, v7, vcc
	v_mov_b32_e32 v8, s10
	v_mov_b32_e32 v9, s54
	v_cmp_ne_u32_e32 vcc, 0, v7
	v_cndmask_b32_e32 v7, v8, v9, vcc
	v_cndmask_b32_e32 v6, v5, v6, vcc
	v_cmp_le_u32_e32 vcc, s33, v4
	s_cmp_eq_u32 s1, 0
	v_cndmask_b32_e64 v5, 0, -1, vcc
	s_cselect_b64 vcc, -1, 0
	v_cndmask_b32_e32 v5, -1, v5, vcc
	v_mov_b32_e32 v8, s1
	v_cmp_ne_u32_e32 vcc, 0, v5
	v_cndmask_b32_e32 v5, v8, v7, vcc
	v_cndmask_b32_e32 v4, v4, v6, vcc
	s_mov_b64 s[54:55], 0
	s_branch .LBB120_408
.LBB120_404:                            ;   in Loop: Header=BB120_6 Depth=1
                                        ; implicit-def: $vgpr2_vgpr3
	s_andn2_b64 vcc, exec, s[10:11]
	s_cbranch_vccz .LBB120_360
	s_branch .LBB120_361
.LBB120_405:                            ;   in Loop: Header=BB120_6 Depth=1
                                        ; implicit-def: $vgpr2_vgpr3
	s_branch .LBB120_375
.LBB120_406:                            ;   in Loop: Header=BB120_6 Depth=1
	s_mov_b64 s[4:5], -1
	s_mov_b64 s[74:75], 0
                                        ; implicit-def: $sgpr10_sgpr11
                                        ; implicit-def: $vgpr39
	s_branch .LBB120_419
.LBB120_407:                            ;   in Loop: Header=BB120_6 Depth=1
	s_mov_b64 s[54:55], -1
                                        ; implicit-def: $vgpr4_vgpr5
.LBB120_408:                            ;   in Loop: Header=BB120_6 Depth=1
	s_andn2_b64 vcc, exec, s[54:55]
	s_cbranch_vccnz .LBB120_410
; %bb.409:                              ;   in Loop: Header=BB120_6 Depth=1
	v_cvt_f32_u32_e32 v4, s33
	s_sub_i32 s1, 0, s33
	v_rcp_iflag_f32_e32 v4, v4
	v_mul_f32_e32 v4, 0x4f7ffffe, v4
	v_cvt_u32_f32_e32 v4, v4
	v_mul_lo_u32 v5, s1, v4
	v_mul_hi_u32 v5, v4, v5
	v_add_u32_e32 v4, v4, v5
	v_mul_hi_u32 v4, s0, v4
	v_mul_lo_u32 v4, v4, s33
	v_sub_u32_e32 v4, s0, v4
	v_subrev_u32_e32 v5, s33, v4
	v_cmp_le_u32_e32 vcc, s33, v4
	v_cndmask_b32_e32 v4, v4, v5, vcc
	v_subrev_u32_e32 v5, s33, v4
	v_cmp_le_u32_e32 vcc, s33, v4
	v_cndmask_b32_e32 v14, v4, v5, vcc
	v_pk_mov_b32 v[4:5], v[14:15], v[14:15] op_sel:[0,1]
.LBB120_410:                            ;   in Loop: Header=BB120_6 Depth=1
	v_mov_b32_e32 v6, s11
	v_sub_co_u32_e32 v4, vcc, s0, v4
	v_subb_co_u32_e32 v5, vcc, v6, v5, vcc
	v_cmp_gt_u64_e32 vcc, v[4:5], v[0:1]
	s_mov_b64 s[74:75], 0
                                        ; implicit-def: $vgpr39
	s_and_saveexec_b64 s[10:11], vcc
	s_cbranch_execz .LBB120_418
; %bb.411:                              ;   in Loop: Header=BB120_6 Depth=1
	s_mov_b64 s[54:55], 0
	v_mov_b32_e32 v8, v0
	v_pk_mov_b32 v[6:7], v[0:1], v[0:1] op_sel:[0,1]
                                        ; implicit-def: $sgpr74_sgpr75
	s_branch .LBB120_413
.LBB120_412:                            ;   in Loop: Header=BB120_413 Depth=2
	s_or_b64 exec, exec, s[76:77]
	s_waitcnt lgkmcnt(0)
	s_barrier
	ds_read_u16 v9, v15 offset:3072
	v_mov_b32_e32 v14, s86
	v_add_co_u32_e32 v6, vcc, s33, v6
	v_addc_co_u32_e32 v7, vcc, v7, v14, vcc
	s_waitcnt lgkmcnt(0)
	v_cmp_ne_u16_sdwa s[0:1], v9, v15 src0_sel:BYTE_0 src1_sel:DWORD
	v_cmp_ge_u64_e32 vcc, v[6:7], v[4:5]
	s_or_b64 s[76:77], vcc, s[0:1]
	s_and_b64 s[76:77], exec, s[76:77]
	s_or_b64 s[54:55], s[76:77], s[54:55]
	s_andn2_b64 s[74:75], s[74:75], exec
	s_and_b64 s[0:1], s[0:1], exec
	v_add_u32_e32 v8, s33, v8
	s_or_b64 s[74:75], s[74:75], s[0:1]
	s_barrier
	s_andn2_b64 exec, exec, s[54:55]
	s_cbranch_execz .LBB120_417
.LBB120_413:                            ;   Parent Loop BB120_6 Depth=1
                                        ; =>  This Inner Loop Header: Depth=2
	v_cmp_gt_u64_e32 vcc, s[4:5], v[6:7]
	v_mov_b32_e32 v9, 0
	s_and_saveexec_b64 s[76:77], vcc
	s_cbranch_execz .LBB120_415
; %bb.414:                              ;   in Loop: Header=BB120_413 Depth=2
	ds_read_u8 v9, v8
.LBB120_415:                            ;   in Loop: Header=BB120_413 Depth=2
	s_or_b64 exec, exec, s[76:77]
	s_waitcnt lgkmcnt(0)
	v_and_b32_e32 v14, v9, v37
	v_cmp_eq_u32_sdwa s[0:1], v14, v38 src0_sel:BYTE_0 src1_sel:DWORD
	s_and_b64 s[0:1], vcc, s[0:1]
	s_and_saveexec_b64 s[76:77], s[0:1]
	s_cbranch_execz .LBB120_412
; %bb.416:                              ;   in Loop: Header=BB120_413 Depth=2
	v_lshlrev_b16_e32 v9, 8, v9
	v_or_b32_e32 v9, 1, v9
	ds_write_b16 v15, v9 offset:3072
	s_branch .LBB120_412
.LBB120_417:                            ;   in Loop: Header=BB120_6 Depth=1
	s_or_b64 exec, exec, s[54:55]
	v_lshrrev_b16_e32 v39, 8, v9
	s_and_b64 s[74:75], s[74:75], exec
.LBB120_418:                            ;   in Loop: Header=BB120_6 Depth=1
	s_or_b64 exec, exec, s[10:11]
	s_mov_b64 s[4:5], 0
	s_mov_b64 s[10:11], -1
.LBB120_419:                            ;   in Loop: Header=BB120_6 Depth=1
	s_and_b64 vcc, exec, s[4:5]
	s_mov_b64 s[54:55], s[4:5]
	s_cbranch_vccz .LBB120_434
; %bb.420:                              ;   in Loop: Header=BB120_6 Depth=1
	v_readlane_b32 s74, v48, 35
	v_readlane_b32 s75, v48, 36
	s_mov_b32 s74, s79
	s_cmp_lg_u64 s[74:75], 0
	v_writelane_b32 v48, s74, 35
	v_writelane_b32 v48, s75, 36
	s_cbranch_scc0 .LBB120_422
; %bb.421:                              ;   in Loop: Header=BB120_6 Depth=1
	v_cvt_f32_u32_e32 v4, s33
	s_sub_u32 s0, 0, s33
	s_subb_u32 s1, 0, 0
	v_mac_f32_e32 v4, 0, v36
	v_rcp_f32_e32 v4, v4
	v_mul_f32_e32 v4, 0x5f7ffffc, v4
	v_mul_f32_e32 v5, 0x2f800000, v4
	v_trunc_f32_e32 v5, v5
	v_mac_f32_e32 v4, 0xcf800000, v5
	v_cvt_u32_f32_e32 v5, v5
	v_cvt_u32_f32_e32 v4, v4
	v_readfirstlane_b32 s4, v5
	v_readfirstlane_b32 s5, v4
	s_mul_i32 s10, s0, s4
	s_mul_hi_u32 s54, s0, s5
	s_mul_i32 s11, s1, s5
	s_add_i32 s10, s54, s10
	s_mul_i32 s55, s0, s5
	s_add_i32 s10, s10, s11
	s_mul_hi_u32 s54, s5, s55
	s_mul_hi_u32 s11, s5, s10
	s_mul_i32 s5, s5, s10
	s_add_u32 s5, s54, s5
	s_addc_u32 s11, 0, s11
	s_mul_hi_u32 s74, s4, s55
	s_mul_i32 s55, s4, s55
	s_add_u32 s5, s5, s55
	s_mul_hi_u32 s54, s4, s10
	s_addc_u32 s5, s11, s74
	s_addc_u32 s11, s54, 0
	s_mul_i32 s10, s4, s10
	s_add_u32 s5, s5, s10
	s_addc_u32 s10, 0, s11
	v_add_co_u32_e32 v4, vcc, s5, v4
	s_cmp_lg_u64 vcc, 0
	s_addc_u32 s4, s4, s10
	v_readfirstlane_b32 s10, v4
	s_mul_i32 s5, s0, s4
	s_mul_hi_u32 s11, s0, s10
	s_add_i32 s5, s11, s5
	s_mul_i32 s1, s1, s10
	s_add_i32 s5, s5, s1
	s_mul_i32 s0, s0, s10
	s_mul_hi_u32 s11, s4, s0
	s_mul_i32 s54, s4, s0
	s_mul_i32 s74, s10, s5
	s_mul_hi_u32 s0, s10, s0
	s_mul_hi_u32 s55, s10, s5
	s_add_u32 s0, s0, s74
	s_addc_u32 s10, 0, s55
	s_add_u32 s0, s0, s54
	s_mul_hi_u32 s1, s4, s5
	s_addc_u32 s0, s10, s11
	s_addc_u32 s1, s1, 0
	s_mul_i32 s5, s4, s5
	s_add_u32 s0, s0, s5
	s_addc_u32 s1, 0, s1
	v_add_co_u32_e32 v4, vcc, s0, v4
	s_cmp_lg_u64 vcc, 0
	s_addc_u32 s0, s4, s1
	v_readlane_b32 s54, v48, 33
	v_readfirstlane_b32 s5, v4
	s_mul_i32 s4, s54, s0
	s_mul_hi_u32 s10, s54, s5
	s_mul_hi_u32 s1, s54, s0
	s_add_u32 s4, s10, s4
	s_addc_u32 s1, 0, s1
	s_mul_hi_u32 s11, s75, s5
	s_mul_i32 s5, s75, s5
	s_add_u32 s4, s4, s5
	s_mul_hi_u32 s10, s75, s0
	s_addc_u32 s1, s1, s11
	s_addc_u32 s4, s10, 0
	s_mul_i32 s0, s75, s0
	s_add_u32 s0, s1, s0
	s_addc_u32 s1, 0, s4
	s_mul_hi_u32 s4, s33, s0
	s_mul_i32 s0, s33, s0
	s_mul_i32 s1, s33, s1
	v_mov_b32_e32 v4, s0
	s_add_i32 s4, s4, s1
	v_sub_co_u32_e32 v4, vcc, s54, v4
	s_cmp_lg_u64 vcc, 0
	s_subb_u32 s0, s75, s4
	v_subrev_co_u32_e32 v5, vcc, s33, v4
	s_cmp_lg_u64 vcc, 0
	s_subb_u32 s1, s0, 0
	v_subrev_co_u32_e32 v6, vcc, s33, v5
	s_cmp_lg_u64 vcc, 0
	s_subb_u32 s4, s1, 0
	v_cmp_le_u32_e32 vcc, s33, v5
	s_cmp_eq_u32 s1, 0
	v_cndmask_b32_e64 v7, 0, -1, vcc
	s_cselect_b64 vcc, -1, 0
	v_cndmask_b32_e32 v7, -1, v7, vcc
	v_mov_b32_e32 v8, s1
	v_mov_b32_e32 v9, s4
	v_cmp_ne_u32_e32 vcc, 0, v7
	v_cndmask_b32_e32 v7, v8, v9, vcc
	v_cndmask_b32_e32 v6, v5, v6, vcc
	v_cmp_le_u32_e32 vcc, s33, v4
	s_cmp_eq_u32 s0, 0
	v_cndmask_b32_e64 v5, 0, -1, vcc
	s_cselect_b64 vcc, -1, 0
	v_cndmask_b32_e32 v5, -1, v5, vcc
	v_mov_b32_e32 v8, s0
	v_cmp_ne_u32_e32 vcc, 0, v5
	v_cndmask_b32_e32 v5, v8, v7, vcc
	v_cndmask_b32_e32 v4, v4, v6, vcc
	s_mov_b64 s[4:5], 0
	s_branch .LBB120_423
.LBB120_422:                            ;   in Loop: Header=BB120_6 Depth=1
	s_mov_b64 s[4:5], -1
                                        ; implicit-def: $vgpr4_vgpr5
.LBB120_423:                            ;   in Loop: Header=BB120_6 Depth=1
	s_andn2_b64 vcc, exec, s[4:5]
	s_cbranch_vccnz .LBB120_425
; %bb.424:                              ;   in Loop: Header=BB120_6 Depth=1
	v_cvt_f32_u32_e32 v4, s33
	s_sub_i32 s0, 0, s33
	v_rcp_iflag_f32_e32 v4, v4
	v_mul_f32_e32 v4, 0x4f7ffffe, v4
	v_cvt_u32_f32_e32 v4, v4
	v_mul_lo_u32 v5, s0, v4
	v_mul_hi_u32 v5, v4, v5
	v_add_u32_e32 v4, v4, v5
	v_readlane_b32 s0, v48, 33
	v_mul_hi_u32 v4, s0, v4
	v_mul_lo_u32 v4, v4, s33
	v_sub_u32_e32 v4, s0, v4
	v_subrev_u32_e32 v5, s33, v4
	v_cmp_le_u32_e32 vcc, s33, v4
	v_cndmask_b32_e32 v4, v4, v5, vcc
	v_subrev_u32_e32 v5, s33, v4
	v_cmp_le_u32_e32 vcc, s33, v4
	v_cndmask_b32_e32 v14, v4, v5, vcc
	v_pk_mov_b32 v[4:5], v[14:15], v[14:15] op_sel:[0,1]
.LBB120_425:                            ;   in Loop: Header=BB120_6 Depth=1
	v_readlane_b32 s0, v48, 35
	v_readlane_b32 s1, v48, 36
	v_readlane_b32 s0, v48, 33
	v_mov_b32_e32 v6, s1
	v_sub_co_u32_e32 v4, vcc, s0, v4
	v_subb_co_u32_e32 v5, vcc, v6, v5, vcc
	v_cmp_gt_u64_e32 vcc, v[4:5], v[0:1]
	s_mov_b64 s[74:75], 0
                                        ; implicit-def: $vgpr39
	s_and_saveexec_b64 s[4:5], vcc
	s_cbranch_execz .LBB120_433
; %bb.426:                              ;   in Loop: Header=BB120_6 Depth=1
	s_mov_b64 s[10:11], 0
	v_pk_mov_b32 v[6:7], v[12:13], v[12:13] op_sel:[0,1]
	v_pk_mov_b32 v[8:9], v[0:1], v[0:1] op_sel:[0,1]
                                        ; implicit-def: $sgpr54_sgpr55
	s_branch .LBB120_428
.LBB120_427:                            ;   in Loop: Header=BB120_428 Depth=2
	s_or_b64 exec, exec, s[74:75]
	s_waitcnt lgkmcnt(0)
	s_barrier
	ds_read_u16 v14, v15 offset:3072
	v_mov_b32_e32 v26, s86
	v_add_co_u32_e32 v8, vcc, s33, v8
	v_addc_co_u32_e32 v9, vcc, v9, v26, vcc
	s_waitcnt lgkmcnt(0)
	v_cmp_ne_u16_sdwa s[0:1], v14, v15 src0_sel:BYTE_0 src1_sel:DWORD
	v_cmp_ge_u64_e32 vcc, v[8:9], v[4:5]
	s_or_b64 s[74:75], vcc, s[0:1]
	s_and_b64 s[74:75], exec, s[74:75]
	s_or_b64 s[10:11], s[74:75], s[10:11]
	v_mov_b32_e32 v26, s87
	v_add_co_u32_e32 v6, vcc, s84, v6
	s_andn2_b64 s[54:55], s[54:55], exec
	s_and_b64 s[0:1], s[0:1], exec
	v_addc_co_u32_e32 v7, vcc, v7, v26, vcc
	s_or_b64 s[54:55], s[54:55], s[0:1]
	s_barrier
	s_andn2_b64 exec, exec, s[10:11]
	s_cbranch_execz .LBB120_432
.LBB120_428:                            ;   Parent Loop BB120_6 Depth=1
                                        ; =>  This Inner Loop Header: Depth=2
	v_cmp_gt_u64_e32 vcc, s[56:57], v[8:9]
	v_mov_b32_e32 v14, 0
	s_and_saveexec_b64 s[74:75], vcc
	s_cbranch_execz .LBB120_430
; %bb.429:                              ;   in Loop: Header=BB120_428 Depth=2
	global_load_ubyte v14, v[6:7], off
.LBB120_430:                            ;   in Loop: Header=BB120_428 Depth=2
	s_or_b64 exec, exec, s[74:75]
	s_waitcnt vmcnt(0)
	v_and_b32_e32 v26, v14, v37
	v_cmp_eq_u32_sdwa s[0:1], v26, v38 src0_sel:BYTE_0 src1_sel:DWORD
	s_and_b64 s[0:1], vcc, s[0:1]
	s_and_saveexec_b64 s[74:75], s[0:1]
	s_cbranch_execz .LBB120_427
; %bb.431:                              ;   in Loop: Header=BB120_428 Depth=2
	v_lshlrev_b16_e32 v14, 8, v14
	v_or_b32_e32 v14, 1, v14
	ds_write_b16 v15, v14 offset:3072
	s_branch .LBB120_427
.LBB120_432:                            ;   in Loop: Header=BB120_6 Depth=1
	s_or_b64 exec, exec, s[10:11]
	v_lshrrev_b16_e32 v39, 8, v14
	s_and_b64 s[74:75], s[54:55], exec
.LBB120_433:                            ;   in Loop: Header=BB120_6 Depth=1
	s_or_b64 exec, exec, s[4:5]
	s_mov_b64 s[10:11], 0
	s_mov_b64 s[4:5], -1
	s_mov_b64 s[54:55], 0
.LBB120_434:                            ;   in Loop: Header=BB120_6 Depth=1
	s_orn2_b64 s[74:75], s[74:75], exec
.LBB120_435:                            ;   in Loop: Header=BB120_6 Depth=1
	s_or_b64 exec, exec, s[52:53]
	s_mov_b64 s[76:77], 0
                                        ; implicit-def: $vgpr6
                                        ; implicit-def: $vgpr4_vgpr5
	s_and_saveexec_b64 s[52:53], s[74:75]
	s_cbranch_execz .LBB120_447
; %bb.436:                              ;   in Loop: Header=BB120_6 Depth=1
	v_mov_b32_e32 v4, 1
	s_xor_b64 s[0:1], s[50:51], -1
	v_mov_b32_e32 v6, 1
	v_mov_b32_e32 v5, 0
	s_and_saveexec_b64 s[50:51], s[0:1]
	s_cbranch_execz .LBB120_446
; %bb.437:                              ;   in Loop: Header=BB120_6 Depth=1
	v_cmp_ge_u64_e32 vcc, s[16:17], v[2:3]
                                        ; implicit-def: $sgpr0
	s_and_saveexec_b64 s[74:75], vcc
	s_xor_b64 s[74:75], exec, s[74:75]
	s_cbranch_execz .LBB120_443
; %bb.438:                              ;   in Loop: Header=BB120_6 Depth=1
	ds_read_b64 v[4:5], v15 offset:5120
	s_waitcnt lgkmcnt(0)
	v_cmp_ne_u64_e32 vcc, 0, v[4:5]
	s_cbranch_vccnz .LBB120_442
; %bb.439:                              ;   in Loop: Header=BB120_6 Depth=1
	s_mov_b64 s[76:77], exec
	v_readlane_b32 s0, v48, 8
	v_readlane_b32 s1, v48, 9
	s_and_b64 s[0:1], s[76:77], s[0:1]
	s_mov_b64 exec, s[0:1]
	s_cbranch_execz .LBB120_441
; %bb.440:                              ;   in Loop: Header=BB120_6 Depth=1
	v_pk_mov_b32 v[4:5], s[16:17], s[16:17] op_sel:[0,1]
	ds_write_b64 v15, v[4:5] offset:5128
.LBB120_441:                            ;   in Loop: Header=BB120_6 Depth=1
	s_or_b64 exec, exec, s[76:77]
	s_waitcnt lgkmcnt(0)
	s_barrier
.LBB120_442:                            ;   in Loop: Header=BB120_6 Depth=1
	v_and_b32_e32 v38, s92, v38
	v_or_b32_e32 v37, s78, v37
	s_mov_b32 s0, 5
.LBB120_443:                            ;   in Loop: Header=BB120_6 Depth=1
	s_or_saveexec_b64 s[74:75], s[74:75]
	v_mov_b32_e32 v6, s0
	s_xor_b64 exec, exec, s[74:75]
; %bb.444:                              ;   in Loop: Header=BB120_6 Depth=1
	v_mov_b32_e32 v4, s17
	v_subrev_co_u32_e32 v2, vcc, s16, v2
	v_subb_co_u32_e32 v3, vcc, v3, v4, vcc
	v_mov_b32_e32 v6, 5
; %bb.445:                              ;   in Loop: Header=BB120_6 Depth=1
	s_or_b64 exec, exec, s[74:75]
	v_pk_mov_b32 v[4:5], v[2:3], v[2:3] op_sel:[0,1]
.LBB120_446:                            ;   in Loop: Header=BB120_6 Depth=1
	s_or_b64 exec, exec, s[50:51]
	s_mov_b64 s[76:77], exec
.LBB120_447:                            ;   in Loop: Header=BB120_6 Depth=1
	s_or_b64 exec, exec, s[52:53]
	s_orn2_b64 s[50:51], s[76:77], exec
	v_pk_mov_b32 v[2:3], v[4:5], v[4:5] op_sel:[0,1]
.LBB120_448:                            ;   in Loop: Header=BB120_6 Depth=1
	s_or_b64 exec, exec, s[18:19]
	s_andn2_b64 s[0:1], s[8:9], exec
	s_and_b64 s[4:5], s[4:5], exec
	s_or_b64 s[8:9], s[0:1], s[4:5]
	s_andn2_b64 s[0:1], s[44:45], exec
	s_and_b64 s[4:5], s[10:11], exec
	s_or_b64 s[44:45], s[0:1], s[4:5]
	;; [unrolled: 3-line block ×3, first 2 shown]
	s_and_b64 s[4:5], s[50:51], exec
	v_pk_mov_b32 v[4:5], v[2:3], v[2:3] op_sel:[0,1]
.LBB120_449:                            ;   in Loop: Header=BB120_6 Depth=1
	s_or_b64 exec, exec, s[48:49]
	s_and_b64 s[48:49], s[8:9], exec
	s_and_b64 s[10:11], s[44:45], exec
	;; [unrolled: 1-line block ×3, first 2 shown]
	s_orn2_b64 s[4:5], s[4:5], exec
.LBB120_450:                            ;   in Loop: Header=BB120_6 Depth=1
	s_or_b64 exec, exec, s[22:23]
	s_andn2_b64 s[0:1], s[24:25], exec
	s_and_b64 s[16:17], s[48:49], exec
	s_or_b64 s[24:25], s[0:1], s[16:17]
	s_andn2_b64 s[0:1], s[36:37], exec
	s_and_b64 s[10:11], s[10:11], exec
	s_or_b64 s[36:37], s[0:1], s[10:11]
	s_andn2_b64 s[0:1], s[40:41], exec
	s_and_b64 s[8:9], s[8:9], exec
	s_or_b64 s[40:41], s[0:1], s[8:9]
	s_and_b64 s[44:45], s[4:5], exec
	v_pk_mov_b32 v[2:3], v[4:5], v[4:5] op_sel:[0,1]
.LBB120_451:                            ;   in Loop: Header=BB120_6 Depth=1
	s_or_b64 exec, exec, s[42:43]
	s_and_b64 s[10:11], s[24:25], exec
	s_and_b64 s[8:9], s[36:37], exec
	;; [unrolled: 1-line block ×3, first 2 shown]
	s_orn2_b64 s[24:25], s[44:45], exec
.LBB120_452:                            ;   in Loop: Header=BB120_6 Depth=1
	s_or_b64 exec, exec, s[6:7]
	s_mov_b64 s[6:7], s[28:29]
	s_mov_b64 s[16:17], s[26:27]
	s_and_saveexec_b64 s[18:19], s[24:25]
; %bb.453:                              ;   in Loop: Header=BB120_6 Depth=1
	v_cmp_ne_u32_e64 s[6:7], 5, v6
	v_cmp_eq_u32_e32 vcc, 5, v6
	s_andn2_b64 s[0:1], s[26:27], exec
	s_and_b64 s[6:7], s[6:7], exec
	s_or_b64 s[16:17], s[0:1], s[6:7]
	s_andn2_b64 s[0:1], s[28:29], exec
	s_and_b64 s[6:7], vcc, exec
	s_andn2_b64 s[10:11], s[10:11], exec
	s_andn2_b64 s[8:9], s[8:9], exec
	;; [unrolled: 1-line block ×3, first 2 shown]
	s_or_b64 s[6:7], s[0:1], s[6:7]
; %bb.454:                              ;   in Loop: Header=BB120_6 Depth=1
	s_or_b64 exec, exec, s[18:19]
	s_andn2_b64 s[0:1], s[14:15], exec
	s_and_b64 s[10:11], s[10:11], exec
	s_or_b64 s[14:15], s[0:1], s[10:11]
	s_andn2_b64 s[0:1], s[38:39], exec
	s_and_b64 s[8:9], s[8:9], exec
	s_or_b64 s[38:39], s[0:1], s[8:9]
	;; [unrolled: 3-line block ×5, first 2 shown]
	v_mov_b32_e32 v28, v38
	v_mov_b32_e32 v29, v37
	;; [unrolled: 1-line block ×3, first 2 shown]
.LBB120_455:                            ;   in Loop: Header=BB120_6 Depth=1
	s_or_b64 exec, exec, s[34:35]
	s_mov_b64 s[36:37], s[20:21]
	s_mov_b64 s[34:35], s[20:21]
	s_and_saveexec_b64 s[4:5], s[28:29]
.LBB120_456:                            ;   in Loop: Header=BB120_6 Depth=1
	v_mov_b32_e32 v6, 0
	s_andn2_b64 s[20:21], s[20:21], exec
	s_andn2_b64 s[14:15], s[14:15], exec
	s_andn2_b64 s[38:39], s[38:39], exec
	s_andn2_b64 s[36:37], s[36:37], exec
	s_andn2_b64 s[34:35], s[34:35], exec
	s_or_b64 s[26:27], s[26:27], exec
.LBB120_457:                            ;   in Loop: Header=BB120_6 Depth=1
	s_or_b64 exec, exec, s[4:5]
	s_andn2_b64 s[0:1], s[30:31], exec
	s_and_b64 s[4:5], s[20:21], exec
	s_or_b64 s[30:31], s[0:1], s[4:5]
	s_andn2_b64 s[0:1], s[64:65], exec
	s_and_b64 s[4:5], s[14:15], exec
	s_or_b64 s[64:65], s[0:1], s[4:5]
	;; [unrolled: 3-line block ×4, first 2 shown]
	v_readlane_b32 s0, v48, 47
	v_readlane_b32 s1, v48, 48
	s_andn2_b64 s[0:1], s[0:1], exec
	s_and_b64 s[4:5], s[34:35], exec
	s_mov_b64 s[6:7], -1
	s_or_b64 s[22:23], s[0:1], s[4:5]
                                        ; implicit-def: $vgpr37
                                        ; implicit-def: $vgpr38
                                        ; implicit-def: $vgpr26_vgpr27
                                        ; implicit-def: $vgpr39
	s_and_saveexec_b64 s[0:1], s[26:27]
	s_xor_b64 s[4:5], exec, s[0:1]
	s_cbranch_execz .LBB120_5
; %bb.458:                              ;   in Loop: Header=BB120_6 Depth=1
	v_cmp_eq_u32_e32 vcc, 0, v6
	s_mov_b64 s[8:9], -1
	s_and_saveexec_b64 s[10:11], vcc
	s_cbranch_execz .LBB120_4
; %bb.459:                              ;   in Loop: Header=BB120_6 Depth=1
	v_readlane_b32 s0, v48, 46
	s_xor_b32 s0, s0, 1
	s_add_i32 s14, s71, -2
	s_cmp_eq_u32 s71, 0
	v_writelane_b32 v48, s0, 46
	s_cselect_b64 s[0:1], -1, 0
	s_xor_b64 s[8:9], exec, -1
	s_orn2_b64 s[6:7], s[0:1], exec
	s_mov_b32 s71, s14
	s_branch .LBB120_4
.LBB120_460:
	s_or_b64 exec, exec, s[94:95]
	s_xor_b64 s[4:5], s[2:3], -1
	s_xor_b64 s[14:15], s[60:61], -1
	;; [unrolled: 1-line block ×5, first 2 shown]
	s_mov_b64 s[8:9], 0
	s_and_saveexec_b64 s[6:7], s[0:1]
	s_xor_b64 s[6:7], exec, s[6:7]
	s_cbranch_execnz .LBB120_465
; %bb.461:
	s_andn2_saveexec_b64 s[0:1], s[6:7]
	s_cbranch_execnz .LBB120_484
.LBB120_462:
	s_or_b64 exec, exec, s[0:1]
	s_and_saveexec_b64 s[0:1], s[8:9]
.LBB120_463:
	; divergent unreachable
.LBB120_464:
	s_endpgm
.LBB120_465:
	s_mov_b64 s[10:11], 0
	s_and_saveexec_b64 s[0:1], s[12:13]
	s_xor_b64 s[8:9], exec, s[0:1]
	s_cbranch_execz .LBB120_482
; %bb.466:
	s_mov_b64 s[12:13], 0
	s_and_saveexec_b64 s[0:1], s[14:15]
	s_xor_b64 s[10:11], exec, s[0:1]
	s_cbranch_execz .LBB120_480
; %bb.467:
	s_mov_b64 s[14:15], 0
	s_and_saveexec_b64 s[0:1], s[4:5]
	s_xor_b64 s[12:13], exec, s[0:1]
	s_cbranch_execz .LBB120_478
; %bb.468:
	s_and_saveexec_b64 s[0:1], s[2:3]
	s_xor_b64 s[2:3], exec, s[0:1]
; %bb.469:
	v_mov_b32_e32 v30, v28
; %bb.470:
	s_or_b64 exec, exec, s[2:3]
	s_mov_b64 s[2:3], exec
	v_readlane_b32 s4, v48, 10
	v_readlane_b32 s5, v48, 11
	s_load_dwordx2 s[38:39], s[4:5], 0x0
	v_readlane_b32 s0, v48, 8
	v_readlane_b32 s1, v48, 9
	;; [unrolled: 1-line block ×3, first 2 shown]
	s_and_b64 s[0:1], s[2:3], s[0:1]
	v_readlane_b32 s41, v48, 17
	v_readlane_b32 s16, v48, 12
	;; [unrolled: 1-line block ×3, first 2 shown]
	s_mov_b64 exec, s[0:1]
	s_cbranch_execz .LBB120_472
; %bb.471:
	v_mov_b32_e32 v2, 0
	v_mov_b32_e32 v3, v2
	ds_write_b64 v2, v[2:3] offset:5136
.LBB120_472:
	s_or_b64 exec, exec, s[2:3]
	v_mov_b32_e32 v19, 0
	s_waitcnt lgkmcnt(0)
	s_barrier
	s_mov_b64 s[2:3], exec
	v_readlane_b32 s0, v48, 26
	v_readlane_b32 s1, v48, 27
	s_and_b64 s[0:1], s[2:3], s[0:1]
	s_mov_b64 exec, s[0:1]
	s_cbranch_execz .LBB120_474
; %bb.473:
	global_load_ubyte v19, v[12:13], off
.LBB120_474:
	s_or_b64 exec, exec, s[2:3]
	v_readlane_b32 s18, v48, 4
	s_add_u32 s0, s56, 63
	v_readlane_b32 s19, v48, 5
	s_addc_u32 s15, s57, 0
	s_and_b32 s14, s0, 0xffffffc0
	s_mul_i32 s0, s19, s16
	s_mul_hi_u32 s1, s18, s16
	s_mul_i32 s3, s18, s16
	v_readlane_b32 s18, v48, 0
	v_readlane_b32 s19, v48, 1
	s_add_i32 s2, s1, s0
	s_mul_i32 s0, s19, s16
	s_mul_hi_u32 s1, s18, s16
	s_add_i32 s1, s1, s0
	s_mul_i32 s0, s18, s16
	v_readlane_b32 s16, v48, 6
	s_load_dwordx2 s[18:19], s[4:5], 0x368
	s_load_dwordx2 s[20:21], s[4:5], 0x510
	v_readlane_b32 s17, v48, 7
	s_add_u32 s16, s16, s3
	s_addc_u32 s17, s17, s2
	s_lshl_b64 s[0:1], s[0:1], 3
	v_readlane_b32 s2, v48, 2
	v_readlane_b32 s3, v48, 3
	s_add_u32 s48, s2, s0
	s_addc_u32 s49, s3, s1
	v_cmp_gt_u64_e32 vcc, s[14:15], v[0:1]
	s_mov_b64 s[24:25], -1
	s_mov_b64 s[2:3], 0
	v_add_u32_e32 v18, s33, v0
	s_mov_b64 s[4:5], 0
	s_and_saveexec_b64 s[22:23], vcc
	s_cbranch_execnz .LBB120_485
; %bb.475:
	s_or_b64 exec, exec, s[22:23]
	s_and_saveexec_b64 s[22:23], s[24:25]
	s_cbranch_execnz .LBB120_500
.LBB120_476:
	s_or_b64 exec, exec, s[22:23]
	s_and_saveexec_b64 s[0:1], s[4:5]
	s_xor_b64 s[0:1], exec, s[0:1]
	s_cbranch_execnz .LBB120_522
.LBB120_477:
	s_or_b64 exec, exec, s[0:1]
	s_and_b64 s[14:15], s[2:3], exec
.LBB120_478:
	s_andn2_saveexec_b64 s[0:1], s[12:13]
	s_cbranch_execnz .LBB120_525
.LBB120_479:
	s_or_b64 exec, exec, s[0:1]
	s_and_b64 s[12:13], s[14:15], exec
.LBB120_480:
	s_andn2_saveexec_b64 s[0:1], s[10:11]
	s_cbranch_execnz .LBB120_524
.LBB120_481:
	s_or_b64 exec, exec, s[0:1]
	s_and_b64 s[10:11], s[12:13], exec
.LBB120_482:
	s_andn2_saveexec_b64 s[0:1], s[8:9]
	s_cbranch_execnz .LBB120_523
.LBB120_483:
	s_or_b64 exec, exec, s[0:1]
	s_and_b64 s[8:9], s[10:11], exec
	s_andn2_saveexec_b64 s[0:1], s[6:7]
	s_cbranch_execz .LBB120_462
.LBB120_484:
	s_or_b64 s[8:9], s[8:9], exec
	s_trap 2
	s_or_b64 exec, exec, s[0:1]
	s_and_saveexec_b64 s[0:1], s[8:9]
	s_cbranch_execnz .LBB120_463
	s_branch .LBB120_464
.LBB120_485:
	v_readlane_b32 s0, v48, 14
	s_add_u32 s0, s38, s0
	v_readlane_b32 s1, v48, 15
	s_addc_u32 s1, s39, s1
	v_pk_mov_b32 v[2:3], s[0:1], s[0:1] op_sel:[0,1]
	v_mad_u64_u32 v[2:3], s[0:1], s62, v18, v[2:3]
	v_mov_b32_e32 v4, v3
	v_mad_u64_u32 v[4:5], s[0:1], s63, v18, v[4:5]
	v_mov_b32_e32 v3, v4
	s_mov_b64 s[24:25], 0
	v_mov_b32_e32 v20, s86
	v_mov_b32_e32 v5, 0
	v_pk_mov_b32 v[14:15], v[0:1], v[0:1] op_sel:[0,1]
                                        ; implicit-def: $sgpr26_sgpr27
                                        ; implicit-def: $vgpr8_vgpr9
	s_branch .LBB120_487
.LBB120_486:                            ;   in Loop: Header=BB120_487 Depth=1
	s_or_b64 exec, exec, s[28:29]
	s_xor_b64 s[0:1], s[34:35], -1
	s_and_b64 s[4:5], exec, s[4:5]
	s_or_b64 s[24:25], s[4:5], s[24:25]
	s_andn2_b64 s[4:5], s[26:27], exec
	s_and_b64 s[0:1], s[0:1], exec
	s_or_b64 s[26:27], s[4:5], s[0:1]
	v_mov_b32_e32 v19, v21
	v_pk_mov_b32 v[14:15], v[6:7], v[6:7] op_sel:[0,1]
	s_andn2_b64 exec, exec, s[24:25]
	s_cbranch_execz .LBB120_499
.LBB120_487:                            ; =>This Inner Loop Header: Depth=1
	v_add_co_u32_e32 v6, vcc, s33, v14
	v_addc_co_u32_e32 v7, vcc, v15, v20, vcc
	v_cmp_gt_u64_e32 vcc, s[56:57], v[6:7]
	v_mov_b32_e32 v21, 0
	s_and_saveexec_b64 s[4:5], vcc
	s_cbranch_execz .LBB120_489
; %bb.488:                              ;   in Loop: Header=BB120_487 Depth=1
	global_load_ubyte v21, v[2:3], off
.LBB120_489:                            ;   in Loop: Header=BB120_487 Depth=1
	s_or_b64 exec, exec, s[4:5]
	s_waitcnt vmcnt(0)
	v_and_b32_e32 v4, 0xff, v19
	v_cmp_gt_u16_sdwa s[0:1], v4, v30 src0_sel:DWORD src1_sel:BYTE_0
	v_cndmask_b32_e64 v16, 0, 1, s[0:1]
	v_cmp_lt_u16_sdwa s[0:1], v4, v30 src0_sel:DWORD src1_sel:BYTE_0
	v_cndmask_b32_e64 v4, 0, 1, s[0:1]
	v_cndmask_b32_e64 v4, v4, v16, s[40:41]
	v_and_b32_e32 v4, 1, v4
	v_cmp_gt_u64_e32 vcc, s[56:57], v[14:15]
	v_cmp_eq_u32_e64 s[4:5], 1, v4
	s_and_b64 s[28:29], vcc, s[4:5]
	v_cndmask_b32_e64 v4, 0, 1, s[28:29]
	v_cmp_ne_u32_e32 vcc, 0, v4
	s_cmp_lg_u64 vcc, 0
	v_readlane_b32 s4, v48, 20
	s_cselect_b64 s[0:1], -1, 0
	v_readlane_b32 s5, v48, 21
	s_and_b64 s[0:1], s[4:5], s[0:1]
	s_and_saveexec_b64 s[30:31], s[0:1]
	s_cbranch_execz .LBB120_493
; %bb.490:                              ;   in Loop: Header=BB120_487 Depth=1
	s_mov_b64 s[36:37], exec
	v_mbcnt_lo_u32_b32 v4, s36, 0
	v_mbcnt_hi_u32_b32 v16, s37, v4
	s_bcnt1_i32_b64 s0, vcc
	v_cmp_eq_u32_e64 s[4:5], 0, v16
                                        ; implicit-def: $vgpr8_vgpr9
	s_and_saveexec_b64 s[34:35], s[4:5]
	s_cbranch_execz .LBB120_492
; %bb.491:                              ;   in Loop: Header=BB120_487 Depth=1
	s_bcnt1_i32_b64 s1, s[36:37]
	s_mul_i32 s1, s0, s1
	v_mov_b32_e32 v4, s1
	s_waitcnt lgkmcnt(0)
	ds_add_rtn_u64 v[8:9], v5, v[4:5] offset:5136
.LBB120_492:                            ;   in Loop: Header=BB120_487 Depth=1
	s_or_b64 exec, exec, s[34:35]
	s_waitcnt lgkmcnt(0)
	v_readfirstlane_b32 s1, v9
	v_readfirstlane_b32 s4, v8
	v_mov_b32_e32 v8, s4
	v_mov_b32_e32 v9, s1
	v_mad_u64_u32 v[8:9], s[0:1], s0, v16, v[8:9]
.LBB120_493:                            ;   in Loop: Header=BB120_487 Depth=1
	s_or_b64 exec, exec, s[30:31]
	s_waitcnt lgkmcnt(0)
	ds_bpermute_b32 v8, v32, v8
	ds_bpermute_b32 v9, v32, v9
	s_mov_b64 s[4:5], -1
	s_mov_b64 s[36:37], -1
                                        ; implicit-def: $sgpr34_sgpr35
	s_and_saveexec_b64 s[30:31], s[28:29]
	s_cbranch_execz .LBB120_497
; %bb.494:                              ;   in Loop: Header=BB120_487 Depth=1
	v_and_b32_e32 v16, vcc_lo, v10
	v_and_b32_e32 v4, vcc_hi, v11
	v_bcnt_u32_b32 v16, v16, 0
	v_bcnt_u32_b32 v4, v4, v16
	s_waitcnt lgkmcnt(0)
	v_add_co_u32_e32 v16, vcc, v8, v4
	v_addc_co_u32_e32 v17, vcc, 0, v9, vcc
	v_cmp_gt_u64_e32 vcc, s[58:59], v[16:17]
	s_mov_b64 s[28:29], 0
	s_and_saveexec_b64 s[34:35], vcc
	s_cbranch_execz .LBB120_496
; %bb.495:                              ;   in Loop: Header=BB120_487 Depth=1
	v_mul_lo_u32 v4, v17, s20
	v_mul_lo_u32 v24, v16, s21
	v_mad_u64_u32 v[22:23], s[0:1], v16, s20, 0
	v_add3_u32 v23, v23, v24, v4
	v_pk_mov_b32 v[24:25], s[16:17], s[16:17] op_sel:[0,1]
	v_mad_u64_u32 v[24:25], s[0:1], v16, s18, v[24:25]
	v_mul_lo_u32 v4, v16, s19
	v_mul_lo_u32 v16, v17, s18
	v_add3_u32 v25, v16, v25, v4
	v_lshlrev_b64 v[16:17], 3, v[22:23]
	v_mov_b32_e32 v4, s49
	v_add_co_u32_e32 v16, vcc, s48, v16
	s_mov_b64 s[28:29], exec
	v_addc_co_u32_e32 v17, vcc, v4, v17, vcc
	global_store_byte v[24:25], v19, off
	global_store_dwordx2 v[16:17], v[14:15], off
.LBB120_496:                            ;   in Loop: Header=BB120_487 Depth=1
	s_or_b64 exec, exec, s[34:35]
	s_mov_b64 s[34:35], -1
	s_orn2_b64 s[36:37], s[28:29], exec
.LBB120_497:                            ;   in Loop: Header=BB120_487 Depth=1
	s_or_b64 exec, exec, s[30:31]
	s_and_saveexec_b64 s[28:29], s[36:37]
	s_cbranch_execz .LBB120_486
; %bb.498:                              ;   in Loop: Header=BB120_487 Depth=1
	v_mov_b32_e32 v4, s87
	v_add_co_u32_e32 v2, vcc, s84, v2
	v_addc_co_u32_e32 v3, vcc, v3, v4, vcc
	v_cmp_le_u64_e32 vcc, s[14:15], v[6:7]
	s_andn2_b64 s[34:35], s[34:35], exec
	s_orn2_b64 s[4:5], vcc, exec
	s_branch .LBB120_486
.LBB120_499:
	s_or_b64 exec, exec, s[24:25]
	s_mov_b64 s[4:5], exec
	s_orn2_b64 s[24:25], s[26:27], exec
	s_or_b64 exec, exec, s[22:23]
	s_and_saveexec_b64 s[22:23], s[24:25]
	s_cbranch_execz .LBB120_476
.LBB120_500:
	v_mov_b32_e32 v3, 0
	v_mov_b32_e32 v14, 0
	s_waitcnt lgkmcnt(0)
	s_barrier
	s_mov_b64 s[2:3], exec
	v_readlane_b32 s0, v48, 26
	v_readlane_b32 s1, v48, 27
	s_and_b64 s[0:1], s[2:3], s[0:1]
	s_mov_b64 exec, s[0:1]
	s_cbranch_execz .LBB120_502
; %bb.501:
	global_load_ubyte v14, v[12:13], off
.LBB120_502:
	s_or_b64 exec, exec, s[2:3]
	v_readlane_b32 s0, v48, 14
	s_add_u32 s0, s38, s0
	v_readlane_b32 s1, v48, 15
	s_addc_u32 s1, s39, s1
	v_pk_mov_b32 v[4:5], s[0:1], s[0:1] op_sel:[0,1]
	v_mad_u64_u32 v[4:5], s[0:1], s62, v18, v[4:5]
	v_mov_b32_e32 v2, v5
	v_mad_u64_u32 v[6:7], s[0:1], s63, v18, v[2:3]
	v_mov_b32_e32 v5, v6
	s_mov_b64 s[24:25], 0
                                        ; implicit-def: $sgpr26_sgpr27
                                        ; implicit-def: $sgpr28_sgpr29
                                        ; implicit-def: $sgpr30_sgpr31
                                        ; implicit-def: $vgpr6_vgpr7
	s_branch .LBB120_505
.LBB120_503:                            ;   in Loop: Header=BB120_505 Depth=1
	s_or_b64 exec, exec, s[38:39]
	s_andn2_b64 s[0:1], s[30:31], exec
	s_and_b64 s[30:31], s[42:43], exec
	s_or_b64 s[30:31], s[0:1], s[30:31]
	s_andn2_b64 s[0:1], s[28:29], exec
	s_and_b64 s[2:3], s[2:3], exec
	s_or_b64 s[28:29], s[0:1], s[2:3]
	v_pk_mov_b32 v[0:1], v[8:9], v[8:9] op_sel:[0,1]
.LBB120_504:                            ;   in Loop: Header=BB120_505 Depth=1
	s_or_b64 exec, exec, s[34:35]
	s_xor_b64 s[0:1], s[30:31], -1
	s_and_b64 s[2:3], exec, s[28:29]
	s_or_b64 s[24:25], s[2:3], s[24:25]
	s_andn2_b64 s[2:3], s[26:27], exec
	s_and_b64 s[0:1], s[0:1], exec
	s_or_b64 s[26:27], s[2:3], s[0:1]
	s_andn2_b64 exec, exec, s[24:25]
	s_cbranch_execz .LBB120_520
.LBB120_505:                            ; =>This Inner Loop Header: Depth=1
	v_cmp_gt_u64_e32 vcc, s[14:15], v[0:1]
	s_or_b64 s[30:31], s[30:31], exec
	s_or_b64 s[28:29], s[28:29], exec
	s_and_saveexec_b64 s[34:35], vcc
	s_cbranch_execz .LBB120_504
; %bb.506:                              ;   in Loop: Header=BB120_505 Depth=1
	v_mov_b32_e32 v2, s86
	v_add_co_u32_e32 v8, vcc, s33, v0
	v_addc_co_u32_e32 v9, vcc, v1, v2, vcc
	v_cmp_gt_u64_e32 vcc, s[56:57], v[8:9]
	v_mov_b32_e32 v15, 0
	s_and_saveexec_b64 s[2:3], vcc
	s_cbranch_execz .LBB120_508
; %bb.507:                              ;   in Loop: Header=BB120_505 Depth=1
	global_load_ubyte v15, v[4:5], off
.LBB120_508:                            ;   in Loop: Header=BB120_505 Depth=1
	s_or_b64 exec, exec, s[2:3]
	s_waitcnt vmcnt(0)
	v_and_b32_e32 v2, 0xff, v14
	v_cmp_gt_u64_e32 vcc, s[56:57], v[0:1]
	v_cmp_eq_u16_sdwa s[0:1], v2, v30 src0_sel:DWORD src1_sel:BYTE_0
	s_and_b64 s[38:39], vcc, s[0:1]
	v_cndmask_b32_e64 v2, 0, 1, s[38:39]
	v_cmp_ne_u32_e32 vcc, 0, v2
	s_cmp_lg_u64 vcc, 0
	v_readlane_b32 s2, v48, 20
	s_cselect_b64 s[0:1], -1, 0
	v_readlane_b32 s3, v48, 21
	s_and_b64 s[0:1], s[2:3], s[0:1]
	s_and_saveexec_b64 s[36:37], s[0:1]
	s_cbranch_execz .LBB120_512
; %bb.509:                              ;   in Loop: Header=BB120_505 Depth=1
	s_mov_b64 s[42:43], exec
	v_mbcnt_lo_u32_b32 v2, s42, 0
	v_mbcnt_hi_u32_b32 v12, s43, v2
	s_bcnt1_i32_b64 s0, vcc
	v_cmp_eq_u32_e64 s[2:3], 0, v12
                                        ; implicit-def: $vgpr6_vgpr7
	s_and_saveexec_b64 s[40:41], s[2:3]
	s_cbranch_execz .LBB120_511
; %bb.510:                              ;   in Loop: Header=BB120_505 Depth=1
	s_bcnt1_i32_b64 s1, s[42:43]
	s_mul_i32 s1, s0, s1
	v_mov_b32_e32 v2, s1
	ds_add_rtn_u64 v[6:7], v3, v[2:3] offset:5136
.LBB120_511:                            ;   in Loop: Header=BB120_505 Depth=1
	s_or_b64 exec, exec, s[40:41]
	s_waitcnt lgkmcnt(0)
	v_readfirstlane_b32 s1, v7
	v_readfirstlane_b32 s2, v6
	v_mov_b32_e32 v6, s2
	v_mov_b32_e32 v7, s1
	v_mad_u64_u32 v[6:7], s[0:1], s0, v12, v[6:7]
.LBB120_512:                            ;   in Loop: Header=BB120_505 Depth=1
	s_or_b64 exec, exec, s[36:37]
	ds_bpermute_b32 v6, v32, v6
	ds_bpermute_b32 v7, v32, v7
	s_cmp_eq_u64 vcc, 0
	s_cselect_b64 s[0:1], -1, 0
	s_mov_b64 s[40:41], -1
	s_mov_b64 s[42:43], -1
	s_waitcnt lgkmcnt(0)
	v_cmp_gt_u64_e64 s[2:3], s[58:59], v[6:7]
	s_or_b64 s[36:37], s[0:1], s[2:3]
	v_cndmask_b32_e64 v14, v14, v15, s[36:37]
	s_and_b64 s[0:1], s[38:39], s[36:37]
	s_mov_b64 s[2:3], -1
	s_and_saveexec_b64 s[38:39], s[0:1]
	s_cbranch_execz .LBB120_518
; %bb.513:                              ;   in Loop: Header=BB120_505 Depth=1
	v_and_b32_e32 v12, vcc_lo, v10
	v_and_b32_e32 v2, vcc_hi, v11
	v_bcnt_u32_b32 v12, v12, 0
	v_bcnt_u32_b32 v2, v2, v12
	v_mov_b32_e32 v13, s59
	v_sub_co_u32_e32 v12, vcc, s58, v6
	v_subb_co_u32_e32 v13, vcc, v13, v7, vcc
	v_cmp_le_u64_e64 s[40:41], v[12:13], v[2:3]
	v_cmp_gt_u64_e32 vcc, v[12:13], v[2:3]
	s_mov_b64 s[44:45], -1
	s_and_saveexec_b64 s[42:43], vcc
	s_cbranch_execz .LBB120_517
; %bb.514:                              ;   in Loop: Header=BB120_505 Depth=1
	v_add_co_u32_e32 v12, vcc, v6, v2
	v_addc_co_u32_e32 v13, vcc, 0, v7, vcc
	v_cmp_gt_u64_e32 vcc, s[58:59], v[12:13]
	s_mov_b64 s[46:47], s[40:41]
	s_and_saveexec_b64 s[44:45], vcc
	s_cbranch_execz .LBB120_516
; %bb.515:                              ;   in Loop: Header=BB120_505 Depth=1
	v_mul_lo_u32 v2, v13, s20
	v_mul_lo_u32 v14, v12, s21
	v_mad_u64_u32 v[16:17], s[0:1], v12, s20, 0
	v_pk_mov_b32 v[18:19], s[16:17], s[16:17] op_sel:[0,1]
	v_add3_u32 v17, v17, v14, v2
	v_mad_u64_u32 v[18:19], s[0:1], v12, s18, v[18:19]
	v_mul_lo_u32 v2, v12, s19
	v_mul_lo_u32 v12, v13, s18
	v_add3_u32 v19, v12, v19, v2
	v_lshlrev_b64 v[12:13], 3, v[16:17]
	v_mov_b32_e32 v2, s49
	v_add_co_u32_e32 v12, vcc, s48, v12
	v_addc_co_u32_e32 v13, vcc, v2, v13, vcc
	s_or_b64 s[46:47], s[40:41], exec
	global_store_byte v[18:19], v30, off
	global_store_dwordx2 v[12:13], v[0:1], off
.LBB120_516:                            ;   in Loop: Header=BB120_505 Depth=1
	s_or_b64 exec, exec, s[44:45]
	s_andn2_b64 s[0:1], s[40:41], exec
	s_and_b64 s[40:41], s[46:47], exec
	s_xor_b64 s[44:45], exec, -1
	s_or_b64 s[40:41], s[0:1], s[40:41]
.LBB120_517:                            ;   in Loop: Header=BB120_505 Depth=1
	s_or_b64 exec, exec, s[42:43]
	s_orn2_b64 s[42:43], s[44:45], exec
	s_or_b64 s[36:37], s[36:37], exec
	s_orn2_b64 s[40:41], s[40:41], exec
	v_mov_b32_e32 v14, v15
.LBB120_518:                            ;   in Loop: Header=BB120_505 Depth=1
	s_or_b64 exec, exec, s[38:39]
	s_and_saveexec_b64 s[38:39], s[40:41]
	s_cbranch_execz .LBB120_503
; %bb.519:                              ;   in Loop: Header=BB120_505 Depth=1
	s_xor_b64 s[0:1], s[36:37], -1
	v_mov_b32_e32 v0, s87
	v_add_co_u32_e32 v4, vcc, s84, v4
	v_addc_co_u32_e32 v5, vcc, v5, v0, vcc
	s_or_b64 s[42:43], s[42:43], exec
	s_orn2_b64 s[2:3], s[0:1], exec
	s_branch .LBB120_503
.LBB120_520:
	s_or_b64 exec, exec, s[24:25]
	s_mov_b64 s[0:1], 0
	s_and_saveexec_b64 s[2:3], s[26:27]
	s_xor_b64 s[2:3], exec, s[2:3]
	s_cbranch_execnz .LBB120_526
.LBB120_521:
	s_or_b64 exec, exec, s[2:3]
	s_and_b64 s[2:3], s[0:1], exec
	s_andn2_b64 s[4:5], s[4:5], exec
	s_or_b64 exec, exec, s[22:23]
	s_and_saveexec_b64 s[0:1], s[4:5]
	s_xor_b64 s[0:1], exec, s[0:1]
	s_cbranch_execz .LBB120_477
.LBB120_522:
	s_or_b64 s[2:3], s[2:3], exec
	s_trap 2
	s_branch .LBB120_477
.LBB120_523:
	s_or_b64 s[10:11], s[10:11], exec
	s_trap 2
	s_branch .LBB120_483
.LBB120_524:
	s_or_b64 s[12:13], s[12:13], exec
	s_trap 2
	s_branch .LBB120_481
.LBB120_525:
	s_trap 2
	s_or_b64 s[14:15], s[14:15], exec
	s_branch .LBB120_479
.LBB120_526:
	s_mov_b64 s[0:1], exec
	s_trap 2
	s_branch .LBB120_521
	.section	.rodata,"a",@progbits
	.p2align	6, 0x0
	.amdhsa_kernel _ZN2at6native6sbtopk10gatherTopKIhmLi1ELb0EEEvNS_4cuda6detail10TensorInfoIKT_T0_EES8_S8_bS8_S8_NS5_IS6_S8_EES8_NS5_IlS8_EES8_PS6_
		.amdhsa_group_segment_fixed_size 5152
		.amdhsa_private_segment_fixed_size 0
		.amdhsa_kernarg_size 1568
		.amdhsa_user_sgpr_count 6
		.amdhsa_user_sgpr_private_segment_buffer 1
		.amdhsa_user_sgpr_dispatch_ptr 0
		.amdhsa_user_sgpr_queue_ptr 0
		.amdhsa_user_sgpr_kernarg_segment_ptr 1
		.amdhsa_user_sgpr_dispatch_id 0
		.amdhsa_user_sgpr_flat_scratch_init 0
		.amdhsa_user_sgpr_kernarg_preload_length 0
		.amdhsa_user_sgpr_kernarg_preload_offset 0
		.amdhsa_user_sgpr_private_segment_size 0
		.amdhsa_uses_dynamic_stack 0
		.amdhsa_system_sgpr_private_segment_wavefront_offset 0
		.amdhsa_system_sgpr_workgroup_id_x 1
		.amdhsa_system_sgpr_workgroup_id_y 1
		.amdhsa_system_sgpr_workgroup_id_z 1
		.amdhsa_system_sgpr_workgroup_info 0
		.amdhsa_system_vgpr_workitem_id 0
		.amdhsa_next_free_vgpr 49
		.amdhsa_next_free_sgpr 96
		.amdhsa_accum_offset 52
		.amdhsa_reserve_vcc 1
		.amdhsa_reserve_flat_scratch 0
		.amdhsa_float_round_mode_32 0
		.amdhsa_float_round_mode_16_64 0
		.amdhsa_float_denorm_mode_32 3
		.amdhsa_float_denorm_mode_16_64 3
		.amdhsa_dx10_clamp 1
		.amdhsa_ieee_mode 1
		.amdhsa_fp16_overflow 0
		.amdhsa_tg_split 0
		.amdhsa_exception_fp_ieee_invalid_op 0
		.amdhsa_exception_fp_denorm_src 0
		.amdhsa_exception_fp_ieee_div_zero 0
		.amdhsa_exception_fp_ieee_overflow 0
		.amdhsa_exception_fp_ieee_underflow 0
		.amdhsa_exception_fp_ieee_inexact 0
		.amdhsa_exception_int_div_zero 0
	.end_amdhsa_kernel
	.section	.text._ZN2at6native6sbtopk10gatherTopKIhmLi1ELb0EEEvNS_4cuda6detail10TensorInfoIKT_T0_EES8_S8_bS8_S8_NS5_IS6_S8_EES8_NS5_IlS8_EES8_PS6_,"axG",@progbits,_ZN2at6native6sbtopk10gatherTopKIhmLi1ELb0EEEvNS_4cuda6detail10TensorInfoIKT_T0_EES8_S8_bS8_S8_NS5_IS6_S8_EES8_NS5_IlS8_EES8_PS6_,comdat
.Lfunc_end120:
	.size	_ZN2at6native6sbtopk10gatherTopKIhmLi1ELb0EEEvNS_4cuda6detail10TensorInfoIKT_T0_EES8_S8_bS8_S8_NS5_IS6_S8_EES8_NS5_IlS8_EES8_PS6_, .Lfunc_end120-_ZN2at6native6sbtopk10gatherTopKIhmLi1ELb0EEEvNS_4cuda6detail10TensorInfoIKT_T0_EES8_S8_bS8_S8_NS5_IS6_S8_EES8_NS5_IlS8_EES8_PS6_
                                        ; -- End function
	.section	.AMDGPU.csdata,"",@progbits
; Kernel info:
; codeLenInByte = 26048
; NumSgprs: 100
; NumVgprs: 49
; NumAgprs: 0
; TotalNumVgprs: 49
; ScratchSize: 0
; MemoryBound: 0
; FloatMode: 240
; IeeeMode: 1
; LDSByteSize: 5152 bytes/workgroup (compile time only)
; SGPRBlocks: 12
; VGPRBlocks: 6
; NumSGPRsForWavesPerEU: 100
; NumVGPRsForWavesPerEU: 49
; AccumOffset: 52
; Occupancy: 8
; WaveLimiterHint : 1
; COMPUTE_PGM_RSRC2:SCRATCH_EN: 0
; COMPUTE_PGM_RSRC2:USER_SGPR: 6
; COMPUTE_PGM_RSRC2:TRAP_HANDLER: 0
; COMPUTE_PGM_RSRC2:TGID_X_EN: 1
; COMPUTE_PGM_RSRC2:TGID_Y_EN: 1
; COMPUTE_PGM_RSRC2:TGID_Z_EN: 1
; COMPUTE_PGM_RSRC2:TIDIG_COMP_CNT: 0
; COMPUTE_PGM_RSRC3_GFX90A:ACCUM_OFFSET: 12
; COMPUTE_PGM_RSRC3_GFX90A:TG_SPLIT: 0
	.section	.text._ZN2at6native6mbtopk23computeBlockDigitCountsIhmjLi2EEEvNS_4cuda6detail10TensorInfoIKT_T0_EEjPjjS8_iijT1_PSB_Ps,"axG",@progbits,_ZN2at6native6mbtopk23computeBlockDigitCountsIhmjLi2EEEvNS_4cuda6detail10TensorInfoIKT_T0_EEjPjjS8_iijT1_PSB_Ps,comdat
	.protected	_ZN2at6native6mbtopk23computeBlockDigitCountsIhmjLi2EEEvNS_4cuda6detail10TensorInfoIKT_T0_EEjPjjS8_iijT1_PSB_Ps ; -- Begin function _ZN2at6native6mbtopk23computeBlockDigitCountsIhmjLi2EEEvNS_4cuda6detail10TensorInfoIKT_T0_EEjPjjS8_iijT1_PSB_Ps
	.globl	_ZN2at6native6mbtopk23computeBlockDigitCountsIhmjLi2EEEvNS_4cuda6detail10TensorInfoIKT_T0_EEjPjjS8_iijT1_PSB_Ps
	.p2align	8
	.type	_ZN2at6native6mbtopk23computeBlockDigitCountsIhmjLi2EEEvNS_4cuda6detail10TensorInfoIKT_T0_EEjPjjS8_iijT1_PSB_Ps,@function
_ZN2at6native6mbtopk23computeBlockDigitCountsIhmjLi2EEEvNS_4cuda6detail10TensorInfoIKT_T0_EEjPjjS8_iijT1_PSB_Ps: ; @_ZN2at6native6mbtopk23computeBlockDigitCountsIhmjLi2EEEvNS_4cuda6detail10TensorInfoIKT_T0_EEjPjjS8_iijT1_PSB_Ps
; %bb.0:
	s_load_dwordx4 s[0:3], s[4:5], 0x1c0
	s_load_dword s9, s[4:5], 0x1b0
	s_load_dwordx2 s[10:11], s[4:5], 0x1e0
	s_waitcnt lgkmcnt(0)
	v_cvt_f32_u32_e32 v1, s2
	s_mul_i32 s8, s11, s8
	s_add_i32 s7, s8, s7
	v_rcp_iflag_f32_e32 v1, v1
	s_mul_i32 s18, s7, s10
	s_sub_i32 s11, 0, s2
	s_add_i32 s18, s18, s6
	v_mul_f32_e32 v1, 0x4f7ffffe, v1
	v_cvt_u32_f32_e32 v1, v1
	v_readfirstlane_b32 s6, v1
	s_mul_i32 s11, s11, s6
	s_mul_hi_u32 s7, s6, s11
	s_add_i32 s6, s6, s7
	s_mul_hi_u32 s6, s18, s6
	s_mul_i32 s7, s6, s2
	s_sub_i32 s7, s18, s7
	s_add_i32 s8, s6, 1
	s_sub_i32 s10, s7, s2
	s_cmp_ge_u32 s7, s2
	s_cselect_b32 s6, s8, s6
	s_cselect_b32 s7, s10, s7
	s_add_i32 s8, s6, 1
	s_cmp_ge_u32 s7, s2
	s_cselect_b32 s6, s8, s6
	s_cmp_ge_u32 s6, s9
	s_mov_b32 s7, 0
	s_cbranch_scc1 .LBB121_31
; %bb.1:
	s_load_dwordx4 s[8:11], s[4:5], 0x1d0
	s_load_dwordx2 s[12:13], s[4:5], 0x10
	s_lshl_b64 s[14:15], s[6:7], 2
	s_waitcnt lgkmcnt(0)
	s_add_u32 s8, s8, s14
	v_pk_mov_b32 v[2:3], s[12:13], s[12:13] op_sel:[0,1]
	v_cmp_lt_u64_e32 vcc, s[6:7], v[2:3]
	s_addc_u32 s9, s9, s15
	s_mov_b64 s[14:15], 0
	s_cbranch_vccnz .LBB121_3
; %bb.2:
	v_cvt_f32_u32_e32 v1, s12
	s_sub_i32 s7, 0, s12
	v_rcp_iflag_f32_e32 v1, v1
	v_mul_f32_e32 v1, 0x4f7ffffe, v1
	v_cvt_u32_f32_e32 v1, v1
	v_readfirstlane_b32 s14, v1
	s_mul_i32 s7, s7, s14
	s_mul_hi_u32 s7, s14, s7
	s_add_i32 s14, s14, s7
	s_mul_hi_u32 s7, s6, s14
	s_mul_i32 s15, s7, s12
	s_sub_i32 s15, s6, s15
	s_add_i32 s14, s7, 1
	s_sub_i32 s16, s15, s12
	s_cmp_ge_u32 s15, s12
	s_cselect_b32 s7, s14, s7
	s_cselect_b32 s15, s16, s15
	s_add_i32 s14, s7, 1
	s_cmp_ge_u32 s15, s12
	s_cselect_b32 s14, s14, s7
.LBB121_3:
	s_movk_i32 s7, 0x100
	v_cmp_gt_u32_e32 vcc, s7, v0
	v_lshlrev_b32_e32 v1, 2, v0
	s_and_saveexec_b64 s[16:17], vcc
	s_cbranch_execz .LBB121_5
; %bb.4:
	v_mov_b32_e32 v2, 0
	ds_write_b32 v1, v2
.LBB121_5:
	s_or_b64 exec, exec, s[16:17]
	s_load_dword s15, s[4:5], 0x1a0
	s_mul_i32 s7, s6, s2
	s_sub_i32 s7, s18, s7
	s_add_i32 s17, s7, 1
	s_mul_i32 s7, s1, s7
	s_lshl_b32 s16, s7, 8
	s_waitcnt lgkmcnt(0)
	s_sub_i32 s7, s15, s16
	s_add_u32 s7, s7, 0xff
	s_addc_u32 s19, 0, 0
	v_mov_b32_e32 v2, s7
	v_alignbit_b32 v2, s19, v2, 8
	s_cmp_lt_u32 s17, s2
	v_readfirstlane_b32 s2, v2
	s_cselect_b32 s19, s1, s2
	s_cmp_lt_i32 s19, 1
	s_mov_b32 s17, 0
	s_barrier
	s_cbranch_scc1 .LBB121_27
; %bb.6:
	s_load_dwordx2 s[24:25], s[4:5], 0x0
	s_load_dwordx4 s[20:23], s[4:5], 0xd0
	s_load_dword s2, s[8:9], 0x0
	s_mul_i32 s1, s14, s13
	s_mul_hi_u32 s7, s14, s12
	s_add_i32 s7, s7, s1
	s_mul_i32 s1, s14, s12
	s_sub_u32 s1, s6, s1
	s_subb_u32 s6, 0, s7
	s_waitcnt lgkmcnt(0)
	s_mul_i32 s7, s1, s23
	s_mul_hi_u32 s8, s1, s22
	s_add_i32 s7, s8, s7
	s_mul_i32 s6, s6, s22
	s_add_i32 s7, s7, s6
	s_mul_i32 s6, s14, s21
	s_mul_hi_u32 s8, s14, s20
	s_add_i32 s8, s8, s6
	s_mul_i32 s6, s14, s20
	s_add_u32 s6, s24, s6
	s_load_dwordx2 s[4:5], s[4:5], 0x1b8
	s_mul_i32 s1, s1, s22
	s_addc_u32 s8, s25, s8
	s_add_u32 s6, s6, s1
	s_addc_u32 s7, s8, s7
	s_and_b32 s12, s0, 0xff
	s_cmp_lt_u32 s19, 4
	s_cbranch_scc1 .LBB121_21
; %bb.7:
	s_and_b32 s17, s19, 0x7ffffffc
	v_add_u32_e32 v2, s16, v0
	s_mov_b32 s13, 0
	v_mov_b32_e32 v3, 1
	s_branch .LBB121_9
.LBB121_8:                              ;   in Loop: Header=BB121_9 Depth=1
	s_or_b64 exec, exec, s[8:9]
	s_add_i32 s13, s13, 4
	s_cmp_eq_u32 s17, s13
	v_add_u32_e32 v2, 0x400, v2
	s_cbranch_scc1 .LBB121_21
.LBB121_9:                              ; =>This Inner Loop Header: Depth=1
	v_cmp_gt_u32_e64 s[0:1], s15, v2
	s_and_saveexec_b64 s[8:9], s[0:1]
	s_cbranch_execz .LBB121_12
; %bb.10:                               ;   in Loop: Header=BB121_9 Depth=1
	v_pk_mov_b32 v[4:5], s[6:7], s[6:7] op_sel:[0,1]
	s_waitcnt lgkmcnt(0)
	v_mad_u64_u32 v[4:5], s[0:1], v2, s4, v[4:5]
	v_mov_b32_e32 v6, v5
	v_mad_u64_u32 v[6:7], s[0:1], v2, s5, v[6:7]
	v_mov_b32_e32 v5, v6
	global_load_ubyte v4, v[4:5], off
	s_waitcnt vmcnt(0)
	v_xor_b32_e32 v5, s2, v4
	v_and_b32_e32 v5, s3, v5
	v_cmp_eq_u32_e64 s[0:1], 0, v5
	s_and_b64 exec, exec, s[0:1]
	s_cbranch_execz .LBB121_12
; %bb.11:                               ;   in Loop: Header=BB121_9 Depth=1
	v_lshrrev_b32_e32 v4, s12, v4
	v_lshlrev_b32_e32 v4, 2, v4
	ds_add_u32 v4, v3
.LBB121_12:                             ;   in Loop: Header=BB121_9 Depth=1
	s_or_b64 exec, exec, s[8:9]
	v_add_u32_e32 v4, 0x100, v2
	v_cmp_gt_u32_e64 s[0:1], s15, v4
	s_and_saveexec_b64 s[8:9], s[0:1]
	s_cbranch_execz .LBB121_15
; %bb.13:                               ;   in Loop: Header=BB121_9 Depth=1
	v_pk_mov_b32 v[6:7], s[6:7], s[6:7] op_sel:[0,1]
	s_waitcnt lgkmcnt(0)
	v_mad_u64_u32 v[6:7], s[0:1], v4, s4, v[6:7]
	v_mov_b32_e32 v8, v7
	v_mad_u64_u32 v[4:5], s[0:1], v4, s5, v[8:9]
	v_mov_b32_e32 v7, v4
	global_load_ubyte v4, v[6:7], off
	s_waitcnt vmcnt(0)
	v_xor_b32_e32 v5, s2, v4
	v_and_b32_e32 v5, s3, v5
	v_cmp_eq_u32_e64 s[0:1], 0, v5
	s_and_b64 exec, exec, s[0:1]
	s_cbranch_execz .LBB121_15
; %bb.14:                               ;   in Loop: Header=BB121_9 Depth=1
	v_lshrrev_b32_e32 v4, s12, v4
	v_lshlrev_b32_e32 v4, 2, v4
	ds_add_u32 v4, v3
.LBB121_15:                             ;   in Loop: Header=BB121_9 Depth=1
	s_or_b64 exec, exec, s[8:9]
	v_add_u32_e32 v4, 0x200, v2
	;; [unrolled: 24-line block ×3, first 2 shown]
	v_cmp_gt_u32_e64 s[0:1], s15, v4
	s_and_saveexec_b64 s[8:9], s[0:1]
	s_cbranch_execz .LBB121_8
; %bb.19:                               ;   in Loop: Header=BB121_9 Depth=1
	v_pk_mov_b32 v[6:7], s[6:7], s[6:7] op_sel:[0,1]
	s_waitcnt lgkmcnt(0)
	v_mad_u64_u32 v[6:7], s[0:1], v4, s4, v[6:7]
	v_mov_b32_e32 v8, v7
	v_mad_u64_u32 v[4:5], s[0:1], v4, s5, v[8:9]
	v_mov_b32_e32 v7, v4
	global_load_ubyte v4, v[6:7], off
	s_waitcnt vmcnt(0)
	v_xor_b32_e32 v5, s2, v4
	v_and_b32_e32 v5, s3, v5
	v_cmp_eq_u32_e64 s[0:1], 0, v5
	s_and_b64 exec, exec, s[0:1]
	s_cbranch_execz .LBB121_8
; %bb.20:                               ;   in Loop: Header=BB121_9 Depth=1
	v_lshrrev_b32_e32 v4, s12, v4
	v_lshlrev_b32_e32 v4, 2, v4
	ds_add_u32 v4, v3
	s_branch .LBB121_8
.LBB121_21:
	s_and_b32 s13, s19, 3
	s_cmp_eq_u32 s13, 0
	s_cbranch_scc1 .LBB121_27
; %bb.22:
	s_lshl_b32 s0, s17, 8
	s_add_i32 s0, s0, s16
	v_add_u32_e32 v2, s0, v0
	v_mov_b32_e32 v3, 1
	s_branch .LBB121_24
.LBB121_23:                             ;   in Loop: Header=BB121_24 Depth=1
	s_or_b64 exec, exec, s[8:9]
	s_add_i32 s13, s13, -1
	s_cmp_lg_u32 s13, 0
	v_add_u32_e32 v2, 0x100, v2
	s_cbranch_scc0 .LBB121_27
.LBB121_24:                             ; =>This Inner Loop Header: Depth=1
	v_cmp_gt_u32_e64 s[0:1], s15, v2
	s_and_saveexec_b64 s[8:9], s[0:1]
	s_cbranch_execz .LBB121_23
; %bb.25:                               ;   in Loop: Header=BB121_24 Depth=1
	v_pk_mov_b32 v[4:5], s[6:7], s[6:7] op_sel:[0,1]
	s_waitcnt lgkmcnt(0)
	v_mad_u64_u32 v[4:5], s[0:1], v2, s4, v[4:5]
	v_mov_b32_e32 v6, v5
	v_mad_u64_u32 v[6:7], s[0:1], v2, s5, v[6:7]
	v_mov_b32_e32 v5, v6
	global_load_ubyte v4, v[4:5], off
	s_waitcnt vmcnt(0)
	v_xor_b32_e32 v5, s2, v4
	v_and_b32_e32 v5, s3, v5
	v_cmp_eq_u32_e64 s[0:1], 0, v5
	s_and_b64 exec, exec, s[0:1]
	s_cbranch_execz .LBB121_23
; %bb.26:                               ;   in Loop: Header=BB121_24 Depth=1
	v_lshrrev_b32_e32 v4, s12, v4
	v_lshlrev_b32_e32 v4, 2, v4
	ds_add_u32 v4, v3
	s_branch .LBB121_23
.LBB121_27:
	v_mov_b32_e32 v2, 0
	s_waitcnt lgkmcnt(0)
	s_barrier
	s_and_saveexec_b64 s[0:1], vcc
	s_cbranch_execz .LBB121_29
; %bb.28:
	ds_read_b32 v2, v1
.LBB121_29:
	s_or_b64 exec, exec, s[0:1]
	s_and_saveexec_b64 s[0:1], vcc
	s_cbranch_execz .LBB121_31
; %bb.30:
	v_lshl_or_b32 v0, s18, 8, v0
	v_mov_b32_e32 v1, 0
	v_lshlrev_b64 v[0:1], 1, v[0:1]
	v_mov_b32_e32 v3, s11
	v_add_co_u32_e32 v0, vcc, s10, v0
	v_addc_co_u32_e32 v1, vcc, v3, v1, vcc
	s_waitcnt lgkmcnt(0)
	global_store_short v[0:1], v2, off
.LBB121_31:
	s_endpgm
	.section	.rodata,"a",@progbits
	.p2align	6, 0x0
	.amdhsa_kernel _ZN2at6native6mbtopk23computeBlockDigitCountsIhmjLi2EEEvNS_4cuda6detail10TensorInfoIKT_T0_EEjPjjS8_iijT1_PSB_Ps
		.amdhsa_group_segment_fixed_size 1024
		.amdhsa_private_segment_fixed_size 0
		.amdhsa_kernarg_size 736
		.amdhsa_user_sgpr_count 6
		.amdhsa_user_sgpr_private_segment_buffer 1
		.amdhsa_user_sgpr_dispatch_ptr 0
		.amdhsa_user_sgpr_queue_ptr 0
		.amdhsa_user_sgpr_kernarg_segment_ptr 1
		.amdhsa_user_sgpr_dispatch_id 0
		.amdhsa_user_sgpr_flat_scratch_init 0
		.amdhsa_user_sgpr_kernarg_preload_length 0
		.amdhsa_user_sgpr_kernarg_preload_offset 0
		.amdhsa_user_sgpr_private_segment_size 0
		.amdhsa_uses_dynamic_stack 0
		.amdhsa_system_sgpr_private_segment_wavefront_offset 0
		.amdhsa_system_sgpr_workgroup_id_x 1
		.amdhsa_system_sgpr_workgroup_id_y 1
		.amdhsa_system_sgpr_workgroup_id_z 1
		.amdhsa_system_sgpr_workgroup_info 0
		.amdhsa_system_vgpr_workitem_id 0
		.amdhsa_next_free_vgpr 10
		.amdhsa_next_free_sgpr 26
		.amdhsa_accum_offset 12
		.amdhsa_reserve_vcc 1
		.amdhsa_reserve_flat_scratch 0
		.amdhsa_float_round_mode_32 0
		.amdhsa_float_round_mode_16_64 0
		.amdhsa_float_denorm_mode_32 3
		.amdhsa_float_denorm_mode_16_64 3
		.amdhsa_dx10_clamp 1
		.amdhsa_ieee_mode 1
		.amdhsa_fp16_overflow 0
		.amdhsa_tg_split 0
		.amdhsa_exception_fp_ieee_invalid_op 0
		.amdhsa_exception_fp_denorm_src 0
		.amdhsa_exception_fp_ieee_div_zero 0
		.amdhsa_exception_fp_ieee_overflow 0
		.amdhsa_exception_fp_ieee_underflow 0
		.amdhsa_exception_fp_ieee_inexact 0
		.amdhsa_exception_int_div_zero 0
	.end_amdhsa_kernel
	.section	.text._ZN2at6native6mbtopk23computeBlockDigitCountsIhmjLi2EEEvNS_4cuda6detail10TensorInfoIKT_T0_EEjPjjS8_iijT1_PSB_Ps,"axG",@progbits,_ZN2at6native6mbtopk23computeBlockDigitCountsIhmjLi2EEEvNS_4cuda6detail10TensorInfoIKT_T0_EEjPjjS8_iijT1_PSB_Ps,comdat
.Lfunc_end121:
	.size	_ZN2at6native6mbtopk23computeBlockDigitCountsIhmjLi2EEEvNS_4cuda6detail10TensorInfoIKT_T0_EEjPjjS8_iijT1_PSB_Ps, .Lfunc_end121-_ZN2at6native6mbtopk23computeBlockDigitCountsIhmjLi2EEEvNS_4cuda6detail10TensorInfoIKT_T0_EEjPjjS8_iijT1_PSB_Ps
                                        ; -- End function
	.section	.AMDGPU.csdata,"",@progbits
; Kernel info:
; codeLenInByte = 1288
; NumSgprs: 30
; NumVgprs: 10
; NumAgprs: 0
; TotalNumVgprs: 10
; ScratchSize: 0
; MemoryBound: 0
; FloatMode: 240
; IeeeMode: 1
; LDSByteSize: 1024 bytes/workgroup (compile time only)
; SGPRBlocks: 3
; VGPRBlocks: 1
; NumSGPRsForWavesPerEU: 30
; NumVGPRsForWavesPerEU: 10
; AccumOffset: 12
; Occupancy: 8
; WaveLimiterHint : 1
; COMPUTE_PGM_RSRC2:SCRATCH_EN: 0
; COMPUTE_PGM_RSRC2:USER_SGPR: 6
; COMPUTE_PGM_RSRC2:TRAP_HANDLER: 0
; COMPUTE_PGM_RSRC2:TGID_X_EN: 1
; COMPUTE_PGM_RSRC2:TGID_Y_EN: 1
; COMPUTE_PGM_RSRC2:TGID_Z_EN: 1
; COMPUTE_PGM_RSRC2:TIDIG_COMP_CNT: 0
; COMPUTE_PGM_RSRC3_GFX90A:ACCUM_OFFSET: 2
; COMPUTE_PGM_RSRC3_GFX90A:TG_SPLIT: 0
	.section	.text._ZN2at6native6mbtopk10gatherTopKIhmLi2EEEvNS_4cuda6detail10TensorInfoIKT_T0_EES8_S8_bjS8_NS5_IS6_S8_EES8_NS5_IlS8_EES8_jjPS6_PjSD_j,"axG",@progbits,_ZN2at6native6mbtopk10gatherTopKIhmLi2EEEvNS_4cuda6detail10TensorInfoIKT_T0_EES8_S8_bjS8_NS5_IS6_S8_EES8_NS5_IlS8_EES8_jjPS6_PjSD_j,comdat
	.protected	_ZN2at6native6mbtopk10gatherTopKIhmLi2EEEvNS_4cuda6detail10TensorInfoIKT_T0_EES8_S8_bjS8_NS5_IS6_S8_EES8_NS5_IlS8_EES8_jjPS6_PjSD_j ; -- Begin function _ZN2at6native6mbtopk10gatherTopKIhmLi2EEEvNS_4cuda6detail10TensorInfoIKT_T0_EES8_S8_bjS8_NS5_IS6_S8_EES8_NS5_IlS8_EES8_jjPS6_PjSD_j
	.globl	_ZN2at6native6mbtopk10gatherTopKIhmLi2EEEvNS_4cuda6detail10TensorInfoIKT_T0_EES8_S8_bjS8_NS5_IS6_S8_EES8_NS5_IlS8_EES8_jjPS6_PjSD_j
	.p2align	8
	.type	_ZN2at6native6mbtopk10gatherTopKIhmLi2EEEvNS_4cuda6detail10TensorInfoIKT_T0_EES8_S8_bjS8_NS5_IS6_S8_EES8_NS5_IlS8_EES8_jjPS6_PjSD_j,@function
_ZN2at6native6mbtopk10gatherTopKIhmLi2EEEvNS_4cuda6detail10TensorInfoIKT_T0_EES8_S8_bjS8_NS5_IS6_S8_EES8_NS5_IlS8_EES8_jjPS6_PjSD_j: ; @_ZN2at6native6mbtopk10gatherTopKIhmLi2EEEvNS_4cuda6detail10TensorInfoIKT_T0_EES8_S8_bjS8_NS5_IS6_S8_EES8_NS5_IlS8_EES8_jjPS6_PjSD_j
; %bb.0:
	s_load_dwordx2 s[0:1], s[4:5], 0x538
	s_load_dword s2, s[4:5], 0x530
	s_waitcnt lgkmcnt(0)
	s_mul_i32 s1, s1, s8
	s_add_i32 s1, s1, s7
	s_mul_i32 s0, s1, s0
	s_add_i32 s0, s0, s6
	s_cmp_ge_u32 s0, s2
	s_cbranch_scc1 .LBB122_48
; %bb.1:
	s_load_dwordx2 s[34:35], s[4:5], 0x510
	s_load_dwordx2 s[38:39], s[4:5], 0x1d0
	s_load_dwordx4 s[8:11], s[4:5], 0x1a0
	s_load_dwordx2 s[36:37], s[4:5], 0x10
	s_mov_b32 s7, 0
	s_waitcnt lgkmcnt(0)
	v_cvt_f32_u32_e32 v1, s35
	s_sub_i32 s2, 0, s35
	s_lshl_b32 s1, s34, 8
	v_rcp_iflag_f32_e32 v1, v1
	v_mul_f32_e32 v1, 0x4f7ffffe, v1
	v_cvt_u32_f32_e32 v1, v1
	v_readfirstlane_b32 s3, v1
	s_mul_i32 s2, s2, s3
	s_mul_hi_u32 s2, s3, s2
	s_add_i32 s3, s3, s2
	s_mul_hi_u32 s2, s0, s3
	s_mul_i32 s3, s2, s35
	s_sub_i32 s3, s0, s3
	s_add_i32 s6, s2, 1
	s_sub_i32 s12, s3, s35
	s_cmp_ge_u32 s3, s35
	s_cselect_b32 s2, s6, s2
	s_cselect_b32 s3, s12, s3
	s_add_i32 s6, s2, 1
	s_cmp_ge_u32 s3, s35
	s_cselect_b32 s6, s6, s2
	s_mul_i32 s20, s6, s35
	s_sub_i32 s28, s0, s20
	s_add_i32 s0, s28, 1
	s_cmp_lt_u32 s0, s35
	s_mul_i32 s33, s28, s1
	s_cbranch_scc1 .LBB122_3
; %bb.2:
	s_sub_u32 s0, s8, s33
	s_subb_u32 s1, s9, 0
	s_add_u32 s0, s0, 0xff
	s_addc_u32 s1, s1, 0
	s_ashr_i32 s2, s1, 31
	s_lshr_b32 s2, s2, 24
	s_add_u32 s0, s0, s2
	s_addc_u32 s1, s1, 0
	v_mov_b32_e32 v1, s0
	v_alignbit_b32 v1, s1, v1, 8
	v_readfirstlane_b32 s34, v1
.LBB122_3:
	s_load_dwordx2 s[40:41], s[4:5], 0x378
	v_pk_mov_b32 v[2:3], s[36:37], s[36:37] op_sel:[0,1]
	v_cmp_lt_u64_e32 vcc, s[6:7], v[2:3]
	s_mov_b64 s[44:45], 0
	s_mov_b64 s[42:43], 0
	s_cbranch_vccnz .LBB122_5
; %bb.4:
	v_cvt_f32_u32_e32 v1, s36
	s_sub_i32 s0, 0, s36
	v_rcp_iflag_f32_e32 v1, v1
	v_mul_f32_e32 v1, 0x4f7ffffe, v1
	v_cvt_u32_f32_e32 v1, v1
	v_readfirstlane_b32 s1, v1
	s_mul_i32 s0, s0, s1
	s_mul_hi_u32 s0, s1, s0
	s_add_i32 s1, s1, s0
	s_mul_hi_u32 s0, s6, s1
	s_mul_i32 s2, s0, s36
	s_sub_i32 s2, s6, s2
	s_add_i32 s1, s0, 1
	s_sub_i32 s3, s2, s36
	s_cmp_ge_u32 s2, s36
	s_cselect_b32 s0, s1, s0
	s_cselect_b32 s2, s3, s2
	s_add_i32 s1, s0, 1
	s_cmp_ge_u32 s2, s36
	s_cselect_b32 s42, s1, s0
.LBB122_5:
	v_pk_mov_b32 v[2:3], s[38:39], s[38:39] op_sel:[0,1]
	v_cmp_lt_u64_e32 vcc, s[6:7], v[2:3]
	s_cbranch_vccnz .LBB122_7
; %bb.6:
	v_cvt_f32_u32_e32 v1, s38
	s_sub_i32 s0, 0, s38
	v_rcp_iflag_f32_e32 v1, v1
	v_mul_f32_e32 v1, 0x4f7ffffe, v1
	v_cvt_u32_f32_e32 v1, v1
	v_readfirstlane_b32 s1, v1
	s_mul_i32 s0, s0, s1
	s_mul_hi_u32 s0, s1, s0
	s_add_i32 s1, s1, s0
	s_mul_hi_u32 s0, s6, s1
	s_mul_i32 s2, s0, s38
	s_sub_i32 s2, s6, s2
	s_add_i32 s1, s0, 1
	s_sub_i32 s3, s2, s38
	s_cmp_ge_u32 s2, s38
	s_cselect_b32 s0, s1, s0
	s_cselect_b32 s2, s3, s2
	s_add_i32 s1, s0, 1
	s_cmp_ge_u32 s2, s38
	s_cselect_b32 s44, s1, s0
.LBB122_7:
	s_waitcnt lgkmcnt(0)
	v_pk_mov_b32 v[2:3], s[40:41], s[40:41] op_sel:[0,1]
	v_cmp_lt_u64_e32 vcc, s[6:7], v[2:3]
	s_mov_b64 s[46:47], 0
	s_cbranch_vccnz .LBB122_9
; %bb.8:
	v_cvt_f32_u32_e32 v1, s40
	s_sub_i32 s0, 0, s40
	v_rcp_iflag_f32_e32 v1, v1
	v_mul_f32_e32 v1, 0x4f7ffffe, v1
	v_cvt_u32_f32_e32 v1, v1
	v_readfirstlane_b32 s1, v1
	s_mul_i32 s0, s0, s1
	s_mul_hi_u32 s0, s1, s0
	s_add_i32 s1, s1, s0
	s_mul_hi_u32 s0, s6, s1
	s_mul_i32 s2, s0, s40
	s_sub_i32 s2, s6, s2
	s_add_i32 s1, s0, 1
	s_sub_i32 s3, s2, s40
	s_cmp_ge_u32 s2, s40
	s_cselect_b32 s0, s1, s0
	s_cselect_b32 s2, s3, s2
	s_add_i32 s1, s0, 1
	s_cmp_ge_u32 s2, s40
	s_cselect_b32 s46, s1, s0
.LBB122_9:
	s_load_dwordx4 s[12:15], s[4:5], 0x518
	s_load_dwordx2 s[48:49], s[4:5], 0x0
	v_mov_b32_e32 v1, 0
	s_mov_b32 s21, 0
	v_cmp_eq_u32_e64 s[2:3], 0, v0
	s_waitcnt lgkmcnt(0)
	s_add_u32 s0, s12, s6
	s_addc_u32 s1, s13, 0
	global_load_ubyte v5, v1, s[0:1]
	v_cmp_ne_u32_e64 s[0:1], 0, v0
	s_and_saveexec_b64 s[12:13], s[2:3]
	s_cbranch_execz .LBB122_25
; %bb.10:
	s_load_dwordx2 s[22:23], s[4:5], 0x528
	s_lshl_b64 s[24:25], s[20:21], 2
	s_add_u32 s16, s14, s24
	s_addc_u32 s17, s15, s25
	s_mov_b32 s20, 0
	s_waitcnt lgkmcnt(0)
	s_add_u32 s18, s22, s24
	s_addc_u32 s19, s23, s25
	s_cmp_lt_u32 s35, 4
	s_cbranch_scc1 .LBB122_22
; %bb.11:
	s_mov_b32 s29, 0
.LBB122_12:                             ; =>This Inner Loop Header: Depth=1
	s_add_u32 s16, s14, s24
	s_addc_u32 s17, s15, s25
	s_load_dwordx4 s[16:19], s[16:17], 0x0
	s_add_u32 s26, s22, s24
	s_addc_u32 s27, s23, s25
	s_cmp_ge_u32 s29, s28
	s_cbranch_scc0 .LBB122_19
; %bb.13:                               ;   in Loop: Header=BB122_12 Depth=1
	s_add_i32 s30, s29, 1
	s_cmp_ge_u32 s30, s28
	s_cbranch_scc0 .LBB122_20
.LBB122_14:                             ;   in Loop: Header=BB122_12 Depth=1
	s_add_i32 s30, s30, 1
	s_cmp_ge_u32 s30, s28
	s_cbranch_scc0 .LBB122_21
.LBB122_15:                             ;   in Loop: Header=BB122_12 Depth=1
	s_add_i32 s30, s30, 1
	s_cmp_ge_u32 s30, s28
	s_cbranch_scc1 .LBB122_17
.LBB122_16:                             ;   in Loop: Header=BB122_12 Depth=1
	s_load_dword s26, s[26:27], 0xc
	s_waitcnt lgkmcnt(0)
	s_add_i32 s21, s21, s19
	s_add_i32 s7, s26, s7
.LBB122_17:                             ;   in Loop: Header=BB122_12 Depth=1
	s_waitcnt lgkmcnt(0)
	s_add_i32 s16, s16, s20
	s_add_i32 s16, s16, s17
	;; [unrolled: 1-line block ×4, first 2 shown]
	s_add_u32 s14, s14, 16
	s_addc_u32 s15, s15, 0
	s_add_u32 s22, s22, 16
	s_addc_u32 s23, s23, 0
	s_add_i32 s27, s30, 4
	s_add_u32 s18, s22, s24
	s_addc_u32 s19, s23, s25
	s_add_u32 s16, s14, s24
	s_addc_u32 s17, s15, s25
	s_add_i32 s26, s30, 1
	s_cmp_ge_u32 s27, s35
	s_cbranch_scc1 .LBB122_23
; %bb.18:                               ;   in Loop: Header=BB122_12 Depth=1
	s_mov_b32 s29, s26
	s_branch .LBB122_12
.LBB122_19:                             ;   in Loop: Header=BB122_12 Depth=1
	s_load_dword s30, s[26:27], 0x0
	s_waitcnt lgkmcnt(0)
	s_add_i32 s21, s16, s21
	s_add_i32 s7, s30, s7
	;; [unrolled: 1-line block ×3, first 2 shown]
	s_cmp_ge_u32 s30, s28
	s_cbranch_scc1 .LBB122_14
.LBB122_20:                             ;   in Loop: Header=BB122_12 Depth=1
	s_load_dword s31, s[26:27], 0x4
	s_waitcnt lgkmcnt(0)
	s_add_i32 s21, s21, s17
	s_add_i32 s7, s31, s7
	;; [unrolled: 1-line block ×3, first 2 shown]
	s_cmp_ge_u32 s30, s28
	s_cbranch_scc1 .LBB122_15
.LBB122_21:                             ;   in Loop: Header=BB122_12 Depth=1
	s_load_dword s31, s[26:27], 0x8
	s_waitcnt lgkmcnt(0)
	s_add_i32 s21, s21, s18
	s_add_i32 s7, s31, s7
	;; [unrolled: 1-line block ×3, first 2 shown]
	s_cmp_ge_u32 s30, s28
	s_cbranch_scc0 .LBB122_16
	s_branch .LBB122_17
.LBB122_22:
	s_mov_b32 s14, 0
	s_cmp_ge_u32 s14, s35
	s_cbranch_scc0 .LBB122_46
	s_branch .LBB122_24
.LBB122_23:
	s_add_i32 s14, s29, 4
	s_cmp_ge_u32 s14, s35
	s_cbranch_scc0 .LBB122_46
.LBB122_24:
	v_mov_b32_e32 v2, s7
	v_mov_b32_e32 v3, s20
	;; [unrolled: 1-line block ×4, first 2 shown]
	ds_write_b96 v1, v[2:4] offset:1056
.LBB122_25:
	s_or_b64 exec, exec, s[12:13]
	s_load_dwordx4 s[12:15], s[4:5], 0x1b8
	s_load_dwordx4 s[24:27], s[4:5], 0xd0
	;; [unrolled: 1-line block ×5, first 2 shown]
	s_cmp_eq_u32 s34, 0
	s_waitcnt lgkmcnt(0)
	s_barrier
	s_cbranch_scc1 .LBB122_48
; %bb.26:
	s_mul_i32 s7, s44, s39
	s_mul_hi_u32 s35, s44, s38
	s_add_i32 s35, s35, s7
	s_mul_i32 s7, s44, s38
	s_sub_u32 s7, s6, s7
	s_subb_u32 s35, 0, s35
	s_mul_i32 s31, s7, s31
	s_mul_hi_u32 s38, s7, s30
	s_add_i32 s31, s38, s31
	s_mul_i32 s35, s35, s30
	s_mul_i32 s30, s7, s30
	;; [unrolled: 1-line block ×3, first 2 shown]
	s_mul_hi_u32 s29, s44, s28
	s_add_i32 s31, s31, s35
	s_add_i32 s29, s29, s7
	s_mul_i32 s7, s42, s37
	s_mul_hi_u32 s35, s42, s36
	s_add_i32 s35, s35, s7
	s_mul_i32 s7, s42, s36
	s_sub_u32 s7, s6, s7
	s_subb_u32 s35, 0, s35
	s_mul_i32 s27, s7, s27
	s_mul_hi_u32 s36, s7, s26
	s_add_i32 s27, s36, s27
	s_mul_i32 s35, s35, s26
	s_mul_i32 s26, s7, s26
	;; [unrolled: 1-line block ×3, first 2 shown]
	s_mul_hi_u32 s25, s42, s24
	s_add_i32 s27, s27, s35
	s_add_i32 s25, s25, s7
	s_mul_i32 s7, s46, s41
	s_mul_hi_u32 s35, s46, s40
	s_add_i32 s35, s35, s7
	s_mul_i32 s7, s46, s40
	s_sub_u32 s6, s6, s7
	s_subb_u32 s7, 0, s35
	s_mul_i32 s23, s6, s23
	s_mul_hi_u32 s35, s6, s22
	s_add_i32 s23, s35, s23
	s_mul_i32 s7, s7, s22
	s_mul_i32 s6, s6, s22
	;; [unrolled: 1-line block ×3, first 2 shown]
	s_mul_hi_u32 s22, s46, s20
	s_mul_i32 s24, s42, s24
	s_add_i32 s7, s23, s7
	s_add_i32 s23, s22, s21
	s_mul_i32 s22, s46, s20
	s_add_u32 s20, s48, s24
	s_addc_u32 s21, s49, s25
	s_add_u32 s20, s20, s26
	s_mul_i32 s28, s44, s28
	s_addc_u32 s21, s21, s27
	s_add_u32 s14, s14, s28
	v_mov_b32_e32 v1, 0
	s_addc_u32 s15, s15, s29
	ds_read_b96 v[2:4], v1 offset:1056
	s_add_u32 s14, s14, s30
	s_addc_u32 s15, s15, s31
	s_lshl_b64 s[22:23], s[22:23], 3
	s_add_u32 s18, s18, s22
	s_addc_u32 s19, s19, s23
	s_lshl_b64 s[6:7], s[6:7], 3
	s_add_u32 s24, s18, s6
	s_load_dword s6, s[4:5], 0x1b0
	s_waitcnt lgkmcnt(0)
	v_add_u32_e32 v2, v2, v3
	v_lshrrev_b32_e32 v3, 5, v0
	v_add_lshl_u32 v8, v3, v0, 2
	v_lshlrev_b32_e32 v3, 2, v0
	v_lshrrev_b32_e32 v6, 3, v0
	s_addc_u32 s25, s19, s7
	s_load_dwordx2 s[18:19], s[4:5], 0x508
	v_add_lshl_u32 v9, v6, v3, 2
	v_add_u32_e32 v3, -1, v0
	v_lshrrev_b32_e32 v6, 5, v3
	v_add_lshl_u32 v10, v6, v3, 2
	v_mbcnt_lo_u32_b32 v3, -1, 0
	s_bitcmp1_b32 s6, 0
	v_mbcnt_hi_u32_b32 v11, -1, v3
	s_cselect_b64 s[4:5], -1, 0
	v_cmp_gt_u32_e64 s[6:7], 64, v0
	v_add_u32_e32 v0, s33, v0
	v_and_b32_e32 v12, 15, v11
	v_bfe_i32 v13, v11, 4, 1
	v_add_u32_e32 v14, -1, v11
	v_and_b32_e32 v15, 64, v11
                                        ; implicit-def: $vgpr16
	s_branch .LBB122_29
.LBB122_27:                             ;   in Loop: Header=BB122_29 Depth=1
	s_or_b64 exec, exec, s[22:23]
	v_add_u32_e32 v2, v3, v2
.LBB122_28:                             ;   in Loop: Header=BB122_29 Depth=1
	s_add_i32 s34, s34, -1
	v_add_u32_e32 v4, v17, v4
	s_cmp_lg_u32 s34, 0
	v_add_u32_e32 v0, 0x100, v0
	s_cbranch_scc0 .LBB122_48
.LBB122_29:                             ; =>This Inner Loop Header: Depth=1
	v_cmp_gt_u64_e32 vcc, s[8:9], v[0:1]
	v_mov_b32_e32 v3, v1
	v_mov_b32_e32 v6, v1
	s_and_saveexec_b64 s[22:23], vcc
	s_cbranch_execz .LBB122_31
; %bb.30:                               ;   in Loop: Header=BB122_29 Depth=1
	v_pk_mov_b32 v[6:7], s[20:21], s[20:21] op_sel:[0,1]
	v_mad_u64_u32 v[6:7], s[26:27], v0, s12, v[6:7]
	v_mov_b32_e32 v16, v7
	v_mad_u64_u32 v[16:17], s[26:27], v0, s13, v[16:17]
	v_mov_b32_e32 v7, v16
	global_load_ubyte v16, v[6:7], off
	s_waitcnt vmcnt(0)
	v_cmp_gt_u16_sdwa s[26:27], v16, v5 src0_sel:DWORD src1_sel:BYTE_0
	v_cndmask_b32_e64 v3, 0, 1, s[26:27]
	v_cmp_lt_u16_sdwa s[26:27], v16, v5 src0_sel:DWORD src1_sel:BYTE_0
	v_cndmask_b32_e64 v6, 0, 1, s[26:27]
	v_cndmask_b32_e64 v3, v6, v3, s[4:5]
	v_cmp_eq_u16_sdwa s[26:27], v16, v5 src0_sel:DWORD src1_sel:BYTE_0
	v_and_b32_e32 v3, 1, v3
	v_cndmask_b32_e64 v6, 0, 1, s[26:27]
.LBB122_31:                             ;   in Loop: Header=BB122_29 Depth=1
	s_or_b64 exec, exec, s[22:23]
	ds_write_b32 v8, v3
	s_waitcnt lgkmcnt(0)
	s_barrier
	s_and_saveexec_b64 s[22:23], s[6:7]
	s_cbranch_execz .LBB122_33
; %bb.32:                               ;   in Loop: Header=BB122_29 Depth=1
	ds_read2_b32 v[18:19], v9 offset1:1
	ds_read2_b32 v[20:21], v9 offset0:2 offset1:3
	v_cmp_ne_u32_e32 vcc, 0, v12
	; wave barrier
	s_waitcnt lgkmcnt(1)
	v_add_u32_e32 v7, v19, v18
	s_waitcnt lgkmcnt(0)
	v_add3_u32 v7, v7, v20, v21
	s_nop 1
	v_mov_b32_dpp v17, v7 row_shr:1 row_mask:0xf bank_mask:0xf
	v_cndmask_b32_e32 v17, 0, v17, vcc
	v_add_u32_e32 v7, v17, v7
	v_cmp_lt_u32_e32 vcc, 1, v12
	s_nop 0
	v_mov_b32_dpp v17, v7 row_shr:2 row_mask:0xf bank_mask:0xf
	v_cndmask_b32_e32 v17, 0, v17, vcc
	v_add_u32_e32 v7, v7, v17
	v_cmp_lt_u32_e32 vcc, 3, v12
	;; [unrolled: 5-line block ×4, first 2 shown]
	s_nop 0
	v_mov_b32_dpp v17, v7 row_bcast:15 row_mask:0xf bank_mask:0xf
	v_and_b32_e32 v17, v13, v17
	v_add_u32_e32 v7, v7, v17
	s_nop 1
	v_mov_b32_dpp v17, v7 row_bcast:31 row_mask:0xf bank_mask:0xf
	v_cndmask_b32_e32 v17, 0, v17, vcc
	v_cmp_lt_i32_e32 vcc, v14, v15
	v_add_u32_e32 v7, v7, v17
	v_cndmask_b32_e32 v17, v14, v11, vcc
	v_lshlrev_b32_e32 v17, 2, v17
	ds_bpermute_b32 v7, v17, v7
	s_waitcnt lgkmcnt(0)
	v_add_u32_e32 v7, v7, v18
	v_cndmask_b32_e64 v7, v7, v3, s[2:3]
	ds_write_b32 v9, v7
	; wave barrier
	ds_read2_b32 v[18:19], v9 offset0:1 offset1:2
	ds_read_b32 v17, v9 offset:12
	s_waitcnt lgkmcnt(1)
	v_add_u32_e32 v7, v18, v7
	v_add_u32_e32 v18, v19, v7
	ds_write2_b32 v9, v7, v18 offset0:1 offset1:2
	s_waitcnt lgkmcnt(1)
	v_add_u32_e32 v7, v17, v18
	ds_write_b32 v9, v7 offset:12
.LBB122_33:                             ;   in Loop: Header=BB122_29 Depth=1
	s_or_b64 exec, exec, s[22:23]
	v_mov_b32_e32 v7, 0
	s_waitcnt lgkmcnt(0)
	s_barrier
	s_and_saveexec_b64 s[22:23], s[0:1]
	s_cbranch_execz .LBB122_35
; %bb.34:                               ;   in Loop: Header=BB122_29 Depth=1
	ds_read_b32 v7, v10
.LBB122_35:                             ;   in Loop: Header=BB122_29 Depth=1
	s_or_b64 exec, exec, s[22:23]
	ds_read_b32 v17, v1 offset:1048
	v_cmp_ne_u32_e32 vcc, 0, v3
	s_waitcnt lgkmcnt(0)
	s_barrier
	s_and_saveexec_b64 s[22:23], vcc
	s_cbranch_execz .LBB122_37
; %bb.36:                               ;   in Loop: Header=BB122_29 Depth=1
	v_add_u32_e32 v3, v7, v4
	v_pk_mov_b32 v[18:19], s[14:15], s[14:15] op_sel:[0,1]
	v_mad_u64_u32 v[18:19], s[26:27], v3, s16, v[18:19]
	v_mov_b32_e32 v20, v19
	v_mad_u64_u32 v[20:21], s[26:27], v3, s17, v[20:21]
	v_mov_b32_e32 v19, v20
	global_store_byte v[18:19], v16, off
	v_mad_u64_u32 v[18:19], s[26:27], v3, s18, 0
	v_mov_b32_e32 v20, v19
	v_mad_u64_u32 v[20:21], s[26:27], v3, s19, v[20:21]
	v_mov_b32_e32 v19, v20
	v_lshlrev_b64 v[18:19], 3, v[18:19]
	v_mov_b32_e32 v3, s25
	v_add_co_u32_e32 v18, vcc, s24, v18
	v_addc_co_u32_e32 v19, vcc, v3, v19, vcc
	global_store_dwordx2 v[18:19], v[0:1], off
.LBB122_37:                             ;   in Loop: Header=BB122_29 Depth=1
	s_or_b64 exec, exec, s[22:23]
	v_mov_b32_e32 v3, v1
	v_cmp_le_u64_e32 vcc, s[10:11], v[2:3]
	s_cbranch_vccnz .LBB122_28
; %bb.38:                               ;   in Loop: Header=BB122_29 Depth=1
	ds_write_b32 v8, v6
	s_waitcnt lgkmcnt(0)
	s_barrier
	s_and_saveexec_b64 s[22:23], s[6:7]
	s_cbranch_execz .LBB122_40
; %bb.39:                               ;   in Loop: Header=BB122_29 Depth=1
	ds_read2_b32 v[18:19], v9 offset1:1
	ds_read2_b32 v[20:21], v9 offset0:2 offset1:3
	v_cmp_ne_u32_e32 vcc, 0, v12
	; wave barrier
	s_waitcnt lgkmcnt(1)
	v_add_u32_e32 v3, v19, v18
	s_waitcnt lgkmcnt(0)
	v_add3_u32 v3, v3, v20, v21
	s_nop 1
	v_mov_b32_dpp v7, v3 row_shr:1 row_mask:0xf bank_mask:0xf
	v_cndmask_b32_e32 v7, 0, v7, vcc
	v_add_u32_e32 v3, v7, v3
	v_cmp_lt_u32_e32 vcc, 1, v12
	s_nop 0
	v_mov_b32_dpp v7, v3 row_shr:2 row_mask:0xf bank_mask:0xf
	v_cndmask_b32_e32 v7, 0, v7, vcc
	v_add_u32_e32 v3, v3, v7
	v_cmp_lt_u32_e32 vcc, 3, v12
	;; [unrolled: 5-line block ×4, first 2 shown]
	s_nop 0
	v_mov_b32_dpp v7, v3 row_bcast:15 row_mask:0xf bank_mask:0xf
	v_and_b32_e32 v7, v13, v7
	v_add_u32_e32 v3, v3, v7
	s_nop 1
	v_mov_b32_dpp v7, v3 row_bcast:31 row_mask:0xf bank_mask:0xf
	v_cndmask_b32_e32 v7, 0, v7, vcc
	v_cmp_lt_i32_e32 vcc, v14, v15
	v_add_u32_e32 v3, v3, v7
	v_cndmask_b32_e32 v7, v14, v11, vcc
	v_lshlrev_b32_e32 v7, 2, v7
	ds_bpermute_b32 v3, v7, v3
	s_waitcnt lgkmcnt(0)
	v_add_u32_e32 v3, v3, v18
	v_cndmask_b32_e64 v3, v3, v6, s[2:3]
	ds_write_b32 v9, v3
	; wave barrier
	ds_read2_b32 v[18:19], v9 offset0:1 offset1:2
	ds_read_b32 v7, v9 offset:12
	s_waitcnt lgkmcnt(1)
	v_add_u32_e32 v3, v18, v3
	v_add_u32_e32 v18, v19, v3
	ds_write2_b32 v9, v3, v18 offset0:1 offset1:2
	s_waitcnt lgkmcnt(1)
	v_add_u32_e32 v3, v7, v18
	ds_write_b32 v9, v3 offset:12
.LBB122_40:                             ;   in Loop: Header=BB122_29 Depth=1
	s_or_b64 exec, exec, s[22:23]
	v_mov_b32_e32 v7, 0
	s_waitcnt lgkmcnt(0)
	s_barrier
	s_and_saveexec_b64 s[22:23], s[0:1]
	s_cbranch_execz .LBB122_42
; %bb.41:                               ;   in Loop: Header=BB122_29 Depth=1
	ds_read_b32 v7, v10
.LBB122_42:                             ;   in Loop: Header=BB122_29 Depth=1
	s_or_b64 exec, exec, s[22:23]
	ds_read_b32 v3, v1 offset:1048
	v_cmp_ne_u32_e32 vcc, 0, v6
	s_waitcnt lgkmcnt(0)
	s_barrier
	s_and_saveexec_b64 s[22:23], vcc
	s_cbranch_execz .LBB122_27
; %bb.43:                               ;   in Loop: Header=BB122_29 Depth=1
	v_add_u32_e32 v6, v7, v2
	v_mov_b32_e32 v7, v1
	v_cmp_gt_u64_e32 vcc, s[10:11], v[6:7]
	s_and_b64 exec, exec, vcc
	s_cbranch_execz .LBB122_27
; %bb.44:                               ;   in Loop: Header=BB122_29 Depth=1
	v_pk_mov_b32 v[18:19], s[14:15], s[14:15] op_sel:[0,1]
	v_mad_u64_u32 v[18:19], s[26:27], v6, s16, v[18:19]
	v_mov_b32_e32 v20, v19
	v_mad_u64_u32 v[20:21], s[26:27], v6, s17, v[20:21]
	v_mov_b32_e32 v19, v20
	global_store_byte v[18:19], v16, off
	v_mad_u64_u32 v[18:19], s[26:27], v6, s18, 0
	v_mov_b32_e32 v20, v19
	v_mad_u64_u32 v[6:7], s[26:27], v6, s19, v[20:21]
	v_mov_b32_e32 v19, v6
	v_lshlrev_b64 v[6:7], 3, v[18:19]
	v_mov_b32_e32 v18, s25
	v_add_co_u32_e32 v6, vcc, s24, v6
	v_addc_co_u32_e32 v7, vcc, v18, v7, vcc
	global_store_dwordx2 v[6:7], v[0:1], off
	s_branch .LBB122_27
.LBB122_45:                             ;   in Loop: Header=BB122_46 Depth=1
	s_add_u32 s16, s16, 4
	s_addc_u32 s17, s17, 0
	s_waitcnt lgkmcnt(0)
	s_add_i32 s20, s15, s20
	s_add_u32 s18, s18, 4
	s_addc_u32 s19, s19, 0
	s_add_i32 s14, s14, 1
	s_cmp_lt_u32 s14, s35
	s_cbranch_scc0 .LBB122_24
.LBB122_46:                             ; =>This Inner Loop Header: Depth=1
	s_load_dword s15, s[16:17], 0x0
	s_cmp_ge_u32 s14, s28
	s_cbranch_scc1 .LBB122_45
; %bb.47:                               ;   in Loop: Header=BB122_46 Depth=1
	s_load_dword s22, s[18:19], 0x0
	s_waitcnt lgkmcnt(0)
	s_add_i32 s21, s15, s21
	s_add_i32 s7, s22, s7
	s_branch .LBB122_45
.LBB122_48:
	s_endpgm
	.section	.rodata,"a",@progbits
	.p2align	6, 0x0
	.amdhsa_kernel _ZN2at6native6mbtopk10gatherTopKIhmLi2EEEvNS_4cuda6detail10TensorInfoIKT_T0_EES8_S8_bjS8_NS5_IS6_S8_EES8_NS5_IlS8_EES8_jjPS6_PjSD_j
		.amdhsa_group_segment_fixed_size 1068
		.amdhsa_private_segment_fixed_size 0
		.amdhsa_kernarg_size 1592
		.amdhsa_user_sgpr_count 6
		.amdhsa_user_sgpr_private_segment_buffer 1
		.amdhsa_user_sgpr_dispatch_ptr 0
		.amdhsa_user_sgpr_queue_ptr 0
		.amdhsa_user_sgpr_kernarg_segment_ptr 1
		.amdhsa_user_sgpr_dispatch_id 0
		.amdhsa_user_sgpr_flat_scratch_init 0
		.amdhsa_user_sgpr_kernarg_preload_length 0
		.amdhsa_user_sgpr_kernarg_preload_offset 0
		.amdhsa_user_sgpr_private_segment_size 0
		.amdhsa_uses_dynamic_stack 0
		.amdhsa_system_sgpr_private_segment_wavefront_offset 0
		.amdhsa_system_sgpr_workgroup_id_x 1
		.amdhsa_system_sgpr_workgroup_id_y 1
		.amdhsa_system_sgpr_workgroup_id_z 1
		.amdhsa_system_sgpr_workgroup_info 0
		.amdhsa_system_vgpr_workitem_id 0
		.amdhsa_next_free_vgpr 22
		.amdhsa_next_free_sgpr 50
		.amdhsa_accum_offset 24
		.amdhsa_reserve_vcc 1
		.amdhsa_reserve_flat_scratch 0
		.amdhsa_float_round_mode_32 0
		.amdhsa_float_round_mode_16_64 0
		.amdhsa_float_denorm_mode_32 3
		.amdhsa_float_denorm_mode_16_64 3
		.amdhsa_dx10_clamp 1
		.amdhsa_ieee_mode 1
		.amdhsa_fp16_overflow 0
		.amdhsa_tg_split 0
		.amdhsa_exception_fp_ieee_invalid_op 0
		.amdhsa_exception_fp_denorm_src 0
		.amdhsa_exception_fp_ieee_div_zero 0
		.amdhsa_exception_fp_ieee_overflow 0
		.amdhsa_exception_fp_ieee_underflow 0
		.amdhsa_exception_fp_ieee_inexact 0
		.amdhsa_exception_int_div_zero 0
	.end_amdhsa_kernel
	.section	.text._ZN2at6native6mbtopk10gatherTopKIhmLi2EEEvNS_4cuda6detail10TensorInfoIKT_T0_EES8_S8_bjS8_NS5_IS6_S8_EES8_NS5_IlS8_EES8_jjPS6_PjSD_j,"axG",@progbits,_ZN2at6native6mbtopk10gatherTopKIhmLi2EEEvNS_4cuda6detail10TensorInfoIKT_T0_EES8_S8_bjS8_NS5_IS6_S8_EES8_NS5_IlS8_EES8_jjPS6_PjSD_j,comdat
.Lfunc_end122:
	.size	_ZN2at6native6mbtopk10gatherTopKIhmLi2EEEvNS_4cuda6detail10TensorInfoIKT_T0_EES8_S8_bjS8_NS5_IS6_S8_EES8_NS5_IlS8_EES8_jjPS6_PjSD_j, .Lfunc_end122-_ZN2at6native6mbtopk10gatherTopKIhmLi2EEEvNS_4cuda6detail10TensorInfoIKT_T0_EES8_S8_bjS8_NS5_IS6_S8_EES8_NS5_IlS8_EES8_jjPS6_PjSD_j
                                        ; -- End function
	.section	.AMDGPU.csdata,"",@progbits
; Kernel info:
; codeLenInByte = 2640
; NumSgprs: 54
; NumVgprs: 22
; NumAgprs: 0
; TotalNumVgprs: 22
; ScratchSize: 0
; MemoryBound: 0
; FloatMode: 240
; IeeeMode: 1
; LDSByteSize: 1068 bytes/workgroup (compile time only)
; SGPRBlocks: 6
; VGPRBlocks: 2
; NumSGPRsForWavesPerEU: 54
; NumVGPRsForWavesPerEU: 22
; AccumOffset: 24
; Occupancy: 8
; WaveLimiterHint : 1
; COMPUTE_PGM_RSRC2:SCRATCH_EN: 0
; COMPUTE_PGM_RSRC2:USER_SGPR: 6
; COMPUTE_PGM_RSRC2:TRAP_HANDLER: 0
; COMPUTE_PGM_RSRC2:TGID_X_EN: 1
; COMPUTE_PGM_RSRC2:TGID_Y_EN: 1
; COMPUTE_PGM_RSRC2:TGID_Z_EN: 1
; COMPUTE_PGM_RSRC2:TIDIG_COMP_CNT: 0
; COMPUTE_PGM_RSRC3_GFX90A:ACCUM_OFFSET: 5
; COMPUTE_PGM_RSRC3_GFX90A:TG_SPLIT: 0
	.section	.text._ZN2at6native6sbtopk10gatherTopKIhmLi2ELb0EEEvNS_4cuda6detail10TensorInfoIKT_T0_EES8_S8_bS8_S8_NS5_IS6_S8_EES8_NS5_IlS8_EES8_PS6_,"axG",@progbits,_ZN2at6native6sbtopk10gatherTopKIhmLi2ELb0EEEvNS_4cuda6detail10TensorInfoIKT_T0_EES8_S8_bS8_S8_NS5_IS6_S8_EES8_NS5_IlS8_EES8_PS6_,comdat
	.protected	_ZN2at6native6sbtopk10gatherTopKIhmLi2ELb0EEEvNS_4cuda6detail10TensorInfoIKT_T0_EES8_S8_bS8_S8_NS5_IS6_S8_EES8_NS5_IlS8_EES8_PS6_ ; -- Begin function _ZN2at6native6sbtopk10gatherTopKIhmLi2ELb0EEEvNS_4cuda6detail10TensorInfoIKT_T0_EES8_S8_bS8_S8_NS5_IS6_S8_EES8_NS5_IlS8_EES8_PS6_
	.globl	_ZN2at6native6sbtopk10gatherTopKIhmLi2ELb0EEEvNS_4cuda6detail10TensorInfoIKT_T0_EES8_S8_bS8_S8_NS5_IS6_S8_EES8_NS5_IlS8_EES8_PS6_
	.p2align	8
	.type	_ZN2at6native6sbtopk10gatherTopKIhmLi2ELb0EEEvNS_4cuda6detail10TensorInfoIKT_T0_EES8_S8_bS8_S8_NS5_IS6_S8_EES8_NS5_IlS8_EES8_PS6_,@function
_ZN2at6native6sbtopk10gatherTopKIhmLi2ELb0EEEvNS_4cuda6detail10TensorInfoIKT_T0_EES8_S8_bS8_S8_NS5_IS6_S8_EES8_NS5_IlS8_EES8_PS6_: ; @_ZN2at6native6sbtopk10gatherTopKIhmLi2ELb0EEEvNS_4cuda6detail10TensorInfoIKT_T0_EES8_S8_bS8_S8_NS5_IS6_S8_EES8_NS5_IlS8_EES8_PS6_
; %bb.0:
	s_load_dwordx4 s[56:59], s[4:5], 0x1b8
	s_load_dwordx2 s[12:13], s[4:5], 0x520
	s_add_u32 s20, s4, 0x520
	s_addc_u32 s21, s5, 0
	s_mov_b32 s23, 0
	s_waitcnt lgkmcnt(0)
	v_mov_b32_e32 v2, s56
	s_mul_i32 s0, s13, s8
	s_add_i32 s0, s0, s7
	s_mul_i32 s0, s0, s12
	v_mov_b32_e32 v3, s57
	s_add_i32 s22, s0, s6
	v_cmp_ge_u64_e32 vcc, s[22:23], v[2:3]
	s_cbranch_vccnz .LBB123_470
; %bb.1:
	s_load_dwordx2 s[8:9], s[4:5], 0x10
	s_load_dwordx2 s[16:17], s[4:5], 0x380
	;; [unrolled: 1-line block ×3, first 2 shown]
	s_mov_b64 s[0:1], 0
                                        ; implicit-def: $vgpr42 : SGPR spill to VGPR lane
	s_mov_b64 s[10:11], 0
	s_waitcnt lgkmcnt(0)
	v_pk_mov_b32 v[2:3], s[8:9], s[8:9] op_sel:[0,1]
	v_cmp_lt_u64_e32 vcc, s[22:23], v[2:3]
	v_writelane_b32 v42, s0, 0
	v_writelane_b32 v42, s1, 1
	s_cbranch_vccnz .LBB123_3
; %bb.2:
	v_cvt_f32_u32_e32 v1, s8
	s_sub_i32 s0, 0, s8
	v_rcp_iflag_f32_e32 v1, v1
	v_mul_f32_e32 v1, 0x4f7ffffe, v1
	v_cvt_u32_f32_e32 v1, v1
	v_readfirstlane_b32 s1, v1
	s_mul_i32 s0, s0, s1
	s_mul_hi_u32 s0, s1, s0
	s_add_i32 s1, s1, s0
	s_mul_hi_u32 s0, s22, s1
	s_mul_i32 s2, s0, s8
	s_sub_i32 s2, s22, s2
	s_add_i32 s1, s0, 1
	s_sub_i32 s3, s2, s8
	s_cmp_ge_u32 s2, s8
	s_cselect_b32 s0, s1, s0
	s_cselect_b32 s2, s3, s2
	s_add_i32 s1, s0, 1
	s_cmp_ge_u32 s2, s8
	s_cselect_b32 s10, s1, s0
.LBB123_3:
	v_pk_mov_b32 v[2:3], s[14:15], s[14:15] op_sel:[0,1]
	v_cmp_lt_u64_e32 vcc, s[22:23], v[2:3]
	s_cbranch_vccnz .LBB123_5
; %bb.4:
	v_cvt_f32_u32_e32 v1, s14
	s_sub_i32 s0, 0, s14
	v_rcp_iflag_f32_e32 v1, v1
	v_mul_f32_e32 v1, 0x4f7ffffe, v1
	v_cvt_u32_f32_e32 v1, v1
	v_readfirstlane_b32 s1, v1
	s_mul_i32 s0, s0, s1
	s_mul_hi_u32 s0, s1, s0
	s_add_i32 s1, s1, s0
	s_mul_hi_u32 s0, s22, s1
	s_mul_i32 s2, s0, s14
	s_sub_i32 s2, s22, s2
	s_add_i32 s1, s0, 1
	s_sub_i32 s3, s2, s14
	s_cmp_ge_u32 s2, s14
	s_cselect_b32 s0, s1, s0
	s_cselect_b32 s2, s3, s2
	s_add_i32 s1, s0, 1
	s_cmp_ge_u32 s2, s14
	s_cselect_b32 s0, s1, s0
	v_writelane_b32 v42, s0, 0
	v_writelane_b32 v42, s1, 1
.LBB123_5:
	v_writelane_b32 v42, s14, 2
	v_writelane_b32 v42, s15, 3
	s_load_dwordx2 s[14:15], s[4:5], 0x0
	v_pk_mov_b32 v[2:3], s[16:17], s[16:17] op_sel:[0,1]
	v_cmp_lt_u64_e32 vcc, s[22:23], v[2:3]
	s_mov_b64 s[0:1], 0
	v_writelane_b32 v42, s0, 4
	v_writelane_b32 v42, s1, 5
	s_cbranch_vccnz .LBB123_7
; %bb.6:
	v_cvt_f32_u32_e32 v1, s16
	s_sub_i32 s0, 0, s16
	v_rcp_iflag_f32_e32 v1, v1
	v_mul_f32_e32 v1, 0x4f7ffffe, v1
	v_cvt_u32_f32_e32 v1, v1
	v_readfirstlane_b32 s1, v1
	s_mul_i32 s0, s0, s1
	s_mul_hi_u32 s0, s1, s0
	s_add_i32 s1, s1, s0
	s_mul_hi_u32 s0, s22, s1
	s_mul_i32 s2, s0, s16
	s_sub_i32 s2, s22, s2
	s_add_i32 s1, s0, 1
	s_sub_i32 s3, s2, s16
	s_cmp_ge_u32 s2, s16
	s_cselect_b32 s0, s1, s0
	s_cselect_b32 s2, s3, s2
	s_add_i32 s1, s0, 1
	s_cmp_ge_u32 s2, s16
	s_cselect_b32 s0, s1, s0
	v_writelane_b32 v42, s0, 4
	v_writelane_b32 v42, s1, 5
.LBB123_7:
	s_load_dwordx2 s[0:1], s[4:5], 0x370
	v_writelane_b32 v42, s16, 6
	v_writelane_b32 v42, s17, 7
	s_mov_b32 s87, 0
	v_cmp_eq_u32_e64 s[18:19], 0, v0
	s_waitcnt lgkmcnt(0)
	v_writelane_b32 v42, s0, 8
	v_writelane_b32 v42, s1, 9
	s_load_dwordx2 s[0:1], s[4:5], 0x1c8
	s_waitcnt lgkmcnt(0)
	v_writelane_b32 v42, s0, 10
	v_writelane_b32 v42, s1, 11
	s_load_dwordx4 s[0:3], s[4:5], 0xd0
	s_load_dwordx4 s[60:63], s[4:5], 0x1a0
	s_mov_b64 s[16:17], exec
	v_writelane_b32 v42, s18, 12
	v_writelane_b32 v42, s19, 13
	s_and_b64 s[18:19], s[16:17], s[18:19]
	s_mov_b64 exec, s[18:19]
	s_cbranch_execz .LBB123_9
; %bb.8:
	v_mov_b32_e32 v2, 0
	s_waitcnt lgkmcnt(0)
	v_mov_b32_e32 v4, s60
	v_mov_b32_e32 v5, s61
	;; [unrolled: 1-line block ×3, first 2 shown]
	ds_write_b32 v2, v2 offset:5144
	ds_write_b128 v2, v[2:5] offset:5120
.LBB123_9:
	s_or_b64 exec, exec, s[16:17]
	s_mul_i32 s7, s10, s9
	s_mul_hi_u32 s9, s10, s8
	s_add_i32 s9, s9, s7
	s_mul_i32 s7, s10, s8
	s_mov_b32 s8, s22
	v_writelane_b32 v42, s8, 14
	s_sub_u32 s7, s22, s7
	v_writelane_b32 v42, s9, 15
	s_subb_u32 s8, 0, s9
	s_waitcnt lgkmcnt(0)
	s_mul_i32 s3, s7, s3
	s_mul_hi_u32 s9, s7, s2
	s_add_i32 s3, s9, s3
	s_mul_i32 s8, s8, s2
	s_add_i32 s3, s3, s8
	s_mul_i32 s7, s7, s2
	s_mul_i32 s1, s10, s1
	s_mul_hi_u32 s2, s10, s0
	s_mul_i32 s0, s10, s0
	s_load_dwordx4 s[8:11], s[4:5], 0x298
	s_add_i32 s2, s2, s1
	s_load_dword s1, s[4:5], 0x1b0
	s_add_u32 s0, s14, s0
	s_addc_u32 s2, s15, s2
	s_waitcnt lgkmcnt(0)
	v_writelane_b32 v42, s8, 16
	s_add_u32 s56, s0, s7
	v_writelane_b32 v42, s9, 17
	s_addc_u32 s57, s2, s3
	v_writelane_b32 v42, s10, 18
	s_bitcmp1_b32 s1, 0
	v_writelane_b32 v42, s11, 19
	s_cselect_b64 s[0:1], -1, 0
	v_writelane_b32 v42, s0, 20
	v_mbcnt_lo_u32_b32 v1, -1, 0
	v_writelane_b32 v42, s1, 21
	s_xor_b64 s[0:1], s[0:1], -1
	v_mbcnt_hi_u32_b32 v27, -1, v1
	v_writelane_b32 v42, s0, 22
	v_cmp_gt_u32_e32 vcc, 64, v0
	v_cmp_gt_i32_e64 s[10:11], 4, v27
	v_writelane_b32 v42, s1, 23
	s_and_b64 s[2:3], vcc, s[10:11]
	v_mov_b32_e32 v2, 0xc00
	v_writelane_b32 v42, s2, 24
	v_mov_b32_e32 v3, 0
	v_writelane_b32 v42, s3, 25
	v_cmp_gt_u64_e64 s[2:3], s[60:61], v[2:3]
	v_writelane_b32 v42, s2, 26
	v_pk_mov_b32 v[16:17], s[56:57], s[56:57] op_sel:[0,1]
	v_writelane_b32 v42, s3, 27
	v_mad_u64_u32 v[12:13], s[2:3], v0, s58, v[16:17]
	v_mov_b32_e32 v15, 0
	v_mov_b32_e32 v2, v13
	v_mov_b32_e32 v1, v15
	v_mad_u64_u32 v[2:3], s[2:3], v0, s59, v[2:3]
	v_cmp_gt_u64_e64 s[2:3], s[60:61], v[0:1]
	v_writelane_b32 v42, s2, 28
	v_writelane_b32 v42, s3, 29
	v_cmp_gt_u32_e64 s[2:3], 2, v0
	v_writelane_b32 v42, s2, 30
	s_barrier
	v_writelane_b32 v42, s3, 31
	s_load_dword s2, s[20:21], 0xc
	v_mov_b32_e32 v13, v2
	v_lshrrev_b32_e32 v2, 4, v0
	v_and_b32_e32 v28, 60, v2
	v_lshlrev_b32_e32 v2, 2, v27
	s_waitcnt lgkmcnt(0)
	s_and_b32 s33, s2, 0xffff
	s_bfe_u32 s3, s2, 0xa0006
	v_cmp_gt_u16_e64 s[8:9], s2, 63
	v_writelane_b32 v42, s8, 32
	s_add_u32 s2, s33, -1
	v_writelane_b32 v42, s9, 33
	s_addc_u32 s7, 0, -1
	v_writelane_b32 v42, s2, 34
	s_add_u32 s2, s2, s60
	s_addc_u32 s95, s7, s61
	s_cmp_lt_u32 s6, s12
	v_writelane_b32 v42, s2, 35
	s_cselect_b32 s2, 12, 18
	s_add_u32 s6, s20, s2
	v_writelane_b32 v42, s7, 36
	s_addc_u32 s7, s21, 0
	v_writelane_b32 v42, s6, 37
	v_writelane_b32 v42, s7, 38
	s_add_i32 s2, s3, -1
	s_bfe_u32 s6, s33, 0x30006
	s_cmp_gt_u32 s2, 6
	s_cselect_b64 s[8:9], -1, 0
	v_writelane_b32 v42, s8, 39
	s_and_b32 s82, s3, 0x3f8
	v_writelane_b32 v42, s9, 40
	s_cmp_lg_u32 s6, 0
	v_writelane_b32 v42, s6, 41
	s_cselect_b64 s[2:3], -1, 0
	v_writelane_b32 v42, s2, 42
	v_writelane_b32 v42, s3, 43
	;; [unrolled: 1-line block ×4, first 2 shown]
	s_load_dwordx4 s[4:7], s[4:5], 0x440
	v_and_b32_e32 v26, 0x100, v2
	v_lshlrev_b64 v[2:3], v27, -1
	v_not_b32_e32 v10, v2
	v_mov_b32_e32 v2, 0xc00
	s_waitcnt lgkmcnt(0)
	v_writelane_b32 v42, s4, 46
	v_writelane_b32 v42, s5, 47
	v_cmp_eq_u32_e64 s[0:1], 0, v27
	v_lshlrev_b32_e32 v18, 2, v0
	v_mov_b32_e32 v19, v15
	v_not_b32_e32 v11, v3
	s_mov_b32 s90, s87
	s_mov_b32 s83, 6
	v_lshl_or_b32 v29, v27, 3, v2
	s_mov_b64 s[66:67], 0
	v_pk_mov_b32 v[20:21], s[62:63], s[62:63] op_sel:[0,1]
	v_mov_b32_e32 v30, 0x4f800000
	v_writelane_b32 v42, s6, 48
	v_mov_b32_e32 v33, 0
	v_mov_b32_e32 v32, 0
	;; [unrolled: 1-line block ×3, first 2 shown]
	s_mov_b32 s91, 0
                                        ; implicit-def: $sgpr68_sgpr69
                                        ; implicit-def: $sgpr78_sgpr79
                                        ; implicit-def: $sgpr74_sgpr75
                                        ; implicit-def: $sgpr76_sgpr77
                                        ; implicit-def: $sgpr80_sgpr81
                                        ; implicit-def: $sgpr2_sgpr3
                                        ; implicit-def: $sgpr70_sgpr71
                                        ; implicit-def: $sgpr84_sgpr85
                                        ; implicit-def: $sgpr64_sgpr65
                                        ; implicit-def: $sgpr30_sgpr31
	v_writelane_b32 v42, s7, 49
	s_branch .LBB123_12
.LBB123_10:                             ;   in Loop: Header=BB123_12 Depth=1
	s_or_b64 exec, exec, s[10:11]
	s_andn2_b64 s[10:11], s[30:31], exec
	s_and_b64 s[8:9], s[8:9], exec
	s_or_b64 s[30:31], s[10:11], s[8:9]
	s_andn2_b64 s[64:65], s[64:65], exec
	s_andn2_b64 s[84:85], s[84:85], exec
	;; [unrolled: 1-line block ×4, first 2 shown]
	s_orn2_b64 s[6:7], s[6:7], exec
	v_mov_b32_e32 v31, v9
	v_mov_b32_e32 v32, v8
	v_pk_mov_b32 v[20:21], v[2:3], v[2:3] op_sel:[0,1]
	v_mov_b32_e32 v33, v22
.LBB123_11:                             ;   in Loop: Header=BB123_12 Depth=1
	s_or_b64 exec, exec, s[4:5]
	s_and_b64 s[4:5], exec, s[6:7]
	s_or_b64 s[66:67], s[4:5], s[66:67]
	s_andn2_b64 s[4:5], s[80:81], exec
	s_and_b64 s[6:7], s[30:31], exec
	s_or_b64 s[80:81], s[4:5], s[6:7]
	s_andn2_b64 s[4:5], s[76:77], exec
	s_and_b64 s[6:7], s[64:65], exec
	;; [unrolled: 3-line block ×5, first 2 shown]
	s_or_b64 s[68:69], s[4:5], s[6:7]
	s_andn2_b64 exec, exec, s[66:67]
	s_cbranch_execz .LBB123_466
.LBB123_12:                             ; =>This Loop Header: Depth=1
                                        ;     Child Loop BB123_17 Depth 2
                                        ;     Child Loop BB123_32 Depth 2
	;; [unrolled: 1-line block ×24, first 2 shown]
	ds_read_b128 v[2:5], v15 offset:5120
	s_waitcnt lgkmcnt(0)
	v_readfirstlane_b32 s9, v3
	v_readfirstlane_b32 s8, v2
	s_cmp_lg_u64 s[8:9], 0
	s_cbranch_scc1 .LBB123_39
; %bb.13:                               ;   in Loop: Header=BB123_12 Depth=1
	v_readlane_b32 s4, v42, 26
	v_readlane_b32 s5, v42, 27
	s_and_b64 vcc, exec, s[4:5]
	s_cbranch_vccz .LBB123_25
; %bb.14:                               ;   in Loop: Header=BB123_12 Depth=1
	s_mov_b64 s[4:5], 0xc01
	v_cmp_gt_u64_e32 vcc, s[4:5], v[4:5]
	s_mov_b64 s[8:9], 0
	s_mov_b64 s[4:5], 0
	s_cbranch_vccz .LBB123_26
; %bb.15:                               ;   in Loop: Header=BB123_12 Depth=1
	v_readlane_b32 s4, v42, 37
	v_readlane_b32 s5, v42, 38
	global_load_ubyte v5, v[12:13], off
	v_pk_mov_b32 v[2:3], v[0:1], v[0:1] op_sel:[0,1]
	s_nop 2
	global_load_ushort v4, v15, s[4:5]
	s_mov_b64 s[4:5], 0
	s_branch .LBB123_17
.LBB123_16:                             ;   in Loop: Header=BB123_17 Depth=2
	s_or_b64 exec, exec, s[6:7]
	s_waitcnt vmcnt(0)
	v_mov_b32_e32 v5, v6
	s_andn2_b64 exec, exec, s[4:5]
	s_cbranch_execz .LBB123_97
.LBB123_17:                             ;   Parent Loop BB123_12 Depth=1
                                        ; =>  This Inner Loop Header: Depth=2
	s_waitcnt vmcnt(0)
	v_add_co_u32_sdwa v2, vcc, v2, v4 dst_sel:DWORD dst_unused:UNUSED_PAD src0_sel:DWORD src1_sel:WORD_0
	v_addc_co_u32_e32 v3, vcc, 0, v3, vcc
	v_cmp_gt_u64_e64 s[6:7], s[60:61], v[2:3]
	v_cmp_le_u64_e32 vcc, s[60:61], v[2:3]
	s_waitcnt lgkmcnt(0)
	v_mov_b32_e32 v7, 0
	v_mov_b32_e32 v6, 0
	s_and_saveexec_b64 s[10:11], s[6:7]
	s_cbranch_execz .LBB123_19
; %bb.18:                               ;   in Loop: Header=BB123_17 Depth=2
	v_mad_u64_u32 v[8:9], s[6:7], v2, s58, v[16:17]
	v_mul_lo_u32 v6, v2, s59
	v_mul_lo_u32 v14, v3, s58
	v_add3_u32 v9, v14, v9, v6
	global_load_ubyte v6, v[8:9], off
.LBB123_19:                             ;   in Loop: Header=BB123_17 Depth=2
	s_or_b64 exec, exec, s[10:11]
	v_and_b32_e32 v8, v5, v31
	v_cmp_eq_u32_sdwa s[10:11], v8, v32 src0_sel:BYTE_0 src1_sel:DWORD
	s_cmp_lg_u64 s[10:11], 0
	s_cselect_b64 s[6:7], -1, 0
	s_and_b64 s[6:7], s[0:1], s[6:7]
	s_and_saveexec_b64 s[12:13], s[6:7]
	s_cbranch_execz .LBB123_23
; %bb.20:                               ;   in Loop: Header=BB123_17 Depth=2
	s_mov_b64 s[16:17], exec
	v_mbcnt_lo_u32_b32 v7, s16, 0
	v_mbcnt_hi_u32_b32 v7, s17, v7
	s_bcnt1_i32_b64 s18, s[10:11]
	v_cmp_eq_u32_e64 s[6:7], 0, v7
                                        ; implicit-def: $vgpr8
	s_and_saveexec_b64 s[14:15], s[6:7]
	s_cbranch_execz .LBB123_22
; %bb.21:                               ;   in Loop: Header=BB123_17 Depth=2
	s_bcnt1_i32_b64 s6, s[16:17]
	s_mul_i32 s6, s18, s6
	v_mov_b32_e32 v8, s6
	ds_add_rtn_u32 v8, v15, v8 offset:5144
.LBB123_22:                             ;   in Loop: Header=BB123_17 Depth=2
	s_or_b64 exec, exec, s[14:15]
	s_waitcnt lgkmcnt(0)
	v_readfirstlane_b32 s6, v8
	v_mov_b32_e32 v8, s6
	v_mad_u32_u24 v7, s18, v7, v8
.LBB123_23:                             ;   in Loop: Header=BB123_17 Depth=2
	s_or_b64 exec, exec, s[12:13]
	ds_bpermute_b32 v7, v26, v7
	s_and_b64 s[6:7], exec, vcc
	s_or_b64 s[4:5], s[6:7], s[4:5]
	s_and_saveexec_b64 s[6:7], s[10:11]
	s_cbranch_execz .LBB123_16
; %bb.24:                               ;   in Loop: Header=BB123_17 Depth=2
	v_and_b32_e32 v9, s10, v10
	v_and_b32_e32 v8, s11, v11
	v_bcnt_u32_b32 v9, v9, 0
	v_bcnt_u32_b32 v8, v8, v9
	s_waitcnt lgkmcnt(0)
	v_add_u32_e32 v7, v7, v8
	ds_write_b8 v7, v5
	s_branch .LBB123_16
.LBB123_25:                             ;   in Loop: Header=BB123_12 Depth=1
	s_mov_b64 s[8:9], -1
	s_mov_b64 s[4:5], 0
.LBB123_26:                             ;   in Loop: Header=BB123_12 Depth=1
	s_and_b64 vcc, exec, s[8:9]
	s_cbranch_vccz .LBB123_37
.LBB123_27:                             ;   in Loop: Header=BB123_12 Depth=1
	v_mov_b32_e32 v4, 0
	s_mov_b64 s[4:5], exec
	v_readlane_b32 s6, v42, 28
	v_readlane_b32 s7, v42, 29
	s_and_b64 s[6:7], s[4:5], s[6:7]
	s_mov_b64 exec, s[6:7]
	s_cbranch_execz .LBB123_29
; %bb.28:                               ;   in Loop: Header=BB123_12 Depth=1
	global_load_ubyte v4, v[12:13], off
.LBB123_29:                             ;   in Loop: Header=BB123_12 Depth=1
	s_or_b64 exec, exec, s[4:5]
	s_mov_b64 s[4:5], exec
	v_readlane_b32 s6, v42, 28
	v_readlane_b32 s7, v42, 29
	s_and_b64 s[6:7], s[4:5], s[6:7]
	s_mov_b64 exec, s[6:7]
	s_cbranch_execz .LBB123_34
; %bb.30:                               ;   in Loop: Header=BB123_12 Depth=1
	v_readlane_b32 s6, v42, 37
	v_readlane_b32 s7, v42, 38
	s_mov_b64 s[8:9], 0
	v_mov_b32_e32 v5, v0
	s_nop 2
	global_load_ushort v2, v15, s[6:7]
	s_waitcnt vmcnt(0)
	v_and_b32_e32 v6, 0xffff, v2
	v_pk_mov_b32 v[2:3], v[0:1], v[0:1] op_sel:[0,1]
	s_branch .LBB123_32
.LBB123_31:                             ;   in Loop: Header=BB123_32 Depth=2
	s_or_b64 exec, exec, s[10:11]
	s_and_b64 s[6:7], exec, vcc
	s_or_b64 s[8:9], s[6:7], s[8:9]
	ds_write_b8 v5, v4
	v_add_u32_e32 v5, v5, v6
	s_waitcnt vmcnt(0)
	v_mov_b32_e32 v4, v7
	s_andn2_b64 exec, exec, s[8:9]
	s_cbranch_execz .LBB123_34
.LBB123_32:                             ;   Parent Loop BB123_12 Depth=1
                                        ; =>  This Inner Loop Header: Depth=2
	v_add_co_u32_e32 v2, vcc, v2, v6
	v_addc_co_u32_e32 v3, vcc, 0, v3, vcc
	v_cmp_gt_u64_e64 s[6:7], s[60:61], v[2:3]
	v_cmp_le_u64_e32 vcc, s[60:61], v[2:3]
	v_mov_b32_e32 v7, 0
	s_and_saveexec_b64 s[10:11], s[6:7]
	s_cbranch_execz .LBB123_31
; %bb.33:                               ;   in Loop: Header=BB123_32 Depth=2
	v_pk_mov_b32 v[8:9], s[56:57], s[56:57] op_sel:[0,1]
	v_mad_u64_u32 v[8:9], s[6:7], v2, s58, v[8:9]
	v_mul_lo_u32 v7, v2, s59
	v_mul_lo_u32 v14, v3, s58
	v_add3_u32 v9, v14, v9, v7
	global_load_ubyte v7, v[8:9], off
	s_branch .LBB123_31
.LBB123_34:                             ;   in Loop: Header=BB123_12 Depth=1
	s_or_b64 exec, exec, s[4:5]
	s_waitcnt lgkmcnt(0)
	s_barrier
	s_mov_b64 s[4:5], exec
	v_readlane_b32 s6, v42, 12
	v_readlane_b32 s7, v42, 13
	s_and_b64 s[6:7], s[4:5], s[6:7]
	s_mov_b64 exec, s[6:7]
	s_cbranch_execz .LBB123_36
; %bb.35:                               ;   in Loop: Header=BB123_12 Depth=1
	v_pk_mov_b32 v[2:3], s[60:61], s[60:61] op_sel:[0,1]
	ds_write_b64 v15, v[2:3] offset:5120
.LBB123_36:                             ;   in Loop: Header=BB123_12 Depth=1
	s_or_b64 exec, exec, s[4:5]
	s_mov_b64 s[4:5], -1
	s_waitcnt lgkmcnt(0)
	s_barrier
                                        ; implicit-def: $sgpr8_sgpr9
.LBB123_37:                             ;   in Loop: Header=BB123_12 Depth=1
	s_and_b64 vcc, exec, s[4:5]
	s_cbranch_vccz .LBB123_39
; %bb.38:                               ;   in Loop: Header=BB123_12 Depth=1
	ds_read_b64 v[2:3], v15 offset:5120
	s_waitcnt lgkmcnt(0)
	v_readfirstlane_b32 s8, v2
.LBB123_39:                             ;   in Loop: Header=BB123_12 Depth=1
	s_cmp_lt_i32 s8, 1
	s_cbranch_scc0 .LBB123_54
; %bb.40:                               ;   in Loop: Header=BB123_12 Depth=1
	v_readlane_b32 s4, v42, 37
	v_readlane_b32 s5, v42, 38
	s_nop 4
	global_load_ushort v34, v15, s[4:5]
	s_mov_b32 s4, s87
	s_waitcnt vmcnt(0)
	v_readfirstlane_b32 s5, v34
	s_and_b32 s5, 0xffff, s5
	s_lshl_b32 s9, s5, 2
	s_mov_b32 s5, s61
	s_cmp_lg_u64 s[4:5], 0
	s_cbranch_scc0 .LBB123_74
; %bb.41:                               ;   in Loop: Header=BB123_12 Depth=1
	v_cvt_f32_u32_e32 v2, s9
	s_sub_u32 s4, 0, s9
	s_subb_u32 s5, 0, 0
	v_mac_f32_e32 v2, 0, v30
	v_rcp_f32_e32 v2, v2
	v_mul_f32_e32 v2, 0x5f7ffffc, v2
	v_mul_f32_e32 v3, 0x2f800000, v2
	v_trunc_f32_e32 v3, v3
	v_mac_f32_e32 v2, 0xcf800000, v3
	v_cvt_u32_f32_e32 v3, v3
	v_cvt_u32_f32_e32 v2, v2
	v_readfirstlane_b32 s6, v3
	v_readfirstlane_b32 s7, v2
	s_mul_i32 s10, s4, s6
	s_mul_hi_u32 s12, s4, s7
	s_mul_i32 s11, s5, s7
	s_add_i32 s10, s12, s10
	s_mul_i32 s13, s4, s7
	s_add_i32 s10, s10, s11
	s_mul_hi_u32 s12, s7, s13
	s_mul_hi_u32 s11, s7, s10
	s_mul_i32 s7, s7, s10
	s_add_u32 s7, s12, s7
	s_addc_u32 s11, 0, s11
	s_mul_hi_u32 s14, s6, s13
	s_mul_i32 s13, s6, s13
	s_add_u32 s7, s7, s13
	s_mul_hi_u32 s12, s6, s10
	s_addc_u32 s7, s11, s14
	s_addc_u32 s11, s12, 0
	s_mul_i32 s10, s6, s10
	s_add_u32 s7, s7, s10
	s_addc_u32 s10, 0, s11
	v_add_co_u32_e32 v2, vcc, s7, v2
	s_cmp_lg_u64 vcc, 0
	s_addc_u32 s6, s6, s10
	v_readfirstlane_b32 s10, v2
	s_mul_i32 s7, s4, s6
	s_mul_hi_u32 s11, s4, s10
	s_add_i32 s7, s11, s7
	s_mul_i32 s5, s5, s10
	s_add_i32 s7, s7, s5
	s_mul_i32 s4, s4, s10
	s_mul_hi_u32 s11, s6, s4
	s_mul_i32 s12, s6, s4
	s_mul_i32 s14, s10, s7
	s_mul_hi_u32 s4, s10, s4
	s_mul_hi_u32 s13, s10, s7
	s_add_u32 s4, s4, s14
	s_addc_u32 s10, 0, s13
	s_add_u32 s4, s4, s12
	s_mul_hi_u32 s5, s6, s7
	s_addc_u32 s4, s10, s11
	s_addc_u32 s5, s5, 0
	s_mul_i32 s7, s6, s7
	s_add_u32 s4, s4, s7
	s_addc_u32 s5, 0, s5
	v_add_co_u32_e32 v2, vcc, s4, v2
	s_cmp_lg_u64 vcc, 0
	s_addc_u32 s4, s6, s5
	v_readfirstlane_b32 s7, v2
	s_mul_i32 s6, s60, s4
	s_mul_hi_u32 s10, s60, s7
	s_mul_hi_u32 s5, s60, s4
	s_add_u32 s6, s10, s6
	s_addc_u32 s5, 0, s5
	s_mul_hi_u32 s11, s61, s7
	s_mul_i32 s7, s61, s7
	s_add_u32 s6, s6, s7
	s_mul_hi_u32 s10, s61, s4
	s_addc_u32 s5, s5, s11
	s_addc_u32 s6, s10, 0
	s_mul_i32 s4, s61, s4
	s_add_u32 s4, s5, s4
	s_addc_u32 s5, 0, s6
	s_mul_hi_u32 s6, s9, s4
	s_mul_i32 s4, s9, s4
	s_mul_i32 s5, s9, s5
	v_mov_b32_e32 v2, s4
	s_add_i32 s6, s6, s5
	v_sub_co_u32_e32 v2, vcc, s60, v2
	s_cmp_lg_u64 vcc, 0
	s_subb_u32 s4, s61, s6
	v_subrev_co_u32_e32 v3, vcc, s9, v2
	s_cmp_lg_u64 vcc, 0
	s_subb_u32 s5, s4, 0
	v_subrev_co_u32_e32 v4, vcc, s9, v3
	s_cmp_lg_u64 vcc, 0
	s_subb_u32 s6, s5, 0
	v_cmp_le_u32_e32 vcc, s9, v3
	s_cmp_eq_u32 s5, 0
	v_cndmask_b32_e64 v5, 0, -1, vcc
	s_cselect_b64 vcc, -1, 0
	v_cndmask_b32_e32 v5, -1, v5, vcc
	v_mov_b32_e32 v6, s5
	v_mov_b32_e32 v7, s6
	v_cmp_ne_u32_e32 vcc, 0, v5
	v_cndmask_b32_e32 v5, v6, v7, vcc
	v_cndmask_b32_e32 v4, v3, v4, vcc
	v_cmp_le_u32_e32 vcc, s9, v2
	s_cmp_eq_u32 s4, 0
	v_cndmask_b32_e64 v3, 0, -1, vcc
	s_cselect_b64 vcc, -1, 0
	v_cndmask_b32_e32 v3, -1, v3, vcc
	v_mov_b32_e32 v6, s4
	v_cmp_ne_u32_e32 vcc, 0, v3
	v_cndmask_b32_e32 v3, v6, v5, vcc
	v_cndmask_b32_e32 v2, v2, v4, vcc
	s_cbranch_execnz .LBB123_43
.LBB123_42:                             ;   in Loop: Header=BB123_12 Depth=1
	v_cvt_f32_u32_e32 v2, s9
	s_sub_i32 s4, 0, s9
	v_rcp_iflag_f32_e32 v2, v2
	v_mul_f32_e32 v2, 0x4f7ffffe, v2
	v_cvt_u32_f32_e32 v2, v2
	v_mul_lo_u32 v3, s4, v2
	v_mul_hi_u32 v3, v2, v3
	v_add_u32_e32 v2, v2, v3
	v_mul_hi_u32 v2, s60, v2
	v_mul_lo_u32 v2, v2, s9
	v_sub_u32_e32 v2, s60, v2
	v_subrev_u32_e32 v3, s9, v2
	v_cmp_le_u32_e32 vcc, s9, v2
	v_cndmask_b32_e32 v2, v2, v3, vcc
	v_subrev_u32_e32 v3, s9, v2
	v_cmp_le_u32_e32 vcc, s9, v2
	v_cndmask_b32_e32 v14, v2, v3, vcc
	v_pk_mov_b32 v[2:3], v[14:15], v[14:15] op_sel:[0,1]
.LBB123_43:                             ;   in Loop: Header=BB123_12 Depth=1
	v_mov_b32_e32 v4, s61
	v_sub_co_u32_e32 v22, vcc, s60, v2
	v_subb_co_u32_e32 v23, vcc, v4, v3, vcc
	v_pk_mov_b32 v[2:3], 0, 0
	v_cmp_gt_u64_e32 vcc, v[22:23], v[18:19]
	s_mov_b64 s[10:11], 0
	v_pk_mov_b32 v[4:5], v[2:3], v[2:3] op_sel:[0,1]
	v_pk_mov_b32 v[6:7], v[2:3], v[2:3] op_sel:[0,1]
	;; [unrolled: 1-line block ×3, first 2 shown]
	s_and_saveexec_b64 s[54:55], vcc
	s_cbranch_execz .LBB123_47
; %bb.44:                               ;   in Loop: Header=BB123_12 Depth=1
	s_and_b32 s86, s83, 0xfe
	s_mov_b64 s[72:73], 0
	s_mov_b64 s[92:93], 0
	s_mov_b64 s[12:13], 0
	s_mov_b64 s[4:5], 0
	v_pk_mov_b32 v[24:25], v[18:19], v[18:19] op_sel:[0,1]
.LBB123_45:                             ;   Parent Loop BB123_12 Depth=1
                                        ; =>  This Inner Loop Header: Depth=2
	v_pk_mov_b32 v[2:3], s[56:57], s[56:57] op_sel:[0,1]
	v_mul_lo_u32 v4, v24, s59
	v_mul_lo_u32 v5, v25, s58
	v_mad_u64_u32 v[2:3], s[6:7], v24, s58, v[2:3]
	v_mov_b32_e32 v6, s59
	v_add3_u32 v3, v5, v3, v4
	v_add_co_u32_e64 v4, s[6:7], s58, v2
	v_addc_co_u32_e64 v5, s[6:7], v3, v6, s[6:7]
	v_mov_b32_e32 v7, s59
	global_load_ubyte v9, v[2:3], off
	global_load_ubyte v6, v[4:5], off
	v_add_co_u32_e64 v2, s[6:7], s58, v4
	v_addc_co_u32_e64 v3, s[6:7], v5, v7, s[6:7]
	v_mov_b32_e32 v8, s59
	v_add_co_u32_e64 v4, s[6:7], s58, v2
	global_load_ubyte v2, v[2:3], off
	v_addc_co_u32_e64 v5, s[6:7], v3, v8, s[6:7]
	global_load_ubyte v3, v[4:5], off
	v_add_co_u32_e32 v24, vcc, s9, v24
	v_addc_co_u32_e32 v25, vcc, 0, v25, vcc
	v_cmp_ge_u64_e32 vcc, v[24:25], v[22:23]
	s_waitcnt vmcnt(3)
	v_and_b32_e32 v4, v31, v9
	v_bfe_u32 v5, v9, s86, 2
	v_cmp_eq_u32_e64 s[16:17], v4, v32
	s_waitcnt vmcnt(2)
	v_and_b32_e32 v4, v31, v6
	v_bfe_u32 v6, v6, s86, 2
	v_cmp_eq_u32_e64 s[6:7], 0, v5
	v_cmp_eq_u32_e64 s[14:15], v4, v32
	;; [unrolled: 1-line block ×3, first 2 shown]
	s_and_b64 s[6:7], s[16:17], s[6:7]
	v_cmp_eq_u32_e64 s[34:35], 1, v5
	v_cmp_eq_u32_e64 s[36:37], 2, v5
	v_cmp_eq_u32_e64 s[18:19], 3, v5
	s_waitcnt vmcnt(1)
	v_and_b32_e32 v4, v31, v2
	v_bfe_u32 v2, v2, s86, 2
	v_cndmask_b32_e64 v5, 0, 1, s[6:7]
	s_and_b64 s[26:27], s[14:15], s[26:27]
	v_cmp_eq_u32_e64 s[22:23], v4, v32
	s_waitcnt vmcnt(0)
	v_and_b32_e32 v4, v31, v3
	v_bfe_u32 v3, v3, s86, 2
	v_cmp_eq_u32_e64 s[6:7], 0, v2
	v_cmp_eq_u32_e64 s[42:43], 1, v2
	;; [unrolled: 1-line block ×4, first 2 shown]
	v_cmp_ne_u32_e64 s[46:47], 0, v5
	v_cndmask_b32_e64 v2, 0, 1, s[26:27]
	v_cmp_eq_u32_e64 s[26:27], v4, v32
	v_cmp_eq_u32_e64 s[48:49], 0, v3
	s_bcnt1_i32_b64 s88, s[46:47]
	v_cmp_ne_u32_e64 s[46:47], 0, v2
	s_and_b64 s[6:7], s[22:23], s[6:7]
	v_cndmask_b32_e64 v2, 0, 1, s[6:7]
	s_bcnt1_i32_b64 s89, s[46:47]
	s_and_b64 s[46:47], s[26:27], s[48:49]
	v_cmp_ne_u32_e64 s[6:7], 0, v2
	v_cndmask_b32_e64 v2, 0, 1, s[46:47]
	s_bcnt1_i32_b64 s46, s[6:7]
	v_cmp_ne_u32_e64 s[6:7], 0, v2
	s_bcnt1_i32_b64 s6, s[6:7]
	s_add_u32 s4, s88, s4
	s_addc_u32 s5, 0, s5
	s_add_u32 s4, s4, s89
	s_addc_u32 s5, s5, 0
	;; [unrolled: 2-line block ×3, first 2 shown]
	s_add_u32 s4, s4, s6
	v_cmp_eq_u32_e64 s[38:39], 1, v6
	s_addc_u32 s5, s5, 0
	s_and_b64 s[6:7], s[16:17], s[34:35]
	v_cndmask_b32_e64 v4, 0, 1, s[6:7]
	s_and_b64 s[6:7], s[14:15], s[38:39]
	v_cmp_eq_u32_e64 s[50:51], 1, v3
	v_cndmask_b32_e64 v5, 0, 1, s[6:7]
	s_and_b64 s[6:7], s[22:23], s[42:43]
	v_cmp_eq_u32_e64 s[40:41], 2, v6
	v_cmp_eq_u32_e64 s[20:21], 3, v6
	v_cndmask_b32_e64 v6, 0, 1, s[6:7]
	s_and_b64 s[6:7], s[26:27], s[50:51]
	v_cndmask_b32_e64 v7, 0, 1, s[6:7]
	v_cmp_ne_u32_e64 s[6:7], 0, v4
	v_cmp_ne_u32_e64 s[34:35], 0, v5
	;; [unrolled: 1-line block ×4, first 2 shown]
	s_bcnt1_i32_b64 s6, s[6:7]
	s_bcnt1_i32_b64 s7, s[34:35]
	;; [unrolled: 1-line block ×4, first 2 shown]
	s_add_u32 s6, s6, s12
	s_addc_u32 s12, 0, s13
	s_add_u32 s6, s6, s7
	s_addc_u32 s7, s12, 0
	;; [unrolled: 2-line block ×4, first 2 shown]
	s_and_b64 s[6:7], s[16:17], s[36:37]
	v_cndmask_b32_e64 v6, 0, 1, s[6:7]
	s_and_b64 s[6:7], s[14:15], s[40:41]
	v_cmp_eq_u32_e64 s[52:53], 2, v3
	v_cndmask_b32_e64 v7, 0, 1, s[6:7]
	s_and_b64 s[6:7], s[22:23], s[44:45]
	v_cndmask_b32_e64 v8, 0, 1, s[6:7]
	s_and_b64 s[6:7], s[26:27], s[52:53]
	v_cndmask_b32_e64 v9, 0, 1, s[6:7]
	v_cmp_ne_u32_e64 s[6:7], 0, v6
	v_cmp_ne_u32_e64 s[34:35], 0, v7
	;; [unrolled: 1-line block ×4, first 2 shown]
	s_bcnt1_i32_b64 s6, s[6:7]
	s_bcnt1_i32_b64 s7, s[34:35]
	;; [unrolled: 1-line block ×4, first 2 shown]
	s_add_u32 s6, s6, s92
	s_addc_u32 s36, 0, s93
	s_add_u32 s6, s6, s7
	s_addc_u32 s7, s36, 0
	;; [unrolled: 2-line block ×4, first 2 shown]
	s_and_b64 s[6:7], s[16:17], s[18:19]
	v_cndmask_b32_e64 v8, 0, 1, s[6:7]
	s_and_b64 s[6:7], s[14:15], s[20:21]
	v_cmp_eq_u32_e64 s[28:29], 3, v3
	v_cndmask_b32_e64 v9, 0, 1, s[6:7]
	s_and_b64 s[6:7], s[22:23], s[24:25]
	v_cndmask_b32_e64 v14, 0, 1, s[6:7]
	s_and_b64 s[6:7], s[26:27], s[28:29]
	v_cndmask_b32_e64 v35, 0, 1, s[6:7]
	v_cmp_ne_u32_e64 s[6:7], 0, v8
	v_cmp_ne_u32_e64 s[14:15], 0, v9
	;; [unrolled: 1-line block ×4, first 2 shown]
	s_bcnt1_i32_b64 s6, s[6:7]
	s_bcnt1_i32_b64 s7, s[14:15]
	;; [unrolled: 1-line block ×4, first 2 shown]
	s_add_u32 s6, s6, s72
	s_addc_u32 s16, 0, s73
	s_add_u32 s6, s6, s7
	s_addc_u32 s7, s16, 0
	;; [unrolled: 2-line block ×4, first 2 shown]
	v_pk_mov_b32 v[2:3], s[4:5], s[4:5] op_sel:[0,1]
	v_pk_mov_b32 v[4:5], s[12:13], s[12:13] op_sel:[0,1]
	;; [unrolled: 1-line block ×3, first 2 shown]
	s_or_b64 s[10:11], vcc, s[10:11]
	v_pk_mov_b32 v[8:9], s[72:73], s[72:73] op_sel:[0,1]
	s_andn2_b64 exec, exec, s[10:11]
	s_cbranch_execnz .LBB123_45
; %bb.46:                               ;   in Loop: Header=BB123_12 Depth=1
	s_or_b64 exec, exec, s[10:11]
.LBB123_47:                             ;   in Loop: Header=BB123_12 Depth=1
	s_or_b64 exec, exec, s[54:55]
	v_add_co_u32_e32 v22, vcc, v22, v0
	v_addc_co_u32_e32 v23, vcc, 0, v23, vcc
	v_cmp_gt_u64_e32 vcc, s[60:61], v[22:23]
	v_mov_b32_e32 v14, 0
	s_and_saveexec_b64 s[4:5], vcc
	s_cbranch_execz .LBB123_49
; %bb.48:                               ;   in Loop: Header=BB123_12 Depth=1
	v_pk_mov_b32 v[24:25], s[56:57], s[56:57] op_sel:[0,1]
	v_mad_u64_u32 v[24:25], s[6:7], v22, s58, v[24:25]
	v_mul_lo_u32 v14, v22, s59
	v_mul_lo_u32 v35, v23, s58
	v_add3_u32 v25, v35, v25, v14
	global_load_ubyte v14, v[24:25], off
.LBB123_49:                             ;   in Loop: Header=BB123_12 Depth=1
	s_or_b64 exec, exec, s[4:5]
	s_and_saveexec_b64 s[4:5], vcc
	s_cbranch_execz .LBB123_56
; %bb.50:                               ;   in Loop: Header=BB123_12 Depth=1
	s_and_b32 s9, s83, 0xfe
	s_mov_b64 s[10:11], 0
	s_branch .LBB123_52
.LBB123_51:                             ;   in Loop: Header=BB123_52 Depth=2
	s_or_b64 exec, exec, s[12:13]
	s_waitcnt vmcnt(0)
	v_and_b32_e32 v14, 0xff, v14
	s_and_b64 s[6:7], exec, vcc
	v_and_b32_e32 v25, v31, v14
	v_bfe_u32 v14, v14, s9, 2
	s_or_b64 s[10:11], s[6:7], s[10:11]
	v_cmp_eq_u32_e32 vcc, v25, v32
	v_cmp_eq_u32_e64 s[6:7], 0, v14
	s_and_b64 s[6:7], vcc, s[6:7]
	v_cndmask_b32_e64 v25, 0, 1, s[6:7]
	v_cmp_ne_u32_e64 s[6:7], 0, v25
	s_bcnt1_i32_b64 s6, s[6:7]
	v_add_co_u32_e64 v2, s[6:7], s6, v2
	v_addc_co_u32_e64 v3, s[6:7], 0, v3, s[6:7]
	v_cmp_eq_u32_e64 s[6:7], 1, v14
	s_and_b64 s[6:7], vcc, s[6:7]
	v_cndmask_b32_e64 v25, 0, 1, s[6:7]
	v_cmp_ne_u32_e64 s[6:7], 0, v25
	s_bcnt1_i32_b64 s6, s[6:7]
	v_add_co_u32_e64 v4, s[6:7], s6, v4
	v_addc_co_u32_e64 v5, s[6:7], 0, v5, s[6:7]
	;; [unrolled: 7-line block ×3, first 2 shown]
	v_cmp_eq_u32_e64 s[6:7], 3, v14
	s_and_b64 s[6:7], vcc, s[6:7]
	v_cndmask_b32_e64 v14, 0, 1, s[6:7]
	v_cmp_ne_u32_e32 vcc, 0, v14
	s_bcnt1_i32_b64 s6, vcc
	v_add_co_u32_e32 v8, vcc, s6, v8
	v_addc_co_u32_e32 v9, vcc, 0, v9, vcc
	v_mov_b32_e32 v14, v24
	s_andn2_b64 exec, exec, s[10:11]
	s_cbranch_execz .LBB123_55
.LBB123_52:                             ;   Parent Loop BB123_12 Depth=1
                                        ; =>  This Inner Loop Header: Depth=2
	v_add_co_u32_sdwa v22, vcc, v22, v34 dst_sel:DWORD dst_unused:UNUSED_PAD src0_sel:DWORD src1_sel:WORD_0
	v_addc_co_u32_e32 v23, vcc, 0, v23, vcc
	v_cmp_gt_u64_e64 s[6:7], s[60:61], v[22:23]
	v_cmp_le_u64_e32 vcc, s[60:61], v[22:23]
	v_mov_b32_e32 v24, 0
	s_and_saveexec_b64 s[12:13], s[6:7]
	s_cbranch_execz .LBB123_51
; %bb.53:                               ;   in Loop: Header=BB123_52 Depth=2
	v_pk_mov_b32 v[24:25], s[56:57], s[56:57] op_sel:[0,1]
	v_mad_u64_u32 v[24:25], s[6:7], v22, s58, v[24:25]
	v_mul_lo_u32 v35, v22, s59
	v_mul_lo_u32 v36, v23, s58
	v_add3_u32 v25, v36, v25, v35
	global_load_ubyte v24, v[24:25], off
	s_branch .LBB123_51
.LBB123_54:                             ;   in Loop: Header=BB123_12 Depth=1
                                        ; implicit-def: $vgpr8_vgpr9
                                        ; implicit-def: $vgpr4_vgpr5
	s_cbranch_execnz .LBB123_57
	s_branch .LBB123_66
.LBB123_55:                             ;   in Loop: Header=BB123_12 Depth=1
	s_or_b64 exec, exec, s[10:11]
.LBB123_56:                             ;   in Loop: Header=BB123_12 Depth=1
	s_or_b64 exec, exec, s[4:5]
	s_branch .LBB123_66
.LBB123_57:                             ;   in Loop: Header=BB123_12 Depth=1
	v_readlane_b32 s4, v42, 37
	v_readlane_b32 s5, v42, 38
	s_mov_b64 s[10:11], 0
	s_nop 3
	global_load_ushort v14, v15, s[4:5]
	s_waitcnt vmcnt(0)
	v_readfirstlane_b32 s4, v14
	s_and_b32 s4, 0xffff, s4
	s_lshl_b32 s9, s4, 2
	v_cvt_f32_u32_e32 v2, s9
	s_sub_i32 s4, 0, s9
	v_rcp_iflag_f32_e32 v4, v2
	v_pk_mov_b32 v[2:3], 0, 0
	v_pk_mov_b32 v[6:7], v[2:3], v[2:3] op_sel:[0,1]
	v_mul_f32_e32 v4, 0x4f7ffffe, v4
	v_cvt_u32_f32_e32 v8, v4
	v_pk_mov_b32 v[4:5], v[2:3], v[2:3] op_sel:[0,1]
	v_readfirstlane_b32 s5, v8
	s_mul_i32 s4, s4, s5
	s_mul_hi_u32 s4, s5, s4
	s_add_i32 s5, s5, s4
	s_mul_hi_u32 s4, s8, s5
	s_mul_i32 s4, s4, s9
	s_sub_i32 s4, s8, s4
	s_sub_i32 s5, s4, s9
	s_cmp_ge_u32 s4, s9
	s_cselect_b32 s4, s5, s4
	s_sub_i32 s5, s4, s9
	s_cmp_ge_u32 s4, s9
	s_cselect_b32 s4, s5, s4
	s_sub_i32 s86, s8, s4
	v_cmp_gt_u32_e32 vcc, s86, v18
	v_pk_mov_b32 v[8:9], v[2:3], v[2:3] op_sel:[0,1]
	s_and_saveexec_b64 s[4:5], vcc
	s_cbranch_execz .LBB123_61
; %bb.58:                               ;   in Loop: Header=BB123_12 Depth=1
	s_and_b32 s94, s83, 0xfe
	v_mov_b32_e32 v24, v18
	s_mov_b64 s[12:13], 0
	s_mov_b64 s[72:73], 0
	;; [unrolled: 1-line block ×4, first 2 shown]
	v_pk_mov_b32 v[22:23], v[18:19], v[18:19] op_sel:[0,1]
.LBB123_59:                             ;   Parent Loop BB123_12 Depth=1
                                        ; =>  This Inner Loop Header: Depth=2
	ds_read_b32 v2, v24
	v_add_co_u32_e32 v22, vcc, s9, v22
	v_addc_co_u32_e32 v23, vcc, 0, v23, vcc
	s_waitcnt lgkmcnt(0)
	v_and_b32_e32 v4, 0xff, v2
	v_bfe_u32 v5, v2, 8, 8
	v_and_b32_e32 v6, v31, v4
	v_bfe_u32 v4, v4, s94, 2
	v_lshrrev_b32_e32 v3, 24, v2
	v_bfe_u32 v2, v2, 16, 8
	v_and_b32_e32 v7, v31, v5
	v_bfe_u32 v5, v5, s94, 2
	v_cmp_eq_u32_e64 s[20:21], v6, v32
	v_cmp_eq_u32_e64 s[6:7], 0, v4
	v_and_b32_e32 v8, v31, v2
	v_bfe_u32 v2, v2, s94, 2
	v_cmp_eq_u32_e64 s[18:19], v7, v32
	v_cmp_eq_u32_e64 s[34:35], 0, v5
	s_and_b64 s[6:7], s[20:21], s[6:7]
	v_and_b32_e32 v9, v31, v3
	v_bfe_u32 v3, v3, s94, 2
	v_cmp_eq_u32_e64 s[16:17], v8, v32
	v_cmp_eq_u32_e64 s[36:37], 0, v2
	;; [unrolled: 1-line block ×5, first 2 shown]
	v_cndmask_b32_e64 v2, 0, 1, s[6:7]
	s_and_b64 s[6:7], s[18:19], s[34:35]
	v_cmp_eq_u32_e64 s[14:15], v9, v32
	v_cmp_eq_u32_e64 s[38:39], 0, v3
	;; [unrolled: 1-line block ×5, first 2 shown]
	v_cndmask_b32_e64 v3, 0, 1, s[6:7]
	s_and_b64 s[6:7], s[16:17], s[36:37]
	v_cmp_eq_u32_e64 s[40:41], 1, v4
	v_cmp_eq_u32_e64 s[48:49], 2, v4
	;; [unrolled: 1-line block ×3, first 2 shown]
	v_cndmask_b32_e64 v4, 0, 1, s[6:7]
	s_and_b64 s[6:7], s[14:15], s[38:39]
	v_cmp_eq_u32_e64 s[42:43], 1, v5
	v_cmp_eq_u32_e64 s[50:51], 2, v5
	;; [unrolled: 1-line block ×3, first 2 shown]
	v_cndmask_b32_e64 v5, 0, 1, s[6:7]
	v_cmp_ne_u32_e64 s[6:7], 0, v2
	v_cmp_ne_u32_e64 s[34:35], 0, v3
	v_cmp_ne_u32_e64 s[36:37], 0, v4
	v_cmp_ne_u32_e64 s[38:39], 0, v5
	s_bcnt1_i32_b64 s6, s[6:7]
	s_bcnt1_i32_b64 s7, s[34:35]
	s_bcnt1_i32_b64 s34, s[36:37]
	s_bcnt1_i32_b64 s35, s[38:39]
	s_add_u32 s6, s6, s88
	s_addc_u32 s36, 0, s89
	s_add_u32 s6, s6, s7
	s_addc_u32 s7, s36, 0
	s_add_u32 s6, s6, s34
	s_addc_u32 s7, s7, 0
	s_add_u32 s88, s6, s35
	s_addc_u32 s89, s7, 0
	s_and_b64 s[6:7], s[20:21], s[40:41]
	v_cndmask_b32_e64 v4, 0, 1, s[6:7]
	s_and_b64 s[6:7], s[18:19], s[42:43]
	v_cndmask_b32_e64 v5, 0, 1, s[6:7]
	s_and_b64 s[6:7], s[16:17], s[44:45]
	v_cndmask_b32_e64 v6, 0, 1, s[6:7]
	s_and_b64 s[6:7], s[14:15], s[46:47]
	v_cndmask_b32_e64 v7, 0, 1, s[6:7]
	v_cmp_ne_u32_e64 s[6:7], 0, v4
	v_cmp_ne_u32_e64 s[34:35], 0, v5
	v_cmp_ne_u32_e64 s[36:37], 0, v6
	v_cmp_ne_u32_e64 s[38:39], 0, v7
	s_bcnt1_i32_b64 s6, s[6:7]
	s_bcnt1_i32_b64 s7, s[34:35]
	s_bcnt1_i32_b64 s34, s[36:37]
	s_bcnt1_i32_b64 s35, s[38:39]
	s_add_u32 s6, s6, s92
	s_addc_u32 s36, 0, s93
	s_add_u32 s6, s6, s7
	s_addc_u32 s7, s36, 0
	s_add_u32 s6, s6, s34
	s_addc_u32 s7, s7, 0
	s_add_u32 s92, s6, s35
	s_addc_u32 s93, s7, 0
	s_and_b64 s[6:7], s[20:21], s[48:49]
	v_cndmask_b32_e64 v6, 0, 1, s[6:7]
	s_and_b64 s[6:7], s[18:19], s[50:51]
	v_cndmask_b32_e64 v7, 0, 1, s[6:7]
	s_and_b64 s[6:7], s[16:17], s[52:53]
	v_cndmask_b32_e64 v8, 0, 1, s[6:7]
	s_and_b64 s[6:7], s[14:15], s[54:55]
	;; [unrolled: 24-line block ×3, first 2 shown]
	v_cndmask_b32_e64 v34, 0, 1, s[6:7]
	v_cmp_ne_u32_e64 s[6:7], 0, v8
	v_cmp_ne_u32_e64 s[14:15], 0, v9
	v_cmp_ne_u32_e64 s[16:17], 0, v25
	v_cmp_ne_u32_e64 s[18:19], 0, v34
	s_bcnt1_i32_b64 s6, s[6:7]
	s_bcnt1_i32_b64 s7, s[14:15]
	;; [unrolled: 1-line block ×4, first 2 shown]
	s_add_u32 s6, s6, s12
	s_addc_u32 s12, 0, s13
	s_add_u32 s6, s6, s7
	s_addc_u32 s7, s12, 0
	;; [unrolled: 2-line block ×3, first 2 shown]
	s_add_u32 s12, s6, s15
	v_cmp_le_u64_e32 vcc, s[86:87], v[22:23]
	s_addc_u32 s13, s7, 0
	v_add_u32_e32 v24, s9, v24
	v_pk_mov_b32 v[2:3], s[88:89], s[88:89] op_sel:[0,1]
	v_pk_mov_b32 v[4:5], s[92:93], s[92:93] op_sel:[0,1]
	;; [unrolled: 1-line block ×3, first 2 shown]
	s_or_b64 s[10:11], vcc, s[10:11]
	v_pk_mov_b32 v[8:9], s[12:13], s[12:13] op_sel:[0,1]
	s_andn2_b64 exec, exec, s[10:11]
	s_cbranch_execnz .LBB123_59
; %bb.60:                               ;   in Loop: Header=BB123_12 Depth=1
	s_or_b64 exec, exec, s[10:11]
.LBB123_61:                             ;   in Loop: Header=BB123_12 Depth=1
	s_or_b64 exec, exec, s[4:5]
	v_and_b32_e32 v24, 0xffff, v14
	v_add_u32_e32 v14, s86, v0
	v_cmp_gt_u32_e32 vcc, s8, v14
	s_and_saveexec_b64 s[4:5], vcc
	s_cbranch_execz .LBB123_65
; %bb.62:                               ;   in Loop: Header=BB123_12 Depth=1
	s_and_b32 s86, s8, 0x7fffffff
	s_and_b32 s10, s83, 0xfe
	s_mov_b64 s[8:9], 0
	v_pk_mov_b32 v[22:23], v[14:15], v[14:15] op_sel:[0,1]
.LBB123_63:                             ;   Parent Loop BB123_12 Depth=1
                                        ; =>  This Inner Loop Header: Depth=2
	ds_read_u8 v25, v14
	v_add_co_u32_e32 v22, vcc, v22, v24
	v_addc_co_u32_e32 v23, vcc, 0, v23, vcc
	s_waitcnt lgkmcnt(0)
	v_and_b32_e32 v34, v31, v25
	v_bfe_u32 v25, v25, s10, 2
	v_cmp_eq_u32_e64 s[6:7], v34, v32
	v_cmp_eq_u32_e64 s[14:15], 0, v25
	;; [unrolled: 1-line block ×3, first 2 shown]
	s_and_b64 s[12:13], s[6:7], s[14:15]
	v_cmp_eq_u32_e64 s[18:19], 2, v25
	v_cmp_eq_u32_e64 s[20:21], 3, v25
	v_cndmask_b32_e64 v25, 0, 1, s[12:13]
	s_and_b64 s[12:13], s[6:7], s[16:17]
	v_cndmask_b32_e64 v34, 0, 1, s[12:13]
	s_and_b64 s[12:13], s[6:7], s[18:19]
	s_and_b64 s[6:7], s[6:7], s[20:21]
	v_cndmask_b32_e64 v35, 0, 1, s[12:13]
	v_cndmask_b32_e64 v36, 0, 1, s[6:7]
	v_cmp_ne_u32_e64 s[6:7], 0, v25
	v_cmp_ne_u32_e64 s[14:15], 0, v34
	;; [unrolled: 1-line block ×4, first 2 shown]
	v_cmp_le_u64_e32 vcc, s[86:87], v[22:23]
	s_bcnt1_i32_b64 s6, s[6:7]
	s_bcnt1_i32_b64 s7, s[14:15]
	;; [unrolled: 1-line block ×4, first 2 shown]
	s_or_b64 s[8:9], vcc, s[8:9]
	v_add_co_u32_e32 v2, vcc, s6, v2
	v_addc_co_u32_e32 v3, vcc, 0, v3, vcc
	v_add_co_u32_e32 v4, vcc, s7, v4
	v_addc_co_u32_e32 v5, vcc, 0, v5, vcc
	;; [unrolled: 2-line block ×3, first 2 shown]
	v_add_co_u32_e32 v8, vcc, s12, v8
	v_add_u32_e32 v14, v14, v24
	v_addc_co_u32_e32 v9, vcc, 0, v9, vcc
	s_andn2_b64 exec, exec, s[8:9]
	s_cbranch_execnz .LBB123_63
; %bb.64:                               ;   in Loop: Header=BB123_12 Depth=1
	s_or_b64 exec, exec, s[8:9]
.LBB123_65:                             ;   in Loop: Header=BB123_12 Depth=1
	s_or_b64 exec, exec, s[4:5]
.LBB123_66:                             ;   in Loop: Header=BB123_12 Depth=1
	s_lshl_b32 s6, s91, 6
	s_and_saveexec_b64 s[4:5], s[0:1]
	s_cbranch_execz .LBB123_68
; %bb.67:                               ;   in Loop: Header=BB123_12 Depth=1
	s_waitcnt vmcnt(0)
	v_or_b32_e32 v14, s6, v28
	v_lshlrev_b32_e32 v14, 3, v14
	ds_write_b128 v14, v[2:5] offset:3072
	ds_write_b128 v14, v[6:9] offset:3088
.LBB123_68:                             ;   in Loop: Header=BB123_12 Depth=1
	s_or_b64 exec, exec, s[4:5]
	s_waitcnt lgkmcnt(0)
	s_barrier
	s_mov_b64 s[4:5], exec
	v_readlane_b32 s8, v42, 24
	v_readlane_b32 s9, v42, 25
	s_and_b64 s[8:9], s[4:5], s[8:9]
	s_mov_b64 exec, s[8:9]
	s_cbranch_execz .LBB123_80
; %bb.69:                               ;   in Loop: Header=BB123_12 Depth=1
	v_readlane_b32 s8, v42, 32
	v_readlane_b32 s9, v42, 33
	s_andn2_b64 vcc, exec, s[8:9]
	v_pk_mov_b32 v[2:3], 0, 0
	s_cbranch_vccnz .LBB123_79
; %bb.70:                               ;   in Loop: Header=BB123_12 Depth=1
	v_readlane_b32 s8, v42, 39
	v_readlane_b32 s9, v42, 40
	s_andn2_b64 vcc, exec, s[8:9]
	s_cbranch_vccnz .LBB123_75
; %bb.71:                               ;   in Loop: Header=BB123_12 Depth=1
	s_waitcnt vmcnt(0)
	v_lshl_add_u32 v4, s91, 9, v29
	s_mov_b32 s7, 0
	v_pk_mov_b32 v[2:3], 0, 0
.LBB123_72:                             ;   Parent Loop BB123_12 Depth=1
                                        ; =>  This Inner Loop Header: Depth=2
	ds_read2_b64 v[6:9], v4 offset1:4
	ds_read2_b64 v[22:25], v4 offset0:8 offset1:12
	ds_read2_b64 v[34:37], v4 offset0:16 offset1:20
	;; [unrolled: 1-line block ×3, first 2 shown]
	s_add_i32 s7, s7, 8
	s_waitcnt lgkmcnt(3)
	v_add_co_u32_e32 v2, vcc, v6, v2
	v_addc_co_u32_e32 v3, vcc, v7, v3, vcc
	v_add_co_u32_e32 v2, vcc, v8, v2
	v_addc_co_u32_e32 v3, vcc, v9, v3, vcc
	s_waitcnt lgkmcnt(2)
	v_add_co_u32_e32 v2, vcc, v22, v2
	v_addc_co_u32_e32 v3, vcc, v23, v3, vcc
	v_add_co_u32_e32 v2, vcc, v24, v2
	v_addc_co_u32_e32 v3, vcc, v25, v3, vcc
	;; [unrolled: 5-line block ×3, first 2 shown]
	s_waitcnt lgkmcnt(0)
	v_add_co_u32_e32 v2, vcc, v38, v2
	v_addc_co_u32_e32 v3, vcc, v39, v3, vcc
	v_add_co_u32_e32 v2, vcc, v40, v2
	v_add_u32_e32 v4, 0x100, v4
	s_cmp_eq_u32 s82, s7
	v_addc_co_u32_e32 v3, vcc, v41, v3, vcc
	s_cbranch_scc0 .LBB123_72
; %bb.73:                               ;   in Loop: Header=BB123_12 Depth=1
	s_mov_b32 s7, s82
	s_branch .LBB123_76
.LBB123_74:                             ;   in Loop: Header=BB123_12 Depth=1
                                        ; implicit-def: $vgpr2_vgpr3
	s_branch .LBB123_42
.LBB123_75:                             ;   in Loop: Header=BB123_12 Depth=1
	s_mov_b32 s7, 0
	v_pk_mov_b32 v[2:3], 0, 0
.LBB123_76:                             ;   in Loop: Header=BB123_12 Depth=1
	v_readlane_b32 s8, v42, 42
	v_readlane_b32 s9, v42, 43
	s_andn2_b64 vcc, exec, s[8:9]
	s_cbranch_vccnz .LBB123_79
; %bb.77:                               ;   in Loop: Header=BB123_12 Depth=1
	s_lshl_b32 s8, s91, 9
	s_lshl_b32 s7, s7, 5
	s_add_i32 s8, s8, s7
	s_waitcnt vmcnt(0)
	v_add_u32_e32 v4, s8, v29
	v_readlane_b32 s7, v42, 41
.LBB123_78:                             ;   Parent Loop BB123_12 Depth=1
                                        ; =>  This Inner Loop Header: Depth=2
	ds_read_b64 v[6:7], v4
	s_add_i32 s7, s7, -1
	v_add_u32_e32 v4, 32, v4
	s_cmp_lg_u32 s7, 0
	s_waitcnt lgkmcnt(0)
	v_add_co_u32_e32 v2, vcc, v6, v2
	v_addc_co_u32_e32 v3, vcc, v7, v3, vcc
	s_cbranch_scc1 .LBB123_78
.LBB123_79:                             ;   in Loop: Header=BB123_12 Depth=1
	s_waitcnt vmcnt(0)
	v_add_lshl_u32 v4, s6, v27, 3
	ds_write_b64 v4, v[2:3] offset:3072
.LBB123_80:                             ;   in Loop: Header=BB123_12 Depth=1
	s_or_b64 exec, exec, s[4:5]
	s_lshl_b32 s4, s6, 3
	v_mov_b32_e32 v6, s4
	s_waitcnt lgkmcnt(0)
	s_barrier
	s_waitcnt vmcnt(0)
	ds_read_b128 v[2:5], v6 offset:3072
	ds_read_b128 v[6:9], v6 offset:3088
	s_and_b32 s47, s83, 0xfe
	v_readlane_b32 s4, v42, 22
	s_lshl_b32 s86, 3, s47
	v_readlane_b32 s5, v42, 23
	s_waitcnt lgkmcnt(1)
	v_readfirstlane_b32 s17, v3
	v_readfirstlane_b32 s16, v2
	;; [unrolled: 1-line block ×4, first 2 shown]
	s_waitcnt lgkmcnt(0)
	v_readfirstlane_b32 s23, v7
	v_readfirstlane_b32 s22, v6
	;; [unrolled: 1-line block ×4, first 2 shown]
	s_not_b32 s46, s86
	s_andn2_b64 vcc, exec, s[4:5]
	v_cmp_eq_u64_e64 s[14:15], 1, v[20:21]
	s_cbranch_vccnz .LBB123_95
; %bb.81:                               ;   in Loop: Header=BB123_12 Depth=1
	s_cmp_eq_u64 s[16:17], 1
	s_cselect_b64 s[4:5], -1, 0
	s_and_b64 s[6:7], s[4:5], s[14:15]
	s_mov_b64 s[4:5], -1
	v_mov_b32_e32 v8, v32
	v_mov_b32_e32 v9, v31
	;; [unrolled: 1-line block ×3, first 2 shown]
                                        ; implicit-def: $sgpr20_sgpr21
                                        ; implicit-def: $sgpr36_sgpr37
                                        ; implicit-def: $sgpr34_sgpr35
	s_and_saveexec_b64 s[8:9], s[6:7]
	s_cbranch_execz .LBB123_116
; %bb.82:                               ;   in Loop: Header=BB123_12 Depth=1
	ds_read_b64 v[2:3], v15 offset:5120
	s_waitcnt lgkmcnt(0)
	s_barrier
	v_readfirstlane_b32 s4, v2
	v_readfirstlane_b32 s5, v3
	s_mov_b64 s[10:11], exec
	v_readlane_b32 s12, v42, 30
	v_readlane_b32 s13, v42, 31
	s_and_b64 s[12:13], s[10:11], s[12:13]
	s_mov_b64 exec, s[12:13]
	s_cbranch_execz .LBB123_84
; %bb.83:                               ;   in Loop: Header=BB123_12 Depth=1
	ds_write_b8 v0, v15 offset:3072
.LBB123_84:                             ;   in Loop: Header=BB123_12 Depth=1
	s_or_b64 exec, exec, s[10:11]
	v_and_b32_e32 v8, s46, v32
	v_or_b32_e32 v9, s86, v31
	s_cmp_eq_u64 s[4:5], 0
	s_waitcnt lgkmcnt(0)
	s_barrier
	s_cbranch_scc1 .LBB123_100
; %bb.85:                               ;   in Loop: Header=BB123_12 Depth=1
	v_readlane_b32 s10, v42, 34
	s_add_u32 s20, s10, s4
	v_readlane_b32 s10, v42, 36
	s_addc_u32 s11, s10, s5
	s_mov_b32 s10, s87
	s_cmp_lg_u64 s[10:11], 0
	s_cbranch_scc0 .LBB123_142
; %bb.86:                               ;   in Loop: Header=BB123_12 Depth=1
	v_cvt_f32_u32_e32 v2, s33
	s_sub_u32 s10, 0, s33
	s_subb_u32 s12, 0, 0
	v_mac_f32_e32 v2, 0, v30
	v_rcp_f32_e32 v2, v2
	v_mul_f32_e32 v2, 0x5f7ffffc, v2
	v_mul_f32_e32 v3, 0x2f800000, v2
	v_trunc_f32_e32 v3, v3
	v_mac_f32_e32 v2, 0xcf800000, v3
	v_cvt_u32_f32_e32 v3, v3
	v_cvt_u32_f32_e32 v2, v2
	v_readfirstlane_b32 s13, v3
	v_readfirstlane_b32 s21, v2
	s_mul_i32 s26, s10, s13
	s_mul_hi_u32 s28, s10, s21
	s_mul_i32 s27, s12, s21
	s_add_i32 s26, s28, s26
	s_mul_i32 s29, s10, s21
	s_add_i32 s26, s26, s27
	s_mul_hi_u32 s28, s21, s29
	s_mul_hi_u32 s27, s21, s26
	s_mul_i32 s21, s21, s26
	s_add_u32 s21, s28, s21
	s_addc_u32 s27, 0, s27
	s_mul_hi_u32 s34, s13, s29
	s_mul_i32 s29, s13, s29
	s_add_u32 s21, s21, s29
	s_mul_hi_u32 s28, s13, s26
	s_addc_u32 s21, s27, s34
	s_addc_u32 s27, s28, 0
	s_mul_i32 s26, s13, s26
	s_add_u32 s21, s21, s26
	s_addc_u32 s26, 0, s27
	v_add_co_u32_e32 v2, vcc, s21, v2
	s_cmp_lg_u64 vcc, 0
	s_addc_u32 s13, s13, s26
	v_readfirstlane_b32 s26, v2
	s_mul_i32 s21, s10, s13
	s_mul_hi_u32 s27, s10, s26
	s_add_i32 s21, s27, s21
	s_mul_i32 s12, s12, s26
	s_add_i32 s21, s21, s12
	s_mul_i32 s10, s10, s26
	s_mul_hi_u32 s27, s13, s10
	s_mul_i32 s28, s13, s10
	s_mul_i32 s34, s26, s21
	s_mul_hi_u32 s10, s26, s10
	s_mul_hi_u32 s29, s26, s21
	s_add_u32 s10, s10, s34
	s_addc_u32 s26, 0, s29
	s_add_u32 s10, s10, s28
	s_mul_hi_u32 s12, s13, s21
	s_addc_u32 s10, s26, s27
	s_addc_u32 s12, s12, 0
	s_mul_i32 s21, s13, s21
	s_add_u32 s10, s10, s21
	s_addc_u32 s12, 0, s12
	v_add_co_u32_e32 v2, vcc, s10, v2
	s_cmp_lg_u64 vcc, 0
	s_addc_u32 s10, s13, s12
	v_readfirstlane_b32 s21, v2
	s_mul_i32 s13, s20, s10
	s_mul_hi_u32 s26, s20, s21
	s_mul_hi_u32 s12, s20, s10
	s_add_u32 s13, s26, s13
	s_addc_u32 s12, 0, s12
	s_mul_hi_u32 s27, s11, s21
	s_mul_i32 s21, s11, s21
	s_add_u32 s13, s13, s21
	s_mul_hi_u32 s26, s11, s10
	s_addc_u32 s12, s12, s27
	s_addc_u32 s13, s26, 0
	s_mul_i32 s10, s11, s10
	s_add_u32 s10, s12, s10
	s_addc_u32 s12, 0, s13
	s_mul_hi_u32 s13, s33, s10
	s_mul_i32 s10, s33, s10
	s_mul_i32 s12, s33, s12
	v_mov_b32_e32 v2, s10
	s_add_i32 s13, s13, s12
	v_sub_co_u32_e32 v2, vcc, s20, v2
	s_cmp_lg_u64 vcc, 0
	s_subb_u32 s10, s11, s13
	v_subrev_co_u32_e32 v3, vcc, s33, v2
	s_cmp_lg_u64 vcc, 0
	s_subb_u32 s12, s10, 0
	v_subrev_co_u32_e32 v4, vcc, s33, v3
	s_cmp_lg_u64 vcc, 0
	s_subb_u32 s13, s12, 0
	v_cmp_le_u32_e32 vcc, s33, v3
	s_cmp_eq_u32 s12, 0
	v_cndmask_b32_e64 v5, 0, -1, vcc
	s_cselect_b64 vcc, -1, 0
	v_cndmask_b32_e32 v5, -1, v5, vcc
	v_mov_b32_e32 v6, s12
	v_mov_b32_e32 v7, s13
	v_cmp_ne_u32_e32 vcc, 0, v5
	v_cndmask_b32_e32 v5, v6, v7, vcc
	v_cndmask_b32_e32 v4, v3, v4, vcc
	v_cmp_le_u32_e32 vcc, s33, v2
	s_cmp_eq_u32 s10, 0
	v_cndmask_b32_e64 v3, 0, -1, vcc
	s_cselect_b64 vcc, -1, 0
	v_cndmask_b32_e32 v3, -1, v3, vcc
	v_mov_b32_e32 v6, s10
	v_cmp_ne_u32_e32 vcc, 0, v3
	v_cndmask_b32_e32 v3, v6, v5, vcc
	v_cndmask_b32_e32 v2, v2, v4, vcc
	s_cbranch_execnz .LBB123_88
.LBB123_87:                             ;   in Loop: Header=BB123_12 Depth=1
	v_cvt_f32_u32_e32 v2, s33
	s_sub_i32 s10, 0, s33
	v_rcp_iflag_f32_e32 v2, v2
	v_mul_f32_e32 v2, 0x4f7ffffe, v2
	v_cvt_u32_f32_e32 v2, v2
	v_mul_lo_u32 v3, s10, v2
	v_mul_hi_u32 v3, v2, v3
	v_add_u32_e32 v2, v2, v3
	v_mul_hi_u32 v2, s20, v2
	v_mul_lo_u32 v2, v2, s33
	v_sub_u32_e32 v2, s20, v2
	v_subrev_u32_e32 v3, s33, v2
	v_cmp_le_u32_e32 vcc, s33, v2
	v_cndmask_b32_e32 v2, v2, v3, vcc
	v_subrev_u32_e32 v3, s33, v2
	v_cmp_le_u32_e32 vcc, s33, v2
	v_cndmask_b32_e32 v14, v2, v3, vcc
	v_pk_mov_b32 v[2:3], v[14:15], v[14:15] op_sel:[0,1]
.LBB123_88:                             ;   in Loop: Header=BB123_12 Depth=1
	v_mov_b32_e32 v4, s11
	v_sub_co_u32_e32 v2, vcc, s20, v2
	v_subb_co_u32_e32 v3, vcc, v4, v3, vcc
	v_cmp_gt_u64_e32 vcc, v[2:3], v[0:1]
	s_mov_b64 s[10:11], 0
                                        ; implicit-def: $vgpr22
	s_and_saveexec_b64 s[12:13], vcc
	s_cbranch_execz .LBB123_102
; %bb.89:                               ;   in Loop: Header=BB123_12 Depth=1
	v_mov_b32_e32 v6, v0
	v_pk_mov_b32 v[4:5], v[0:1], v[0:1] op_sel:[0,1]
                                        ; implicit-def: $sgpr20_sgpr21
	s_branch .LBB123_91
.LBB123_90:                             ;   in Loop: Header=BB123_91 Depth=2
	s_or_b64 exec, exec, s[26:27]
	s_waitcnt lgkmcnt(0)
	s_barrier
	ds_read_u16 v7, v15 offset:3072
	v_mov_b32_e32 v14, s90
	v_add_co_u32_e32 v4, vcc, s33, v4
	v_addc_co_u32_e32 v5, vcc, v5, v14, vcc
	s_waitcnt lgkmcnt(0)
	v_cmp_ne_u16_sdwa s[26:27], v7, v15 src0_sel:BYTE_0 src1_sel:DWORD
	v_cmp_ge_u64_e32 vcc, v[4:5], v[2:3]
	s_or_b64 s[28:29], vcc, s[26:27]
	s_and_b64 s[28:29], exec, s[28:29]
	s_or_b64 s[10:11], s[28:29], s[10:11]
	s_andn2_b64 s[20:21], s[20:21], exec
	s_and_b64 s[26:27], s[26:27], exec
	v_add_u32_e32 v6, s33, v6
	s_or_b64 s[20:21], s[20:21], s[26:27]
	s_barrier
	s_andn2_b64 exec, exec, s[10:11]
	s_cbranch_execz .LBB123_101
.LBB123_91:                             ;   Parent Loop BB123_12 Depth=1
                                        ; =>  This Inner Loop Header: Depth=2
	v_cmp_gt_u64_e32 vcc, s[4:5], v[4:5]
	v_mov_b32_e32 v7, 0
	s_and_saveexec_b64 s[26:27], vcc
	s_cbranch_execz .LBB123_93
; %bb.92:                               ;   in Loop: Header=BB123_91 Depth=2
	ds_read_u8 v7, v6
.LBB123_93:                             ;   in Loop: Header=BB123_91 Depth=2
	s_or_b64 exec, exec, s[26:27]
	s_waitcnt lgkmcnt(0)
	v_and_b32_e32 v14, v7, v9
	v_cmp_eq_u32_sdwa s[26:27], v14, v8 src0_sel:BYTE_0 src1_sel:DWORD
	s_and_b64 s[28:29], vcc, s[26:27]
	s_and_saveexec_b64 s[26:27], s[28:29]
	s_cbranch_execz .LBB123_90
; %bb.94:                               ;   in Loop: Header=BB123_91 Depth=2
	v_lshlrev_b16_e32 v7, 8, v7
	v_or_b32_e32 v7, 1, v7
	ds_write_b16 v15, v7 offset:3072
	s_branch .LBB123_90
.LBB123_95:                             ;   in Loop: Header=BB123_12 Depth=1
	s_mov_b64 s[28:29], 0
	s_mov_b64 s[26:27], 0
                                        ; implicit-def: $sgpr34_sgpr35
                                        ; implicit-def: $sgpr36_sgpr37
                                        ; implicit-def: $sgpr20_sgpr21
                                        ; implicit-def: $vgpr6
                                        ; implicit-def: $vgpr2_vgpr3
                                        ; implicit-def: $vgpr8
                                        ; implicit-def: $vgpr9
                                        ; implicit-def: $vgpr22
	s_cbranch_execnz .LBB123_274
.LBB123_96:                             ;   in Loop: Header=BB123_12 Depth=1
	s_mov_b64 s[14:15], s[20:21]
	s_mov_b64 s[38:39], s[20:21]
	s_and_saveexec_b64 s[4:5], s[28:29]
	s_cbranch_execnz .LBB123_462
	s_branch .LBB123_463
.LBB123_97:                             ;   in Loop: Header=BB123_12 Depth=1
	s_or_b64 exec, exec, s[4:5]
	s_waitcnt lgkmcnt(0)
	s_barrier
	s_mov_b64 s[4:5], exec
	v_readlane_b32 s6, v42, 12
	v_readlane_b32 s7, v42, 13
	s_and_b64 s[6:7], s[4:5], s[6:7]
	s_mov_b64 exec, s[6:7]
	s_cbranch_execz .LBB123_99
; %bb.98:                               ;   in Loop: Header=BB123_12 Depth=1
	ds_read_b32 v2, v15 offset:5144
	s_waitcnt lgkmcnt(0)
	v_ashrrev_i32_e32 v3, 31, v2
	ds_write_b64 v15, v[2:3] offset:5120
.LBB123_99:                             ;   in Loop: Header=BB123_12 Depth=1
	s_or_b64 exec, exec, s[4:5]
	s_waitcnt lgkmcnt(0)
	s_barrier
	s_mov_b64 s[4:5], -1
	s_and_b64 vcc, exec, s[8:9]
	s_cbranch_vccnz .LBB123_27
	s_branch .LBB123_37
.LBB123_100:                            ;   in Loop: Header=BB123_12 Depth=1
	s_mov_b64 s[20:21], -1
	s_mov_b64 s[10:11], 0
                                        ; implicit-def: $sgpr34_sgpr35
                                        ; implicit-def: $vgpr22
	s_mov_b64 s[36:37], s[20:21]
	s_cbranch_execnz .LBB123_103
	s_branch .LBB123_115
.LBB123_101:                            ;   in Loop: Header=BB123_12 Depth=1
	s_or_b64 exec, exec, s[10:11]
	v_lshrrev_b16_e32 v22, 8, v7
	s_and_b64 s[10:11], s[20:21], exec
.LBB123_102:                            ;   in Loop: Header=BB123_12 Depth=1
	s_or_b64 exec, exec, s[12:13]
	s_mov_b64 s[34:35], -1
	s_mov_b64 s[20:21], 0
	s_mov_b64 s[36:37], s[20:21]
	s_branch .LBB123_115
.LBB123_103:                            ;   in Loop: Header=BB123_12 Depth=1
	s_mov_b32 s94, s87
	s_cmp_lg_u64 s[94:95], 0
	s_cbranch_scc0 .LBB123_143
; %bb.104:                              ;   in Loop: Header=BB123_12 Depth=1
	v_cvt_f32_u32_e32 v2, s33
	s_sub_u32 s4, 0, s33
	s_subb_u32 s5, 0, 0
	v_mac_f32_e32 v2, 0, v30
	v_rcp_f32_e32 v2, v2
	v_mul_f32_e32 v2, 0x5f7ffffc, v2
	v_mul_f32_e32 v3, 0x2f800000, v2
	v_trunc_f32_e32 v3, v3
	v_mac_f32_e32 v2, 0xcf800000, v3
	v_cvt_u32_f32_e32 v3, v3
	v_cvt_u32_f32_e32 v2, v2
	v_readfirstlane_b32 s10, v3
	v_readfirstlane_b32 s11, v2
	s_mul_i32 s12, s4, s10
	s_mul_hi_u32 s20, s4, s11
	s_mul_i32 s13, s5, s11
	s_add_i32 s12, s20, s12
	s_mul_i32 s21, s4, s11
	s_add_i32 s12, s12, s13
	s_mul_hi_u32 s20, s11, s21
	s_mul_hi_u32 s13, s11, s12
	s_mul_i32 s11, s11, s12
	s_add_u32 s11, s20, s11
	s_addc_u32 s13, 0, s13
	s_mul_hi_u32 s26, s10, s21
	s_mul_i32 s21, s10, s21
	s_add_u32 s11, s11, s21
	s_mul_hi_u32 s20, s10, s12
	s_addc_u32 s11, s13, s26
	s_addc_u32 s13, s20, 0
	s_mul_i32 s12, s10, s12
	s_add_u32 s11, s11, s12
	s_addc_u32 s12, 0, s13
	v_add_co_u32_e32 v2, vcc, s11, v2
	s_cmp_lg_u64 vcc, 0
	s_addc_u32 s10, s10, s12
	v_readfirstlane_b32 s12, v2
	s_mul_i32 s11, s4, s10
	s_mul_hi_u32 s13, s4, s12
	s_add_i32 s11, s13, s11
	s_mul_i32 s5, s5, s12
	s_add_i32 s11, s11, s5
	s_mul_i32 s4, s4, s12
	s_mul_hi_u32 s13, s10, s4
	s_mul_i32 s20, s10, s4
	s_mul_i32 s26, s12, s11
	s_mul_hi_u32 s4, s12, s4
	s_mul_hi_u32 s21, s12, s11
	s_add_u32 s4, s4, s26
	s_addc_u32 s12, 0, s21
	s_add_u32 s4, s4, s20
	s_mul_hi_u32 s5, s10, s11
	s_addc_u32 s4, s12, s13
	s_addc_u32 s5, s5, 0
	s_mul_i32 s11, s10, s11
	s_add_u32 s4, s4, s11
	s_addc_u32 s5, 0, s5
	v_add_co_u32_e32 v2, vcc, s4, v2
	s_cmp_lg_u64 vcc, 0
	s_addc_u32 s4, s10, s5
	v_readlane_b32 s20, v42, 35
	v_readfirstlane_b32 s11, v2
	s_mul_i32 s10, s20, s4
	s_mul_hi_u32 s12, s20, s11
	s_mul_hi_u32 s5, s20, s4
	s_add_u32 s10, s12, s10
	s_addc_u32 s5, 0, s5
	s_mul_hi_u32 s13, s95, s11
	s_mul_i32 s11, s95, s11
	s_add_u32 s10, s10, s11
	s_mul_hi_u32 s12, s95, s4
	s_addc_u32 s5, s5, s13
	s_addc_u32 s10, s12, 0
	s_mul_i32 s4, s95, s4
	s_add_u32 s4, s5, s4
	s_addc_u32 s5, 0, s10
	s_mul_hi_u32 s10, s33, s4
	s_mul_i32 s4, s33, s4
	s_mul_i32 s5, s33, s5
	v_mov_b32_e32 v2, s4
	s_add_i32 s10, s10, s5
	v_sub_co_u32_e32 v2, vcc, s20, v2
	s_cmp_lg_u64 vcc, 0
	s_subb_u32 s4, s95, s10
	v_subrev_co_u32_e32 v3, vcc, s33, v2
	s_cmp_lg_u64 vcc, 0
	s_subb_u32 s5, s4, 0
	v_subrev_co_u32_e32 v4, vcc, s33, v3
	s_cmp_lg_u64 vcc, 0
	s_subb_u32 s10, s5, 0
	v_cmp_le_u32_e32 vcc, s33, v3
	s_cmp_eq_u32 s5, 0
	v_cndmask_b32_e64 v5, 0, -1, vcc
	s_cselect_b64 vcc, -1, 0
	v_cndmask_b32_e32 v5, -1, v5, vcc
	v_mov_b32_e32 v6, s5
	v_mov_b32_e32 v7, s10
	v_cmp_ne_u32_e32 vcc, 0, v5
	v_cndmask_b32_e32 v5, v6, v7, vcc
	v_cndmask_b32_e32 v4, v3, v4, vcc
	v_cmp_le_u32_e32 vcc, s33, v2
	s_cmp_eq_u32 s4, 0
	v_cndmask_b32_e64 v3, 0, -1, vcc
	s_cselect_b64 vcc, -1, 0
	v_cndmask_b32_e32 v3, -1, v3, vcc
	v_mov_b32_e32 v6, s4
	v_cmp_ne_u32_e32 vcc, 0, v3
	v_cndmask_b32_e32 v3, v6, v5, vcc
	v_cndmask_b32_e32 v2, v2, v4, vcc
	s_cbranch_execnz .LBB123_106
.LBB123_105:                            ;   in Loop: Header=BB123_12 Depth=1
	v_cvt_f32_u32_e32 v2, s33
	s_sub_i32 s4, 0, s33
	v_rcp_iflag_f32_e32 v2, v2
	v_mul_f32_e32 v2, 0x4f7ffffe, v2
	v_cvt_u32_f32_e32 v2, v2
	v_mul_lo_u32 v3, s4, v2
	v_mul_hi_u32 v3, v2, v3
	v_add_u32_e32 v2, v2, v3
	v_readlane_b32 s4, v42, 35
	v_mul_hi_u32 v2, s4, v2
	v_mul_lo_u32 v2, v2, s33
	v_sub_u32_e32 v2, s4, v2
	v_subrev_u32_e32 v3, s33, v2
	v_cmp_le_u32_e32 vcc, s33, v2
	v_cndmask_b32_e32 v2, v2, v3, vcc
	v_subrev_u32_e32 v3, s33, v2
	v_cmp_le_u32_e32 vcc, s33, v2
	v_cndmask_b32_e32 v14, v2, v3, vcc
	v_pk_mov_b32 v[2:3], v[14:15], v[14:15] op_sel:[0,1]
.LBB123_106:                            ;   in Loop: Header=BB123_12 Depth=1
	v_readlane_b32 s4, v42, 35
	v_mov_b32_e32 v4, s95
	v_sub_co_u32_e32 v2, vcc, s4, v2
	v_subb_co_u32_e32 v3, vcc, v4, v3, vcc
	v_cmp_gt_u64_e32 vcc, v[2:3], v[0:1]
	s_mov_b64 s[10:11], 0
                                        ; implicit-def: $vgpr22
	s_and_saveexec_b64 s[4:5], vcc
	s_cbranch_execz .LBB123_114
; %bb.107:                              ;   in Loop: Header=BB123_12 Depth=1
	v_pk_mov_b32 v[4:5], v[0:1], v[0:1] op_sel:[0,1]
                                        ; implicit-def: $sgpr12_sgpr13
	s_branch .LBB123_109
.LBB123_108:                            ;   in Loop: Header=BB123_109 Depth=2
	s_or_b64 exec, exec, s[20:21]
	s_waitcnt lgkmcnt(0)
	s_barrier
	ds_read_u16 v6, v15 offset:3072
	v_mov_b32_e32 v7, s90
	v_add_co_u32_e32 v4, vcc, s33, v4
	v_addc_co_u32_e32 v5, vcc, v5, v7, vcc
	s_waitcnt lgkmcnt(0)
	v_cmp_ne_u16_sdwa s[20:21], v6, v15 src0_sel:BYTE_0 src1_sel:DWORD
	v_cmp_ge_u64_e32 vcc, v[4:5], v[2:3]
	s_or_b64 s[26:27], vcc, s[20:21]
	s_and_b64 s[26:27], exec, s[26:27]
	s_or_b64 s[10:11], s[26:27], s[10:11]
	s_andn2_b64 s[12:13], s[12:13], exec
	s_and_b64 s[20:21], s[20:21], exec
	s_or_b64 s[12:13], s[12:13], s[20:21]
	s_barrier
	s_andn2_b64 exec, exec, s[10:11]
	s_cbranch_execz .LBB123_113
.LBB123_109:                            ;   Parent Loop BB123_12 Depth=1
                                        ; =>  This Inner Loop Header: Depth=2
	v_cmp_gt_u64_e32 vcc, s[60:61], v[4:5]
	v_mov_b32_e32 v6, 0
	s_and_saveexec_b64 s[20:21], vcc
	s_cbranch_execz .LBB123_111
; %bb.110:                              ;   in Loop: Header=BB123_109 Depth=2
	v_pk_mov_b32 v[6:7], s[56:57], s[56:57] op_sel:[0,1]
	v_mad_u64_u32 v[6:7], s[26:27], v4, s58, v[6:7]
	v_mul_lo_u32 v14, v4, s59
	v_mul_lo_u32 v22, v5, s58
	v_add3_u32 v7, v22, v7, v14
	global_load_ubyte v6, v[6:7], off
.LBB123_111:                            ;   in Loop: Header=BB123_109 Depth=2
	s_or_b64 exec, exec, s[20:21]
	s_waitcnt vmcnt(0)
	v_and_b32_e32 v7, v6, v9
	v_cmp_eq_u32_sdwa s[20:21], v7, v8 src0_sel:BYTE_0 src1_sel:DWORD
	s_and_b64 s[26:27], vcc, s[20:21]
	s_and_saveexec_b64 s[20:21], s[26:27]
	s_cbranch_execz .LBB123_108
; %bb.112:                              ;   in Loop: Header=BB123_109 Depth=2
	v_lshlrev_b16_e32 v6, 8, v6
	v_or_b32_e32 v6, 1, v6
	ds_write_b16 v15, v6 offset:3072
	s_branch .LBB123_108
.LBB123_113:                            ;   in Loop: Header=BB123_12 Depth=1
	s_or_b64 exec, exec, s[10:11]
	v_lshrrev_b16_e32 v22, 8, v6
	s_and_b64 s[10:11], s[12:13], exec
.LBB123_114:                            ;   in Loop: Header=BB123_12 Depth=1
	s_or_b64 exec, exec, s[4:5]
	s_mov_b64 s[36:37], -1
	s_mov_b64 s[20:21], 0
	s_mov_b64 s[34:35], 0
.LBB123_115:                            ;   in Loop: Header=BB123_12 Depth=1
	s_orn2_b64 s[4:5], s[10:11], exec
.LBB123_116:                            ;   in Loop: Header=BB123_12 Depth=1
	s_or_b64 exec, exec, s[8:9]
	s_mov_b64 s[38:39], 0
	s_mov_b64 s[28:29], 0
	;; [unrolled: 1-line block ×3, first 2 shown]
                                        ; implicit-def: $vgpr6
                                        ; implicit-def: $vgpr2_vgpr3
	s_and_saveexec_b64 s[40:41], s[4:5]
	s_cbranch_execz .LBB123_273
; %bb.117:                              ;   in Loop: Header=BB123_12 Depth=1
	v_mov_b32_e32 v2, 1
	s_xor_b64 s[8:9], s[6:7], -1
	s_mov_b64 s[6:7], 0
	v_mov_b32_e32 v3, 0
	v_mov_b32_e32 v6, 1
	s_and_saveexec_b64 s[4:5], s[8:9]
	s_cbranch_execz .LBB123_127
; %bb.118:                              ;   in Loop: Header=BB123_12 Depth=1
	v_cmp_ge_u64_e32 vcc, s[16:17], v[20:21]
                                        ; implicit-def: $sgpr10
                                        ; implicit-def: $sgpr6_sgpr7
	s_and_saveexec_b64 s[8:9], vcc
	s_xor_b64 s[8:9], exec, s[8:9]
	s_cbranch_execz .LBB123_124
; %bb.119:                              ;   in Loop: Header=BB123_12 Depth=1
	ds_read_b64 v[2:3], v15 offset:5120
	s_waitcnt lgkmcnt(0)
	v_cmp_ne_u64_e32 vcc, 0, v[2:3]
	s_cbranch_vccnz .LBB123_123
; %bb.120:                              ;   in Loop: Header=BB123_12 Depth=1
	s_mov_b64 s[6:7], exec
	v_readlane_b32 s10, v42, 12
	v_readlane_b32 s11, v42, 13
	s_and_b64 s[10:11], s[6:7], s[10:11]
	s_mov_b64 exec, s[10:11]
	s_cbranch_execz .LBB123_122
; %bb.121:                              ;   in Loop: Header=BB123_12 Depth=1
	v_pk_mov_b32 v[2:3], s[16:17], s[16:17] op_sel:[0,1]
	ds_write_b64 v15, v[2:3] offset:5128
.LBB123_122:                            ;   in Loop: Header=BB123_12 Depth=1
	s_or_b64 exec, exec, s[6:7]
	s_waitcnt lgkmcnt(0)
	s_barrier
.LBB123_123:                            ;   in Loop: Header=BB123_12 Depth=1
	v_and_b32_e32 v8, s46, v8
	v_or_b32_e32 v9, s86, v9
	s_mov_b64 s[6:7], 0
	s_mov_b32 s10, 8
.LBB123_124:                            ;   in Loop: Header=BB123_12 Depth=1
	s_or_saveexec_b64 s[8:9], s[8:9]
	v_mov_b32_e32 v6, s10
	v_pk_mov_b32 v[2:3], v[20:21], v[20:21] op_sel:[0,1]
	s_xor_b64 exec, exec, s[8:9]
; %bb.125:                              ;   in Loop: Header=BB123_12 Depth=1
	v_mov_b32_e32 v3, s17
	v_subrev_co_u32_e32 v2, vcc, s16, v20
	v_subb_co_u32_e32 v3, vcc, v21, v3, vcc
	v_mov_b32_e32 v6, 0
	s_or_b64 s[6:7], s[6:7], exec
; %bb.126:                              ;   in Loop: Header=BB123_12 Depth=1
	s_or_b64 exec, exec, s[8:9]
	s_and_b64 s[6:7], s[6:7], exec
.LBB123_127:                            ;   in Loop: Header=BB123_12 Depth=1
	s_or_b64 exec, exec, s[4:5]
	s_mov_b64 s[26:27], -1
                                        ; implicit-def: $sgpr4_sgpr5
                                        ; implicit-def: $sgpr8_sgpr9
                                        ; implicit-def: $sgpr10_sgpr11
	s_and_saveexec_b64 s[12:13], s[6:7]
	s_xor_b64 s[6:7], exec, s[12:13]
	s_cbranch_execz .LBB123_270
; %bb.128:                              ;   in Loop: Header=BB123_12 Depth=1
	s_cmp_eq_u64 s[18:19], 1
	s_cselect_b64 s[4:5], -1, 0
	v_cmp_eq_u64_e32 vcc, 1, v[2:3]
	s_and_b64 s[8:9], s[4:5], vcc
	s_mov_b64 s[4:5], -1
                                        ; implicit-def: $sgpr26_sgpr27
                                        ; implicit-def: $sgpr42_sgpr43
                                        ; implicit-def: $sgpr28_sgpr29
	s_and_saveexec_b64 s[44:45], s[8:9]
	s_cbranch_execz .LBB123_160
; %bb.129:                              ;   in Loop: Header=BB123_12 Depth=1
	ds_read_b64 v[4:5], v15 offset:5120
	s_waitcnt lgkmcnt(0)
	s_barrier
	v_readfirstlane_b32 s4, v4
	v_readfirstlane_b32 s5, v5
	s_mov_b64 s[10:11], exec
	v_readlane_b32 s12, v42, 30
	v_readlane_b32 s13, v42, 31
	s_and_b64 s[12:13], s[10:11], s[12:13]
	s_mov_b64 exec, s[12:13]
	s_cbranch_execz .LBB123_131
; %bb.130:                              ;   in Loop: Header=BB123_12 Depth=1
	ds_write_b8 v0, v15 offset:3072
.LBB123_131:                            ;   in Loop: Header=BB123_12 Depth=1
	s_or_b64 exec, exec, s[10:11]
	v_and_b32_e32 v4, s46, v8
	v_lshl_or_b32 v8, 1, s47, v4
	v_or_b32_e32 v9, s86, v9
	s_cmp_eq_u64 s[4:5], 0
	s_waitcnt lgkmcnt(0)
	s_barrier
	s_cbranch_scc1 .LBB123_144
; %bb.132:                              ;   in Loop: Header=BB123_12 Depth=1
	v_readlane_b32 s10, v42, 34
	s_add_u32 s26, s10, s4
	v_readlane_b32 s10, v42, 36
	s_addc_u32 s11, s10, s5
	s_mov_b32 s10, s87
	s_cmp_lg_u64 s[10:11], 0
	s_cbranch_scc0 .LBB123_186
; %bb.133:                              ;   in Loop: Header=BB123_12 Depth=1
	v_cvt_f32_u32_e32 v4, s33
	s_sub_u32 s10, 0, s33
	s_subb_u32 s12, 0, 0
	v_mac_f32_e32 v4, 0, v30
	v_rcp_f32_e32 v4, v4
	v_mul_f32_e32 v4, 0x5f7ffffc, v4
	v_mul_f32_e32 v5, 0x2f800000, v4
	v_trunc_f32_e32 v5, v5
	v_mac_f32_e32 v4, 0xcf800000, v5
	v_cvt_u32_f32_e32 v5, v5
	v_cvt_u32_f32_e32 v4, v4
	v_readfirstlane_b32 s13, v5
	v_readfirstlane_b32 s27, v4
	s_mul_i32 s28, s10, s13
	s_mul_hi_u32 s42, s10, s27
	s_mul_i32 s29, s12, s27
	s_add_i32 s28, s42, s28
	s_mul_i32 s43, s10, s27
	s_add_i32 s28, s28, s29
	s_mul_hi_u32 s42, s27, s43
	s_mul_hi_u32 s29, s27, s28
	s_mul_i32 s27, s27, s28
	s_add_u32 s27, s42, s27
	s_addc_u32 s29, 0, s29
	s_mul_hi_u32 s48, s13, s43
	s_mul_i32 s43, s13, s43
	s_add_u32 s27, s27, s43
	s_mul_hi_u32 s42, s13, s28
	s_addc_u32 s27, s29, s48
	s_addc_u32 s29, s42, 0
	s_mul_i32 s28, s13, s28
	s_add_u32 s27, s27, s28
	s_addc_u32 s28, 0, s29
	v_add_co_u32_e32 v4, vcc, s27, v4
	s_cmp_lg_u64 vcc, 0
	s_addc_u32 s13, s13, s28
	v_readfirstlane_b32 s28, v4
	s_mul_i32 s27, s10, s13
	s_mul_hi_u32 s29, s10, s28
	s_add_i32 s27, s29, s27
	s_mul_i32 s12, s12, s28
	s_add_i32 s27, s27, s12
	s_mul_i32 s10, s10, s28
	s_mul_hi_u32 s29, s13, s10
	s_mul_i32 s42, s13, s10
	s_mul_i32 s48, s28, s27
	s_mul_hi_u32 s10, s28, s10
	s_mul_hi_u32 s43, s28, s27
	s_add_u32 s10, s10, s48
	s_addc_u32 s28, 0, s43
	s_add_u32 s10, s10, s42
	s_mul_hi_u32 s12, s13, s27
	s_addc_u32 s10, s28, s29
	s_addc_u32 s12, s12, 0
	s_mul_i32 s27, s13, s27
	s_add_u32 s10, s10, s27
	s_addc_u32 s12, 0, s12
	v_add_co_u32_e32 v4, vcc, s10, v4
	s_cmp_lg_u64 vcc, 0
	s_addc_u32 s10, s13, s12
	v_readfirstlane_b32 s27, v4
	s_mul_i32 s13, s26, s10
	s_mul_hi_u32 s28, s26, s27
	s_mul_hi_u32 s12, s26, s10
	s_add_u32 s13, s28, s13
	s_addc_u32 s12, 0, s12
	s_mul_hi_u32 s29, s11, s27
	s_mul_i32 s27, s11, s27
	s_add_u32 s13, s13, s27
	s_mul_hi_u32 s28, s11, s10
	s_addc_u32 s12, s12, s29
	s_addc_u32 s13, s28, 0
	s_mul_i32 s10, s11, s10
	s_add_u32 s10, s12, s10
	s_addc_u32 s12, 0, s13
	s_mul_hi_u32 s13, s33, s10
	s_mul_i32 s10, s33, s10
	s_mul_i32 s12, s33, s12
	v_mov_b32_e32 v4, s10
	s_add_i32 s13, s13, s12
	v_sub_co_u32_e32 v4, vcc, s26, v4
	s_cmp_lg_u64 vcc, 0
	s_subb_u32 s10, s11, s13
	v_subrev_co_u32_e32 v5, vcc, s33, v4
	s_cmp_lg_u64 vcc, 0
	s_subb_u32 s12, s10, 0
	v_subrev_co_u32_e32 v6, vcc, s33, v5
	s_cmp_lg_u64 vcc, 0
	s_subb_u32 s13, s12, 0
	v_cmp_le_u32_e32 vcc, s33, v5
	s_cmp_eq_u32 s12, 0
	v_cndmask_b32_e64 v7, 0, -1, vcc
	s_cselect_b64 vcc, -1, 0
	v_cndmask_b32_e32 v7, -1, v7, vcc
	v_mov_b32_e32 v14, s12
	v_mov_b32_e32 v22, s13
	v_cmp_ne_u32_e32 vcc, 0, v7
	v_cndmask_b32_e32 v7, v14, v22, vcc
	v_cndmask_b32_e32 v6, v5, v6, vcc
	v_cmp_le_u32_e32 vcc, s33, v4
	s_cmp_eq_u32 s10, 0
	v_cndmask_b32_e64 v5, 0, -1, vcc
	s_cselect_b64 vcc, -1, 0
	v_cndmask_b32_e32 v5, -1, v5, vcc
	v_mov_b32_e32 v14, s10
	v_cmp_ne_u32_e32 vcc, 0, v5
	v_cndmask_b32_e32 v5, v14, v7, vcc
	v_cndmask_b32_e32 v4, v4, v6, vcc
	s_cbranch_execnz .LBB123_135
.LBB123_134:                            ;   in Loop: Header=BB123_12 Depth=1
	v_cvt_f32_u32_e32 v4, s33
	s_sub_i32 s10, 0, s33
	v_rcp_iflag_f32_e32 v4, v4
	v_mul_f32_e32 v4, 0x4f7ffffe, v4
	v_cvt_u32_f32_e32 v4, v4
	v_mul_lo_u32 v5, s10, v4
	v_mul_hi_u32 v5, v4, v5
	v_add_u32_e32 v4, v4, v5
	v_mul_hi_u32 v4, s26, v4
	v_mul_lo_u32 v4, v4, s33
	v_sub_u32_e32 v4, s26, v4
	v_subrev_u32_e32 v5, s33, v4
	v_cmp_le_u32_e32 vcc, s33, v4
	v_cndmask_b32_e32 v4, v4, v5, vcc
	v_subrev_u32_e32 v5, s33, v4
	v_cmp_le_u32_e32 vcc, s33, v4
	v_cndmask_b32_e32 v14, v4, v5, vcc
	v_pk_mov_b32 v[4:5], v[14:15], v[14:15] op_sel:[0,1]
.LBB123_135:                            ;   in Loop: Header=BB123_12 Depth=1
	v_mov_b32_e32 v6, s11
	v_sub_co_u32_e32 v4, vcc, s26, v4
	v_subb_co_u32_e32 v5, vcc, v6, v5, vcc
	v_cmp_gt_u64_e32 vcc, v[4:5], v[0:1]
	s_mov_b64 s[10:11], 0
                                        ; implicit-def: $vgpr22
	s_and_saveexec_b64 s[12:13], vcc
	s_cbranch_execz .LBB123_146
; %bb.136:                              ;   in Loop: Header=BB123_12 Depth=1
	v_mov_b32_e32 v14, v0
	v_pk_mov_b32 v[6:7], v[0:1], v[0:1] op_sel:[0,1]
                                        ; implicit-def: $sgpr26_sgpr27
	s_branch .LBB123_138
.LBB123_137:                            ;   in Loop: Header=BB123_138 Depth=2
	s_or_b64 exec, exec, s[28:29]
	s_waitcnt lgkmcnt(0)
	s_barrier
	ds_read_u16 v22, v15 offset:3072
	v_mov_b32_e32 v23, s90
	v_add_co_u32_e32 v6, vcc, s33, v6
	v_addc_co_u32_e32 v7, vcc, v7, v23, vcc
	s_waitcnt lgkmcnt(0)
	v_cmp_ne_u16_sdwa s[28:29], v22, v15 src0_sel:BYTE_0 src1_sel:DWORD
	v_cmp_ge_u64_e32 vcc, v[6:7], v[4:5]
	s_or_b64 s[42:43], vcc, s[28:29]
	s_and_b64 s[42:43], exec, s[42:43]
	s_or_b64 s[10:11], s[42:43], s[10:11]
	s_andn2_b64 s[26:27], s[26:27], exec
	s_and_b64 s[28:29], s[28:29], exec
	v_add_u32_e32 v14, s33, v14
	s_or_b64 s[26:27], s[26:27], s[28:29]
	s_barrier
	s_andn2_b64 exec, exec, s[10:11]
	s_cbranch_execz .LBB123_145
.LBB123_138:                            ;   Parent Loop BB123_12 Depth=1
                                        ; =>  This Inner Loop Header: Depth=2
	v_cmp_gt_u64_e32 vcc, s[4:5], v[6:7]
	v_mov_b32_e32 v22, 0
	s_and_saveexec_b64 s[28:29], vcc
	s_cbranch_execz .LBB123_140
; %bb.139:                              ;   in Loop: Header=BB123_138 Depth=2
	ds_read_u8 v22, v14
.LBB123_140:                            ;   in Loop: Header=BB123_138 Depth=2
	s_or_b64 exec, exec, s[28:29]
	s_waitcnt lgkmcnt(0)
	v_and_b32_e32 v23, v22, v9
	v_cmp_eq_u32_sdwa s[28:29], v23, v8 src0_sel:BYTE_0 src1_sel:DWORD
	s_and_b64 s[42:43], vcc, s[28:29]
	s_and_saveexec_b64 s[28:29], s[42:43]
	s_cbranch_execz .LBB123_137
; %bb.141:                              ;   in Loop: Header=BB123_138 Depth=2
	v_lshlrev_b16_e32 v22, 8, v22
	v_or_b32_e32 v22, 1, v22
	ds_write_b16 v15, v22 offset:3072
	s_branch .LBB123_137
.LBB123_142:                            ;   in Loop: Header=BB123_12 Depth=1
                                        ; implicit-def: $vgpr2_vgpr3
	s_branch .LBB123_87
.LBB123_143:                            ;   in Loop: Header=BB123_12 Depth=1
                                        ; implicit-def: $vgpr2_vgpr3
	s_branch .LBB123_105
.LBB123_144:                            ;   in Loop: Header=BB123_12 Depth=1
	s_mov_b64 s[26:27], -1
	s_mov_b64 s[10:11], 0
                                        ; implicit-def: $sgpr28_sgpr29
                                        ; implicit-def: $vgpr22
	s_mov_b64 s[42:43], s[26:27]
	s_cbranch_execnz .LBB123_147
	s_branch .LBB123_159
.LBB123_145:                            ;   in Loop: Header=BB123_12 Depth=1
	s_or_b64 exec, exec, s[10:11]
	v_lshrrev_b16_e32 v22, 8, v22
	s_and_b64 s[10:11], s[26:27], exec
.LBB123_146:                            ;   in Loop: Header=BB123_12 Depth=1
	s_or_b64 exec, exec, s[12:13]
	s_mov_b64 s[28:29], -1
	s_mov_b64 s[26:27], 0
	s_mov_b64 s[42:43], s[26:27]
	s_branch .LBB123_159
.LBB123_147:                            ;   in Loop: Header=BB123_12 Depth=1
	s_mov_b32 s94, s87
	s_cmp_lg_u64 s[94:95], 0
	s_cbranch_scc0 .LBB123_187
; %bb.148:                              ;   in Loop: Header=BB123_12 Depth=1
	v_cvt_f32_u32_e32 v4, s33
	s_sub_u32 s4, 0, s33
	s_subb_u32 s5, 0, 0
	v_mac_f32_e32 v4, 0, v30
	v_rcp_f32_e32 v4, v4
	v_mul_f32_e32 v4, 0x5f7ffffc, v4
	v_mul_f32_e32 v5, 0x2f800000, v4
	v_trunc_f32_e32 v5, v5
	v_mac_f32_e32 v4, 0xcf800000, v5
	v_cvt_u32_f32_e32 v5, v5
	v_cvt_u32_f32_e32 v4, v4
	v_readfirstlane_b32 s10, v5
	v_readfirstlane_b32 s11, v4
	s_mul_i32 s12, s4, s10
	s_mul_hi_u32 s26, s4, s11
	s_mul_i32 s13, s5, s11
	s_add_i32 s12, s26, s12
	s_mul_i32 s27, s4, s11
	s_add_i32 s12, s12, s13
	s_mul_hi_u32 s26, s11, s27
	s_mul_hi_u32 s13, s11, s12
	s_mul_i32 s11, s11, s12
	s_add_u32 s11, s26, s11
	s_addc_u32 s13, 0, s13
	s_mul_hi_u32 s28, s10, s27
	s_mul_i32 s27, s10, s27
	s_add_u32 s11, s11, s27
	s_mul_hi_u32 s26, s10, s12
	s_addc_u32 s11, s13, s28
	s_addc_u32 s13, s26, 0
	s_mul_i32 s12, s10, s12
	s_add_u32 s11, s11, s12
	s_addc_u32 s12, 0, s13
	v_add_co_u32_e32 v4, vcc, s11, v4
	s_cmp_lg_u64 vcc, 0
	s_addc_u32 s10, s10, s12
	v_readfirstlane_b32 s12, v4
	s_mul_i32 s11, s4, s10
	s_mul_hi_u32 s13, s4, s12
	s_add_i32 s11, s13, s11
	s_mul_i32 s5, s5, s12
	s_add_i32 s11, s11, s5
	s_mul_i32 s4, s4, s12
	s_mul_hi_u32 s13, s10, s4
	s_mul_i32 s26, s10, s4
	s_mul_i32 s28, s12, s11
	s_mul_hi_u32 s4, s12, s4
	s_mul_hi_u32 s27, s12, s11
	s_add_u32 s4, s4, s28
	s_addc_u32 s12, 0, s27
	s_add_u32 s4, s4, s26
	s_mul_hi_u32 s5, s10, s11
	s_addc_u32 s4, s12, s13
	s_addc_u32 s5, s5, 0
	s_mul_i32 s11, s10, s11
	s_add_u32 s4, s4, s11
	s_addc_u32 s5, 0, s5
	v_add_co_u32_e32 v4, vcc, s4, v4
	s_cmp_lg_u64 vcc, 0
	s_addc_u32 s4, s10, s5
	v_readlane_b32 s26, v42, 35
	v_readfirstlane_b32 s11, v4
	s_mul_i32 s10, s26, s4
	s_mul_hi_u32 s12, s26, s11
	s_mul_hi_u32 s5, s26, s4
	s_add_u32 s10, s12, s10
	s_addc_u32 s5, 0, s5
	s_mul_hi_u32 s13, s95, s11
	s_mul_i32 s11, s95, s11
	s_add_u32 s10, s10, s11
	s_mul_hi_u32 s12, s95, s4
	s_addc_u32 s5, s5, s13
	s_addc_u32 s10, s12, 0
	s_mul_i32 s4, s95, s4
	s_add_u32 s4, s5, s4
	s_addc_u32 s5, 0, s10
	s_mul_hi_u32 s10, s33, s4
	s_mul_i32 s4, s33, s4
	s_mul_i32 s5, s33, s5
	v_mov_b32_e32 v4, s4
	s_add_i32 s10, s10, s5
	v_sub_co_u32_e32 v4, vcc, s26, v4
	s_cmp_lg_u64 vcc, 0
	s_subb_u32 s4, s95, s10
	v_subrev_co_u32_e32 v5, vcc, s33, v4
	s_cmp_lg_u64 vcc, 0
	s_subb_u32 s5, s4, 0
	v_subrev_co_u32_e32 v6, vcc, s33, v5
	s_cmp_lg_u64 vcc, 0
	s_subb_u32 s10, s5, 0
	v_cmp_le_u32_e32 vcc, s33, v5
	s_cmp_eq_u32 s5, 0
	v_cndmask_b32_e64 v7, 0, -1, vcc
	s_cselect_b64 vcc, -1, 0
	v_cndmask_b32_e32 v7, -1, v7, vcc
	v_mov_b32_e32 v14, s5
	v_mov_b32_e32 v22, s10
	v_cmp_ne_u32_e32 vcc, 0, v7
	v_cndmask_b32_e32 v7, v14, v22, vcc
	v_cndmask_b32_e32 v6, v5, v6, vcc
	v_cmp_le_u32_e32 vcc, s33, v4
	s_cmp_eq_u32 s4, 0
	v_cndmask_b32_e64 v5, 0, -1, vcc
	s_cselect_b64 vcc, -1, 0
	v_cndmask_b32_e32 v5, -1, v5, vcc
	v_mov_b32_e32 v14, s4
	v_cmp_ne_u32_e32 vcc, 0, v5
	v_cndmask_b32_e32 v5, v14, v7, vcc
	v_cndmask_b32_e32 v4, v4, v6, vcc
	s_cbranch_execnz .LBB123_150
.LBB123_149:                            ;   in Loop: Header=BB123_12 Depth=1
	v_cvt_f32_u32_e32 v4, s33
	s_sub_i32 s4, 0, s33
	v_rcp_iflag_f32_e32 v4, v4
	v_mul_f32_e32 v4, 0x4f7ffffe, v4
	v_cvt_u32_f32_e32 v4, v4
	v_mul_lo_u32 v5, s4, v4
	v_mul_hi_u32 v5, v4, v5
	v_add_u32_e32 v4, v4, v5
	v_readlane_b32 s4, v42, 35
	v_mul_hi_u32 v4, s4, v4
	v_mul_lo_u32 v4, v4, s33
	v_sub_u32_e32 v4, s4, v4
	v_subrev_u32_e32 v5, s33, v4
	v_cmp_le_u32_e32 vcc, s33, v4
	v_cndmask_b32_e32 v4, v4, v5, vcc
	v_subrev_u32_e32 v5, s33, v4
	v_cmp_le_u32_e32 vcc, s33, v4
	v_cndmask_b32_e32 v14, v4, v5, vcc
	v_pk_mov_b32 v[4:5], v[14:15], v[14:15] op_sel:[0,1]
.LBB123_150:                            ;   in Loop: Header=BB123_12 Depth=1
	v_readlane_b32 s4, v42, 35
	v_mov_b32_e32 v6, s95
	v_sub_co_u32_e32 v4, vcc, s4, v4
	v_subb_co_u32_e32 v5, vcc, v6, v5, vcc
	v_cmp_gt_u64_e32 vcc, v[4:5], v[0:1]
	s_mov_b64 s[10:11], 0
                                        ; implicit-def: $vgpr22
	s_and_saveexec_b64 s[4:5], vcc
	s_cbranch_execz .LBB123_158
; %bb.151:                              ;   in Loop: Header=BB123_12 Depth=1
	v_pk_mov_b32 v[6:7], v[0:1], v[0:1] op_sel:[0,1]
                                        ; implicit-def: $sgpr12_sgpr13
	s_branch .LBB123_153
.LBB123_152:                            ;   in Loop: Header=BB123_153 Depth=2
	s_or_b64 exec, exec, s[26:27]
	s_waitcnt lgkmcnt(0)
	s_barrier
	ds_read_u16 v14, v15 offset:3072
	v_mov_b32_e32 v22, s90
	v_add_co_u32_e32 v6, vcc, s33, v6
	v_addc_co_u32_e32 v7, vcc, v7, v22, vcc
	s_waitcnt lgkmcnt(0)
	v_cmp_ne_u16_sdwa s[26:27], v14, v15 src0_sel:BYTE_0 src1_sel:DWORD
	v_cmp_ge_u64_e32 vcc, v[6:7], v[4:5]
	s_or_b64 s[28:29], vcc, s[26:27]
	s_and_b64 s[28:29], exec, s[28:29]
	s_or_b64 s[10:11], s[28:29], s[10:11]
	s_andn2_b64 s[12:13], s[12:13], exec
	s_and_b64 s[26:27], s[26:27], exec
	s_or_b64 s[12:13], s[12:13], s[26:27]
	s_barrier
	s_andn2_b64 exec, exec, s[10:11]
	s_cbranch_execz .LBB123_157
.LBB123_153:                            ;   Parent Loop BB123_12 Depth=1
                                        ; =>  This Inner Loop Header: Depth=2
	v_cmp_gt_u64_e32 vcc, s[60:61], v[6:7]
	v_mov_b32_e32 v14, 0
	s_and_saveexec_b64 s[26:27], vcc
	s_cbranch_execz .LBB123_155
; %bb.154:                              ;   in Loop: Header=BB123_153 Depth=2
	v_pk_mov_b32 v[22:23], s[56:57], s[56:57] op_sel:[0,1]
	v_mad_u64_u32 v[22:23], s[28:29], v6, s58, v[22:23]
	v_mul_lo_u32 v14, v6, s59
	v_mul_lo_u32 v24, v7, s58
	v_add3_u32 v23, v24, v23, v14
	global_load_ubyte v14, v[22:23], off
.LBB123_155:                            ;   in Loop: Header=BB123_153 Depth=2
	s_or_b64 exec, exec, s[26:27]
	s_waitcnt vmcnt(0)
	v_and_b32_e32 v22, v14, v9
	v_cmp_eq_u32_sdwa s[26:27], v22, v8 src0_sel:BYTE_0 src1_sel:DWORD
	s_and_b64 s[28:29], vcc, s[26:27]
	s_and_saveexec_b64 s[26:27], s[28:29]
	s_cbranch_execz .LBB123_152
; %bb.156:                              ;   in Loop: Header=BB123_153 Depth=2
	v_lshlrev_b16_e32 v14, 8, v14
	v_or_b32_e32 v14, 1, v14
	ds_write_b16 v15, v14 offset:3072
	s_branch .LBB123_152
.LBB123_157:                            ;   in Loop: Header=BB123_12 Depth=1
	s_or_b64 exec, exec, s[10:11]
	v_lshrrev_b16_e32 v22, 8, v14
	s_and_b64 s[10:11], s[12:13], exec
.LBB123_158:                            ;   in Loop: Header=BB123_12 Depth=1
	s_or_b64 exec, exec, s[4:5]
	s_mov_b64 s[42:43], -1
	s_mov_b64 s[26:27], 0
	s_mov_b64 s[28:29], 0
.LBB123_159:                            ;   in Loop: Header=BB123_12 Depth=1
	s_orn2_b64 s[4:5], s[10:11], exec
.LBB123_160:                            ;   in Loop: Header=BB123_12 Depth=1
	s_or_b64 exec, exec, s[44:45]
	s_mov_b64 s[12:13], 0
                                        ; implicit-def: $vgpr6
	s_and_saveexec_b64 s[44:45], s[4:5]
	s_cbranch_execz .LBB123_269
; %bb.161:                              ;   in Loop: Header=BB123_12 Depth=1
	v_mov_b32_e32 v4, 1
	s_xor_b64 s[8:9], s[8:9], -1
	s_mov_b64 s[48:49], 0
	v_mov_b32_e32 v5, 0
	v_mov_b32_e32 v6, 1
	s_and_saveexec_b64 s[4:5], s[8:9]
	s_cbranch_execz .LBB123_171
; %bb.162:                              ;   in Loop: Header=BB123_12 Depth=1
	v_cmp_ge_u64_e32 vcc, s[18:19], v[2:3]
                                        ; implicit-def: $sgpr12
                                        ; implicit-def: $sgpr8_sgpr9
	s_and_saveexec_b64 s[10:11], vcc
	s_xor_b64 s[10:11], exec, s[10:11]
	s_cbranch_execz .LBB123_168
; %bb.163:                              ;   in Loop: Header=BB123_12 Depth=1
	ds_read_b64 v[4:5], v15 offset:5120
	s_waitcnt lgkmcnt(0)
	v_cmp_ne_u64_e32 vcc, 0, v[4:5]
	s_cbranch_vccnz .LBB123_167
; %bb.164:                              ;   in Loop: Header=BB123_12 Depth=1
	s_mov_b64 s[8:9], exec
	v_readlane_b32 s12, v42, 12
	v_readlane_b32 s13, v42, 13
	s_and_b64 s[12:13], s[8:9], s[12:13]
	s_mov_b64 exec, s[12:13]
	s_cbranch_execz .LBB123_166
; %bb.165:                              ;   in Loop: Header=BB123_12 Depth=1
	v_pk_mov_b32 v[4:5], s[18:19], s[18:19] op_sel:[0,1]
	ds_write_b64 v15, v[4:5] offset:5128
.LBB123_166:                            ;   in Loop: Header=BB123_12 Depth=1
	s_or_b64 exec, exec, s[8:9]
	s_waitcnt lgkmcnt(0)
	s_barrier
.LBB123_167:                            ;   in Loop: Header=BB123_12 Depth=1
	v_and_b32_e32 v4, s46, v8
	v_lshl_or_b32 v8, 1, s47, v4
	v_or_b32_e32 v9, s86, v9
	s_mov_b64 s[8:9], 0
	s_mov_b32 s12, 8
.LBB123_168:                            ;   in Loop: Header=BB123_12 Depth=1
	s_or_saveexec_b64 s[10:11], s[10:11]
	v_mov_b32_e32 v6, s12
	s_xor_b64 exec, exec, s[10:11]
; %bb.169:                              ;   in Loop: Header=BB123_12 Depth=1
	v_mov_b32_e32 v4, s19
	v_subrev_co_u32_e32 v2, vcc, s18, v2
	v_subb_co_u32_e32 v3, vcc, v3, v4, vcc
	v_mov_b32_e32 v6, 0
	s_or_b64 s[8:9], s[8:9], exec
; %bb.170:                              ;   in Loop: Header=BB123_12 Depth=1
	s_or_b64 exec, exec, s[10:11]
	s_and_b64 s[48:49], s[8:9], exec
	v_pk_mov_b32 v[4:5], v[2:3], v[2:3] op_sel:[0,1]
.LBB123_171:                            ;   in Loop: Header=BB123_12 Depth=1
	s_or_b64 exec, exec, s[4:5]
	s_mov_b64 s[4:5], -1
                                        ; implicit-def: $sgpr8_sgpr9
                                        ; implicit-def: $sgpr10_sgpr11
                                        ; implicit-def: $sgpr12_sgpr13
	s_and_saveexec_b64 s[50:51], s[48:49]
	s_cbranch_execz .LBB123_268
; %bb.172:                              ;   in Loop: Header=BB123_12 Depth=1
	s_cmp_eq_u64 s[22:23], 1
	s_cselect_b64 s[4:5], -1, 0
	v_cmp_eq_u64_e32 vcc, 1, v[4:5]
	s_and_b64 s[54:55], s[4:5], vcc
	s_mov_b64 s[10:11], -1
                                        ; implicit-def: $sgpr8_sgpr9
                                        ; implicit-def: $sgpr48_sgpr49
                                        ; implicit-def: $vcc
	s_and_saveexec_b64 s[52:53], s[54:55]
	s_cbranch_execz .LBB123_204
; %bb.173:                              ;   in Loop: Header=BB123_12 Depth=1
	ds_read_b64 v[2:3], v15 offset:5120
	s_waitcnt lgkmcnt(0)
	s_barrier
	v_readfirstlane_b32 s4, v2
	v_readfirstlane_b32 s5, v3
	s_mov_b64 s[8:9], exec
	v_readlane_b32 s10, v42, 30
	v_readlane_b32 s11, v42, 31
	s_and_b64 s[10:11], s[8:9], s[10:11]
	s_mov_b64 exec, s[10:11]
	s_cbranch_execz .LBB123_175
; %bb.174:                              ;   in Loop: Header=BB123_12 Depth=1
	ds_write_b8 v0, v15 offset:3072
.LBB123_175:                            ;   in Loop: Header=BB123_12 Depth=1
	s_or_b64 exec, exec, s[8:9]
	v_and_b32_e32 v2, s46, v8
	v_lshl_or_b32 v8, 2, s47, v2
	v_or_b32_e32 v9, s86, v9
	s_cmp_eq_u64 s[4:5], 0
	s_waitcnt lgkmcnt(0)
	s_barrier
	s_cbranch_scc1 .LBB123_188
; %bb.176:                              ;   in Loop: Header=BB123_12 Depth=1
	v_readlane_b32 s8, v42, 34
	s_add_u32 s12, s8, s4
	v_readlane_b32 s8, v42, 36
	s_addc_u32 s9, s8, s5
	s_mov_b32 s8, s87
	s_cmp_lg_u64 s[8:9], 0
	s_cbranch_scc0 .LBB123_222
; %bb.177:                              ;   in Loop: Header=BB123_12 Depth=1
	v_cvt_f32_u32_e32 v2, s33
	s_sub_u32 s8, 0, s33
	s_subb_u32 s10, 0, 0
	v_mac_f32_e32 v2, 0, v30
	v_rcp_f32_e32 v2, v2
	v_mul_f32_e32 v2, 0x5f7ffffc, v2
	v_mul_f32_e32 v3, 0x2f800000, v2
	v_trunc_f32_e32 v3, v3
	v_mac_f32_e32 v2, 0xcf800000, v3
	v_cvt_u32_f32_e32 v3, v3
	v_cvt_u32_f32_e32 v2, v2
	v_readfirstlane_b32 s11, v3
	v_readfirstlane_b32 s13, v2
	s_mul_i32 s48, s8, s11
	s_mul_hi_u32 s72, s8, s13
	s_mul_i32 s49, s10, s13
	s_add_i32 s48, s72, s48
	s_mul_i32 s73, s8, s13
	s_add_i32 s48, s48, s49
	s_mul_hi_u32 s72, s13, s73
	s_mul_hi_u32 s49, s13, s48
	s_mul_i32 s13, s13, s48
	s_add_u32 s13, s72, s13
	s_addc_u32 s49, 0, s49
	s_mul_hi_u32 s88, s11, s73
	s_mul_i32 s73, s11, s73
	s_add_u32 s13, s13, s73
	s_mul_hi_u32 s72, s11, s48
	s_addc_u32 s13, s49, s88
	s_addc_u32 s49, s72, 0
	s_mul_i32 s48, s11, s48
	s_add_u32 s13, s13, s48
	s_addc_u32 s48, 0, s49
	v_add_co_u32_e32 v2, vcc, s13, v2
	s_cmp_lg_u64 vcc, 0
	s_addc_u32 s11, s11, s48
	v_readfirstlane_b32 s48, v2
	s_mul_i32 s13, s8, s11
	s_mul_hi_u32 s49, s8, s48
	s_add_i32 s13, s49, s13
	s_mul_i32 s10, s10, s48
	s_add_i32 s13, s13, s10
	s_mul_i32 s8, s8, s48
	s_mul_hi_u32 s49, s11, s8
	s_mul_i32 s72, s11, s8
	s_mul_i32 s88, s48, s13
	s_mul_hi_u32 s8, s48, s8
	s_mul_hi_u32 s73, s48, s13
	s_add_u32 s8, s8, s88
	s_addc_u32 s48, 0, s73
	s_add_u32 s8, s8, s72
	s_mul_hi_u32 s10, s11, s13
	s_addc_u32 s8, s48, s49
	s_addc_u32 s10, s10, 0
	s_mul_i32 s13, s11, s13
	s_add_u32 s8, s8, s13
	s_addc_u32 s10, 0, s10
	v_add_co_u32_e32 v2, vcc, s8, v2
	s_cmp_lg_u64 vcc, 0
	s_addc_u32 s8, s11, s10
	v_readfirstlane_b32 s13, v2
	s_mul_i32 s11, s12, s8
	s_mul_hi_u32 s48, s12, s13
	s_mul_hi_u32 s10, s12, s8
	s_add_u32 s11, s48, s11
	s_addc_u32 s10, 0, s10
	s_mul_hi_u32 s49, s9, s13
	s_mul_i32 s13, s9, s13
	s_add_u32 s11, s11, s13
	s_mul_hi_u32 s48, s9, s8
	s_addc_u32 s10, s10, s49
	s_addc_u32 s11, s48, 0
	s_mul_i32 s8, s9, s8
	s_add_u32 s8, s10, s8
	s_addc_u32 s10, 0, s11
	s_mul_hi_u32 s11, s33, s8
	s_mul_i32 s8, s33, s8
	s_mul_i32 s10, s33, s10
	v_mov_b32_e32 v2, s8
	s_add_i32 s11, s11, s10
	v_sub_co_u32_e32 v2, vcc, s12, v2
	s_cmp_lg_u64 vcc, 0
	s_subb_u32 s8, s9, s11
	v_subrev_co_u32_e32 v3, vcc, s33, v2
	s_cmp_lg_u64 vcc, 0
	s_subb_u32 s10, s8, 0
	v_subrev_co_u32_e32 v6, vcc, s33, v3
	s_cmp_lg_u64 vcc, 0
	s_subb_u32 s11, s10, 0
	v_cmp_le_u32_e32 vcc, s33, v3
	s_cmp_eq_u32 s10, 0
	v_cndmask_b32_e64 v7, 0, -1, vcc
	s_cselect_b64 vcc, -1, 0
	v_cndmask_b32_e32 v7, -1, v7, vcc
	v_mov_b32_e32 v14, s10
	v_mov_b32_e32 v22, s11
	v_cmp_ne_u32_e32 vcc, 0, v7
	v_cndmask_b32_e32 v7, v14, v22, vcc
	v_cndmask_b32_e32 v6, v3, v6, vcc
	v_cmp_le_u32_e32 vcc, s33, v2
	s_cmp_eq_u32 s8, 0
	v_cndmask_b32_e64 v3, 0, -1, vcc
	s_cselect_b64 vcc, -1, 0
	v_cndmask_b32_e32 v3, -1, v3, vcc
	v_mov_b32_e32 v14, s8
	v_cmp_ne_u32_e32 vcc, 0, v3
	v_cndmask_b32_e32 v3, v14, v7, vcc
	v_cndmask_b32_e32 v2, v2, v6, vcc
	s_cbranch_execnz .LBB123_179
.LBB123_178:                            ;   in Loop: Header=BB123_12 Depth=1
	v_cvt_f32_u32_e32 v2, s33
	s_sub_i32 s8, 0, s33
	v_rcp_iflag_f32_e32 v2, v2
	v_mul_f32_e32 v2, 0x4f7ffffe, v2
	v_cvt_u32_f32_e32 v2, v2
	v_mul_lo_u32 v3, s8, v2
	v_mul_hi_u32 v3, v2, v3
	v_add_u32_e32 v2, v2, v3
	v_mul_hi_u32 v2, s12, v2
	v_mul_lo_u32 v2, v2, s33
	v_sub_u32_e32 v2, s12, v2
	v_subrev_u32_e32 v3, s33, v2
	v_cmp_le_u32_e32 vcc, s33, v2
	v_cndmask_b32_e32 v2, v2, v3, vcc
	v_subrev_u32_e32 v3, s33, v2
	v_cmp_le_u32_e32 vcc, s33, v2
	v_cndmask_b32_e32 v14, v2, v3, vcc
	v_pk_mov_b32 v[2:3], v[14:15], v[14:15] op_sel:[0,1]
.LBB123_179:                            ;   in Loop: Header=BB123_12 Depth=1
	v_mov_b32_e32 v6, s9
	v_sub_co_u32_e32 v2, vcc, s12, v2
	v_subb_co_u32_e32 v3, vcc, v6, v3, vcc
	v_cmp_gt_u64_e32 vcc, v[2:3], v[0:1]
	s_mov_b64 s[10:11], 0
                                        ; implicit-def: $vgpr22
	s_and_saveexec_b64 s[8:9], vcc
	s_cbranch_execz .LBB123_190
; %bb.180:                              ;   in Loop: Header=BB123_12 Depth=1
	v_mov_b32_e32 v14, v0
	v_pk_mov_b32 v[6:7], v[0:1], v[0:1] op_sel:[0,1]
                                        ; implicit-def: $sgpr12_sgpr13
	s_branch .LBB123_182
.LBB123_181:                            ;   in Loop: Header=BB123_182 Depth=2
	s_or_b64 exec, exec, s[48:49]
	s_waitcnt lgkmcnt(0)
	s_barrier
	ds_read_u16 v22, v15 offset:3072
	v_mov_b32_e32 v23, s90
	v_add_co_u32_e32 v6, vcc, s33, v6
	v_addc_co_u32_e32 v7, vcc, v7, v23, vcc
	s_waitcnt lgkmcnt(0)
	v_cmp_ne_u16_sdwa s[48:49], v22, v15 src0_sel:BYTE_0 src1_sel:DWORD
	v_cmp_ge_u64_e32 vcc, v[6:7], v[2:3]
	s_or_b64 s[72:73], vcc, s[48:49]
	s_and_b64 s[72:73], exec, s[72:73]
	s_or_b64 s[10:11], s[72:73], s[10:11]
	s_andn2_b64 s[12:13], s[12:13], exec
	s_and_b64 s[48:49], s[48:49], exec
	v_add_u32_e32 v14, s33, v14
	s_or_b64 s[12:13], s[12:13], s[48:49]
	s_barrier
	s_andn2_b64 exec, exec, s[10:11]
	s_cbranch_execz .LBB123_189
.LBB123_182:                            ;   Parent Loop BB123_12 Depth=1
                                        ; =>  This Inner Loop Header: Depth=2
	v_cmp_gt_u64_e32 vcc, s[4:5], v[6:7]
	v_mov_b32_e32 v22, 0
	s_and_saveexec_b64 s[48:49], vcc
	s_cbranch_execz .LBB123_184
; %bb.183:                              ;   in Loop: Header=BB123_182 Depth=2
	ds_read_u8 v22, v14
.LBB123_184:                            ;   in Loop: Header=BB123_182 Depth=2
	s_or_b64 exec, exec, s[48:49]
	s_waitcnt lgkmcnt(0)
	v_and_b32_e32 v23, v22, v9
	v_cmp_eq_u32_sdwa s[48:49], v23, v8 src0_sel:BYTE_0 src1_sel:DWORD
	s_and_b64 s[72:73], vcc, s[48:49]
	s_and_saveexec_b64 s[48:49], s[72:73]
	s_cbranch_execz .LBB123_181
; %bb.185:                              ;   in Loop: Header=BB123_182 Depth=2
	v_lshlrev_b16_e32 v22, 8, v22
	v_or_b32_e32 v22, 1, v22
	ds_write_b16 v15, v22 offset:3072
	s_branch .LBB123_181
.LBB123_186:                            ;   in Loop: Header=BB123_12 Depth=1
                                        ; implicit-def: $vgpr4_vgpr5
	s_branch .LBB123_134
.LBB123_187:                            ;   in Loop: Header=BB123_12 Depth=1
                                        ; implicit-def: $vgpr4_vgpr5
	s_branch .LBB123_149
.LBB123_188:                            ;   in Loop: Header=BB123_12 Depth=1
	s_mov_b64 s[8:9], -1
	s_mov_b64 s[10:11], 0
                                        ; implicit-def: $sgpr4_sgpr5
                                        ; implicit-def: $vgpr22
	s_mov_b64 s[48:49], s[8:9]
	s_cbranch_execnz .LBB123_191
	s_branch .LBB123_203
.LBB123_189:                            ;   in Loop: Header=BB123_12 Depth=1
	s_or_b64 exec, exec, s[10:11]
	v_lshrrev_b16_e32 v22, 8, v22
	s_and_b64 s[10:11], s[12:13], exec
.LBB123_190:                            ;   in Loop: Header=BB123_12 Depth=1
	s_or_b64 exec, exec, s[8:9]
	s_mov_b64 s[4:5], -1
	s_mov_b64 s[8:9], 0
	s_mov_b64 s[48:49], s[8:9]
	s_branch .LBB123_203
.LBB123_191:                            ;   in Loop: Header=BB123_12 Depth=1
	s_mov_b32 s94, s87
	s_cmp_lg_u64 s[94:95], 0
	s_cbranch_scc0 .LBB123_223
; %bb.192:                              ;   in Loop: Header=BB123_12 Depth=1
	v_cvt_f32_u32_e32 v2, s33
	s_sub_u32 s4, 0, s33
	s_subb_u32 s5, 0, 0
	v_mac_f32_e32 v2, 0, v30
	v_rcp_f32_e32 v2, v2
	v_mul_f32_e32 v2, 0x5f7ffffc, v2
	v_mul_f32_e32 v3, 0x2f800000, v2
	v_trunc_f32_e32 v3, v3
	v_mac_f32_e32 v2, 0xcf800000, v3
	v_cvt_u32_f32_e32 v3, v3
	v_cvt_u32_f32_e32 v2, v2
	v_readfirstlane_b32 s8, v3
	v_readfirstlane_b32 s9, v2
	s_mul_i32 s10, s4, s8
	s_mul_hi_u32 s12, s4, s9
	s_mul_i32 s11, s5, s9
	s_add_i32 s10, s12, s10
	s_mul_i32 s13, s4, s9
	s_add_i32 s10, s10, s11
	s_mul_hi_u32 s12, s9, s13
	s_mul_hi_u32 s11, s9, s10
	s_mul_i32 s9, s9, s10
	s_add_u32 s9, s12, s9
	s_addc_u32 s11, 0, s11
	s_mul_hi_u32 s48, s8, s13
	s_mul_i32 s13, s8, s13
	s_add_u32 s9, s9, s13
	s_mul_hi_u32 s12, s8, s10
	s_addc_u32 s9, s11, s48
	s_addc_u32 s11, s12, 0
	s_mul_i32 s10, s8, s10
	s_add_u32 s9, s9, s10
	s_addc_u32 s10, 0, s11
	v_add_co_u32_e32 v2, vcc, s9, v2
	s_cmp_lg_u64 vcc, 0
	s_addc_u32 s8, s8, s10
	v_readfirstlane_b32 s10, v2
	s_mul_i32 s9, s4, s8
	s_mul_hi_u32 s11, s4, s10
	s_add_i32 s9, s11, s9
	s_mul_i32 s5, s5, s10
	s_add_i32 s9, s9, s5
	s_mul_i32 s4, s4, s10
	s_mul_hi_u32 s11, s8, s4
	s_mul_i32 s12, s8, s4
	s_mul_i32 s48, s10, s9
	s_mul_hi_u32 s4, s10, s4
	s_mul_hi_u32 s13, s10, s9
	s_add_u32 s4, s4, s48
	s_addc_u32 s10, 0, s13
	s_add_u32 s4, s4, s12
	s_mul_hi_u32 s5, s8, s9
	s_addc_u32 s4, s10, s11
	s_addc_u32 s5, s5, 0
	s_mul_i32 s9, s8, s9
	s_add_u32 s4, s4, s9
	s_addc_u32 s5, 0, s5
	v_add_co_u32_e32 v2, vcc, s4, v2
	s_cmp_lg_u64 vcc, 0
	s_addc_u32 s4, s8, s5
	v_readlane_b32 s12, v42, 35
	v_readfirstlane_b32 s9, v2
	s_mul_i32 s8, s12, s4
	s_mul_hi_u32 s10, s12, s9
	s_mul_hi_u32 s5, s12, s4
	s_add_u32 s8, s10, s8
	s_addc_u32 s5, 0, s5
	s_mul_hi_u32 s11, s95, s9
	s_mul_i32 s9, s95, s9
	s_add_u32 s8, s8, s9
	s_mul_hi_u32 s10, s95, s4
	s_addc_u32 s5, s5, s11
	s_addc_u32 s8, s10, 0
	s_mul_i32 s4, s95, s4
	s_add_u32 s4, s5, s4
	s_addc_u32 s5, 0, s8
	s_mul_hi_u32 s8, s33, s4
	s_mul_i32 s4, s33, s4
	s_mul_i32 s5, s33, s5
	v_mov_b32_e32 v2, s4
	s_add_i32 s8, s8, s5
	v_sub_co_u32_e32 v2, vcc, s12, v2
	s_cmp_lg_u64 vcc, 0
	s_subb_u32 s4, s95, s8
	v_subrev_co_u32_e32 v3, vcc, s33, v2
	s_cmp_lg_u64 vcc, 0
	s_subb_u32 s5, s4, 0
	v_subrev_co_u32_e32 v6, vcc, s33, v3
	s_cmp_lg_u64 vcc, 0
	s_subb_u32 s8, s5, 0
	v_cmp_le_u32_e32 vcc, s33, v3
	s_cmp_eq_u32 s5, 0
	v_cndmask_b32_e64 v7, 0, -1, vcc
	s_cselect_b64 vcc, -1, 0
	v_cndmask_b32_e32 v7, -1, v7, vcc
	v_mov_b32_e32 v14, s5
	v_mov_b32_e32 v22, s8
	v_cmp_ne_u32_e32 vcc, 0, v7
	v_cndmask_b32_e32 v7, v14, v22, vcc
	v_cndmask_b32_e32 v6, v3, v6, vcc
	v_cmp_le_u32_e32 vcc, s33, v2
	s_cmp_eq_u32 s4, 0
	v_cndmask_b32_e64 v3, 0, -1, vcc
	s_cselect_b64 vcc, -1, 0
	v_cndmask_b32_e32 v3, -1, v3, vcc
	v_mov_b32_e32 v14, s4
	v_cmp_ne_u32_e32 vcc, 0, v3
	v_cndmask_b32_e32 v3, v14, v7, vcc
	v_cndmask_b32_e32 v2, v2, v6, vcc
	s_cbranch_execnz .LBB123_194
.LBB123_193:                            ;   in Loop: Header=BB123_12 Depth=1
	v_cvt_f32_u32_e32 v2, s33
	s_sub_i32 s4, 0, s33
	v_rcp_iflag_f32_e32 v2, v2
	v_mul_f32_e32 v2, 0x4f7ffffe, v2
	v_cvt_u32_f32_e32 v2, v2
	v_mul_lo_u32 v3, s4, v2
	v_mul_hi_u32 v3, v2, v3
	v_add_u32_e32 v2, v2, v3
	v_readlane_b32 s4, v42, 35
	v_mul_hi_u32 v2, s4, v2
	v_mul_lo_u32 v2, v2, s33
	v_sub_u32_e32 v2, s4, v2
	v_subrev_u32_e32 v3, s33, v2
	v_cmp_le_u32_e32 vcc, s33, v2
	v_cndmask_b32_e32 v2, v2, v3, vcc
	v_subrev_u32_e32 v3, s33, v2
	v_cmp_le_u32_e32 vcc, s33, v2
	v_cndmask_b32_e32 v14, v2, v3, vcc
	v_pk_mov_b32 v[2:3], v[14:15], v[14:15] op_sel:[0,1]
.LBB123_194:                            ;   in Loop: Header=BB123_12 Depth=1
	v_readlane_b32 s4, v42, 35
	v_mov_b32_e32 v6, s95
	v_sub_co_u32_e32 v2, vcc, s4, v2
	v_subb_co_u32_e32 v3, vcc, v6, v3, vcc
	v_cmp_gt_u64_e32 vcc, v[2:3], v[0:1]
	s_mov_b64 s[10:11], 0
                                        ; implicit-def: $vgpr22
	s_and_saveexec_b64 s[4:5], vcc
	s_cbranch_execz .LBB123_202
; %bb.195:                              ;   in Loop: Header=BB123_12 Depth=1
	s_mov_b64 s[8:9], 0
	v_pk_mov_b32 v[6:7], v[0:1], v[0:1] op_sel:[0,1]
                                        ; implicit-def: $sgpr10_sgpr11
	s_branch .LBB123_197
.LBB123_196:                            ;   in Loop: Header=BB123_197 Depth=2
	s_or_b64 exec, exec, s[12:13]
	s_waitcnt lgkmcnt(0)
	s_barrier
	ds_read_u16 v14, v15 offset:3072
	v_mov_b32_e32 v22, s90
	v_add_co_u32_e32 v6, vcc, s33, v6
	v_addc_co_u32_e32 v7, vcc, v7, v22, vcc
	s_waitcnt lgkmcnt(0)
	v_cmp_ne_u16_sdwa s[12:13], v14, v15 src0_sel:BYTE_0 src1_sel:DWORD
	v_cmp_ge_u64_e32 vcc, v[6:7], v[2:3]
	s_or_b64 s[48:49], vcc, s[12:13]
	s_and_b64 s[48:49], exec, s[48:49]
	s_or_b64 s[8:9], s[48:49], s[8:9]
	s_andn2_b64 s[10:11], s[10:11], exec
	s_and_b64 s[12:13], s[12:13], exec
	s_or_b64 s[10:11], s[10:11], s[12:13]
	s_barrier
	s_andn2_b64 exec, exec, s[8:9]
	s_cbranch_execz .LBB123_201
.LBB123_197:                            ;   Parent Loop BB123_12 Depth=1
                                        ; =>  This Inner Loop Header: Depth=2
	v_cmp_gt_u64_e32 vcc, s[60:61], v[6:7]
	v_mov_b32_e32 v14, 0
	s_and_saveexec_b64 s[12:13], vcc
	s_cbranch_execz .LBB123_199
; %bb.198:                              ;   in Loop: Header=BB123_197 Depth=2
	v_pk_mov_b32 v[22:23], s[56:57], s[56:57] op_sel:[0,1]
	v_mad_u64_u32 v[22:23], s[48:49], v6, s58, v[22:23]
	v_mul_lo_u32 v14, v6, s59
	v_mul_lo_u32 v24, v7, s58
	v_add3_u32 v23, v24, v23, v14
	global_load_ubyte v14, v[22:23], off
.LBB123_199:                            ;   in Loop: Header=BB123_197 Depth=2
	s_or_b64 exec, exec, s[12:13]
	s_waitcnt vmcnt(0)
	v_and_b32_e32 v22, v14, v9
	v_cmp_eq_u32_sdwa s[12:13], v22, v8 src0_sel:BYTE_0 src1_sel:DWORD
	s_and_b64 s[48:49], vcc, s[12:13]
	s_and_saveexec_b64 s[12:13], s[48:49]
	s_cbranch_execz .LBB123_196
; %bb.200:                              ;   in Loop: Header=BB123_197 Depth=2
	v_lshlrev_b16_e32 v14, 8, v14
	v_or_b32_e32 v14, 1, v14
	ds_write_b16 v15, v14 offset:3072
	s_branch .LBB123_196
.LBB123_201:                            ;   in Loop: Header=BB123_12 Depth=1
	s_or_b64 exec, exec, s[8:9]
	v_lshrrev_b16_e32 v22, 8, v14
	s_and_b64 s[10:11], s[10:11], exec
.LBB123_202:                            ;   in Loop: Header=BB123_12 Depth=1
	s_or_b64 exec, exec, s[4:5]
	s_mov_b64 s[48:49], -1
	s_mov_b64 s[8:9], 0
	s_mov_b64 s[4:5], 0
.LBB123_203:                            ;   in Loop: Header=BB123_12 Depth=1
	s_orn2_b64 s[10:11], s[10:11], exec
	s_mov_b64 vcc, s[4:5]
.LBB123_204:                            ;   in Loop: Header=BB123_12 Depth=1
	s_or_b64 exec, exec, s[52:53]
	s_mov_b64 s[4:5], 0
                                        ; implicit-def: $vgpr6
	s_and_saveexec_b64 s[52:53], s[10:11]
	s_cbranch_execz .LBB123_267
; %bb.205:                              ;   in Loop: Header=BB123_12 Depth=1
	v_mov_b32_e32 v2, 1
	s_xor_b64 s[10:11], s[54:55], -1
	s_mov_b64 s[88:89], 0
	v_mov_b32_e32 v3, 0
	v_mov_b32_e32 v6, 1
	s_and_saveexec_b64 s[4:5], s[10:11]
	s_cbranch_execz .LBB123_215
; %bb.206:                              ;   in Loop: Header=BB123_12 Depth=1
	s_mov_b64 s[92:93], vcc
	v_cmp_ge_u64_e32 vcc, s[22:23], v[4:5]
                                        ; implicit-def: $sgpr54
                                        ; implicit-def: $sgpr10_sgpr11
	s_and_saveexec_b64 s[12:13], vcc
	s_xor_b64 s[12:13], exec, s[12:13]
	s_cbranch_execz .LBB123_212
; %bb.207:                              ;   in Loop: Header=BB123_12 Depth=1
	ds_read_b64 v[2:3], v15 offset:5120
	s_waitcnt lgkmcnt(0)
	v_cmp_ne_u64_e32 vcc, 0, v[2:3]
	s_cbranch_vccnz .LBB123_211
; %bb.208:                              ;   in Loop: Header=BB123_12 Depth=1
	s_mov_b64 s[10:11], exec
	v_readlane_b32 s54, v42, 12
	v_readlane_b32 s55, v42, 13
	s_and_b64 s[54:55], s[10:11], s[54:55]
	s_mov_b64 exec, s[54:55]
	s_cbranch_execz .LBB123_210
; %bb.209:                              ;   in Loop: Header=BB123_12 Depth=1
	v_pk_mov_b32 v[2:3], s[22:23], s[22:23] op_sel:[0,1]
	ds_write_b64 v15, v[2:3] offset:5128
.LBB123_210:                            ;   in Loop: Header=BB123_12 Depth=1
	s_or_b64 exec, exec, s[10:11]
	s_waitcnt lgkmcnt(0)
	s_barrier
.LBB123_211:                            ;   in Loop: Header=BB123_12 Depth=1
	v_and_b32_e32 v2, s46, v8
	v_lshl_or_b32 v8, 2, s47, v2
	v_or_b32_e32 v9, s86, v9
	s_mov_b64 s[10:11], 0
	s_mov_b32 s54, 8
.LBB123_212:                            ;   in Loop: Header=BB123_12 Depth=1
	s_or_saveexec_b64 s[12:13], s[12:13]
	v_mov_b32_e32 v6, s54
	s_xor_b64 exec, exec, s[12:13]
; %bb.213:                              ;   in Loop: Header=BB123_12 Depth=1
	v_mov_b32_e32 v2, s23
	v_subrev_co_u32_e32 v4, vcc, s22, v4
	v_subb_co_u32_e32 v5, vcc, v5, v2, vcc
	v_mov_b32_e32 v6, 0
	s_or_b64 s[10:11], s[10:11], exec
; %bb.214:                              ;   in Loop: Header=BB123_12 Depth=1
	s_or_b64 exec, exec, s[12:13]
	s_and_b64 s[88:89], s[10:11], exec
	v_pk_mov_b32 v[2:3], v[4:5], v[4:5] op_sel:[0,1]
	s_mov_b64 vcc, s[92:93]
.LBB123_215:                            ;   in Loop: Header=BB123_12 Depth=1
	s_or_b64 exec, exec, s[4:5]
	s_mov_b64 s[72:73], -1
                                        ; implicit-def: $sgpr4_sgpr5
                                        ; implicit-def: $sgpr12_sgpr13
                                        ; implicit-def: $sgpr10_sgpr11
	s_and_saveexec_b64 s[54:55], s[88:89]
	s_cbranch_execz .LBB123_266
; %bb.216:                              ;   in Loop: Header=BB123_12 Depth=1
	v_writelane_b32 v42, vcc_lo, 50
	s_cmp_eq_u64 s[24:25], 1
	v_writelane_b32 v42, vcc_hi, 51
	s_cselect_b64 s[4:5], -1, 0
	v_cmp_eq_u64_e32 vcc, 1, v[2:3]
	s_mov_b64 s[88:89], -1
	s_and_b64 s[72:73], s[4:5], vcc
                                        ; implicit-def: $sgpr4_sgpr5
                                        ; implicit-def: $sgpr12_sgpr13
                                        ; implicit-def: $sgpr10_sgpr11
	s_mov_b64 s[92:93], exec
	v_writelane_b32 v42, s72, 52
	v_writelane_b32 v42, s73, 53
	s_and_b64 s[72:73], s[92:93], s[72:73]
	s_mov_b64 exec, s[72:73]
	s_cbranch_execz .LBB123_253
; %bb.217:                              ;   in Loop: Header=BB123_12 Depth=1
	ds_read_b64 v[4:5], v15 offset:5120
	s_waitcnt lgkmcnt(0)
	s_barrier
	v_readfirstlane_b32 s4, v4
	v_readfirstlane_b32 s5, v5
	s_mov_b64 s[10:11], exec
	v_readlane_b32 s12, v42, 30
	v_readlane_b32 s13, v42, 31
	s_and_b64 s[12:13], s[10:11], s[12:13]
	s_mov_b64 exec, s[12:13]
	s_cbranch_execz .LBB123_219
; %bb.218:                              ;   in Loop: Header=BB123_12 Depth=1
	ds_write_b8 v0, v15 offset:3072
.LBB123_219:                            ;   in Loop: Header=BB123_12 Depth=1
	s_or_b64 exec, exec, s[10:11]
	v_or_b32_e32 v8, s86, v8
	v_or_b32_e32 v9, s86, v9
	s_cmp_eq_u64 s[4:5], 0
	v_writelane_b32 v42, s92, 54
	s_waitcnt lgkmcnt(0)
	s_barrier
	v_writelane_b32 v42, s93, 55
	s_cbranch_scc1 .LBB123_224
; %bb.220:                              ;   in Loop: Header=BB123_12 Depth=1
	v_readlane_b32 s10, v42, 34
	s_add_u32 s72, s10, s4
	v_readlane_b32 s10, v42, 36
	s_addc_u32 s11, s10, s5
	s_mov_b32 s10, s87
	s_cmp_lg_u64 s[10:11], 0
	s_cbranch_scc0 .LBB123_225
; %bb.221:                              ;   in Loop: Header=BB123_12 Depth=1
	v_cvt_f32_u32_e32 v4, s33
	s_sub_u32 s10, 0, s33
	s_subb_u32 s12, 0, 0
	v_mac_f32_e32 v4, 0, v30
	v_rcp_f32_e32 v4, v4
	v_mul_f32_e32 v4, 0x5f7ffffc, v4
	v_mul_f32_e32 v5, 0x2f800000, v4
	v_trunc_f32_e32 v5, v5
	v_mac_f32_e32 v4, 0xcf800000, v5
	v_cvt_u32_f32_e32 v5, v5
	v_cvt_u32_f32_e32 v4, v4
	v_readfirstlane_b32 s13, v5
	v_readfirstlane_b32 s73, v4
	s_mul_i32 s88, s10, s13
	s_mul_hi_u32 s92, s10, s73
	s_mul_i32 s89, s12, s73
	s_add_i32 s88, s92, s88
	s_mul_i32 s93, s10, s73
	s_add_i32 s88, s88, s89
	s_mul_hi_u32 s92, s73, s93
	s_mul_hi_u32 s89, s73, s88
	s_mul_i32 s73, s73, s88
	s_add_u32 s73, s92, s73
	s_addc_u32 s89, 0, s89
	s_mul_hi_u32 s94, s13, s93
	s_mul_i32 s93, s13, s93
	s_add_u32 s73, s73, s93
	s_mul_hi_u32 s92, s13, s88
	s_addc_u32 s73, s89, s94
	s_addc_u32 s89, s92, 0
	s_mul_i32 s88, s13, s88
	s_add_u32 s73, s73, s88
	s_addc_u32 s88, 0, s89
	v_add_co_u32_e32 v4, vcc, s73, v4
	s_cmp_lg_u64 vcc, 0
	s_addc_u32 s13, s13, s88
	v_readfirstlane_b32 s88, v4
	s_mul_i32 s73, s10, s13
	s_mul_hi_u32 s89, s10, s88
	s_add_i32 s73, s89, s73
	s_mul_i32 s12, s12, s88
	s_add_i32 s73, s73, s12
	s_mul_i32 s10, s10, s88
	s_mul_hi_u32 s89, s13, s10
	s_mul_i32 s92, s13, s10
	s_mul_i32 s94, s88, s73
	s_mul_hi_u32 s10, s88, s10
	s_mul_hi_u32 s93, s88, s73
	s_add_u32 s10, s10, s94
	s_addc_u32 s88, 0, s93
	s_add_u32 s10, s10, s92
	s_mul_hi_u32 s12, s13, s73
	s_addc_u32 s10, s88, s89
	s_addc_u32 s12, s12, 0
	s_mul_i32 s73, s13, s73
	s_add_u32 s10, s10, s73
	s_addc_u32 s12, 0, s12
	v_add_co_u32_e32 v4, vcc, s10, v4
	s_cmp_lg_u64 vcc, 0
	s_addc_u32 s10, s13, s12
	v_readfirstlane_b32 s73, v4
	s_mul_i32 s13, s72, s10
	s_mul_hi_u32 s88, s72, s73
	s_mul_hi_u32 s12, s72, s10
	s_add_u32 s13, s88, s13
	s_addc_u32 s12, 0, s12
	s_mul_hi_u32 s89, s11, s73
	s_mul_i32 s73, s11, s73
	s_add_u32 s13, s13, s73
	s_mul_hi_u32 s88, s11, s10
	s_addc_u32 s12, s12, s89
	s_addc_u32 s13, s88, 0
	s_mul_i32 s10, s11, s10
	s_add_u32 s10, s12, s10
	s_addc_u32 s12, 0, s13
	s_mul_hi_u32 s13, s33, s10
	s_mul_i32 s10, s33, s10
	s_mul_i32 s12, s33, s12
	v_mov_b32_e32 v4, s10
	s_add_i32 s13, s13, s12
	v_sub_co_u32_e32 v4, vcc, s72, v4
	s_cmp_lg_u64 vcc, 0
	s_subb_u32 s10, s11, s13
	v_subrev_co_u32_e32 v5, vcc, s33, v4
	s_cmp_lg_u64 vcc, 0
	s_subb_u32 s12, s10, 0
	v_subrev_co_u32_e32 v6, vcc, s33, v5
	s_cmp_lg_u64 vcc, 0
	s_subb_u32 s13, s12, 0
	v_cmp_le_u32_e32 vcc, s33, v5
	s_cmp_eq_u32 s12, 0
	v_cndmask_b32_e64 v7, 0, -1, vcc
	s_cselect_b64 vcc, -1, 0
	v_cndmask_b32_e32 v7, -1, v7, vcc
	v_mov_b32_e32 v14, s12
	v_mov_b32_e32 v22, s13
	v_cmp_ne_u32_e32 vcc, 0, v7
	v_cndmask_b32_e32 v7, v14, v22, vcc
	v_cndmask_b32_e32 v6, v5, v6, vcc
	v_cmp_le_u32_e32 vcc, s33, v4
	s_cmp_eq_u32 s10, 0
	v_cndmask_b32_e64 v5, 0, -1, vcc
	s_cselect_b64 vcc, -1, 0
	v_cndmask_b32_e32 v5, -1, v5, vcc
	v_mov_b32_e32 v14, s10
	v_cmp_ne_u32_e32 vcc, 0, v5
	v_cndmask_b32_e32 v5, v14, v7, vcc
	v_cndmask_b32_e32 v4, v4, v6, vcc
	s_mov_b64 s[12:13], 0
	s_branch .LBB123_226
.LBB123_222:                            ;   in Loop: Header=BB123_12 Depth=1
                                        ; implicit-def: $vgpr2_vgpr3
	s_branch .LBB123_178
.LBB123_223:                            ;   in Loop: Header=BB123_12 Depth=1
                                        ; implicit-def: $vgpr2_vgpr3
	s_branch .LBB123_193
.LBB123_224:                            ;   in Loop: Header=BB123_12 Depth=1
	s_mov_b64 s[4:5], -1
	s_mov_b64 s[72:73], 0
                                        ; implicit-def: $sgpr10_sgpr11
                                        ; implicit-def: $vgpr22
	s_branch .LBB123_237
.LBB123_225:                            ;   in Loop: Header=BB123_12 Depth=1
	s_mov_b64 s[12:13], -1
                                        ; implicit-def: $vgpr4_vgpr5
.LBB123_226:                            ;   in Loop: Header=BB123_12 Depth=1
	s_andn2_b64 vcc, exec, s[12:13]
	s_cbranch_vccnz .LBB123_228
; %bb.227:                              ;   in Loop: Header=BB123_12 Depth=1
	v_cvt_f32_u32_e32 v4, s33
	s_sub_i32 s10, 0, s33
	v_rcp_iflag_f32_e32 v4, v4
	v_mul_f32_e32 v4, 0x4f7ffffe, v4
	v_cvt_u32_f32_e32 v4, v4
	v_mul_lo_u32 v5, s10, v4
	v_mul_hi_u32 v5, v4, v5
	v_add_u32_e32 v4, v4, v5
	v_mul_hi_u32 v4, s72, v4
	v_mul_lo_u32 v4, v4, s33
	v_sub_u32_e32 v4, s72, v4
	v_subrev_u32_e32 v5, s33, v4
	v_cmp_le_u32_e32 vcc, s33, v4
	v_cndmask_b32_e32 v4, v4, v5, vcc
	v_subrev_u32_e32 v5, s33, v4
	v_cmp_le_u32_e32 vcc, s33, v4
	v_cndmask_b32_e32 v14, v4, v5, vcc
	v_pk_mov_b32 v[4:5], v[14:15], v[14:15] op_sel:[0,1]
.LBB123_228:                            ;   in Loop: Header=BB123_12 Depth=1
	v_mov_b32_e32 v6, s11
	v_sub_co_u32_e32 v4, vcc, s72, v4
	v_subb_co_u32_e32 v5, vcc, v6, v5, vcc
	v_cmp_gt_u64_e32 vcc, v[4:5], v[0:1]
	s_mov_b64 s[72:73], 0
                                        ; implicit-def: $vgpr22
	s_and_saveexec_b64 s[10:11], vcc
	s_cbranch_execz .LBB123_236
; %bb.229:                              ;   in Loop: Header=BB123_12 Depth=1
	s_mov_b64 s[12:13], 0
	v_mov_b32_e32 v14, v0
	v_pk_mov_b32 v[6:7], v[0:1], v[0:1] op_sel:[0,1]
                                        ; implicit-def: $sgpr72_sgpr73
	s_branch .LBB123_231
.LBB123_230:                            ;   in Loop: Header=BB123_231 Depth=2
	s_or_b64 exec, exec, s[88:89]
	s_waitcnt lgkmcnt(0)
	s_barrier
	ds_read_u16 v22, v15 offset:3072
	v_mov_b32_e32 v23, s90
	v_add_co_u32_e32 v6, vcc, s33, v6
	v_addc_co_u32_e32 v7, vcc, v7, v23, vcc
	s_waitcnt lgkmcnt(0)
	v_cmp_ne_u16_sdwa s[88:89], v22, v15 src0_sel:BYTE_0 src1_sel:DWORD
	v_cmp_ge_u64_e32 vcc, v[6:7], v[4:5]
	s_or_b64 s[92:93], vcc, s[88:89]
	s_and_b64 s[92:93], exec, s[92:93]
	s_or_b64 s[12:13], s[92:93], s[12:13]
	s_andn2_b64 s[72:73], s[72:73], exec
	s_and_b64 s[88:89], s[88:89], exec
	v_add_u32_e32 v14, s33, v14
	s_or_b64 s[72:73], s[72:73], s[88:89]
	s_barrier
	s_andn2_b64 exec, exec, s[12:13]
	s_cbranch_execz .LBB123_235
.LBB123_231:                            ;   Parent Loop BB123_12 Depth=1
                                        ; =>  This Inner Loop Header: Depth=2
	v_cmp_gt_u64_e32 vcc, s[4:5], v[6:7]
	v_mov_b32_e32 v22, 0
	s_and_saveexec_b64 s[88:89], vcc
	s_cbranch_execz .LBB123_233
; %bb.232:                              ;   in Loop: Header=BB123_231 Depth=2
	ds_read_u8 v22, v14
.LBB123_233:                            ;   in Loop: Header=BB123_231 Depth=2
	s_or_b64 exec, exec, s[88:89]
	s_waitcnt lgkmcnt(0)
	v_and_b32_e32 v23, v22, v9
	v_cmp_eq_u32_sdwa s[88:89], v23, v8 src0_sel:BYTE_0 src1_sel:DWORD
	s_and_b64 s[92:93], vcc, s[88:89]
	s_and_saveexec_b64 s[88:89], s[92:93]
	s_cbranch_execz .LBB123_230
; %bb.234:                              ;   in Loop: Header=BB123_231 Depth=2
	v_lshlrev_b16_e32 v22, 8, v22
	v_or_b32_e32 v22, 1, v22
	ds_write_b16 v15, v22 offset:3072
	s_branch .LBB123_230
.LBB123_235:                            ;   in Loop: Header=BB123_12 Depth=1
	s_or_b64 exec, exec, s[12:13]
	v_lshrrev_b16_e32 v22, 8, v22
	s_and_b64 s[72:73], s[72:73], exec
.LBB123_236:                            ;   in Loop: Header=BB123_12 Depth=1
	s_or_b64 exec, exec, s[10:11]
	s_mov_b64 s[10:11], -1
	s_mov_b64 s[4:5], 0
.LBB123_237:                            ;   in Loop: Header=BB123_12 Depth=1
	s_and_b64 vcc, exec, s[4:5]
	s_mov_b64 s[12:13], s[4:5]
	s_cbranch_vccz .LBB123_252
; %bb.238:                              ;   in Loop: Header=BB123_12 Depth=1
	s_mov_b32 s94, s87
	s_cmp_lg_u64 s[94:95], 0
	s_cbranch_scc0 .LBB123_240
; %bb.239:                              ;   in Loop: Header=BB123_12 Depth=1
	v_cvt_f32_u32_e32 v4, s33
	s_sub_u32 s4, 0, s33
	s_subb_u32 s5, 0, 0
	v_mac_f32_e32 v4, 0, v30
	v_rcp_f32_e32 v4, v4
	v_mul_f32_e32 v4, 0x5f7ffffc, v4
	v_mul_f32_e32 v5, 0x2f800000, v4
	v_trunc_f32_e32 v5, v5
	v_mac_f32_e32 v4, 0xcf800000, v5
	v_cvt_u32_f32_e32 v5, v5
	v_cvt_u32_f32_e32 v4, v4
	v_readfirstlane_b32 s10, v5
	v_readfirstlane_b32 s11, v4
	s_mul_i32 s12, s4, s10
	s_mul_hi_u32 s72, s4, s11
	s_mul_i32 s13, s5, s11
	s_add_i32 s12, s72, s12
	s_mul_i32 s73, s4, s11
	s_add_i32 s12, s12, s13
	s_mul_hi_u32 s72, s11, s73
	s_mul_hi_u32 s13, s11, s12
	s_mul_i32 s11, s11, s12
	s_add_u32 s11, s72, s11
	s_addc_u32 s13, 0, s13
	s_mul_hi_u32 s88, s10, s73
	s_mul_i32 s73, s10, s73
	s_add_u32 s11, s11, s73
	s_mul_hi_u32 s72, s10, s12
	s_addc_u32 s11, s13, s88
	s_addc_u32 s13, s72, 0
	s_mul_i32 s12, s10, s12
	s_add_u32 s11, s11, s12
	s_addc_u32 s12, 0, s13
	v_add_co_u32_e32 v4, vcc, s11, v4
	s_cmp_lg_u64 vcc, 0
	s_addc_u32 s10, s10, s12
	v_readfirstlane_b32 s12, v4
	s_mul_i32 s11, s4, s10
	s_mul_hi_u32 s13, s4, s12
	s_add_i32 s11, s13, s11
	s_mul_i32 s5, s5, s12
	s_add_i32 s11, s11, s5
	s_mul_i32 s4, s4, s12
	s_mul_hi_u32 s13, s10, s4
	s_mul_i32 s72, s10, s4
	s_mul_i32 s88, s12, s11
	s_mul_hi_u32 s4, s12, s4
	s_mul_hi_u32 s73, s12, s11
	s_add_u32 s4, s4, s88
	s_addc_u32 s12, 0, s73
	s_add_u32 s4, s4, s72
	s_mul_hi_u32 s5, s10, s11
	s_addc_u32 s4, s12, s13
	s_addc_u32 s5, s5, 0
	s_mul_i32 s11, s10, s11
	s_add_u32 s4, s4, s11
	s_addc_u32 s5, 0, s5
	v_add_co_u32_e32 v4, vcc, s4, v4
	s_cmp_lg_u64 vcc, 0
	s_addc_u32 s4, s10, s5
	v_readlane_b32 s72, v42, 35
	v_readfirstlane_b32 s11, v4
	s_mul_i32 s10, s72, s4
	s_mul_hi_u32 s12, s72, s11
	s_mul_hi_u32 s5, s72, s4
	s_add_u32 s10, s12, s10
	s_addc_u32 s5, 0, s5
	s_mul_hi_u32 s13, s95, s11
	s_mul_i32 s11, s95, s11
	s_add_u32 s10, s10, s11
	s_mul_hi_u32 s12, s95, s4
	s_addc_u32 s5, s5, s13
	s_addc_u32 s10, s12, 0
	s_mul_i32 s4, s95, s4
	s_add_u32 s4, s5, s4
	s_addc_u32 s5, 0, s10
	s_mul_hi_u32 s10, s33, s4
	s_mul_i32 s4, s33, s4
	s_mul_i32 s5, s33, s5
	v_mov_b32_e32 v4, s4
	s_add_i32 s10, s10, s5
	v_sub_co_u32_e32 v4, vcc, s72, v4
	s_cmp_lg_u64 vcc, 0
	s_subb_u32 s4, s95, s10
	v_subrev_co_u32_e32 v5, vcc, s33, v4
	s_cmp_lg_u64 vcc, 0
	s_subb_u32 s5, s4, 0
	v_subrev_co_u32_e32 v6, vcc, s33, v5
	s_cmp_lg_u64 vcc, 0
	s_subb_u32 s10, s5, 0
	v_cmp_le_u32_e32 vcc, s33, v5
	s_cmp_eq_u32 s5, 0
	v_cndmask_b32_e64 v7, 0, -1, vcc
	s_cselect_b64 vcc, -1, 0
	v_cndmask_b32_e32 v7, -1, v7, vcc
	v_mov_b32_e32 v14, s5
	v_mov_b32_e32 v22, s10
	v_cmp_ne_u32_e32 vcc, 0, v7
	v_cndmask_b32_e32 v7, v14, v22, vcc
	v_cndmask_b32_e32 v6, v5, v6, vcc
	v_cmp_le_u32_e32 vcc, s33, v4
	s_cmp_eq_u32 s4, 0
	v_cndmask_b32_e64 v5, 0, -1, vcc
	s_cselect_b64 vcc, -1, 0
	v_cndmask_b32_e32 v5, -1, v5, vcc
	v_mov_b32_e32 v14, s4
	v_cmp_ne_u32_e32 vcc, 0, v5
	v_cndmask_b32_e32 v5, v14, v7, vcc
	v_cndmask_b32_e32 v4, v4, v6, vcc
	s_mov_b64 s[4:5], 0
	s_branch .LBB123_241
.LBB123_240:                            ;   in Loop: Header=BB123_12 Depth=1
	s_mov_b64 s[4:5], -1
                                        ; implicit-def: $vgpr4_vgpr5
.LBB123_241:                            ;   in Loop: Header=BB123_12 Depth=1
	s_andn2_b64 vcc, exec, s[4:5]
	s_cbranch_vccnz .LBB123_243
; %bb.242:                              ;   in Loop: Header=BB123_12 Depth=1
	v_cvt_f32_u32_e32 v4, s33
	s_sub_i32 s4, 0, s33
	v_rcp_iflag_f32_e32 v4, v4
	v_mul_f32_e32 v4, 0x4f7ffffe, v4
	v_cvt_u32_f32_e32 v4, v4
	v_mul_lo_u32 v5, s4, v4
	v_mul_hi_u32 v5, v4, v5
	v_add_u32_e32 v4, v4, v5
	v_readlane_b32 s4, v42, 35
	v_mul_hi_u32 v4, s4, v4
	v_mul_lo_u32 v4, v4, s33
	v_sub_u32_e32 v4, s4, v4
	v_subrev_u32_e32 v5, s33, v4
	v_cmp_le_u32_e32 vcc, s33, v4
	v_cndmask_b32_e32 v4, v4, v5, vcc
	v_subrev_u32_e32 v5, s33, v4
	v_cmp_le_u32_e32 vcc, s33, v4
	v_cndmask_b32_e32 v14, v4, v5, vcc
	v_pk_mov_b32 v[4:5], v[14:15], v[14:15] op_sel:[0,1]
.LBB123_243:                            ;   in Loop: Header=BB123_12 Depth=1
	v_readlane_b32 s4, v42, 35
	v_mov_b32_e32 v6, s95
	v_sub_co_u32_e32 v4, vcc, s4, v4
	v_subb_co_u32_e32 v5, vcc, v6, v5, vcc
	v_cmp_gt_u64_e32 vcc, v[4:5], v[0:1]
	s_mov_b64 s[72:73], 0
                                        ; implicit-def: $vgpr22
	s_and_saveexec_b64 s[4:5], vcc
	s_cbranch_execz .LBB123_251
; %bb.244:                              ;   in Loop: Header=BB123_12 Depth=1
	s_mov_b64 s[10:11], 0
	v_pk_mov_b32 v[6:7], v[0:1], v[0:1] op_sel:[0,1]
                                        ; implicit-def: $sgpr12_sgpr13
	s_branch .LBB123_246
.LBB123_245:                            ;   in Loop: Header=BB123_246 Depth=2
	s_or_b64 exec, exec, s[72:73]
	s_waitcnt lgkmcnt(0)
	s_barrier
	ds_read_u16 v14, v15 offset:3072
	v_mov_b32_e32 v22, s90
	v_add_co_u32_e32 v6, vcc, s33, v6
	v_addc_co_u32_e32 v7, vcc, v7, v22, vcc
	s_waitcnt lgkmcnt(0)
	v_cmp_ne_u16_sdwa s[72:73], v14, v15 src0_sel:BYTE_0 src1_sel:DWORD
	v_cmp_ge_u64_e32 vcc, v[6:7], v[4:5]
	s_or_b64 s[88:89], vcc, s[72:73]
	s_and_b64 s[88:89], exec, s[88:89]
	s_or_b64 s[10:11], s[88:89], s[10:11]
	s_andn2_b64 s[12:13], s[12:13], exec
	s_and_b64 s[72:73], s[72:73], exec
	s_or_b64 s[12:13], s[12:13], s[72:73]
	s_barrier
	s_andn2_b64 exec, exec, s[10:11]
	s_cbranch_execz .LBB123_250
.LBB123_246:                            ;   Parent Loop BB123_12 Depth=1
                                        ; =>  This Inner Loop Header: Depth=2
	v_cmp_gt_u64_e32 vcc, s[60:61], v[6:7]
	v_mov_b32_e32 v14, 0
	s_and_saveexec_b64 s[72:73], vcc
	s_cbranch_execz .LBB123_248
; %bb.247:                              ;   in Loop: Header=BB123_246 Depth=2
	v_pk_mov_b32 v[22:23], s[56:57], s[56:57] op_sel:[0,1]
	v_mad_u64_u32 v[22:23], s[88:89], v6, s58, v[22:23]
	v_mul_lo_u32 v14, v6, s59
	v_mul_lo_u32 v24, v7, s58
	v_add3_u32 v23, v24, v23, v14
	global_load_ubyte v14, v[22:23], off
.LBB123_248:                            ;   in Loop: Header=BB123_246 Depth=2
	s_or_b64 exec, exec, s[72:73]
	s_waitcnt vmcnt(0)
	v_and_b32_e32 v22, v14, v9
	v_cmp_eq_u32_sdwa s[72:73], v22, v8 src0_sel:BYTE_0 src1_sel:DWORD
	s_and_b64 s[88:89], vcc, s[72:73]
	s_and_saveexec_b64 s[72:73], s[88:89]
	s_cbranch_execz .LBB123_245
; %bb.249:                              ;   in Loop: Header=BB123_246 Depth=2
	v_lshlrev_b16_e32 v14, 8, v14
	v_or_b32_e32 v14, 1, v14
	ds_write_b16 v15, v14 offset:3072
	s_branch .LBB123_245
.LBB123_250:                            ;   in Loop: Header=BB123_12 Depth=1
	s_or_b64 exec, exec, s[10:11]
	v_lshrrev_b16_e32 v22, 8, v14
	s_and_b64 s[72:73], s[12:13], exec
.LBB123_251:                            ;   in Loop: Header=BB123_12 Depth=1
	s_or_b64 exec, exec, s[4:5]
	s_mov_b64 s[12:13], -1
	s_mov_b64 s[4:5], 0
	s_mov_b64 s[10:11], 0
.LBB123_252:                            ;   in Loop: Header=BB123_12 Depth=1
	v_readlane_b32 s92, v42, 54
	s_orn2_b64 s[88:89], s[72:73], exec
	v_readlane_b32 s93, v42, 55
.LBB123_253:                            ;   in Loop: Header=BB123_12 Depth=1
	s_or_b64 exec, exec, s[92:93]
	s_mov_b64 s[92:93], 0
                                        ; implicit-def: $vgpr6
                                        ; implicit-def: $vgpr4_vgpr5
	s_and_saveexec_b64 s[72:73], s[88:89]
	v_readlane_b32 vcc_lo, v42, 50
	v_readlane_b32 vcc_hi, v42, 51
	s_cbranch_execz .LBB123_265
; %bb.254:                              ;   in Loop: Header=BB123_12 Depth=1
	v_readlane_b32 s88, v42, 52
	v_readlane_b32 s89, v42, 53
	v_mov_b32_e32 v4, 1
	s_xor_b64 s[92:93], s[88:89], -1
	v_mov_b32_e32 v6, 1
	v_mov_b32_e32 v5, 0
	s_and_saveexec_b64 s[88:89], s[92:93]
	s_cbranch_execz .LBB123_264
; %bb.255:                              ;   in Loop: Header=BB123_12 Depth=1
	v_cmp_ge_u64_e32 vcc, s[24:25], v[2:3]
                                        ; implicit-def: $sgpr94
	s_and_saveexec_b64 s[92:93], vcc
	s_xor_b64 s[92:93], exec, s[92:93]
	s_cbranch_execz .LBB123_261
; %bb.256:                              ;   in Loop: Header=BB123_12 Depth=1
	ds_read_b64 v[4:5], v15 offset:5120
	s_waitcnt lgkmcnt(0)
	v_cmp_ne_u64_e32 vcc, 0, v[4:5]
	s_cbranch_vccnz .LBB123_260
; %bb.257:                              ;   in Loop: Header=BB123_12 Depth=1
	v_writelane_b32 v42, s54, 56
	v_writelane_b32 v42, s55, 57
	s_mov_b64 s[54:55], exec
	v_writelane_b32 v42, s54, 58
	v_writelane_b32 v42, s55, 59
	v_readlane_b32 vcc_lo, v42, 12
	v_readlane_b32 s54, v42, 58
	v_readlane_b32 vcc_hi, v42, 13
	v_readlane_b32 s55, v42, 59
	s_and_b64 vcc, s[54:55], vcc
	s_mov_b64 exec, vcc
	s_cbranch_execz .LBB123_259
; %bb.258:                              ;   in Loop: Header=BB123_12 Depth=1
	v_pk_mov_b32 v[4:5], s[24:25], s[24:25] op_sel:[0,1]
	ds_write_b64 v15, v[4:5] offset:5128
.LBB123_259:                            ;   in Loop: Header=BB123_12 Depth=1
	v_readlane_b32 vcc_lo, v42, 58
	v_readlane_b32 vcc_hi, v42, 59
	s_or_b64 exec, exec, vcc
	v_readlane_b32 s54, v42, 56
	v_readlane_b32 s55, v42, 57
	s_waitcnt lgkmcnt(0)
	s_barrier
.LBB123_260:                            ;   in Loop: Header=BB123_12 Depth=1
	v_or_b32_e32 v8, s86, v8
	v_or_b32_e32 v9, s86, v9
	s_mov_b32 s94, 8
.LBB123_261:                            ;   in Loop: Header=BB123_12 Depth=1
	s_or_saveexec_b64 s[92:93], s[92:93]
	v_mov_b32_e32 v6, s94
	s_xor_b64 exec, exec, s[92:93]
; %bb.262:                              ;   in Loop: Header=BB123_12 Depth=1
	v_mov_b32_e32 v4, s25
	v_subrev_co_u32_e32 v2, vcc, s24, v2
	v_subb_co_u32_e32 v3, vcc, v3, v4, vcc
	v_mov_b32_e32 v6, 8
; %bb.263:                              ;   in Loop: Header=BB123_12 Depth=1
	s_or_b64 exec, exec, s[92:93]
	v_readlane_b32 vcc_lo, v42, 50
	v_pk_mov_b32 v[4:5], v[2:3], v[2:3] op_sel:[0,1]
	v_readlane_b32 vcc_hi, v42, 51
.LBB123_264:                            ;   in Loop: Header=BB123_12 Depth=1
	s_or_b64 exec, exec, s[88:89]
	s_mov_b64 s[92:93], exec
.LBB123_265:                            ;   in Loop: Header=BB123_12 Depth=1
	s_or_b64 exec, exec, s[72:73]
	s_orn2_b64 s[72:73], s[92:93], exec
	v_pk_mov_b32 v[2:3], v[4:5], v[4:5] op_sel:[0,1]
.LBB123_266:                            ;   in Loop: Header=BB123_12 Depth=1
	s_or_b64 exec, exec, s[54:55]
	s_andn2_b64 s[8:9], s[8:9], exec
	s_and_b64 s[4:5], s[4:5], exec
	s_or_b64 s[8:9], s[8:9], s[4:5]
	s_andn2_b64 s[4:5], s[48:49], exec
	s_and_b64 s[12:13], s[12:13], exec
	s_or_b64 s[48:49], s[4:5], s[12:13]
	s_andn2_b64 s[4:5], vcc, exec
	s_and_b64 s[10:11], s[10:11], exec
	s_or_b64 vcc, s[4:5], s[10:11]
	s_and_b64 s[4:5], s[72:73], exec
	v_pk_mov_b32 v[4:5], v[2:3], v[2:3] op_sel:[0,1]
.LBB123_267:                            ;   in Loop: Header=BB123_12 Depth=1
	s_or_b64 exec, exec, s[52:53]
	s_and_b64 s[12:13], s[8:9], exec
	s_and_b64 s[10:11], s[48:49], exec
	s_and_b64 s[8:9], vcc, exec
	s_orn2_b64 s[4:5], s[4:5], exec
.LBB123_268:                            ;   in Loop: Header=BB123_12 Depth=1
	s_or_b64 exec, exec, s[50:51]
	s_andn2_b64 s[26:27], s[26:27], exec
	s_and_b64 s[12:13], s[12:13], exec
	s_or_b64 s[26:27], s[26:27], s[12:13]
	s_andn2_b64 s[12:13], s[42:43], exec
	s_and_b64 s[10:11], s[10:11], exec
	s_or_b64 s[42:43], s[12:13], s[10:11]
	;; [unrolled: 3-line block ×3, first 2 shown]
	s_and_b64 s[12:13], s[4:5], exec
	v_pk_mov_b32 v[2:3], v[4:5], v[4:5] op_sel:[0,1]
.LBB123_269:                            ;   in Loop: Header=BB123_12 Depth=1
	s_or_b64 exec, exec, s[44:45]
	s_and_b64 s[10:11], s[26:27], exec
	s_and_b64 s[8:9], s[42:43], exec
	;; [unrolled: 1-line block ×3, first 2 shown]
	s_orn2_b64 s[26:27], s[12:13], exec
.LBB123_270:                            ;   in Loop: Header=BB123_12 Depth=1
	s_or_b64 exec, exec, s[6:7]
	s_mov_b64 s[6:7], 0
	s_mov_b64 s[12:13], 0
	s_and_saveexec_b64 s[28:29], s[26:27]
	s_xor_b64 s[26:27], exec, s[28:29]
; %bb.271:                              ;   in Loop: Header=BB123_12 Depth=1
	v_cmp_eq_u32_e32 vcc, 8, v6
	v_cmp_ne_u32_e64 s[6:7], 8, v6
	s_andn2_b64 s[10:11], s[10:11], exec
	s_andn2_b64 s[8:9], s[8:9], exec
	;; [unrolled: 1-line block ×3, first 2 shown]
	s_and_b64 s[12:13], s[6:7], exec
	s_and_b64 s[6:7], vcc, exec
; %bb.272:                              ;   in Loop: Header=BB123_12 Depth=1
	s_or_b64 exec, exec, s[26:27]
	s_andn2_b64 s[20:21], s[20:21], exec
	s_and_b64 s[10:11], s[10:11], exec
	s_or_b64 s[20:21], s[20:21], s[10:11]
	s_andn2_b64 s[10:11], s[36:37], exec
	s_and_b64 s[8:9], s[8:9], exec
	s_or_b64 s[36:37], s[10:11], s[8:9]
	;; [unrolled: 3-line block ×3, first 2 shown]
	s_and_b64 s[26:27], s[12:13], exec
	s_and_b64 s[28:29], s[6:7], exec
.LBB123_273:                            ;   in Loop: Header=BB123_12 Depth=1
	s_or_b64 exec, exec, s[40:41]
	s_and_b64 vcc, exec, s[38:39]
	s_cbranch_vccz .LBB123_96
.LBB123_274:                            ;   in Loop: Header=BB123_12 Depth=1
	s_cmp_eq_u64 s[24:25], 1
	s_cselect_b64 s[4:5], -1, 0
	s_and_b64 s[6:7], s[4:5], s[14:15]
	s_mov_b64 s[4:5], -1
                                        ; implicit-def: $sgpr14_sgpr15
                                        ; implicit-def: $sgpr38_sgpr39
                                        ; implicit-def: $sgpr20_sgpr21
	s_and_saveexec_b64 s[8:9], s[6:7]
	s_cbranch_execz .LBB123_304
; %bb.275:                              ;   in Loop: Header=BB123_12 Depth=1
	ds_read_b64 v[2:3], v15 offset:5120
	s_waitcnt lgkmcnt(0)
	s_barrier
	v_readfirstlane_b32 s4, v2
	v_readfirstlane_b32 s5, v3
	s_mov_b64 s[10:11], exec
	v_readlane_b32 s12, v42, 30
	v_readlane_b32 s13, v42, 31
	s_and_b64 s[12:13], s[10:11], s[12:13]
	s_mov_b64 exec, s[12:13]
	s_cbranch_execz .LBB123_277
; %bb.276:                              ;   in Loop: Header=BB123_12 Depth=1
	ds_write_b8 v0, v15 offset:3072
.LBB123_277:                            ;   in Loop: Header=BB123_12 Depth=1
	s_or_b64 exec, exec, s[10:11]
	v_or_b32_e32 v32, s86, v32
	v_or_b32_e32 v31, s86, v31
	s_cmp_eq_u64 s[4:5], 0
	s_waitcnt lgkmcnt(0)
	s_barrier
	s_cbranch_scc1 .LBB123_288
; %bb.278:                              ;   in Loop: Header=BB123_12 Depth=1
	v_readlane_b32 s10, v42, 34
	s_add_u32 s14, s10, s4
	v_readlane_b32 s10, v42, 36
	s_addc_u32 s11, s10, s5
	s_mov_b32 s10, s87
	s_cmp_lg_u64 s[10:11], 0
	s_cbranch_scc0 .LBB123_330
; %bb.279:                              ;   in Loop: Header=BB123_12 Depth=1
	v_cvt_f32_u32_e32 v2, s33
	s_sub_u32 s10, 0, s33
	s_subb_u32 s12, 0, 0
	v_mac_f32_e32 v2, 0, v30
	v_rcp_f32_e32 v2, v2
	v_mul_f32_e32 v2, 0x5f7ffffc, v2
	v_mul_f32_e32 v3, 0x2f800000, v2
	v_trunc_f32_e32 v3, v3
	v_mac_f32_e32 v2, 0xcf800000, v3
	v_cvt_u32_f32_e32 v3, v3
	v_cvt_u32_f32_e32 v2, v2
	v_readfirstlane_b32 s13, v3
	v_readfirstlane_b32 s15, v2
	s_mul_i32 s20, s10, s13
	s_mul_hi_u32 s34, s10, s15
	s_mul_i32 s21, s12, s15
	s_add_i32 s20, s34, s20
	s_mul_i32 s35, s10, s15
	s_add_i32 s20, s20, s21
	s_mul_hi_u32 s34, s15, s35
	s_mul_hi_u32 s21, s15, s20
	s_mul_i32 s15, s15, s20
	s_add_u32 s15, s34, s15
	s_addc_u32 s21, 0, s21
	s_mul_hi_u32 s36, s13, s35
	s_mul_i32 s35, s13, s35
	s_add_u32 s15, s15, s35
	s_mul_hi_u32 s34, s13, s20
	s_addc_u32 s15, s21, s36
	s_addc_u32 s21, s34, 0
	s_mul_i32 s20, s13, s20
	s_add_u32 s15, s15, s20
	s_addc_u32 s20, 0, s21
	v_add_co_u32_e32 v2, vcc, s15, v2
	s_cmp_lg_u64 vcc, 0
	s_addc_u32 s13, s13, s20
	v_readfirstlane_b32 s20, v2
	s_mul_i32 s15, s10, s13
	s_mul_hi_u32 s21, s10, s20
	s_add_i32 s15, s21, s15
	s_mul_i32 s12, s12, s20
	s_add_i32 s15, s15, s12
	s_mul_i32 s10, s10, s20
	s_mul_hi_u32 s21, s13, s10
	s_mul_i32 s34, s13, s10
	s_mul_i32 s36, s20, s15
	s_mul_hi_u32 s10, s20, s10
	s_mul_hi_u32 s35, s20, s15
	s_add_u32 s10, s10, s36
	s_addc_u32 s20, 0, s35
	s_add_u32 s10, s10, s34
	s_mul_hi_u32 s12, s13, s15
	s_addc_u32 s10, s20, s21
	s_addc_u32 s12, s12, 0
	s_mul_i32 s15, s13, s15
	s_add_u32 s10, s10, s15
	s_addc_u32 s12, 0, s12
	v_add_co_u32_e32 v2, vcc, s10, v2
	s_cmp_lg_u64 vcc, 0
	s_addc_u32 s10, s13, s12
	v_readfirstlane_b32 s15, v2
	s_mul_i32 s13, s14, s10
	s_mul_hi_u32 s20, s14, s15
	s_mul_hi_u32 s12, s14, s10
	s_add_u32 s13, s20, s13
	s_addc_u32 s12, 0, s12
	s_mul_hi_u32 s21, s11, s15
	s_mul_i32 s15, s11, s15
	s_add_u32 s13, s13, s15
	s_mul_hi_u32 s20, s11, s10
	s_addc_u32 s12, s12, s21
	s_addc_u32 s13, s20, 0
	s_mul_i32 s10, s11, s10
	s_add_u32 s10, s12, s10
	s_addc_u32 s12, 0, s13
	s_mul_hi_u32 s13, s33, s10
	s_mul_i32 s10, s33, s10
	s_mul_i32 s12, s33, s12
	v_mov_b32_e32 v2, s10
	s_add_i32 s13, s13, s12
	v_sub_co_u32_e32 v2, vcc, s14, v2
	s_cmp_lg_u64 vcc, 0
	s_subb_u32 s10, s11, s13
	v_subrev_co_u32_e32 v3, vcc, s33, v2
	s_cmp_lg_u64 vcc, 0
	s_subb_u32 s12, s10, 0
	v_subrev_co_u32_e32 v4, vcc, s33, v3
	s_cmp_lg_u64 vcc, 0
	s_subb_u32 s13, s12, 0
	v_cmp_le_u32_e32 vcc, s33, v3
	s_cmp_eq_u32 s12, 0
	v_cndmask_b32_e64 v5, 0, -1, vcc
	s_cselect_b64 vcc, -1, 0
	v_cndmask_b32_e32 v5, -1, v5, vcc
	v_mov_b32_e32 v6, s12
	v_mov_b32_e32 v7, s13
	v_cmp_ne_u32_e32 vcc, 0, v5
	v_cndmask_b32_e32 v5, v6, v7, vcc
	v_cndmask_b32_e32 v4, v3, v4, vcc
	v_cmp_le_u32_e32 vcc, s33, v2
	s_cmp_eq_u32 s10, 0
	v_cndmask_b32_e64 v3, 0, -1, vcc
	s_cselect_b64 vcc, -1, 0
	v_cndmask_b32_e32 v3, -1, v3, vcc
	v_mov_b32_e32 v6, s10
	v_cmp_ne_u32_e32 vcc, 0, v3
	v_cndmask_b32_e32 v3, v6, v5, vcc
	v_cndmask_b32_e32 v2, v2, v4, vcc
	s_cbranch_execnz .LBB123_281
.LBB123_280:                            ;   in Loop: Header=BB123_12 Depth=1
	v_cvt_f32_u32_e32 v2, s33
	s_sub_i32 s10, 0, s33
	v_rcp_iflag_f32_e32 v2, v2
	v_mul_f32_e32 v2, 0x4f7ffffe, v2
	v_cvt_u32_f32_e32 v2, v2
	v_mul_lo_u32 v3, s10, v2
	v_mul_hi_u32 v3, v2, v3
	v_add_u32_e32 v2, v2, v3
	v_mul_hi_u32 v2, s14, v2
	v_mul_lo_u32 v2, v2, s33
	v_sub_u32_e32 v2, s14, v2
	v_subrev_u32_e32 v3, s33, v2
	v_cmp_le_u32_e32 vcc, s33, v2
	v_cndmask_b32_e32 v2, v2, v3, vcc
	v_subrev_u32_e32 v3, s33, v2
	v_cmp_le_u32_e32 vcc, s33, v2
	v_cndmask_b32_e32 v14, v2, v3, vcc
	v_pk_mov_b32 v[2:3], v[14:15], v[14:15] op_sel:[0,1]
.LBB123_281:                            ;   in Loop: Header=BB123_12 Depth=1
	v_mov_b32_e32 v4, s11
	v_sub_co_u32_e32 v2, vcc, s14, v2
	v_subb_co_u32_e32 v3, vcc, v4, v3, vcc
	v_cmp_gt_u64_e32 vcc, v[2:3], v[0:1]
	s_mov_b64 s[10:11], 0
                                        ; implicit-def: $vgpr33
	s_and_saveexec_b64 s[12:13], vcc
	s_cbranch_execz .LBB123_290
; %bb.282:                              ;   in Loop: Header=BB123_12 Depth=1
	v_mov_b32_e32 v6, v0
	v_pk_mov_b32 v[4:5], v[0:1], v[0:1] op_sel:[0,1]
                                        ; implicit-def: $sgpr14_sgpr15
	s_branch .LBB123_284
.LBB123_283:                            ;   in Loop: Header=BB123_284 Depth=2
	s_or_b64 exec, exec, s[20:21]
	s_waitcnt lgkmcnt(0)
	s_barrier
	ds_read_u16 v7, v15 offset:3072
	v_mov_b32_e32 v8, s90
	v_add_co_u32_e32 v4, vcc, s33, v4
	v_addc_co_u32_e32 v5, vcc, v5, v8, vcc
	s_waitcnt lgkmcnt(0)
	v_cmp_ne_u16_sdwa s[20:21], v7, v15 src0_sel:BYTE_0 src1_sel:DWORD
	v_cmp_ge_u64_e32 vcc, v[4:5], v[2:3]
	s_or_b64 s[34:35], vcc, s[20:21]
	s_and_b64 s[34:35], exec, s[34:35]
	s_or_b64 s[10:11], s[34:35], s[10:11]
	s_andn2_b64 s[14:15], s[14:15], exec
	s_and_b64 s[20:21], s[20:21], exec
	v_add_u32_e32 v6, s33, v6
	s_or_b64 s[14:15], s[14:15], s[20:21]
	s_barrier
	s_andn2_b64 exec, exec, s[10:11]
	s_cbranch_execz .LBB123_289
.LBB123_284:                            ;   Parent Loop BB123_12 Depth=1
                                        ; =>  This Inner Loop Header: Depth=2
	v_cmp_gt_u64_e32 vcc, s[4:5], v[4:5]
	v_mov_b32_e32 v7, 0
	s_and_saveexec_b64 s[20:21], vcc
	s_cbranch_execz .LBB123_286
; %bb.285:                              ;   in Loop: Header=BB123_284 Depth=2
	ds_read_u8 v7, v6
.LBB123_286:                            ;   in Loop: Header=BB123_284 Depth=2
	s_or_b64 exec, exec, s[20:21]
	s_waitcnt lgkmcnt(0)
	v_and_b32_e32 v8, v7, v31
	v_cmp_eq_u32_sdwa s[20:21], v8, v32 src0_sel:BYTE_0 src1_sel:DWORD
	s_and_b64 s[34:35], vcc, s[20:21]
	s_and_saveexec_b64 s[20:21], s[34:35]
	s_cbranch_execz .LBB123_283
; %bb.287:                              ;   in Loop: Header=BB123_284 Depth=2
	v_lshlrev_b16_e32 v7, 8, v7
	v_or_b32_e32 v7, 1, v7
	ds_write_b16 v15, v7 offset:3072
	s_branch .LBB123_283
.LBB123_288:                            ;   in Loop: Header=BB123_12 Depth=1
	s_mov_b64 s[14:15], -1
	s_mov_b64 s[10:11], 0
                                        ; implicit-def: $sgpr38_sgpr39
                                        ; implicit-def: $vgpr33
	s_mov_b64 s[20:21], s[14:15]
	s_cbranch_execnz .LBB123_291
	s_branch .LBB123_303
.LBB123_289:                            ;   in Loop: Header=BB123_12 Depth=1
	s_or_b64 exec, exec, s[10:11]
	v_lshrrev_b16_e32 v33, 8, v7
	s_and_b64 s[10:11], s[14:15], exec
.LBB123_290:                            ;   in Loop: Header=BB123_12 Depth=1
	s_or_b64 exec, exec, s[12:13]
	s_mov_b64 s[14:15], 0
	s_mov_b64 s[38:39], -1
	s_mov_b64 s[20:21], s[14:15]
	s_branch .LBB123_303
.LBB123_291:                            ;   in Loop: Header=BB123_12 Depth=1
	s_mov_b32 s94, s87
	s_cmp_lg_u64 s[94:95], 0
	s_cbranch_scc0 .LBB123_331
; %bb.292:                              ;   in Loop: Header=BB123_12 Depth=1
	v_cvt_f32_u32_e32 v2, s33
	s_sub_u32 s4, 0, s33
	s_subb_u32 s5, 0, 0
	v_mac_f32_e32 v2, 0, v30
	v_rcp_f32_e32 v2, v2
	v_mul_f32_e32 v2, 0x5f7ffffc, v2
	v_mul_f32_e32 v3, 0x2f800000, v2
	v_trunc_f32_e32 v3, v3
	v_mac_f32_e32 v2, 0xcf800000, v3
	v_cvt_u32_f32_e32 v3, v3
	v_cvt_u32_f32_e32 v2, v2
	v_readfirstlane_b32 s10, v3
	v_readfirstlane_b32 s11, v2
	s_mul_i32 s12, s4, s10
	s_mul_hi_u32 s14, s4, s11
	s_mul_i32 s13, s5, s11
	s_add_i32 s12, s14, s12
	s_mul_i32 s15, s4, s11
	s_add_i32 s12, s12, s13
	s_mul_hi_u32 s14, s11, s15
	s_mul_hi_u32 s13, s11, s12
	s_mul_i32 s11, s11, s12
	s_add_u32 s11, s14, s11
	s_addc_u32 s13, 0, s13
	s_mul_hi_u32 s20, s10, s15
	s_mul_i32 s15, s10, s15
	s_add_u32 s11, s11, s15
	s_mul_hi_u32 s14, s10, s12
	s_addc_u32 s11, s13, s20
	s_addc_u32 s13, s14, 0
	s_mul_i32 s12, s10, s12
	s_add_u32 s11, s11, s12
	s_addc_u32 s12, 0, s13
	v_add_co_u32_e32 v2, vcc, s11, v2
	s_cmp_lg_u64 vcc, 0
	s_addc_u32 s10, s10, s12
	v_readfirstlane_b32 s12, v2
	s_mul_i32 s11, s4, s10
	s_mul_hi_u32 s13, s4, s12
	s_add_i32 s11, s13, s11
	s_mul_i32 s5, s5, s12
	s_add_i32 s11, s11, s5
	s_mul_i32 s4, s4, s12
	s_mul_hi_u32 s13, s10, s4
	s_mul_i32 s14, s10, s4
	s_mul_i32 s20, s12, s11
	s_mul_hi_u32 s4, s12, s4
	s_mul_hi_u32 s15, s12, s11
	s_add_u32 s4, s4, s20
	s_addc_u32 s12, 0, s15
	s_add_u32 s4, s4, s14
	s_mul_hi_u32 s5, s10, s11
	s_addc_u32 s4, s12, s13
	s_addc_u32 s5, s5, 0
	s_mul_i32 s11, s10, s11
	s_add_u32 s4, s4, s11
	s_addc_u32 s5, 0, s5
	v_add_co_u32_e32 v2, vcc, s4, v2
	s_cmp_lg_u64 vcc, 0
	s_addc_u32 s4, s10, s5
	v_readlane_b32 s14, v42, 35
	v_readfirstlane_b32 s11, v2
	s_mul_i32 s10, s14, s4
	s_mul_hi_u32 s12, s14, s11
	s_mul_hi_u32 s5, s14, s4
	s_add_u32 s10, s12, s10
	s_addc_u32 s5, 0, s5
	s_mul_hi_u32 s13, s95, s11
	s_mul_i32 s11, s95, s11
	s_add_u32 s10, s10, s11
	s_mul_hi_u32 s12, s95, s4
	s_addc_u32 s5, s5, s13
	s_addc_u32 s10, s12, 0
	s_mul_i32 s4, s95, s4
	s_add_u32 s4, s5, s4
	s_addc_u32 s5, 0, s10
	s_mul_hi_u32 s10, s33, s4
	s_mul_i32 s4, s33, s4
	s_mul_i32 s5, s33, s5
	v_mov_b32_e32 v2, s4
	s_add_i32 s10, s10, s5
	v_sub_co_u32_e32 v2, vcc, s14, v2
	s_cmp_lg_u64 vcc, 0
	s_subb_u32 s4, s95, s10
	v_subrev_co_u32_e32 v3, vcc, s33, v2
	s_cmp_lg_u64 vcc, 0
	s_subb_u32 s5, s4, 0
	v_subrev_co_u32_e32 v4, vcc, s33, v3
	s_cmp_lg_u64 vcc, 0
	s_subb_u32 s10, s5, 0
	v_cmp_le_u32_e32 vcc, s33, v3
	s_cmp_eq_u32 s5, 0
	v_cndmask_b32_e64 v5, 0, -1, vcc
	s_cselect_b64 vcc, -1, 0
	v_cndmask_b32_e32 v5, -1, v5, vcc
	v_mov_b32_e32 v6, s5
	v_mov_b32_e32 v7, s10
	v_cmp_ne_u32_e32 vcc, 0, v5
	v_cndmask_b32_e32 v5, v6, v7, vcc
	v_cndmask_b32_e32 v4, v3, v4, vcc
	v_cmp_le_u32_e32 vcc, s33, v2
	s_cmp_eq_u32 s4, 0
	v_cndmask_b32_e64 v3, 0, -1, vcc
	s_cselect_b64 vcc, -1, 0
	v_cndmask_b32_e32 v3, -1, v3, vcc
	v_mov_b32_e32 v6, s4
	v_cmp_ne_u32_e32 vcc, 0, v3
	v_cndmask_b32_e32 v3, v6, v5, vcc
	v_cndmask_b32_e32 v2, v2, v4, vcc
	s_cbranch_execnz .LBB123_294
.LBB123_293:                            ;   in Loop: Header=BB123_12 Depth=1
	v_cvt_f32_u32_e32 v2, s33
	s_sub_i32 s4, 0, s33
	v_rcp_iflag_f32_e32 v2, v2
	v_mul_f32_e32 v2, 0x4f7ffffe, v2
	v_cvt_u32_f32_e32 v2, v2
	v_mul_lo_u32 v3, s4, v2
	v_mul_hi_u32 v3, v2, v3
	v_add_u32_e32 v2, v2, v3
	v_readlane_b32 s4, v42, 35
	v_mul_hi_u32 v2, s4, v2
	v_mul_lo_u32 v2, v2, s33
	v_sub_u32_e32 v2, s4, v2
	v_subrev_u32_e32 v3, s33, v2
	v_cmp_le_u32_e32 vcc, s33, v2
	v_cndmask_b32_e32 v2, v2, v3, vcc
	v_subrev_u32_e32 v3, s33, v2
	v_cmp_le_u32_e32 vcc, s33, v2
	v_cndmask_b32_e32 v14, v2, v3, vcc
	v_pk_mov_b32 v[2:3], v[14:15], v[14:15] op_sel:[0,1]
.LBB123_294:                            ;   in Loop: Header=BB123_12 Depth=1
	v_readlane_b32 s4, v42, 35
	v_mov_b32_e32 v4, s95
	v_sub_co_u32_e32 v2, vcc, s4, v2
	v_subb_co_u32_e32 v3, vcc, v4, v3, vcc
	v_cmp_gt_u64_e32 vcc, v[2:3], v[0:1]
	s_mov_b64 s[10:11], 0
                                        ; implicit-def: $vgpr33
	s_and_saveexec_b64 s[4:5], vcc
	s_cbranch_execz .LBB123_302
; %bb.295:                              ;   in Loop: Header=BB123_12 Depth=1
	v_pk_mov_b32 v[4:5], v[0:1], v[0:1] op_sel:[0,1]
                                        ; implicit-def: $sgpr12_sgpr13
	s_branch .LBB123_297
.LBB123_296:                            ;   in Loop: Header=BB123_297 Depth=2
	s_or_b64 exec, exec, s[14:15]
	s_waitcnt lgkmcnt(0)
	s_barrier
	ds_read_u16 v6, v15 offset:3072
	v_mov_b32_e32 v7, s90
	v_add_co_u32_e32 v4, vcc, s33, v4
	v_addc_co_u32_e32 v5, vcc, v5, v7, vcc
	s_waitcnt lgkmcnt(0)
	v_cmp_ne_u16_sdwa s[14:15], v6, v15 src0_sel:BYTE_0 src1_sel:DWORD
	v_cmp_ge_u64_e32 vcc, v[4:5], v[2:3]
	s_or_b64 s[20:21], vcc, s[14:15]
	s_and_b64 s[20:21], exec, s[20:21]
	s_or_b64 s[10:11], s[20:21], s[10:11]
	s_andn2_b64 s[12:13], s[12:13], exec
	s_and_b64 s[14:15], s[14:15], exec
	s_or_b64 s[12:13], s[12:13], s[14:15]
	s_barrier
	s_andn2_b64 exec, exec, s[10:11]
	s_cbranch_execz .LBB123_301
.LBB123_297:                            ;   Parent Loop BB123_12 Depth=1
                                        ; =>  This Inner Loop Header: Depth=2
	v_cmp_gt_u64_e32 vcc, s[60:61], v[4:5]
	v_mov_b32_e32 v6, 0
	s_and_saveexec_b64 s[14:15], vcc
	s_cbranch_execz .LBB123_299
; %bb.298:                              ;   in Loop: Header=BB123_297 Depth=2
	v_pk_mov_b32 v[6:7], s[56:57], s[56:57] op_sel:[0,1]
	v_mad_u64_u32 v[6:7], s[20:21], v4, s58, v[6:7]
	v_mul_lo_u32 v8, v4, s59
	v_mul_lo_u32 v9, v5, s58
	v_add3_u32 v7, v9, v7, v8
	global_load_ubyte v6, v[6:7], off
.LBB123_299:                            ;   in Loop: Header=BB123_297 Depth=2
	s_or_b64 exec, exec, s[14:15]
	s_waitcnt vmcnt(0)
	v_and_b32_e32 v7, v6, v31
	v_cmp_eq_u32_sdwa s[14:15], v7, v32 src0_sel:BYTE_0 src1_sel:DWORD
	s_and_b64 s[20:21], vcc, s[14:15]
	s_and_saveexec_b64 s[14:15], s[20:21]
	s_cbranch_execz .LBB123_296
; %bb.300:                              ;   in Loop: Header=BB123_297 Depth=2
	v_lshlrev_b16_e32 v6, 8, v6
	v_or_b32_e32 v6, 1, v6
	ds_write_b16 v15, v6 offset:3072
	s_branch .LBB123_296
.LBB123_301:                            ;   in Loop: Header=BB123_12 Depth=1
	s_or_b64 exec, exec, s[10:11]
	v_lshrrev_b16_e32 v33, 8, v6
	s_and_b64 s[10:11], s[12:13], exec
.LBB123_302:                            ;   in Loop: Header=BB123_12 Depth=1
	s_or_b64 exec, exec, s[4:5]
	s_mov_b64 s[38:39], 0
	s_mov_b64 s[14:15], -1
	s_mov_b64 s[20:21], 0
.LBB123_303:                            ;   in Loop: Header=BB123_12 Depth=1
	s_orn2_b64 s[4:5], s[10:11], exec
.LBB123_304:                            ;   in Loop: Header=BB123_12 Depth=1
	s_or_b64 exec, exec, s[8:9]
                                        ; implicit-def: $vgpr6
                                        ; implicit-def: $vgpr2_vgpr3
                                        ; implicit-def: $vgpr8
                                        ; implicit-def: $vgpr9
                                        ; implicit-def: $vgpr22
	s_and_saveexec_b64 s[34:35], s[4:5]
	s_cbranch_execz .LBB123_461
; %bb.305:                              ;   in Loop: Header=BB123_12 Depth=1
	v_mov_b32_e32 v2, 1
	s_xor_b64 s[8:9], s[6:7], -1
	s_mov_b64 s[6:7], 0
	v_mov_b32_e32 v3, 0
	v_mov_b32_e32 v6, 1
	s_and_saveexec_b64 s[4:5], s[8:9]
	s_cbranch_execz .LBB123_315
; %bb.306:                              ;   in Loop: Header=BB123_12 Depth=1
	v_cmp_ge_u64_e32 vcc, s[24:25], v[20:21]
                                        ; implicit-def: $sgpr10
                                        ; implicit-def: $sgpr6_sgpr7
	s_and_saveexec_b64 s[8:9], vcc
	s_xor_b64 s[8:9], exec, s[8:9]
	s_cbranch_execz .LBB123_312
; %bb.307:                              ;   in Loop: Header=BB123_12 Depth=1
	ds_read_b64 v[2:3], v15 offset:5120
	s_waitcnt lgkmcnt(0)
	v_cmp_ne_u64_e32 vcc, 0, v[2:3]
	s_cbranch_vccnz .LBB123_311
; %bb.308:                              ;   in Loop: Header=BB123_12 Depth=1
	s_mov_b64 s[6:7], exec
	v_readlane_b32 s10, v42, 12
	v_readlane_b32 s11, v42, 13
	s_and_b64 s[10:11], s[6:7], s[10:11]
	s_mov_b64 exec, s[10:11]
	s_cbranch_execz .LBB123_310
; %bb.309:                              ;   in Loop: Header=BB123_12 Depth=1
	v_pk_mov_b32 v[2:3], s[24:25], s[24:25] op_sel:[0,1]
	ds_write_b64 v15, v[2:3] offset:5128
.LBB123_310:                            ;   in Loop: Header=BB123_12 Depth=1
	s_or_b64 exec, exec, s[6:7]
	s_waitcnt lgkmcnt(0)
	s_barrier
.LBB123_311:                            ;   in Loop: Header=BB123_12 Depth=1
	v_or_b32_e32 v32, s86, v32
	v_or_b32_e32 v31, s86, v31
	s_mov_b64 s[6:7], 0
	s_mov_b32 s10, 5
.LBB123_312:                            ;   in Loop: Header=BB123_12 Depth=1
	s_or_saveexec_b64 s[8:9], s[8:9]
	v_mov_b32_e32 v6, s10
	s_xor_b64 exec, exec, s[8:9]
; %bb.313:                              ;   in Loop: Header=BB123_12 Depth=1
	v_mov_b32_e32 v2, s25
	v_subrev_co_u32_e32 v20, vcc, s24, v20
	v_subb_co_u32_e32 v21, vcc, v21, v2, vcc
	v_mov_b32_e32 v6, 0
	s_or_b64 s[6:7], s[6:7], exec
; %bb.314:                              ;   in Loop: Header=BB123_12 Depth=1
	s_or_b64 exec, exec, s[8:9]
	s_and_b64 s[6:7], s[6:7], exec
	v_pk_mov_b32 v[2:3], v[20:21], v[20:21] op_sel:[0,1]
.LBB123_315:                            ;   in Loop: Header=BB123_12 Depth=1
	s_or_b64 exec, exec, s[4:5]
	s_mov_b64 s[24:25], -1
                                        ; implicit-def: $sgpr4_sgpr5
                                        ; implicit-def: $sgpr8_sgpr9
                                        ; implicit-def: $sgpr10_sgpr11
	s_and_saveexec_b64 s[12:13], s[6:7]
	s_xor_b64 s[6:7], exec, s[12:13]
	s_cbranch_execz .LBB123_458
; %bb.316:                              ;   in Loop: Header=BB123_12 Depth=1
	s_cmp_eq_u64 s[22:23], 1
	s_cselect_b64 s[4:5], -1, 0
	v_cmp_eq_u64_e32 vcc, 1, v[2:3]
	s_and_b64 s[8:9], s[4:5], vcc
	s_mov_b64 s[4:5], -1
                                        ; implicit-def: $sgpr24_sgpr25
                                        ; implicit-def: $sgpr36_sgpr37
                                        ; implicit-def: $sgpr40_sgpr41
	s_and_saveexec_b64 s[42:43], s[8:9]
	s_cbranch_execz .LBB123_348
; %bb.317:                              ;   in Loop: Header=BB123_12 Depth=1
	ds_read_b64 v[4:5], v15 offset:5120
	s_waitcnt lgkmcnt(0)
	s_barrier
	v_readfirstlane_b32 s4, v4
	v_readfirstlane_b32 s5, v5
	s_mov_b64 s[10:11], exec
	v_readlane_b32 s12, v42, 30
	v_readlane_b32 s13, v42, 31
	s_and_b64 s[12:13], s[10:11], s[12:13]
	s_mov_b64 exec, s[12:13]
	s_cbranch_execz .LBB123_319
; %bb.318:                              ;   in Loop: Header=BB123_12 Depth=1
	ds_write_b8 v0, v15 offset:3072
.LBB123_319:                            ;   in Loop: Header=BB123_12 Depth=1
	s_or_b64 exec, exec, s[10:11]
	v_and_b32_e32 v4, s46, v32
	v_lshl_or_b32 v32, 2, s47, v4
	v_or_b32_e32 v31, s86, v31
	s_cmp_eq_u64 s[4:5], 0
	s_waitcnt lgkmcnt(0)
	s_barrier
	s_cbranch_scc1 .LBB123_332
; %bb.320:                              ;   in Loop: Header=BB123_12 Depth=1
	v_readlane_b32 s10, v42, 34
	s_add_u32 s24, s10, s4
	v_readlane_b32 s10, v42, 36
	s_addc_u32 s11, s10, s5
	s_mov_b32 s10, s87
	s_cmp_lg_u64 s[10:11], 0
	s_cbranch_scc0 .LBB123_374
; %bb.321:                              ;   in Loop: Header=BB123_12 Depth=1
	v_cvt_f32_u32_e32 v4, s33
	s_sub_u32 s10, 0, s33
	s_subb_u32 s12, 0, 0
	v_mac_f32_e32 v4, 0, v30
	v_rcp_f32_e32 v4, v4
	v_mul_f32_e32 v4, 0x5f7ffffc, v4
	v_mul_f32_e32 v5, 0x2f800000, v4
	v_trunc_f32_e32 v5, v5
	v_mac_f32_e32 v4, 0xcf800000, v5
	v_cvt_u32_f32_e32 v5, v5
	v_cvt_u32_f32_e32 v4, v4
	v_readfirstlane_b32 s13, v5
	v_readfirstlane_b32 s25, v4
	s_mul_i32 s36, s10, s13
	s_mul_hi_u32 s40, s10, s25
	s_mul_i32 s37, s12, s25
	s_add_i32 s36, s40, s36
	s_mul_i32 s41, s10, s25
	s_add_i32 s36, s36, s37
	s_mul_hi_u32 s40, s25, s41
	s_mul_hi_u32 s37, s25, s36
	s_mul_i32 s25, s25, s36
	s_add_u32 s25, s40, s25
	s_addc_u32 s37, 0, s37
	s_mul_hi_u32 s44, s13, s41
	s_mul_i32 s41, s13, s41
	s_add_u32 s25, s25, s41
	s_mul_hi_u32 s40, s13, s36
	s_addc_u32 s25, s37, s44
	s_addc_u32 s37, s40, 0
	s_mul_i32 s36, s13, s36
	s_add_u32 s25, s25, s36
	s_addc_u32 s36, 0, s37
	v_add_co_u32_e32 v4, vcc, s25, v4
	s_cmp_lg_u64 vcc, 0
	s_addc_u32 s13, s13, s36
	v_readfirstlane_b32 s36, v4
	s_mul_i32 s25, s10, s13
	s_mul_hi_u32 s37, s10, s36
	s_add_i32 s25, s37, s25
	s_mul_i32 s12, s12, s36
	s_add_i32 s25, s25, s12
	s_mul_i32 s10, s10, s36
	s_mul_hi_u32 s37, s13, s10
	s_mul_i32 s40, s13, s10
	s_mul_i32 s44, s36, s25
	s_mul_hi_u32 s10, s36, s10
	s_mul_hi_u32 s41, s36, s25
	s_add_u32 s10, s10, s44
	s_addc_u32 s36, 0, s41
	s_add_u32 s10, s10, s40
	s_mul_hi_u32 s12, s13, s25
	s_addc_u32 s10, s36, s37
	s_addc_u32 s12, s12, 0
	s_mul_i32 s25, s13, s25
	s_add_u32 s10, s10, s25
	s_addc_u32 s12, 0, s12
	v_add_co_u32_e32 v4, vcc, s10, v4
	s_cmp_lg_u64 vcc, 0
	s_addc_u32 s10, s13, s12
	v_readfirstlane_b32 s25, v4
	s_mul_i32 s13, s24, s10
	s_mul_hi_u32 s36, s24, s25
	s_mul_hi_u32 s12, s24, s10
	s_add_u32 s13, s36, s13
	s_addc_u32 s12, 0, s12
	s_mul_hi_u32 s37, s11, s25
	s_mul_i32 s25, s11, s25
	s_add_u32 s13, s13, s25
	s_mul_hi_u32 s36, s11, s10
	s_addc_u32 s12, s12, s37
	s_addc_u32 s13, s36, 0
	s_mul_i32 s10, s11, s10
	s_add_u32 s10, s12, s10
	s_addc_u32 s12, 0, s13
	s_mul_hi_u32 s13, s33, s10
	s_mul_i32 s10, s33, s10
	s_mul_i32 s12, s33, s12
	v_mov_b32_e32 v4, s10
	s_add_i32 s13, s13, s12
	v_sub_co_u32_e32 v4, vcc, s24, v4
	s_cmp_lg_u64 vcc, 0
	s_subb_u32 s10, s11, s13
	v_subrev_co_u32_e32 v5, vcc, s33, v4
	s_cmp_lg_u64 vcc, 0
	s_subb_u32 s12, s10, 0
	v_subrev_co_u32_e32 v6, vcc, s33, v5
	s_cmp_lg_u64 vcc, 0
	s_subb_u32 s13, s12, 0
	v_cmp_le_u32_e32 vcc, s33, v5
	s_cmp_eq_u32 s12, 0
	v_cndmask_b32_e64 v7, 0, -1, vcc
	s_cselect_b64 vcc, -1, 0
	v_cndmask_b32_e32 v7, -1, v7, vcc
	v_mov_b32_e32 v8, s12
	v_mov_b32_e32 v9, s13
	v_cmp_ne_u32_e32 vcc, 0, v7
	v_cndmask_b32_e32 v7, v8, v9, vcc
	v_cndmask_b32_e32 v6, v5, v6, vcc
	v_cmp_le_u32_e32 vcc, s33, v4
	s_cmp_eq_u32 s10, 0
	v_cndmask_b32_e64 v5, 0, -1, vcc
	s_cselect_b64 vcc, -1, 0
	v_cndmask_b32_e32 v5, -1, v5, vcc
	v_mov_b32_e32 v8, s10
	v_cmp_ne_u32_e32 vcc, 0, v5
	v_cndmask_b32_e32 v5, v8, v7, vcc
	v_cndmask_b32_e32 v4, v4, v6, vcc
	s_cbranch_execnz .LBB123_323
.LBB123_322:                            ;   in Loop: Header=BB123_12 Depth=1
	v_cvt_f32_u32_e32 v4, s33
	s_sub_i32 s10, 0, s33
	v_rcp_iflag_f32_e32 v4, v4
	v_mul_f32_e32 v4, 0x4f7ffffe, v4
	v_cvt_u32_f32_e32 v4, v4
	v_mul_lo_u32 v5, s10, v4
	v_mul_hi_u32 v5, v4, v5
	v_add_u32_e32 v4, v4, v5
	v_mul_hi_u32 v4, s24, v4
	v_mul_lo_u32 v4, v4, s33
	v_sub_u32_e32 v4, s24, v4
	v_subrev_u32_e32 v5, s33, v4
	v_cmp_le_u32_e32 vcc, s33, v4
	v_cndmask_b32_e32 v4, v4, v5, vcc
	v_subrev_u32_e32 v5, s33, v4
	v_cmp_le_u32_e32 vcc, s33, v4
	v_cndmask_b32_e32 v14, v4, v5, vcc
	v_pk_mov_b32 v[4:5], v[14:15], v[14:15] op_sel:[0,1]
.LBB123_323:                            ;   in Loop: Header=BB123_12 Depth=1
	v_mov_b32_e32 v6, s11
	v_sub_co_u32_e32 v4, vcc, s24, v4
	v_subb_co_u32_e32 v5, vcc, v6, v5, vcc
	v_cmp_gt_u64_e32 vcc, v[4:5], v[0:1]
	s_mov_b64 s[10:11], 0
                                        ; implicit-def: $vgpr33
	s_and_saveexec_b64 s[12:13], vcc
	s_cbranch_execz .LBB123_334
; %bb.324:                              ;   in Loop: Header=BB123_12 Depth=1
	v_mov_b32_e32 v8, v0
	v_pk_mov_b32 v[6:7], v[0:1], v[0:1] op_sel:[0,1]
                                        ; implicit-def: $sgpr24_sgpr25
	s_branch .LBB123_326
.LBB123_325:                            ;   in Loop: Header=BB123_326 Depth=2
	s_or_b64 exec, exec, s[36:37]
	s_waitcnt lgkmcnt(0)
	s_barrier
	ds_read_u16 v9, v15 offset:3072
	v_mov_b32_e32 v14, s90
	v_add_co_u32_e32 v6, vcc, s33, v6
	v_addc_co_u32_e32 v7, vcc, v7, v14, vcc
	s_waitcnt lgkmcnt(0)
	v_cmp_ne_u16_sdwa s[36:37], v9, v15 src0_sel:BYTE_0 src1_sel:DWORD
	v_cmp_ge_u64_e32 vcc, v[6:7], v[4:5]
	s_or_b64 s[40:41], vcc, s[36:37]
	s_and_b64 s[40:41], exec, s[40:41]
	s_or_b64 s[10:11], s[40:41], s[10:11]
	s_andn2_b64 s[24:25], s[24:25], exec
	s_and_b64 s[36:37], s[36:37], exec
	v_add_u32_e32 v8, s33, v8
	s_or_b64 s[24:25], s[24:25], s[36:37]
	s_barrier
	s_andn2_b64 exec, exec, s[10:11]
	s_cbranch_execz .LBB123_333
.LBB123_326:                            ;   Parent Loop BB123_12 Depth=1
                                        ; =>  This Inner Loop Header: Depth=2
	v_cmp_gt_u64_e32 vcc, s[4:5], v[6:7]
	v_mov_b32_e32 v9, 0
	s_and_saveexec_b64 s[36:37], vcc
	s_cbranch_execz .LBB123_328
; %bb.327:                              ;   in Loop: Header=BB123_326 Depth=2
	ds_read_u8 v9, v8
.LBB123_328:                            ;   in Loop: Header=BB123_326 Depth=2
	s_or_b64 exec, exec, s[36:37]
	s_waitcnt lgkmcnt(0)
	v_and_b32_e32 v14, v9, v31
	v_cmp_eq_u32_sdwa s[36:37], v14, v32 src0_sel:BYTE_0 src1_sel:DWORD
	s_and_b64 s[40:41], vcc, s[36:37]
	s_and_saveexec_b64 s[36:37], s[40:41]
	s_cbranch_execz .LBB123_325
; %bb.329:                              ;   in Loop: Header=BB123_326 Depth=2
	v_lshlrev_b16_e32 v9, 8, v9
	v_or_b32_e32 v9, 1, v9
	ds_write_b16 v15, v9 offset:3072
	s_branch .LBB123_325
.LBB123_330:                            ;   in Loop: Header=BB123_12 Depth=1
                                        ; implicit-def: $vgpr2_vgpr3
	s_branch .LBB123_280
.LBB123_331:                            ;   in Loop: Header=BB123_12 Depth=1
                                        ; implicit-def: $vgpr2_vgpr3
	s_branch .LBB123_293
.LBB123_332:                            ;   in Loop: Header=BB123_12 Depth=1
	s_mov_b64 s[24:25], -1
	s_mov_b64 s[10:11], 0
                                        ; implicit-def: $sgpr36_sgpr37
                                        ; implicit-def: $vgpr33
	s_mov_b64 s[40:41], s[24:25]
	s_cbranch_execnz .LBB123_335
	s_branch .LBB123_347
.LBB123_333:                            ;   in Loop: Header=BB123_12 Depth=1
	s_or_b64 exec, exec, s[10:11]
	v_lshrrev_b16_e32 v33, 8, v9
	s_and_b64 s[10:11], s[24:25], exec
.LBB123_334:                            ;   in Loop: Header=BB123_12 Depth=1
	s_or_b64 exec, exec, s[12:13]
	s_mov_b64 s[24:25], 0
	s_mov_b64 s[36:37], -1
	s_mov_b64 s[40:41], s[24:25]
	s_branch .LBB123_347
.LBB123_335:                            ;   in Loop: Header=BB123_12 Depth=1
	s_mov_b32 s94, s87
	s_cmp_lg_u64 s[94:95], 0
	s_cbranch_scc0 .LBB123_375
; %bb.336:                              ;   in Loop: Header=BB123_12 Depth=1
	v_cvt_f32_u32_e32 v4, s33
	s_sub_u32 s4, 0, s33
	s_subb_u32 s5, 0, 0
	v_mac_f32_e32 v4, 0, v30
	v_rcp_f32_e32 v4, v4
	v_mul_f32_e32 v4, 0x5f7ffffc, v4
	v_mul_f32_e32 v5, 0x2f800000, v4
	v_trunc_f32_e32 v5, v5
	v_mac_f32_e32 v4, 0xcf800000, v5
	v_cvt_u32_f32_e32 v5, v5
	v_cvt_u32_f32_e32 v4, v4
	v_readfirstlane_b32 s10, v5
	v_readfirstlane_b32 s11, v4
	s_mul_i32 s12, s4, s10
	s_mul_hi_u32 s24, s4, s11
	s_mul_i32 s13, s5, s11
	s_add_i32 s12, s24, s12
	s_mul_i32 s25, s4, s11
	s_add_i32 s12, s12, s13
	s_mul_hi_u32 s24, s11, s25
	s_mul_hi_u32 s13, s11, s12
	s_mul_i32 s11, s11, s12
	s_add_u32 s11, s24, s11
	s_addc_u32 s13, 0, s13
	s_mul_hi_u32 s36, s10, s25
	s_mul_i32 s25, s10, s25
	s_add_u32 s11, s11, s25
	s_mul_hi_u32 s24, s10, s12
	s_addc_u32 s11, s13, s36
	s_addc_u32 s13, s24, 0
	s_mul_i32 s12, s10, s12
	s_add_u32 s11, s11, s12
	s_addc_u32 s12, 0, s13
	v_add_co_u32_e32 v4, vcc, s11, v4
	s_cmp_lg_u64 vcc, 0
	s_addc_u32 s10, s10, s12
	v_readfirstlane_b32 s12, v4
	s_mul_i32 s11, s4, s10
	s_mul_hi_u32 s13, s4, s12
	s_add_i32 s11, s13, s11
	s_mul_i32 s5, s5, s12
	s_add_i32 s11, s11, s5
	s_mul_i32 s4, s4, s12
	s_mul_hi_u32 s13, s10, s4
	s_mul_i32 s24, s10, s4
	s_mul_i32 s36, s12, s11
	s_mul_hi_u32 s4, s12, s4
	s_mul_hi_u32 s25, s12, s11
	s_add_u32 s4, s4, s36
	s_addc_u32 s12, 0, s25
	s_add_u32 s4, s4, s24
	s_mul_hi_u32 s5, s10, s11
	s_addc_u32 s4, s12, s13
	s_addc_u32 s5, s5, 0
	s_mul_i32 s11, s10, s11
	s_add_u32 s4, s4, s11
	s_addc_u32 s5, 0, s5
	v_add_co_u32_e32 v4, vcc, s4, v4
	s_cmp_lg_u64 vcc, 0
	s_addc_u32 s4, s10, s5
	v_readlane_b32 s24, v42, 35
	v_readfirstlane_b32 s11, v4
	s_mul_i32 s10, s24, s4
	s_mul_hi_u32 s12, s24, s11
	s_mul_hi_u32 s5, s24, s4
	s_add_u32 s10, s12, s10
	s_addc_u32 s5, 0, s5
	s_mul_hi_u32 s13, s95, s11
	s_mul_i32 s11, s95, s11
	s_add_u32 s10, s10, s11
	s_mul_hi_u32 s12, s95, s4
	s_addc_u32 s5, s5, s13
	s_addc_u32 s10, s12, 0
	s_mul_i32 s4, s95, s4
	s_add_u32 s4, s5, s4
	s_addc_u32 s5, 0, s10
	s_mul_hi_u32 s10, s33, s4
	s_mul_i32 s4, s33, s4
	s_mul_i32 s5, s33, s5
	v_mov_b32_e32 v4, s4
	s_add_i32 s10, s10, s5
	v_sub_co_u32_e32 v4, vcc, s24, v4
	s_cmp_lg_u64 vcc, 0
	s_subb_u32 s4, s95, s10
	v_subrev_co_u32_e32 v5, vcc, s33, v4
	s_cmp_lg_u64 vcc, 0
	s_subb_u32 s5, s4, 0
	v_subrev_co_u32_e32 v6, vcc, s33, v5
	s_cmp_lg_u64 vcc, 0
	s_subb_u32 s10, s5, 0
	v_cmp_le_u32_e32 vcc, s33, v5
	s_cmp_eq_u32 s5, 0
	v_cndmask_b32_e64 v7, 0, -1, vcc
	s_cselect_b64 vcc, -1, 0
	v_cndmask_b32_e32 v7, -1, v7, vcc
	v_mov_b32_e32 v8, s5
	v_mov_b32_e32 v9, s10
	v_cmp_ne_u32_e32 vcc, 0, v7
	v_cndmask_b32_e32 v7, v8, v9, vcc
	v_cndmask_b32_e32 v6, v5, v6, vcc
	v_cmp_le_u32_e32 vcc, s33, v4
	s_cmp_eq_u32 s4, 0
	v_cndmask_b32_e64 v5, 0, -1, vcc
	s_cselect_b64 vcc, -1, 0
	v_cndmask_b32_e32 v5, -1, v5, vcc
	v_mov_b32_e32 v8, s4
	v_cmp_ne_u32_e32 vcc, 0, v5
	v_cndmask_b32_e32 v5, v8, v7, vcc
	v_cndmask_b32_e32 v4, v4, v6, vcc
	s_cbranch_execnz .LBB123_338
.LBB123_337:                            ;   in Loop: Header=BB123_12 Depth=1
	v_cvt_f32_u32_e32 v4, s33
	s_sub_i32 s4, 0, s33
	v_rcp_iflag_f32_e32 v4, v4
	v_mul_f32_e32 v4, 0x4f7ffffe, v4
	v_cvt_u32_f32_e32 v4, v4
	v_mul_lo_u32 v5, s4, v4
	v_mul_hi_u32 v5, v4, v5
	v_add_u32_e32 v4, v4, v5
	v_readlane_b32 s4, v42, 35
	v_mul_hi_u32 v4, s4, v4
	v_mul_lo_u32 v4, v4, s33
	v_sub_u32_e32 v4, s4, v4
	v_subrev_u32_e32 v5, s33, v4
	v_cmp_le_u32_e32 vcc, s33, v4
	v_cndmask_b32_e32 v4, v4, v5, vcc
	v_subrev_u32_e32 v5, s33, v4
	v_cmp_le_u32_e32 vcc, s33, v4
	v_cndmask_b32_e32 v14, v4, v5, vcc
	v_pk_mov_b32 v[4:5], v[14:15], v[14:15] op_sel:[0,1]
.LBB123_338:                            ;   in Loop: Header=BB123_12 Depth=1
	v_readlane_b32 s4, v42, 35
	v_mov_b32_e32 v6, s95
	v_sub_co_u32_e32 v4, vcc, s4, v4
	v_subb_co_u32_e32 v5, vcc, v6, v5, vcc
	v_cmp_gt_u64_e32 vcc, v[4:5], v[0:1]
	s_mov_b64 s[10:11], 0
                                        ; implicit-def: $vgpr33
	s_and_saveexec_b64 s[4:5], vcc
	s_cbranch_execz .LBB123_346
; %bb.339:                              ;   in Loop: Header=BB123_12 Depth=1
	v_pk_mov_b32 v[6:7], v[0:1], v[0:1] op_sel:[0,1]
                                        ; implicit-def: $sgpr12_sgpr13
	s_branch .LBB123_341
.LBB123_340:                            ;   in Loop: Header=BB123_341 Depth=2
	s_or_b64 exec, exec, s[24:25]
	s_waitcnt lgkmcnt(0)
	s_barrier
	ds_read_u16 v8, v15 offset:3072
	v_mov_b32_e32 v9, s90
	v_add_co_u32_e32 v6, vcc, s33, v6
	v_addc_co_u32_e32 v7, vcc, v7, v9, vcc
	s_waitcnt lgkmcnt(0)
	v_cmp_ne_u16_sdwa s[24:25], v8, v15 src0_sel:BYTE_0 src1_sel:DWORD
	v_cmp_ge_u64_e32 vcc, v[6:7], v[4:5]
	s_or_b64 s[36:37], vcc, s[24:25]
	s_and_b64 s[36:37], exec, s[36:37]
	s_or_b64 s[10:11], s[36:37], s[10:11]
	s_andn2_b64 s[12:13], s[12:13], exec
	s_and_b64 s[24:25], s[24:25], exec
	s_or_b64 s[12:13], s[12:13], s[24:25]
	s_barrier
	s_andn2_b64 exec, exec, s[10:11]
	s_cbranch_execz .LBB123_345
.LBB123_341:                            ;   Parent Loop BB123_12 Depth=1
                                        ; =>  This Inner Loop Header: Depth=2
	v_cmp_gt_u64_e32 vcc, s[60:61], v[6:7]
	v_mov_b32_e32 v8, 0
	s_and_saveexec_b64 s[24:25], vcc
	s_cbranch_execz .LBB123_343
; %bb.342:                              ;   in Loop: Header=BB123_341 Depth=2
	v_pk_mov_b32 v[8:9], s[56:57], s[56:57] op_sel:[0,1]
	v_mad_u64_u32 v[8:9], s[36:37], v6, s58, v[8:9]
	v_mul_lo_u32 v14, v6, s59
	v_mul_lo_u32 v20, v7, s58
	v_add3_u32 v9, v20, v9, v14
	global_load_ubyte v8, v[8:9], off
.LBB123_343:                            ;   in Loop: Header=BB123_341 Depth=2
	s_or_b64 exec, exec, s[24:25]
	s_waitcnt vmcnt(0)
	v_and_b32_e32 v9, v8, v31
	v_cmp_eq_u32_sdwa s[24:25], v9, v32 src0_sel:BYTE_0 src1_sel:DWORD
	s_and_b64 s[36:37], vcc, s[24:25]
	s_and_saveexec_b64 s[24:25], s[36:37]
	s_cbranch_execz .LBB123_340
; %bb.344:                              ;   in Loop: Header=BB123_341 Depth=2
	v_lshlrev_b16_e32 v8, 8, v8
	v_or_b32_e32 v8, 1, v8
	ds_write_b16 v15, v8 offset:3072
	s_branch .LBB123_340
.LBB123_345:                            ;   in Loop: Header=BB123_12 Depth=1
	s_or_b64 exec, exec, s[10:11]
	v_lshrrev_b16_e32 v33, 8, v8
	s_and_b64 s[10:11], s[12:13], exec
.LBB123_346:                            ;   in Loop: Header=BB123_12 Depth=1
	s_or_b64 exec, exec, s[4:5]
	s_mov_b64 s[36:37], 0
	s_mov_b64 s[24:25], -1
	s_mov_b64 s[40:41], 0
.LBB123_347:                            ;   in Loop: Header=BB123_12 Depth=1
	s_orn2_b64 s[4:5], s[10:11], exec
.LBB123_348:                            ;   in Loop: Header=BB123_12 Depth=1
	s_or_b64 exec, exec, s[42:43]
	s_mov_b64 s[12:13], 0
                                        ; implicit-def: $vgpr6
	s_and_saveexec_b64 s[42:43], s[4:5]
	s_cbranch_execz .LBB123_457
; %bb.349:                              ;   in Loop: Header=BB123_12 Depth=1
	v_mov_b32_e32 v4, 1
	s_xor_b64 s[8:9], s[8:9], -1
	s_mov_b64 s[44:45], 0
	v_mov_b32_e32 v5, 0
	v_mov_b32_e32 v6, 1
	s_and_saveexec_b64 s[4:5], s[8:9]
	s_cbranch_execz .LBB123_359
; %bb.350:                              ;   in Loop: Header=BB123_12 Depth=1
	v_cmp_ge_u64_e32 vcc, s[22:23], v[2:3]
                                        ; implicit-def: $sgpr12
                                        ; implicit-def: $sgpr8_sgpr9
	s_and_saveexec_b64 s[10:11], vcc
	s_xor_b64 s[10:11], exec, s[10:11]
	s_cbranch_execz .LBB123_356
; %bb.351:                              ;   in Loop: Header=BB123_12 Depth=1
	ds_read_b64 v[4:5], v15 offset:5120
	s_waitcnt lgkmcnt(0)
	v_cmp_ne_u64_e32 vcc, 0, v[4:5]
	s_cbranch_vccnz .LBB123_355
; %bb.352:                              ;   in Loop: Header=BB123_12 Depth=1
	s_mov_b64 s[8:9], exec
	v_readlane_b32 s12, v42, 12
	v_readlane_b32 s13, v42, 13
	s_and_b64 s[12:13], s[8:9], s[12:13]
	s_mov_b64 exec, s[12:13]
	s_cbranch_execz .LBB123_354
; %bb.353:                              ;   in Loop: Header=BB123_12 Depth=1
	v_pk_mov_b32 v[4:5], s[22:23], s[22:23] op_sel:[0,1]
	ds_write_b64 v15, v[4:5] offset:5128
.LBB123_354:                            ;   in Loop: Header=BB123_12 Depth=1
	s_or_b64 exec, exec, s[8:9]
	s_waitcnt lgkmcnt(0)
	s_barrier
.LBB123_355:                            ;   in Loop: Header=BB123_12 Depth=1
	v_and_b32_e32 v4, s46, v32
	v_lshl_or_b32 v32, 2, s47, v4
	v_or_b32_e32 v31, s86, v31
	s_mov_b64 s[8:9], 0
	s_mov_b32 s12, 5
.LBB123_356:                            ;   in Loop: Header=BB123_12 Depth=1
	s_or_saveexec_b64 s[10:11], s[10:11]
	v_mov_b32_e32 v6, s12
	s_xor_b64 exec, exec, s[10:11]
; %bb.357:                              ;   in Loop: Header=BB123_12 Depth=1
	v_mov_b32_e32 v4, s23
	v_subrev_co_u32_e32 v2, vcc, s22, v2
	v_subb_co_u32_e32 v3, vcc, v3, v4, vcc
	v_mov_b32_e32 v6, 0
	s_or_b64 s[8:9], s[8:9], exec
; %bb.358:                              ;   in Loop: Header=BB123_12 Depth=1
	s_or_b64 exec, exec, s[10:11]
	s_and_b64 s[44:45], s[8:9], exec
	v_pk_mov_b32 v[4:5], v[2:3], v[2:3] op_sel:[0,1]
.LBB123_359:                            ;   in Loop: Header=BB123_12 Depth=1
	s_or_b64 exec, exec, s[4:5]
	s_mov_b64 s[4:5], -1
                                        ; implicit-def: $sgpr8_sgpr9
                                        ; implicit-def: $sgpr10_sgpr11
                                        ; implicit-def: $sgpr12_sgpr13
	s_and_saveexec_b64 s[22:23], s[44:45]
	s_cbranch_execz .LBB123_456
; %bb.360:                              ;   in Loop: Header=BB123_12 Depth=1
	s_cmp_eq_u64 s[18:19], 1
	s_cselect_b64 s[4:5], -1, 0
	v_cmp_eq_u64_e32 vcc, 1, v[4:5]
	s_and_b64 s[50:51], s[4:5], vcc
	s_mov_b64 s[10:11], -1
                                        ; implicit-def: $sgpr8_sgpr9
                                        ; implicit-def: $sgpr44_sgpr45
                                        ; implicit-def: $sgpr88_sgpr89
	s_and_saveexec_b64 s[48:49], s[50:51]
	s_cbranch_execz .LBB123_392
; %bb.361:                              ;   in Loop: Header=BB123_12 Depth=1
	ds_read_b64 v[2:3], v15 offset:5120
	s_waitcnt lgkmcnt(0)
	s_barrier
	v_readfirstlane_b32 s4, v2
	v_readfirstlane_b32 s5, v3
	s_mov_b64 s[8:9], exec
	v_readlane_b32 s10, v42, 30
	v_readlane_b32 s11, v42, 31
	s_and_b64 s[10:11], s[8:9], s[10:11]
	s_mov_b64 exec, s[10:11]
	s_cbranch_execz .LBB123_363
; %bb.362:                              ;   in Loop: Header=BB123_12 Depth=1
	ds_write_b8 v0, v15 offset:3072
.LBB123_363:                            ;   in Loop: Header=BB123_12 Depth=1
	s_or_b64 exec, exec, s[8:9]
	v_and_b32_e32 v2, s46, v32
	v_lshl_or_b32 v32, 1, s47, v2
	v_or_b32_e32 v31, s86, v31
	s_cmp_eq_u64 s[4:5], 0
	s_waitcnt lgkmcnt(0)
	s_barrier
	s_cbranch_scc1 .LBB123_376
; %bb.364:                              ;   in Loop: Header=BB123_12 Depth=1
	v_readlane_b32 s8, v42, 34
	s_add_u32 s12, s8, s4
	v_readlane_b32 s8, v42, 36
	s_addc_u32 s9, s8, s5
	s_mov_b32 s8, s87
	s_cmp_lg_u64 s[8:9], 0
	s_cbranch_scc0 .LBB123_410
; %bb.365:                              ;   in Loop: Header=BB123_12 Depth=1
	v_cvt_f32_u32_e32 v2, s33
	s_sub_u32 s8, 0, s33
	s_subb_u32 s10, 0, 0
	v_mac_f32_e32 v2, 0, v30
	v_rcp_f32_e32 v2, v2
	v_mul_f32_e32 v2, 0x5f7ffffc, v2
	v_mul_f32_e32 v3, 0x2f800000, v2
	v_trunc_f32_e32 v3, v3
	v_mac_f32_e32 v2, 0xcf800000, v3
	v_cvt_u32_f32_e32 v3, v3
	v_cvt_u32_f32_e32 v2, v2
	v_readfirstlane_b32 s11, v3
	v_readfirstlane_b32 s13, v2
	s_mul_i32 s44, s8, s11
	s_mul_hi_u32 s52, s8, s13
	s_mul_i32 s45, s10, s13
	s_add_i32 s44, s52, s44
	s_mul_i32 s53, s8, s13
	s_add_i32 s44, s44, s45
	s_mul_hi_u32 s52, s13, s53
	s_mul_hi_u32 s45, s13, s44
	s_mul_i32 s13, s13, s44
	s_add_u32 s13, s52, s13
	s_addc_u32 s45, 0, s45
	s_mul_hi_u32 s54, s11, s53
	s_mul_i32 s53, s11, s53
	s_add_u32 s13, s13, s53
	s_mul_hi_u32 s52, s11, s44
	s_addc_u32 s13, s45, s54
	s_addc_u32 s45, s52, 0
	s_mul_i32 s44, s11, s44
	s_add_u32 s13, s13, s44
	s_addc_u32 s44, 0, s45
	v_add_co_u32_e32 v2, vcc, s13, v2
	s_cmp_lg_u64 vcc, 0
	s_addc_u32 s11, s11, s44
	v_readfirstlane_b32 s44, v2
	s_mul_i32 s13, s8, s11
	s_mul_hi_u32 s45, s8, s44
	s_add_i32 s13, s45, s13
	s_mul_i32 s10, s10, s44
	s_add_i32 s13, s13, s10
	s_mul_i32 s8, s8, s44
	s_mul_hi_u32 s45, s11, s8
	s_mul_i32 s52, s11, s8
	s_mul_i32 s54, s44, s13
	s_mul_hi_u32 s8, s44, s8
	s_mul_hi_u32 s53, s44, s13
	s_add_u32 s8, s8, s54
	s_addc_u32 s44, 0, s53
	s_add_u32 s8, s8, s52
	s_mul_hi_u32 s10, s11, s13
	s_addc_u32 s8, s44, s45
	s_addc_u32 s10, s10, 0
	s_mul_i32 s13, s11, s13
	s_add_u32 s8, s8, s13
	s_addc_u32 s10, 0, s10
	v_add_co_u32_e32 v2, vcc, s8, v2
	s_cmp_lg_u64 vcc, 0
	s_addc_u32 s8, s11, s10
	v_readfirstlane_b32 s13, v2
	s_mul_i32 s11, s12, s8
	s_mul_hi_u32 s44, s12, s13
	s_mul_hi_u32 s10, s12, s8
	s_add_u32 s11, s44, s11
	s_addc_u32 s10, 0, s10
	s_mul_hi_u32 s45, s9, s13
	s_mul_i32 s13, s9, s13
	s_add_u32 s11, s11, s13
	s_mul_hi_u32 s44, s9, s8
	s_addc_u32 s10, s10, s45
	s_addc_u32 s11, s44, 0
	s_mul_i32 s8, s9, s8
	s_add_u32 s8, s10, s8
	s_addc_u32 s10, 0, s11
	s_mul_hi_u32 s11, s33, s8
	s_mul_i32 s8, s33, s8
	s_mul_i32 s10, s33, s10
	v_mov_b32_e32 v2, s8
	s_add_i32 s11, s11, s10
	v_sub_co_u32_e32 v2, vcc, s12, v2
	s_cmp_lg_u64 vcc, 0
	s_subb_u32 s8, s9, s11
	v_subrev_co_u32_e32 v3, vcc, s33, v2
	s_cmp_lg_u64 vcc, 0
	s_subb_u32 s10, s8, 0
	v_subrev_co_u32_e32 v6, vcc, s33, v3
	s_cmp_lg_u64 vcc, 0
	s_subb_u32 s11, s10, 0
	v_cmp_le_u32_e32 vcc, s33, v3
	s_cmp_eq_u32 s10, 0
	v_cndmask_b32_e64 v7, 0, -1, vcc
	s_cselect_b64 vcc, -1, 0
	v_cndmask_b32_e32 v7, -1, v7, vcc
	v_mov_b32_e32 v8, s10
	v_mov_b32_e32 v9, s11
	v_cmp_ne_u32_e32 vcc, 0, v7
	v_cndmask_b32_e32 v7, v8, v9, vcc
	v_cndmask_b32_e32 v6, v3, v6, vcc
	v_cmp_le_u32_e32 vcc, s33, v2
	s_cmp_eq_u32 s8, 0
	v_cndmask_b32_e64 v3, 0, -1, vcc
	s_cselect_b64 vcc, -1, 0
	v_cndmask_b32_e32 v3, -1, v3, vcc
	v_mov_b32_e32 v8, s8
	v_cmp_ne_u32_e32 vcc, 0, v3
	v_cndmask_b32_e32 v3, v8, v7, vcc
	v_cndmask_b32_e32 v2, v2, v6, vcc
	s_cbranch_execnz .LBB123_367
.LBB123_366:                            ;   in Loop: Header=BB123_12 Depth=1
	v_cvt_f32_u32_e32 v2, s33
	s_sub_i32 s8, 0, s33
	v_rcp_iflag_f32_e32 v2, v2
	v_mul_f32_e32 v2, 0x4f7ffffe, v2
	v_cvt_u32_f32_e32 v2, v2
	v_mul_lo_u32 v3, s8, v2
	v_mul_hi_u32 v3, v2, v3
	v_add_u32_e32 v2, v2, v3
	v_mul_hi_u32 v2, s12, v2
	v_mul_lo_u32 v2, v2, s33
	v_sub_u32_e32 v2, s12, v2
	v_subrev_u32_e32 v3, s33, v2
	v_cmp_le_u32_e32 vcc, s33, v2
	v_cndmask_b32_e32 v2, v2, v3, vcc
	v_subrev_u32_e32 v3, s33, v2
	v_cmp_le_u32_e32 vcc, s33, v2
	v_cndmask_b32_e32 v14, v2, v3, vcc
	v_pk_mov_b32 v[2:3], v[14:15], v[14:15] op_sel:[0,1]
.LBB123_367:                            ;   in Loop: Header=BB123_12 Depth=1
	v_mov_b32_e32 v6, s9
	v_sub_co_u32_e32 v2, vcc, s12, v2
	v_subb_co_u32_e32 v3, vcc, v6, v3, vcc
	v_cmp_gt_u64_e32 vcc, v[2:3], v[0:1]
	s_mov_b64 s[10:11], 0
                                        ; implicit-def: $vgpr33
	s_and_saveexec_b64 s[8:9], vcc
	s_cbranch_execz .LBB123_378
; %bb.368:                              ;   in Loop: Header=BB123_12 Depth=1
	v_mov_b32_e32 v8, v0
	v_pk_mov_b32 v[6:7], v[0:1], v[0:1] op_sel:[0,1]
                                        ; implicit-def: $sgpr12_sgpr13
	s_branch .LBB123_370
.LBB123_369:                            ;   in Loop: Header=BB123_370 Depth=2
	s_or_b64 exec, exec, s[44:45]
	s_waitcnt lgkmcnt(0)
	s_barrier
	ds_read_u16 v9, v15 offset:3072
	v_mov_b32_e32 v14, s90
	v_add_co_u32_e32 v6, vcc, s33, v6
	v_addc_co_u32_e32 v7, vcc, v7, v14, vcc
	s_waitcnt lgkmcnt(0)
	v_cmp_ne_u16_sdwa s[44:45], v9, v15 src0_sel:BYTE_0 src1_sel:DWORD
	v_cmp_ge_u64_e32 vcc, v[6:7], v[2:3]
	s_or_b64 s[52:53], vcc, s[44:45]
	s_and_b64 s[52:53], exec, s[52:53]
	s_or_b64 s[10:11], s[52:53], s[10:11]
	s_andn2_b64 s[12:13], s[12:13], exec
	s_and_b64 s[44:45], s[44:45], exec
	v_add_u32_e32 v8, s33, v8
	s_or_b64 s[12:13], s[12:13], s[44:45]
	s_barrier
	s_andn2_b64 exec, exec, s[10:11]
	s_cbranch_execz .LBB123_377
.LBB123_370:                            ;   Parent Loop BB123_12 Depth=1
                                        ; =>  This Inner Loop Header: Depth=2
	v_cmp_gt_u64_e32 vcc, s[4:5], v[6:7]
	v_mov_b32_e32 v9, 0
	s_and_saveexec_b64 s[44:45], vcc
	s_cbranch_execz .LBB123_372
; %bb.371:                              ;   in Loop: Header=BB123_370 Depth=2
	ds_read_u8 v9, v8
.LBB123_372:                            ;   in Loop: Header=BB123_370 Depth=2
	s_or_b64 exec, exec, s[44:45]
	s_waitcnt lgkmcnt(0)
	v_and_b32_e32 v14, v9, v31
	v_cmp_eq_u32_sdwa s[44:45], v14, v32 src0_sel:BYTE_0 src1_sel:DWORD
	s_and_b64 s[52:53], vcc, s[44:45]
	s_and_saveexec_b64 s[44:45], s[52:53]
	s_cbranch_execz .LBB123_369
; %bb.373:                              ;   in Loop: Header=BB123_370 Depth=2
	v_lshlrev_b16_e32 v9, 8, v9
	v_or_b32_e32 v9, 1, v9
	ds_write_b16 v15, v9 offset:3072
	s_branch .LBB123_369
.LBB123_374:                            ;   in Loop: Header=BB123_12 Depth=1
                                        ; implicit-def: $vgpr4_vgpr5
	s_branch .LBB123_322
.LBB123_375:                            ;   in Loop: Header=BB123_12 Depth=1
                                        ; implicit-def: $vgpr4_vgpr5
	s_branch .LBB123_337
.LBB123_376:                            ;   in Loop: Header=BB123_12 Depth=1
	s_mov_b64 s[8:9], -1
	s_mov_b64 s[10:11], 0
                                        ; implicit-def: $sgpr44_sgpr45
                                        ; implicit-def: $vgpr33
	s_mov_b64 s[88:89], s[8:9]
	s_cbranch_execnz .LBB123_379
	s_branch .LBB123_391
.LBB123_377:                            ;   in Loop: Header=BB123_12 Depth=1
	s_or_b64 exec, exec, s[10:11]
	v_lshrrev_b16_e32 v33, 8, v9
	s_and_b64 s[10:11], s[12:13], exec
.LBB123_378:                            ;   in Loop: Header=BB123_12 Depth=1
	s_or_b64 exec, exec, s[8:9]
	s_mov_b64 s[8:9], 0
	s_mov_b64 s[44:45], -1
	s_mov_b64 s[88:89], s[8:9]
	s_branch .LBB123_391
.LBB123_379:                            ;   in Loop: Header=BB123_12 Depth=1
	s_mov_b32 s94, s87
	s_cmp_lg_u64 s[94:95], 0
	s_cbranch_scc0 .LBB123_411
; %bb.380:                              ;   in Loop: Header=BB123_12 Depth=1
	v_cvt_f32_u32_e32 v2, s33
	s_sub_u32 s4, 0, s33
	s_subb_u32 s5, 0, 0
	v_mac_f32_e32 v2, 0, v30
	v_rcp_f32_e32 v2, v2
	v_mul_f32_e32 v2, 0x5f7ffffc, v2
	v_mul_f32_e32 v3, 0x2f800000, v2
	v_trunc_f32_e32 v3, v3
	v_mac_f32_e32 v2, 0xcf800000, v3
	v_cvt_u32_f32_e32 v3, v3
	v_cvt_u32_f32_e32 v2, v2
	v_readfirstlane_b32 s8, v3
	v_readfirstlane_b32 s9, v2
	s_mul_i32 s10, s4, s8
	s_mul_hi_u32 s12, s4, s9
	s_mul_i32 s11, s5, s9
	s_add_i32 s10, s12, s10
	s_mul_i32 s13, s4, s9
	s_add_i32 s10, s10, s11
	s_mul_hi_u32 s12, s9, s13
	s_mul_hi_u32 s11, s9, s10
	s_mul_i32 s9, s9, s10
	s_add_u32 s9, s12, s9
	s_addc_u32 s11, 0, s11
	s_mul_hi_u32 s44, s8, s13
	s_mul_i32 s13, s8, s13
	s_add_u32 s9, s9, s13
	s_mul_hi_u32 s12, s8, s10
	s_addc_u32 s9, s11, s44
	s_addc_u32 s11, s12, 0
	s_mul_i32 s10, s8, s10
	s_add_u32 s9, s9, s10
	s_addc_u32 s10, 0, s11
	v_add_co_u32_e32 v2, vcc, s9, v2
	s_cmp_lg_u64 vcc, 0
	s_addc_u32 s8, s8, s10
	v_readfirstlane_b32 s10, v2
	s_mul_i32 s9, s4, s8
	s_mul_hi_u32 s11, s4, s10
	s_add_i32 s9, s11, s9
	s_mul_i32 s5, s5, s10
	s_add_i32 s9, s9, s5
	s_mul_i32 s4, s4, s10
	s_mul_hi_u32 s11, s8, s4
	s_mul_i32 s12, s8, s4
	s_mul_i32 s44, s10, s9
	s_mul_hi_u32 s4, s10, s4
	s_mul_hi_u32 s13, s10, s9
	s_add_u32 s4, s4, s44
	s_addc_u32 s10, 0, s13
	s_add_u32 s4, s4, s12
	s_mul_hi_u32 s5, s8, s9
	s_addc_u32 s4, s10, s11
	s_addc_u32 s5, s5, 0
	s_mul_i32 s9, s8, s9
	s_add_u32 s4, s4, s9
	s_addc_u32 s5, 0, s5
	v_add_co_u32_e32 v2, vcc, s4, v2
	s_cmp_lg_u64 vcc, 0
	s_addc_u32 s4, s8, s5
	v_readlane_b32 s12, v42, 35
	v_readfirstlane_b32 s9, v2
	s_mul_i32 s8, s12, s4
	s_mul_hi_u32 s10, s12, s9
	s_mul_hi_u32 s5, s12, s4
	s_add_u32 s8, s10, s8
	s_addc_u32 s5, 0, s5
	s_mul_hi_u32 s11, s95, s9
	s_mul_i32 s9, s95, s9
	s_add_u32 s8, s8, s9
	s_mul_hi_u32 s10, s95, s4
	s_addc_u32 s5, s5, s11
	s_addc_u32 s8, s10, 0
	s_mul_i32 s4, s95, s4
	s_add_u32 s4, s5, s4
	s_addc_u32 s5, 0, s8
	s_mul_hi_u32 s8, s33, s4
	s_mul_i32 s4, s33, s4
	s_mul_i32 s5, s33, s5
	v_mov_b32_e32 v2, s4
	s_add_i32 s8, s8, s5
	v_sub_co_u32_e32 v2, vcc, s12, v2
	s_cmp_lg_u64 vcc, 0
	s_subb_u32 s4, s95, s8
	v_subrev_co_u32_e32 v3, vcc, s33, v2
	s_cmp_lg_u64 vcc, 0
	s_subb_u32 s5, s4, 0
	v_subrev_co_u32_e32 v6, vcc, s33, v3
	s_cmp_lg_u64 vcc, 0
	s_subb_u32 s8, s5, 0
	v_cmp_le_u32_e32 vcc, s33, v3
	s_cmp_eq_u32 s5, 0
	v_cndmask_b32_e64 v7, 0, -1, vcc
	s_cselect_b64 vcc, -1, 0
	v_cndmask_b32_e32 v7, -1, v7, vcc
	v_mov_b32_e32 v8, s5
	v_mov_b32_e32 v9, s8
	v_cmp_ne_u32_e32 vcc, 0, v7
	v_cndmask_b32_e32 v7, v8, v9, vcc
	v_cndmask_b32_e32 v6, v3, v6, vcc
	v_cmp_le_u32_e32 vcc, s33, v2
	s_cmp_eq_u32 s4, 0
	v_cndmask_b32_e64 v3, 0, -1, vcc
	s_cselect_b64 vcc, -1, 0
	v_cndmask_b32_e32 v3, -1, v3, vcc
	v_mov_b32_e32 v8, s4
	v_cmp_ne_u32_e32 vcc, 0, v3
	v_cndmask_b32_e32 v3, v8, v7, vcc
	v_cndmask_b32_e32 v2, v2, v6, vcc
	s_cbranch_execnz .LBB123_382
.LBB123_381:                            ;   in Loop: Header=BB123_12 Depth=1
	v_cvt_f32_u32_e32 v2, s33
	s_sub_i32 s4, 0, s33
	v_rcp_iflag_f32_e32 v2, v2
	v_mul_f32_e32 v2, 0x4f7ffffe, v2
	v_cvt_u32_f32_e32 v2, v2
	v_mul_lo_u32 v3, s4, v2
	v_mul_hi_u32 v3, v2, v3
	v_add_u32_e32 v2, v2, v3
	v_readlane_b32 s4, v42, 35
	v_mul_hi_u32 v2, s4, v2
	v_mul_lo_u32 v2, v2, s33
	v_sub_u32_e32 v2, s4, v2
	v_subrev_u32_e32 v3, s33, v2
	v_cmp_le_u32_e32 vcc, s33, v2
	v_cndmask_b32_e32 v2, v2, v3, vcc
	v_subrev_u32_e32 v3, s33, v2
	v_cmp_le_u32_e32 vcc, s33, v2
	v_cndmask_b32_e32 v14, v2, v3, vcc
	v_pk_mov_b32 v[2:3], v[14:15], v[14:15] op_sel:[0,1]
.LBB123_382:                            ;   in Loop: Header=BB123_12 Depth=1
	v_readlane_b32 s4, v42, 35
	v_mov_b32_e32 v6, s95
	v_sub_co_u32_e32 v2, vcc, s4, v2
	v_subb_co_u32_e32 v3, vcc, v6, v3, vcc
	v_cmp_gt_u64_e32 vcc, v[2:3], v[0:1]
	s_mov_b64 s[10:11], 0
                                        ; implicit-def: $vgpr33
	s_and_saveexec_b64 s[4:5], vcc
	s_cbranch_execz .LBB123_390
; %bb.383:                              ;   in Loop: Header=BB123_12 Depth=1
	s_mov_b64 s[8:9], 0
	v_pk_mov_b32 v[6:7], v[0:1], v[0:1] op_sel:[0,1]
                                        ; implicit-def: $sgpr10_sgpr11
	s_branch .LBB123_385
.LBB123_384:                            ;   in Loop: Header=BB123_385 Depth=2
	s_or_b64 exec, exec, s[12:13]
	s_waitcnt lgkmcnt(0)
	s_barrier
	ds_read_u16 v8, v15 offset:3072
	v_mov_b32_e32 v9, s90
	v_add_co_u32_e32 v6, vcc, s33, v6
	v_addc_co_u32_e32 v7, vcc, v7, v9, vcc
	s_waitcnt lgkmcnt(0)
	v_cmp_ne_u16_sdwa s[12:13], v8, v15 src0_sel:BYTE_0 src1_sel:DWORD
	v_cmp_ge_u64_e32 vcc, v[6:7], v[2:3]
	s_or_b64 s[44:45], vcc, s[12:13]
	s_and_b64 s[44:45], exec, s[44:45]
	s_or_b64 s[8:9], s[44:45], s[8:9]
	s_andn2_b64 s[10:11], s[10:11], exec
	s_and_b64 s[12:13], s[12:13], exec
	s_or_b64 s[10:11], s[10:11], s[12:13]
	s_barrier
	s_andn2_b64 exec, exec, s[8:9]
	s_cbranch_execz .LBB123_389
.LBB123_385:                            ;   Parent Loop BB123_12 Depth=1
                                        ; =>  This Inner Loop Header: Depth=2
	v_cmp_gt_u64_e32 vcc, s[60:61], v[6:7]
	v_mov_b32_e32 v8, 0
	s_and_saveexec_b64 s[12:13], vcc
	s_cbranch_execz .LBB123_387
; %bb.386:                              ;   in Loop: Header=BB123_385 Depth=2
	v_pk_mov_b32 v[8:9], s[56:57], s[56:57] op_sel:[0,1]
	v_mad_u64_u32 v[8:9], s[44:45], v6, s58, v[8:9]
	v_mul_lo_u32 v14, v6, s59
	v_mul_lo_u32 v20, v7, s58
	v_add3_u32 v9, v20, v9, v14
	global_load_ubyte v8, v[8:9], off
.LBB123_387:                            ;   in Loop: Header=BB123_385 Depth=2
	s_or_b64 exec, exec, s[12:13]
	s_waitcnt vmcnt(0)
	v_and_b32_e32 v9, v8, v31
	v_cmp_eq_u32_sdwa s[12:13], v9, v32 src0_sel:BYTE_0 src1_sel:DWORD
	s_and_b64 s[44:45], vcc, s[12:13]
	s_and_saveexec_b64 s[12:13], s[44:45]
	s_cbranch_execz .LBB123_384
; %bb.388:                              ;   in Loop: Header=BB123_385 Depth=2
	v_lshlrev_b16_e32 v8, 8, v8
	v_or_b32_e32 v8, 1, v8
	ds_write_b16 v15, v8 offset:3072
	s_branch .LBB123_384
.LBB123_389:                            ;   in Loop: Header=BB123_12 Depth=1
	s_or_b64 exec, exec, s[8:9]
	v_lshrrev_b16_e32 v33, 8, v8
	s_and_b64 s[10:11], s[10:11], exec
.LBB123_390:                            ;   in Loop: Header=BB123_12 Depth=1
	s_or_b64 exec, exec, s[4:5]
	s_mov_b64 s[44:45], 0
	s_mov_b64 s[8:9], -1
	s_mov_b64 s[88:89], 0
.LBB123_391:                            ;   in Loop: Header=BB123_12 Depth=1
	s_orn2_b64 s[10:11], s[10:11], exec
.LBB123_392:                            ;   in Loop: Header=BB123_12 Depth=1
	s_or_b64 exec, exec, s[48:49]
	s_mov_b64 s[4:5], 0
                                        ; implicit-def: $vgpr6
	s_and_saveexec_b64 s[48:49], s[10:11]
	s_cbranch_execz .LBB123_455
; %bb.393:                              ;   in Loop: Header=BB123_12 Depth=1
	v_mov_b32_e32 v2, 1
	s_xor_b64 s[10:11], s[50:51], -1
	s_mov_b64 s[52:53], 0
	v_mov_b32_e32 v3, 0
	v_mov_b32_e32 v6, 1
	s_and_saveexec_b64 s[4:5], s[10:11]
	s_cbranch_execz .LBB123_403
; %bb.394:                              ;   in Loop: Header=BB123_12 Depth=1
	v_cmp_ge_u64_e32 vcc, s[18:19], v[4:5]
                                        ; implicit-def: $sgpr50
                                        ; implicit-def: $sgpr10_sgpr11
	s_and_saveexec_b64 s[12:13], vcc
	s_xor_b64 s[12:13], exec, s[12:13]
	s_cbranch_execz .LBB123_400
; %bb.395:                              ;   in Loop: Header=BB123_12 Depth=1
	ds_read_b64 v[2:3], v15 offset:5120
	s_waitcnt lgkmcnt(0)
	v_cmp_ne_u64_e32 vcc, 0, v[2:3]
	s_cbranch_vccnz .LBB123_399
; %bb.396:                              ;   in Loop: Header=BB123_12 Depth=1
	s_mov_b64 s[10:11], exec
	v_readlane_b32 s50, v42, 12
	v_readlane_b32 s51, v42, 13
	s_and_b64 s[50:51], s[10:11], s[50:51]
	s_mov_b64 exec, s[50:51]
	s_cbranch_execz .LBB123_398
; %bb.397:                              ;   in Loop: Header=BB123_12 Depth=1
	v_pk_mov_b32 v[2:3], s[18:19], s[18:19] op_sel:[0,1]
	ds_write_b64 v15, v[2:3] offset:5128
.LBB123_398:                            ;   in Loop: Header=BB123_12 Depth=1
	s_or_b64 exec, exec, s[10:11]
	s_waitcnt lgkmcnt(0)
	s_barrier
.LBB123_399:                            ;   in Loop: Header=BB123_12 Depth=1
	v_and_b32_e32 v2, s46, v32
	v_lshl_or_b32 v32, 1, s47, v2
	v_or_b32_e32 v31, s86, v31
	s_mov_b64 s[10:11], 0
	s_mov_b32 s50, 5
.LBB123_400:                            ;   in Loop: Header=BB123_12 Depth=1
	s_or_saveexec_b64 s[12:13], s[12:13]
	v_mov_b32_e32 v6, s50
	s_xor_b64 exec, exec, s[12:13]
; %bb.401:                              ;   in Loop: Header=BB123_12 Depth=1
	v_mov_b32_e32 v2, s19
	v_subrev_co_u32_e32 v4, vcc, s18, v4
	v_subb_co_u32_e32 v5, vcc, v5, v2, vcc
	v_mov_b32_e32 v6, 0
	s_or_b64 s[10:11], s[10:11], exec
; %bb.402:                              ;   in Loop: Header=BB123_12 Depth=1
	s_or_b64 exec, exec, s[12:13]
	s_and_b64 s[52:53], s[10:11], exec
	v_pk_mov_b32 v[2:3], v[4:5], v[4:5] op_sel:[0,1]
.LBB123_403:                            ;   in Loop: Header=BB123_12 Depth=1
	s_or_b64 exec, exec, s[4:5]
	s_mov_b64 s[50:51], -1
                                        ; implicit-def: $sgpr4_sgpr5
                                        ; implicit-def: $sgpr10_sgpr11
                                        ; implicit-def: $sgpr12_sgpr13
	s_and_saveexec_b64 s[18:19], s[52:53]
	s_cbranch_execz .LBB123_454
; %bb.404:                              ;   in Loop: Header=BB123_12 Depth=1
	s_cmp_eq_u64 s[16:17], 1
	s_cselect_b64 s[4:5], -1, 0
	v_cmp_eq_u64_e32 vcc, 1, v[2:3]
	s_and_b64 s[50:51], s[4:5], vcc
	s_mov_b64 s[54:55], -1
                                        ; implicit-def: $sgpr4_sgpr5
                                        ; implicit-def: $sgpr10_sgpr11
                                        ; implicit-def: $sgpr12_sgpr13
	s_and_saveexec_b64 s[52:53], s[50:51]
	s_cbranch_execz .LBB123_441
; %bb.405:                              ;   in Loop: Header=BB123_12 Depth=1
	ds_read_b64 v[4:5], v15 offset:5120
	s_waitcnt lgkmcnt(0)
	s_barrier
	v_readfirstlane_b32 s4, v4
	v_readfirstlane_b32 s5, v5
	s_mov_b64 s[10:11], exec
	v_readlane_b32 s12, v42, 30
	v_readlane_b32 s13, v42, 31
	s_and_b64 s[12:13], s[10:11], s[12:13]
	s_mov_b64 exec, s[12:13]
	s_cbranch_execz .LBB123_407
; %bb.406:                              ;   in Loop: Header=BB123_12 Depth=1
	ds_write_b8 v0, v15 offset:3072
.LBB123_407:                            ;   in Loop: Header=BB123_12 Depth=1
	s_or_b64 exec, exec, s[10:11]
	v_and_b32_e32 v32, s46, v32
	v_or_b32_e32 v31, s86, v31
	s_cmp_eq_u64 s[4:5], 0
	s_waitcnt lgkmcnt(0)
	s_barrier
	s_cbranch_scc1 .LBB123_412
; %bb.408:                              ;   in Loop: Header=BB123_12 Depth=1
	v_readlane_b32 s10, v42, 34
	s_add_u32 s47, s10, s4
	v_readlane_b32 s10, v42, 36
	s_addc_u32 s11, s10, s5
	s_mov_b32 s10, s87
	s_cmp_lg_u64 s[10:11], 0
	s_cbranch_scc0 .LBB123_413
; %bb.409:                              ;   in Loop: Header=BB123_12 Depth=1
	v_cvt_f32_u32_e32 v4, s33
	s_sub_u32 s10, 0, s33
	s_subb_u32 s12, 0, 0
	v_mac_f32_e32 v4, 0, v30
	v_rcp_f32_e32 v4, v4
	v_mul_f32_e32 v4, 0x5f7ffffc, v4
	v_mul_f32_e32 v5, 0x2f800000, v4
	v_trunc_f32_e32 v5, v5
	v_mac_f32_e32 v4, 0xcf800000, v5
	v_cvt_u32_f32_e32 v5, v5
	v_cvt_u32_f32_e32 v4, v4
	v_readfirstlane_b32 s13, v5
	v_readfirstlane_b32 s54, v4
	s_mul_i32 s55, s10, s13
	s_mul_hi_u32 s73, s10, s54
	s_mul_i32 s72, s12, s54
	s_add_i32 s55, s73, s55
	s_mul_i32 s92, s10, s54
	s_add_i32 s55, s55, s72
	s_mul_hi_u32 s73, s54, s92
	s_mul_hi_u32 s72, s54, s55
	s_mul_i32 s54, s54, s55
	s_add_u32 s54, s73, s54
	s_addc_u32 s72, 0, s72
	s_mul_hi_u32 s93, s13, s92
	s_mul_i32 s92, s13, s92
	s_add_u32 s54, s54, s92
	s_mul_hi_u32 s73, s13, s55
	s_addc_u32 s54, s72, s93
	s_addc_u32 s72, s73, 0
	s_mul_i32 s55, s13, s55
	s_add_u32 s54, s54, s55
	s_addc_u32 s55, 0, s72
	v_add_co_u32_e32 v4, vcc, s54, v4
	s_cmp_lg_u64 vcc, 0
	s_addc_u32 s13, s13, s55
	v_readfirstlane_b32 s55, v4
	s_mul_i32 s54, s10, s13
	s_mul_hi_u32 s72, s10, s55
	s_add_i32 s54, s72, s54
	s_mul_i32 s12, s12, s55
	s_add_i32 s54, s54, s12
	s_mul_i32 s10, s10, s55
	s_mul_hi_u32 s72, s13, s10
	s_mul_i32 s73, s13, s10
	s_mul_i32 s93, s55, s54
	s_mul_hi_u32 s10, s55, s10
	s_mul_hi_u32 s92, s55, s54
	s_add_u32 s10, s10, s93
	s_addc_u32 s55, 0, s92
	s_add_u32 s10, s10, s73
	s_mul_hi_u32 s12, s13, s54
	s_addc_u32 s10, s55, s72
	s_addc_u32 s12, s12, 0
	s_mul_i32 s54, s13, s54
	s_add_u32 s10, s10, s54
	s_addc_u32 s12, 0, s12
	v_add_co_u32_e32 v4, vcc, s10, v4
	s_cmp_lg_u64 vcc, 0
	s_addc_u32 s10, s13, s12
	v_readfirstlane_b32 s54, v4
	s_mul_i32 s13, s47, s10
	s_mul_hi_u32 s55, s47, s54
	s_mul_hi_u32 s12, s47, s10
	s_add_u32 s13, s55, s13
	s_addc_u32 s12, 0, s12
	s_mul_hi_u32 s72, s11, s54
	s_mul_i32 s54, s11, s54
	s_add_u32 s13, s13, s54
	s_mul_hi_u32 s55, s11, s10
	s_addc_u32 s12, s12, s72
	s_addc_u32 s13, s55, 0
	s_mul_i32 s10, s11, s10
	s_add_u32 s10, s12, s10
	s_addc_u32 s12, 0, s13
	s_mul_hi_u32 s13, s33, s10
	s_mul_i32 s10, s33, s10
	s_mul_i32 s12, s33, s12
	v_mov_b32_e32 v4, s10
	s_add_i32 s13, s13, s12
	v_sub_co_u32_e32 v4, vcc, s47, v4
	s_cmp_lg_u64 vcc, 0
	s_subb_u32 s10, s11, s13
	v_subrev_co_u32_e32 v5, vcc, s33, v4
	s_cmp_lg_u64 vcc, 0
	s_subb_u32 s12, s10, 0
	v_subrev_co_u32_e32 v6, vcc, s33, v5
	s_cmp_lg_u64 vcc, 0
	s_subb_u32 s13, s12, 0
	v_cmp_le_u32_e32 vcc, s33, v5
	s_cmp_eq_u32 s12, 0
	v_cndmask_b32_e64 v7, 0, -1, vcc
	s_cselect_b64 vcc, -1, 0
	v_cndmask_b32_e32 v7, -1, v7, vcc
	v_mov_b32_e32 v8, s12
	v_mov_b32_e32 v9, s13
	v_cmp_ne_u32_e32 vcc, 0, v7
	v_cndmask_b32_e32 v7, v8, v9, vcc
	v_cndmask_b32_e32 v6, v5, v6, vcc
	v_cmp_le_u32_e32 vcc, s33, v4
	s_cmp_eq_u32 s10, 0
	v_cndmask_b32_e64 v5, 0, -1, vcc
	s_cselect_b64 vcc, -1, 0
	v_cndmask_b32_e32 v5, -1, v5, vcc
	v_mov_b32_e32 v8, s10
	v_cmp_ne_u32_e32 vcc, 0, v5
	v_cndmask_b32_e32 v5, v8, v7, vcc
	v_cndmask_b32_e32 v4, v4, v6, vcc
	s_mov_b64 s[12:13], 0
	s_branch .LBB123_414
.LBB123_410:                            ;   in Loop: Header=BB123_12 Depth=1
                                        ; implicit-def: $vgpr2_vgpr3
	s_branch .LBB123_366
.LBB123_411:                            ;   in Loop: Header=BB123_12 Depth=1
                                        ; implicit-def: $vgpr2_vgpr3
	s_branch .LBB123_381
.LBB123_412:                            ;   in Loop: Header=BB123_12 Depth=1
	s_mov_b64 s[4:5], -1
	s_mov_b64 s[54:55], 0
                                        ; implicit-def: $sgpr10_sgpr11
                                        ; implicit-def: $vgpr33
	s_branch .LBB123_425
.LBB123_413:                            ;   in Loop: Header=BB123_12 Depth=1
	s_mov_b64 s[12:13], -1
                                        ; implicit-def: $vgpr4_vgpr5
.LBB123_414:                            ;   in Loop: Header=BB123_12 Depth=1
	s_andn2_b64 vcc, exec, s[12:13]
	s_cbranch_vccnz .LBB123_416
; %bb.415:                              ;   in Loop: Header=BB123_12 Depth=1
	v_cvt_f32_u32_e32 v4, s33
	s_sub_i32 s10, 0, s33
	v_rcp_iflag_f32_e32 v4, v4
	v_mul_f32_e32 v4, 0x4f7ffffe, v4
	v_cvt_u32_f32_e32 v4, v4
	v_mul_lo_u32 v5, s10, v4
	v_mul_hi_u32 v5, v4, v5
	v_add_u32_e32 v4, v4, v5
	v_mul_hi_u32 v4, s47, v4
	v_mul_lo_u32 v4, v4, s33
	v_sub_u32_e32 v4, s47, v4
	v_subrev_u32_e32 v5, s33, v4
	v_cmp_le_u32_e32 vcc, s33, v4
	v_cndmask_b32_e32 v4, v4, v5, vcc
	v_subrev_u32_e32 v5, s33, v4
	v_cmp_le_u32_e32 vcc, s33, v4
	v_cndmask_b32_e32 v14, v4, v5, vcc
	v_pk_mov_b32 v[4:5], v[14:15], v[14:15] op_sel:[0,1]
.LBB123_416:                            ;   in Loop: Header=BB123_12 Depth=1
	v_mov_b32_e32 v6, s11
	v_sub_co_u32_e32 v4, vcc, s47, v4
	v_subb_co_u32_e32 v5, vcc, v6, v5, vcc
	v_cmp_gt_u64_e32 vcc, v[4:5], v[0:1]
	s_mov_b64 s[54:55], 0
                                        ; implicit-def: $vgpr33
	s_and_saveexec_b64 s[10:11], vcc
	s_cbranch_execz .LBB123_424
; %bb.417:                              ;   in Loop: Header=BB123_12 Depth=1
	s_mov_b64 s[12:13], 0
	v_mov_b32_e32 v8, v0
	v_pk_mov_b32 v[6:7], v[0:1], v[0:1] op_sel:[0,1]
                                        ; implicit-def: $sgpr54_sgpr55
	s_branch .LBB123_419
.LBB123_418:                            ;   in Loop: Header=BB123_419 Depth=2
	s_or_b64 exec, exec, s[72:73]
	s_waitcnt lgkmcnt(0)
	s_barrier
	ds_read_u16 v9, v15 offset:3072
	v_mov_b32_e32 v14, s90
	v_add_co_u32_e32 v6, vcc, s33, v6
	v_addc_co_u32_e32 v7, vcc, v7, v14, vcc
	s_waitcnt lgkmcnt(0)
	v_cmp_ne_u16_sdwa s[72:73], v9, v15 src0_sel:BYTE_0 src1_sel:DWORD
	v_cmp_ge_u64_e32 vcc, v[6:7], v[4:5]
	s_or_b64 s[92:93], vcc, s[72:73]
	s_and_b64 s[92:93], exec, s[92:93]
	s_or_b64 s[12:13], s[92:93], s[12:13]
	s_andn2_b64 s[54:55], s[54:55], exec
	s_and_b64 s[72:73], s[72:73], exec
	v_add_u32_e32 v8, s33, v8
	s_or_b64 s[54:55], s[54:55], s[72:73]
	s_barrier
	s_andn2_b64 exec, exec, s[12:13]
	s_cbranch_execz .LBB123_423
.LBB123_419:                            ;   Parent Loop BB123_12 Depth=1
                                        ; =>  This Inner Loop Header: Depth=2
	v_cmp_gt_u64_e32 vcc, s[4:5], v[6:7]
	v_mov_b32_e32 v9, 0
	s_and_saveexec_b64 s[72:73], vcc
	s_cbranch_execz .LBB123_421
; %bb.420:                              ;   in Loop: Header=BB123_419 Depth=2
	ds_read_u8 v9, v8
.LBB123_421:                            ;   in Loop: Header=BB123_419 Depth=2
	s_or_b64 exec, exec, s[72:73]
	s_waitcnt lgkmcnt(0)
	v_and_b32_e32 v14, v9, v31
	v_cmp_eq_u32_sdwa s[72:73], v14, v32 src0_sel:BYTE_0 src1_sel:DWORD
	s_and_b64 s[92:93], vcc, s[72:73]
	s_and_saveexec_b64 s[72:73], s[92:93]
	s_cbranch_execz .LBB123_418
; %bb.422:                              ;   in Loop: Header=BB123_419 Depth=2
	v_lshlrev_b16_e32 v9, 8, v9
	v_or_b32_e32 v9, 1, v9
	ds_write_b16 v15, v9 offset:3072
	s_branch .LBB123_418
.LBB123_423:                            ;   in Loop: Header=BB123_12 Depth=1
	s_or_b64 exec, exec, s[12:13]
	v_lshrrev_b16_e32 v33, 8, v9
	s_and_b64 s[54:55], s[54:55], exec
.LBB123_424:                            ;   in Loop: Header=BB123_12 Depth=1
	s_or_b64 exec, exec, s[10:11]
	s_mov_b64 s[4:5], 0
	s_mov_b64 s[10:11], -1
.LBB123_425:                            ;   in Loop: Header=BB123_12 Depth=1
	s_and_b64 vcc, exec, s[4:5]
	s_mov_b64 s[12:13], s[4:5]
	s_cbranch_vccz .LBB123_440
; %bb.426:                              ;   in Loop: Header=BB123_12 Depth=1
	s_mov_b32 s94, s87
	s_cmp_lg_u64 s[94:95], 0
	s_cbranch_scc0 .LBB123_428
; %bb.427:                              ;   in Loop: Header=BB123_12 Depth=1
	v_cvt_f32_u32_e32 v4, s33
	s_sub_u32 s4, 0, s33
	s_subb_u32 s5, 0, 0
	v_mac_f32_e32 v4, 0, v30
	v_rcp_f32_e32 v4, v4
	v_mul_f32_e32 v4, 0x5f7ffffc, v4
	v_mul_f32_e32 v5, 0x2f800000, v4
	v_trunc_f32_e32 v5, v5
	v_mac_f32_e32 v4, 0xcf800000, v5
	v_cvt_u32_f32_e32 v5, v5
	v_cvt_u32_f32_e32 v4, v4
	v_readfirstlane_b32 s10, v5
	v_readfirstlane_b32 s11, v4
	s_mul_i32 s12, s4, s10
	s_mul_hi_u32 s47, s4, s11
	s_mul_i32 s13, s5, s11
	s_add_i32 s12, s47, s12
	s_mul_i32 s54, s4, s11
	s_add_i32 s12, s12, s13
	s_mul_hi_u32 s47, s11, s54
	s_mul_hi_u32 s13, s11, s12
	s_mul_i32 s11, s11, s12
	s_add_u32 s11, s47, s11
	s_addc_u32 s13, 0, s13
	s_mul_hi_u32 s55, s10, s54
	s_mul_i32 s54, s10, s54
	s_add_u32 s11, s11, s54
	s_mul_hi_u32 s47, s10, s12
	s_addc_u32 s11, s13, s55
	s_addc_u32 s13, s47, 0
	s_mul_i32 s12, s10, s12
	s_add_u32 s11, s11, s12
	s_addc_u32 s12, 0, s13
	v_add_co_u32_e32 v4, vcc, s11, v4
	s_cmp_lg_u64 vcc, 0
	s_addc_u32 s10, s10, s12
	v_readfirstlane_b32 s12, v4
	s_mul_i32 s11, s4, s10
	s_mul_hi_u32 s13, s4, s12
	s_add_i32 s11, s13, s11
	s_mul_i32 s5, s5, s12
	s_add_i32 s11, s11, s5
	s_mul_i32 s4, s4, s12
	s_mul_hi_u32 s13, s10, s4
	s_mul_i32 s47, s10, s4
	s_mul_i32 s55, s12, s11
	s_mul_hi_u32 s4, s12, s4
	s_mul_hi_u32 s54, s12, s11
	s_add_u32 s4, s4, s55
	s_addc_u32 s12, 0, s54
	s_add_u32 s4, s4, s47
	s_mul_hi_u32 s5, s10, s11
	s_addc_u32 s4, s12, s13
	s_addc_u32 s5, s5, 0
	s_mul_i32 s11, s10, s11
	s_add_u32 s4, s4, s11
	s_addc_u32 s5, 0, s5
	v_add_co_u32_e32 v4, vcc, s4, v4
	s_cmp_lg_u64 vcc, 0
	s_addc_u32 s4, s10, s5
	v_readlane_b32 s47, v42, 35
	v_readfirstlane_b32 s11, v4
	s_mul_i32 s10, s47, s4
	s_mul_hi_u32 s12, s47, s11
	s_mul_hi_u32 s5, s47, s4
	s_add_u32 s10, s12, s10
	s_addc_u32 s5, 0, s5
	s_mul_hi_u32 s13, s95, s11
	s_mul_i32 s11, s95, s11
	s_add_u32 s10, s10, s11
	s_mul_hi_u32 s12, s95, s4
	s_addc_u32 s5, s5, s13
	s_addc_u32 s10, s12, 0
	s_mul_i32 s4, s95, s4
	s_add_u32 s4, s5, s4
	s_addc_u32 s5, 0, s10
	s_mul_hi_u32 s10, s33, s4
	s_mul_i32 s4, s33, s4
	s_mul_i32 s5, s33, s5
	v_mov_b32_e32 v4, s4
	s_add_i32 s10, s10, s5
	v_sub_co_u32_e32 v4, vcc, s47, v4
	s_cmp_lg_u64 vcc, 0
	s_subb_u32 s4, s95, s10
	v_subrev_co_u32_e32 v5, vcc, s33, v4
	s_cmp_lg_u64 vcc, 0
	s_subb_u32 s5, s4, 0
	v_subrev_co_u32_e32 v6, vcc, s33, v5
	s_cmp_lg_u64 vcc, 0
	s_subb_u32 s10, s5, 0
	v_cmp_le_u32_e32 vcc, s33, v5
	s_cmp_eq_u32 s5, 0
	v_cndmask_b32_e64 v7, 0, -1, vcc
	s_cselect_b64 vcc, -1, 0
	v_cndmask_b32_e32 v7, -1, v7, vcc
	v_mov_b32_e32 v8, s5
	v_mov_b32_e32 v9, s10
	v_cmp_ne_u32_e32 vcc, 0, v7
	v_cndmask_b32_e32 v7, v8, v9, vcc
	v_cndmask_b32_e32 v6, v5, v6, vcc
	v_cmp_le_u32_e32 vcc, s33, v4
	s_cmp_eq_u32 s4, 0
	v_cndmask_b32_e64 v5, 0, -1, vcc
	s_cselect_b64 vcc, -1, 0
	v_cndmask_b32_e32 v5, -1, v5, vcc
	v_mov_b32_e32 v8, s4
	v_cmp_ne_u32_e32 vcc, 0, v5
	v_cndmask_b32_e32 v5, v8, v7, vcc
	v_cndmask_b32_e32 v4, v4, v6, vcc
	s_mov_b64 s[4:5], 0
	s_branch .LBB123_429
.LBB123_428:                            ;   in Loop: Header=BB123_12 Depth=1
	s_mov_b64 s[4:5], -1
                                        ; implicit-def: $vgpr4_vgpr5
.LBB123_429:                            ;   in Loop: Header=BB123_12 Depth=1
	s_andn2_b64 vcc, exec, s[4:5]
	s_cbranch_vccnz .LBB123_431
; %bb.430:                              ;   in Loop: Header=BB123_12 Depth=1
	v_cvt_f32_u32_e32 v4, s33
	s_sub_i32 s4, 0, s33
	v_rcp_iflag_f32_e32 v4, v4
	v_mul_f32_e32 v4, 0x4f7ffffe, v4
	v_cvt_u32_f32_e32 v4, v4
	v_mul_lo_u32 v5, s4, v4
	v_mul_hi_u32 v5, v4, v5
	v_add_u32_e32 v4, v4, v5
	v_readlane_b32 s4, v42, 35
	v_mul_hi_u32 v4, s4, v4
	v_mul_lo_u32 v4, v4, s33
	v_sub_u32_e32 v4, s4, v4
	v_subrev_u32_e32 v5, s33, v4
	v_cmp_le_u32_e32 vcc, s33, v4
	v_cndmask_b32_e32 v4, v4, v5, vcc
	v_subrev_u32_e32 v5, s33, v4
	v_cmp_le_u32_e32 vcc, s33, v4
	v_cndmask_b32_e32 v14, v4, v5, vcc
	v_pk_mov_b32 v[4:5], v[14:15], v[14:15] op_sel:[0,1]
.LBB123_431:                            ;   in Loop: Header=BB123_12 Depth=1
	v_readlane_b32 s4, v42, 35
	v_mov_b32_e32 v6, s95
	v_sub_co_u32_e32 v4, vcc, s4, v4
	v_subb_co_u32_e32 v5, vcc, v6, v5, vcc
	v_cmp_gt_u64_e32 vcc, v[4:5], v[0:1]
	s_mov_b64 s[54:55], 0
                                        ; implicit-def: $vgpr33
	s_and_saveexec_b64 s[4:5], vcc
	s_cbranch_execz .LBB123_439
; %bb.432:                              ;   in Loop: Header=BB123_12 Depth=1
	s_mov_b64 s[10:11], 0
	v_pk_mov_b32 v[6:7], v[0:1], v[0:1] op_sel:[0,1]
                                        ; implicit-def: $sgpr12_sgpr13
	s_branch .LBB123_434
.LBB123_433:                            ;   in Loop: Header=BB123_434 Depth=2
	s_or_b64 exec, exec, s[54:55]
	s_waitcnt lgkmcnt(0)
	s_barrier
	ds_read_u16 v8, v15 offset:3072
	v_mov_b32_e32 v9, s90
	v_add_co_u32_e32 v6, vcc, s33, v6
	v_addc_co_u32_e32 v7, vcc, v7, v9, vcc
	s_waitcnt lgkmcnt(0)
	v_cmp_ne_u16_sdwa s[54:55], v8, v15 src0_sel:BYTE_0 src1_sel:DWORD
	v_cmp_ge_u64_e32 vcc, v[6:7], v[4:5]
	s_or_b64 s[72:73], vcc, s[54:55]
	s_and_b64 s[72:73], exec, s[72:73]
	s_or_b64 s[10:11], s[72:73], s[10:11]
	s_andn2_b64 s[12:13], s[12:13], exec
	s_and_b64 s[54:55], s[54:55], exec
	s_or_b64 s[12:13], s[12:13], s[54:55]
	s_barrier
	s_andn2_b64 exec, exec, s[10:11]
	s_cbranch_execz .LBB123_438
.LBB123_434:                            ;   Parent Loop BB123_12 Depth=1
                                        ; =>  This Inner Loop Header: Depth=2
	v_cmp_gt_u64_e32 vcc, s[60:61], v[6:7]
	v_mov_b32_e32 v8, 0
	s_and_saveexec_b64 s[54:55], vcc
	s_cbranch_execz .LBB123_436
; %bb.435:                              ;   in Loop: Header=BB123_434 Depth=2
	v_pk_mov_b32 v[8:9], s[56:57], s[56:57] op_sel:[0,1]
	v_mad_u64_u32 v[8:9], s[72:73], v6, s58, v[8:9]
	v_mul_lo_u32 v14, v6, s59
	v_mul_lo_u32 v20, v7, s58
	v_add3_u32 v9, v20, v9, v14
	global_load_ubyte v8, v[8:9], off
.LBB123_436:                            ;   in Loop: Header=BB123_434 Depth=2
	s_or_b64 exec, exec, s[54:55]
	s_waitcnt vmcnt(0)
	v_and_b32_e32 v9, v8, v31
	v_cmp_eq_u32_sdwa s[54:55], v9, v32 src0_sel:BYTE_0 src1_sel:DWORD
	s_and_b64 s[72:73], vcc, s[54:55]
	s_and_saveexec_b64 s[54:55], s[72:73]
	s_cbranch_execz .LBB123_433
; %bb.437:                              ;   in Loop: Header=BB123_434 Depth=2
	v_lshlrev_b16_e32 v8, 8, v8
	v_or_b32_e32 v8, 1, v8
	ds_write_b16 v15, v8 offset:3072
	s_branch .LBB123_433
.LBB123_438:                            ;   in Loop: Header=BB123_12 Depth=1
	s_or_b64 exec, exec, s[10:11]
	v_lshrrev_b16_e32 v33, 8, v8
	s_and_b64 s[54:55], s[12:13], exec
.LBB123_439:                            ;   in Loop: Header=BB123_12 Depth=1
	s_or_b64 exec, exec, s[4:5]
	s_mov_b64 s[10:11], 0
	s_mov_b64 s[4:5], -1
	s_mov_b64 s[12:13], 0
.LBB123_440:                            ;   in Loop: Header=BB123_12 Depth=1
	s_orn2_b64 s[54:55], s[54:55], exec
.LBB123_441:                            ;   in Loop: Header=BB123_12 Depth=1
	s_or_b64 exec, exec, s[52:53]
	s_mov_b64 s[72:73], 0
                                        ; implicit-def: $vgpr6
                                        ; implicit-def: $vgpr4_vgpr5
	s_and_saveexec_b64 s[52:53], s[54:55]
	s_cbranch_execz .LBB123_453
; %bb.442:                              ;   in Loop: Header=BB123_12 Depth=1
	v_mov_b32_e32 v4, 1
	s_xor_b64 s[54:55], s[50:51], -1
	v_mov_b32_e32 v6, 1
	v_mov_b32_e32 v5, 0
	s_and_saveexec_b64 s[50:51], s[54:55]
	s_cbranch_execz .LBB123_452
; %bb.443:                              ;   in Loop: Header=BB123_12 Depth=1
	v_cmp_ge_u64_e32 vcc, s[16:17], v[2:3]
                                        ; implicit-def: $sgpr47
	s_and_saveexec_b64 s[54:55], vcc
	s_xor_b64 s[54:55], exec, s[54:55]
	s_cbranch_execz .LBB123_449
; %bb.444:                              ;   in Loop: Header=BB123_12 Depth=1
	ds_read_b64 v[4:5], v15 offset:5120
	s_waitcnt lgkmcnt(0)
	v_cmp_ne_u64_e32 vcc, 0, v[4:5]
	s_cbranch_vccnz .LBB123_448
; %bb.445:                              ;   in Loop: Header=BB123_12 Depth=1
	s_mov_b64 s[72:73], exec
	v_readlane_b32 s92, v42, 12
	v_readlane_b32 s93, v42, 13
	s_and_b64 s[92:93], s[72:73], s[92:93]
	s_mov_b64 exec, s[92:93]
	s_cbranch_execz .LBB123_447
; %bb.446:                              ;   in Loop: Header=BB123_12 Depth=1
	v_pk_mov_b32 v[4:5], s[16:17], s[16:17] op_sel:[0,1]
	ds_write_b64 v15, v[4:5] offset:5128
.LBB123_447:                            ;   in Loop: Header=BB123_12 Depth=1
	s_or_b64 exec, exec, s[72:73]
	s_waitcnt lgkmcnt(0)
	s_barrier
.LBB123_448:                            ;   in Loop: Header=BB123_12 Depth=1
	v_and_b32_e32 v32, s46, v32
	v_or_b32_e32 v31, s86, v31
	s_mov_b32 s47, 5
.LBB123_449:                            ;   in Loop: Header=BB123_12 Depth=1
	s_or_saveexec_b64 s[54:55], s[54:55]
	v_mov_b32_e32 v6, s47
	s_xor_b64 exec, exec, s[54:55]
; %bb.450:                              ;   in Loop: Header=BB123_12 Depth=1
	v_mov_b32_e32 v4, s17
	v_subrev_co_u32_e32 v2, vcc, s16, v2
	v_subb_co_u32_e32 v3, vcc, v3, v4, vcc
	v_mov_b32_e32 v6, 5
; %bb.451:                              ;   in Loop: Header=BB123_12 Depth=1
	s_or_b64 exec, exec, s[54:55]
	v_pk_mov_b32 v[4:5], v[2:3], v[2:3] op_sel:[0,1]
.LBB123_452:                            ;   in Loop: Header=BB123_12 Depth=1
	s_or_b64 exec, exec, s[50:51]
	s_mov_b64 s[72:73], exec
.LBB123_453:                            ;   in Loop: Header=BB123_12 Depth=1
	s_or_b64 exec, exec, s[52:53]
	s_orn2_b64 s[50:51], s[72:73], exec
	v_pk_mov_b32 v[2:3], v[4:5], v[4:5] op_sel:[0,1]
.LBB123_454:                            ;   in Loop: Header=BB123_12 Depth=1
	s_or_b64 exec, exec, s[18:19]
	s_andn2_b64 s[8:9], s[8:9], exec
	s_and_b64 s[4:5], s[4:5], exec
	s_or_b64 s[8:9], s[8:9], s[4:5]
	s_andn2_b64 s[4:5], s[44:45], exec
	s_and_b64 s[10:11], s[10:11], exec
	s_or_b64 s[44:45], s[4:5], s[10:11]
	;; [unrolled: 3-line block ×3, first 2 shown]
	s_and_b64 s[4:5], s[50:51], exec
	v_pk_mov_b32 v[4:5], v[2:3], v[2:3] op_sel:[0,1]
.LBB123_455:                            ;   in Loop: Header=BB123_12 Depth=1
	s_or_b64 exec, exec, s[48:49]
	s_and_b64 s[12:13], s[8:9], exec
	s_and_b64 s[10:11], s[44:45], exec
	;; [unrolled: 1-line block ×3, first 2 shown]
	s_orn2_b64 s[4:5], s[4:5], exec
.LBB123_456:                            ;   in Loop: Header=BB123_12 Depth=1
	s_or_b64 exec, exec, s[22:23]
	s_andn2_b64 s[16:17], s[24:25], exec
	s_and_b64 s[12:13], s[12:13], exec
	s_or_b64 s[24:25], s[16:17], s[12:13]
	s_andn2_b64 s[12:13], s[36:37], exec
	s_and_b64 s[10:11], s[10:11], exec
	s_or_b64 s[36:37], s[12:13], s[10:11]
	;; [unrolled: 3-line block ×3, first 2 shown]
	s_and_b64 s[12:13], s[4:5], exec
	v_pk_mov_b32 v[2:3], v[4:5], v[4:5] op_sel:[0,1]
.LBB123_457:                            ;   in Loop: Header=BB123_12 Depth=1
	s_or_b64 exec, exec, s[42:43]
	s_and_b64 s[10:11], s[24:25], exec
	s_and_b64 s[8:9], s[36:37], exec
	;; [unrolled: 1-line block ×3, first 2 shown]
	s_orn2_b64 s[24:25], s[12:13], exec
.LBB123_458:                            ;   in Loop: Header=BB123_12 Depth=1
	s_or_b64 exec, exec, s[6:7]
	s_mov_b64 s[6:7], s[28:29]
	s_mov_b64 s[12:13], s[26:27]
	s_and_saveexec_b64 s[16:17], s[24:25]
; %bb.459:                              ;   in Loop: Header=BB123_12 Depth=1
	v_cmp_ne_u32_e64 s[6:7], 5, v6
	v_cmp_eq_u32_e32 vcc, 5, v6
	s_andn2_b64 s[12:13], s[26:27], exec
	s_and_b64 s[6:7], s[6:7], exec
	s_or_b64 s[12:13], s[12:13], s[6:7]
	s_andn2_b64 s[6:7], s[28:29], exec
	s_and_b64 s[18:19], vcc, exec
	s_andn2_b64 s[10:11], s[10:11], exec
	s_andn2_b64 s[8:9], s[8:9], exec
	;; [unrolled: 1-line block ×3, first 2 shown]
	s_or_b64 s[6:7], s[6:7], s[18:19]
; %bb.460:                              ;   in Loop: Header=BB123_12 Depth=1
	s_or_b64 exec, exec, s[16:17]
	s_andn2_b64 s[14:15], s[14:15], exec
	s_and_b64 s[10:11], s[10:11], exec
	s_or_b64 s[14:15], s[14:15], s[10:11]
	s_andn2_b64 s[10:11], s[38:39], exec
	s_and_b64 s[8:9], s[8:9], exec
	s_or_b64 s[38:39], s[10:11], s[8:9]
	;; [unrolled: 3-line block ×5, first 2 shown]
	v_mov_b32_e32 v8, v32
	v_mov_b32_e32 v9, v31
	;; [unrolled: 1-line block ×3, first 2 shown]
.LBB123_461:                            ;   in Loop: Header=BB123_12 Depth=1
	s_or_b64 exec, exec, s[34:35]
	s_mov_b64 s[36:37], s[20:21]
	s_mov_b64 s[34:35], s[20:21]
	s_and_saveexec_b64 s[4:5], s[28:29]
.LBB123_462:                            ;   in Loop: Header=BB123_12 Depth=1
	v_mov_b32_e32 v6, 0
	s_andn2_b64 s[20:21], s[20:21], exec
	s_andn2_b64 s[14:15], s[14:15], exec
	s_andn2_b64 s[38:39], s[38:39], exec
	s_andn2_b64 s[36:37], s[36:37], exec
	s_andn2_b64 s[34:35], s[34:35], exec
	s_or_b64 s[26:27], s[26:27], exec
.LBB123_463:                            ;   in Loop: Header=BB123_12 Depth=1
	s_or_b64 exec, exec, s[4:5]
	s_andn2_b64 s[4:5], s[30:31], exec
	s_and_b64 s[8:9], s[20:21], exec
	s_or_b64 s[30:31], s[4:5], s[8:9]
	s_andn2_b64 s[4:5], s[64:65], exec
	s_and_b64 s[8:9], s[14:15], exec
	s_or_b64 s[64:65], s[4:5], s[8:9]
	;; [unrolled: 3-line block ×4, first 2 shown]
	s_andn2_b64 s[2:3], s[2:3], exec
	s_and_b64 s[4:5], s[34:35], exec
	s_mov_b64 s[6:7], -1
	s_or_b64 s[2:3], s[2:3], s[4:5]
                                        ; implicit-def: $vgpr31
                                        ; implicit-def: $vgpr32
                                        ; implicit-def: $vgpr20_vgpr21
                                        ; implicit-def: $vgpr33
	s_and_saveexec_b64 s[4:5], s[26:27]
	s_xor_b64 s[4:5], exec, s[4:5]
	s_cbranch_execz .LBB123_11
; %bb.464:                              ;   in Loop: Header=BB123_12 Depth=1
	v_cmp_eq_u32_e32 vcc, 0, v6
	s_mov_b64 s[8:9], -1
	s_and_saveexec_b64 s[10:11], vcc
	s_cbranch_execz .LBB123_10
; %bb.465:                              ;   in Loop: Header=BB123_12 Depth=1
	s_xor_b32 s91, s91, 1
	s_add_i32 s12, s83, -2
	s_cmp_eq_u32 s83, 0
	s_cselect_b64 s[6:7], -1, 0
	s_xor_b64 s[8:9], exec, -1
	s_orn2_b64 s[6:7], s[6:7], exec
	s_mov_b32 s83, s12
	s_branch .LBB123_10
.LBB123_466:
	s_or_b64 exec, exec, s[66:67]
	s_xor_b64 s[4:5], s[76:77], -1
	s_xor_b64 s[14:15], s[74:75], -1
	;; [unrolled: 1-line block ×5, first 2 shown]
	s_mov_b64 s[8:9], 0
	s_and_saveexec_b64 s[10:11], s[6:7]
	s_xor_b64 s[6:7], exec, s[10:11]
	s_cbranch_execnz .LBB123_471
; %bb.467:
	s_andn2_saveexec_b64 s[0:1], s[6:7]
	s_cbranch_execnz .LBB123_490
.LBB123_468:
	s_or_b64 exec, exec, s[0:1]
	s_and_saveexec_b64 s[0:1], s[8:9]
.LBB123_469:
	; divergent unreachable
.LBB123_470:
	s_endpgm
.LBB123_471:
	s_mov_b64 s[10:11], 0
	s_and_saveexec_b64 s[8:9], s[12:13]
	s_xor_b64 s[8:9], exec, s[8:9]
	s_cbranch_execz .LBB123_488
; %bb.472:
	s_mov_b64 s[12:13], 0
	s_and_saveexec_b64 s[10:11], s[14:15]
	s_xor_b64 s[10:11], exec, s[10:11]
	s_cbranch_execz .LBB123_486
; %bb.473:
	;; [unrolled: 5-line block ×3, first 2 shown]
	s_and_saveexec_b64 s[4:5], s[2:3]
	s_xor_b64 s[2:3], exec, s[4:5]
; %bb.475:
	v_mov_b32_e32 v22, v8
; %bb.476:
	s_or_b64 exec, exec, s[2:3]
	s_mov_b64 s[2:3], exec
	v_readlane_b32 s4, v42, 12
	v_readlane_b32 s5, v42, 13
	;; [unrolled: 1-line block ×4, first 2 shown]
	s_and_b64 s[4:5], s[2:3], s[4:5]
	v_readlane_b32 s41, v42, 21
	v_readlane_b32 s23, v42, 45
	;; [unrolled: 1-line block ×4, first 2 shown]
	s_mov_b64 exec, s[4:5]
	s_cbranch_execz .LBB123_478
; %bb.477:
	v_mov_b32_e32 v2, 0
	v_mov_b32_e32 v3, v2
	ds_write_b64 v2, v[2:3] offset:5136
.LBB123_478:
	s_or_b64 exec, exec, s[2:3]
	v_mov_b32_e32 v16, 0
	s_waitcnt lgkmcnt(0)
	s_barrier
	s_mov_b64 s[2:3], exec
	v_readlane_b32 s4, v42, 28
	v_readlane_b32 s5, v42, 29
	s_and_b64 s[4:5], s[2:3], s[4:5]
	s_mov_b64 exec, s[4:5]
	s_cbranch_execz .LBB123_480
; %bb.479:
	global_load_ubyte v16, v[12:13], off
.LBB123_480:
	s_or_b64 exec, exec, s[2:3]
	s_add_u32 s2, s60, 63
	s_addc_u32 s15, s61, 0
	s_and_b32 s14, s2, 0xffffffc0
	v_readlane_b32 s4, v42, 2
	v_readlane_b32 s2, v42, 0
	;; [unrolled: 1-line block ×4, first 2 shown]
	s_mov_b32 s24, s2
	s_mul_i32 s2, s2, s5
	s_mul_hi_u32 s3, s24, s4
	s_add_i32 s3, s3, s2
	s_mul_i32 s2, s24, s4
	v_readlane_b32 s28, v42, 16
	s_sub_u32 s2, s20, s2
	v_readlane_b32 s30, v42, 18
	v_readlane_b32 s31, v42, 19
	s_subb_u32 s3, 0, s3
	s_mul_i32 s4, s2, s31
	s_mul_hi_u32 s5, s2, s30
	v_readlane_b32 s29, v42, 17
	s_add_i32 s4, s5, s4
	s_mul_i32 s3, s3, s30
	s_add_i32 s17, s4, s3
	s_mul_i32 s16, s2, s30
	s_mul_i32 s2, s24, s29
	s_mul_hi_u32 s3, s24, s28
	s_add_i32 s18, s3, s2
	v_readlane_b32 s4, v42, 6
	v_readlane_b32 s2, v42, 4
	s_mul_i32 s19, s24, s28
	v_readlane_b32 s5, v42, 7
	v_readlane_b32 s3, v42, 5
	s_mov_b32 s24, s2
	s_mul_i32 s2, s2, s5
	s_mul_hi_u32 s3, s24, s4
	s_add_i32 s3, s3, s2
	s_mul_i32 s2, s24, s4
	v_readlane_b32 s28, v42, 46
	s_sub_u32 s2, s20, s2
	v_readlane_b32 s30, v42, 48
	v_readlane_b32 s31, v42, 49
	s_subb_u32 s3, 0, s3
	s_mul_i32 s4, s2, s31
	s_mul_hi_u32 s5, s2, s30
	v_readlane_b32 s29, v42, 47
	s_add_i32 s4, s5, s4
	s_mul_i32 s3, s3, s30
	s_add_i32 s3, s4, s3
	s_mul_i32 s4, s24, s29
	s_mul_hi_u32 s5, s24, s28
	s_add_i32 s5, s5, s4
	v_readlane_b32 s20, v42, 10
	v_readlane_b32 s21, v42, 11
	s_add_u32 s19, s20, s19
	s_addc_u32 s18, s21, s18
	s_mul_i32 s4, s24, s28
	s_add_u32 s16, s19, s16
	s_addc_u32 s17, s18, s17
	s_lshl_b64 s[4:5], s[4:5], 3
	v_readlane_b32 s18, v42, 8
	v_readlane_b32 s19, v42, 9
	s_add_u32 s4, s18, s4
	s_addc_u32 s5, s19, s5
	s_load_dwordx2 s[18:19], s[22:23], 0x368
	s_load_dwordx2 s[20:21], s[22:23], 0x510
	s_mul_i32 s2, s2, s30
	s_lshl_b64 s[2:3], s[2:3], 3
	s_add_u32 s48, s4, s2
	s_addc_u32 s49, s5, s3
	v_cmp_gt_u64_e32 vcc, s[14:15], v[0:1]
	s_mov_b64 s[24:25], -1
	s_mov_b64 s[2:3], 0
	s_mov_b64 s[4:5], 0
	s_and_saveexec_b64 s[22:23], vcc
	s_cbranch_execnz .LBB123_491
; %bb.481:
	s_or_b64 exec, exec, s[22:23]
	s_and_saveexec_b64 s[22:23], s[24:25]
	s_cbranch_execnz .LBB123_506
.LBB123_482:
	s_or_b64 exec, exec, s[22:23]
	s_and_saveexec_b64 s[0:1], s[4:5]
	s_xor_b64 s[0:1], exec, s[0:1]
	s_cbranch_execnz .LBB123_528
.LBB123_483:
	s_or_b64 exec, exec, s[0:1]
	s_and_b64 s[14:15], s[2:3], exec
.LBB123_484:
	s_andn2_saveexec_b64 s[0:1], s[12:13]
	s_cbranch_execnz .LBB123_531
.LBB123_485:
	s_or_b64 exec, exec, s[0:1]
	s_and_b64 s[12:13], s[14:15], exec
.LBB123_486:
	s_andn2_saveexec_b64 s[0:1], s[10:11]
	s_cbranch_execnz .LBB123_530
.LBB123_487:
	s_or_b64 exec, exec, s[0:1]
	s_and_b64 s[10:11], s[12:13], exec
.LBB123_488:
	s_andn2_saveexec_b64 s[0:1], s[8:9]
	s_cbranch_execnz .LBB123_529
.LBB123_489:
	s_or_b64 exec, exec, s[0:1]
	s_and_b64 s[8:9], s[10:11], exec
	s_andn2_saveexec_b64 s[0:1], s[6:7]
	s_cbranch_execz .LBB123_468
.LBB123_490:
	s_or_b64 s[8:9], s[8:9], exec
	s_trap 2
	s_or_b64 exec, exec, s[0:1]
	s_and_saveexec_b64 s[0:1], s[8:9]
	s_cbranch_execnz .LBB123_469
	s_branch .LBB123_470
.LBB123_491:
	s_mov_b64 s[24:25], 0
	v_mov_b32_e32 v17, s90
	v_mov_b32_e32 v3, 0
	v_pk_mov_b32 v[8:9], v[0:1], v[0:1] op_sel:[0,1]
                                        ; implicit-def: $sgpr26_sgpr27
                                        ; implicit-def: $vgpr6_vgpr7
	s_branch .LBB123_493
.LBB123_492:                            ;   in Loop: Header=BB123_493 Depth=1
	s_or_b64 exec, exec, s[28:29]
	s_xor_b64 s[28:29], s[34:35], -1
	s_and_b64 s[4:5], exec, s[4:5]
	s_or_b64 s[24:25], s[4:5], s[24:25]
	s_andn2_b64 s[4:5], s[26:27], exec
	s_and_b64 s[26:27], s[28:29], exec
	s_or_b64 s[26:27], s[4:5], s[26:27]
	v_mov_b32_e32 v16, v18
	v_pk_mov_b32 v[8:9], v[4:5], v[4:5] op_sel:[0,1]
	s_andn2_b64 exec, exec, s[24:25]
	s_cbranch_execz .LBB123_505
.LBB123_493:                            ; =>This Inner Loop Header: Depth=1
	v_add_co_u32_e32 v4, vcc, s33, v8
	v_addc_co_u32_e32 v5, vcc, v9, v17, vcc
	v_cmp_gt_u64_e32 vcc, s[60:61], v[4:5]
	v_mov_b32_e32 v18, 0
	s_and_saveexec_b64 s[4:5], vcc
	s_cbranch_execz .LBB123_495
; %bb.494:                              ;   in Loop: Header=BB123_493 Depth=1
	v_pk_mov_b32 v[14:15], s[56:57], s[56:57] op_sel:[0,1]
	v_mad_u64_u32 v[14:15], s[28:29], v4, s58, v[14:15]
	v_mul_lo_u32 v2, v4, s59
	v_mul_lo_u32 v18, v5, s58
	v_add3_u32 v15, v18, v15, v2
	global_load_ubyte v18, v[14:15], off
.LBB123_495:                            ;   in Loop: Header=BB123_493 Depth=1
	s_or_b64 exec, exec, s[4:5]
	s_waitcnt vmcnt(0)
	v_and_b32_e32 v2, 0xff, v16
	v_cmp_gt_u16_sdwa s[4:5], v2, v22 src0_sel:DWORD src1_sel:BYTE_0
	v_cndmask_b32_e64 v14, 0, 1, s[4:5]
	v_cmp_lt_u16_sdwa s[4:5], v2, v22 src0_sel:DWORD src1_sel:BYTE_0
	v_cndmask_b32_e64 v2, 0, 1, s[4:5]
	v_cndmask_b32_e64 v2, v2, v14, s[40:41]
	v_and_b32_e32 v2, 1, v2
	v_cmp_gt_u64_e32 vcc, s[60:61], v[8:9]
	v_cmp_eq_u32_e64 s[4:5], 1, v2
	s_and_b64 s[28:29], vcc, s[4:5]
	v_cndmask_b32_e64 v2, 0, 1, s[28:29]
	v_cmp_ne_u32_e32 vcc, 0, v2
	s_cmp_lg_u64 vcc, 0
	s_cselect_b64 s[4:5], -1, 0
	s_and_b64 s[4:5], s[0:1], s[4:5]
	s_and_saveexec_b64 s[30:31], s[4:5]
	s_cbranch_execz .LBB123_499
; %bb.496:                              ;   in Loop: Header=BB123_493 Depth=1
	s_mov_b64 s[36:37], exec
	v_mbcnt_lo_u32_b32 v2, s36, 0
	v_mbcnt_hi_u32_b32 v14, s37, v2
	s_bcnt1_i32_b64 s38, vcc
	v_cmp_eq_u32_e64 s[4:5], 0, v14
                                        ; implicit-def: $vgpr6_vgpr7
	s_and_saveexec_b64 s[34:35], s[4:5]
	s_cbranch_execz .LBB123_498
; %bb.497:                              ;   in Loop: Header=BB123_493 Depth=1
	s_bcnt1_i32_b64 s4, s[36:37]
	s_mul_i32 s4, s38, s4
	v_mov_b32_e32 v2, s4
	s_waitcnt lgkmcnt(0)
	ds_add_rtn_u64 v[6:7], v3, v[2:3] offset:5136
.LBB123_498:                            ;   in Loop: Header=BB123_493 Depth=1
	s_or_b64 exec, exec, s[34:35]
	s_waitcnt lgkmcnt(0)
	v_readfirstlane_b32 s4, v7
	v_readfirstlane_b32 s5, v6
	v_mov_b32_e32 v6, s5
	v_mov_b32_e32 v7, s4
	v_mad_u64_u32 v[6:7], s[4:5], s38, v14, v[6:7]
.LBB123_499:                            ;   in Loop: Header=BB123_493 Depth=1
	s_or_b64 exec, exec, s[30:31]
	s_waitcnt lgkmcnt(0)
	ds_bpermute_b32 v6, v26, v6
	ds_bpermute_b32 v7, v26, v7
	s_mov_b64 s[4:5], -1
	s_mov_b64 s[36:37], -1
                                        ; implicit-def: $sgpr34_sgpr35
	s_and_saveexec_b64 s[30:31], s[28:29]
	s_cbranch_execz .LBB123_503
; %bb.500:                              ;   in Loop: Header=BB123_493 Depth=1
	v_and_b32_e32 v14, vcc_lo, v10
	v_and_b32_e32 v2, vcc_hi, v11
	v_bcnt_u32_b32 v14, v14, 0
	v_bcnt_u32_b32 v2, v2, v14
	s_waitcnt lgkmcnt(0)
	v_add_co_u32_e32 v14, vcc, v6, v2
	v_addc_co_u32_e32 v15, vcc, 0, v7, vcc
	v_cmp_gt_u64_e32 vcc, s[62:63], v[14:15]
	s_mov_b64 s[28:29], 0
	s_and_saveexec_b64 s[34:35], vcc
	s_cbranch_execz .LBB123_502
; %bb.501:                              ;   in Loop: Header=BB123_493 Depth=1
	v_mul_lo_u32 v2, v15, s20
	v_mul_lo_u32 v19, v14, s21
	v_mad_u64_u32 v[20:21], s[36:37], v14, s20, 0
	v_pk_mov_b32 v[24:25], s[16:17], s[16:17] op_sel:[0,1]
	v_add3_u32 v21, v21, v19, v2
	v_mad_u64_u32 v[24:25], s[36:37], v14, s18, v[24:25]
	v_mul_lo_u32 v2, v14, s19
	v_mul_lo_u32 v14, v15, s18
	v_add3_u32 v25, v14, v25, v2
	v_lshlrev_b64 v[14:15], 3, v[20:21]
	v_mov_b32_e32 v2, s49
	v_add_co_u32_e32 v14, vcc, s48, v14
	s_mov_b64 s[28:29], exec
	v_addc_co_u32_e32 v15, vcc, v2, v15, vcc
	global_store_byte v[24:25], v16, off
	global_store_dwordx2 v[14:15], v[8:9], off
.LBB123_502:                            ;   in Loop: Header=BB123_493 Depth=1
	s_or_b64 exec, exec, s[34:35]
	s_mov_b64 s[34:35], -1
	s_orn2_b64 s[36:37], s[28:29], exec
.LBB123_503:                            ;   in Loop: Header=BB123_493 Depth=1
	s_or_b64 exec, exec, s[30:31]
	s_and_saveexec_b64 s[28:29], s[36:37]
	s_cbranch_execz .LBB123_492
; %bb.504:                              ;   in Loop: Header=BB123_493 Depth=1
	v_cmp_le_u64_e32 vcc, s[14:15], v[4:5]
	s_andn2_b64 s[34:35], s[34:35], exec
	s_orn2_b64 s[4:5], vcc, exec
	s_branch .LBB123_492
.LBB123_505:
	s_or_b64 exec, exec, s[24:25]
	s_mov_b64 s[4:5], exec
	s_orn2_b64 s[24:25], s[26:27], exec
	s_or_b64 exec, exec, s[22:23]
	s_and_saveexec_b64 s[22:23], s[24:25]
	s_cbranch_execz .LBB123_482
.LBB123_506:
	v_mov_b32_e32 v3, 0
	v_mov_b32_e32 v8, 0
	s_waitcnt lgkmcnt(0)
	s_barrier
	s_mov_b64 s[2:3], exec
	v_readlane_b32 s24, v42, 28
	v_readlane_b32 s25, v42, 29
	s_and_b64 s[24:25], s[2:3], s[24:25]
	s_mov_b64 exec, s[24:25]
	s_cbranch_execz .LBB123_508
; %bb.507:
	global_load_ubyte v8, v[12:13], off
.LBB123_508:
	s_or_b64 exec, exec, s[2:3]
	s_mov_b64 s[26:27], 0
                                        ; implicit-def: $sgpr24_sgpr25
                                        ; implicit-def: $sgpr28_sgpr29
                                        ; implicit-def: $sgpr30_sgpr31
                                        ; implicit-def: $vgpr4_vgpr5
	s_branch .LBB123_511
.LBB123_509:                            ;   in Loop: Header=BB123_511 Depth=1
	s_or_b64 exec, exec, s[38:39]
	s_andn2_b64 s[30:31], s[30:31], exec
	s_and_b64 s[36:37], s[42:43], exec
	s_andn2_b64 s[28:29], s[28:29], exec
	s_and_b64 s[2:3], s[2:3], exec
	s_or_b64 s[30:31], s[30:31], s[36:37]
	s_or_b64 s[28:29], s[28:29], s[2:3]
	v_pk_mov_b32 v[0:1], v[6:7], v[6:7] op_sel:[0,1]
.LBB123_510:                            ;   in Loop: Header=BB123_511 Depth=1
	s_or_b64 exec, exec, s[34:35]
	s_xor_b64 s[2:3], s[30:31], -1
	s_and_b64 s[34:35], exec, s[28:29]
	s_or_b64 s[26:27], s[34:35], s[26:27]
	s_andn2_b64 s[24:25], s[24:25], exec
	s_and_b64 s[2:3], s[2:3], exec
	s_or_b64 s[24:25], s[24:25], s[2:3]
	s_andn2_b64 exec, exec, s[26:27]
	s_cbranch_execz .LBB123_526
.LBB123_511:                            ; =>This Inner Loop Header: Depth=1
	v_cmp_gt_u64_e32 vcc, s[14:15], v[0:1]
	s_or_b64 s[30:31], s[30:31], exec
	s_or_b64 s[28:29], s[28:29], exec
	s_and_saveexec_b64 s[34:35], vcc
	s_cbranch_execz .LBB123_510
; %bb.512:                              ;   in Loop: Header=BB123_511 Depth=1
	v_mov_b32_e32 v2, s90
	v_add_co_u32_e32 v6, vcc, s33, v0
	v_addc_co_u32_e32 v7, vcc, v1, v2, vcc
	v_cmp_gt_u64_e32 vcc, s[60:61], v[6:7]
	v_mov_b32_e32 v12, 0
	s_and_saveexec_b64 s[2:3], vcc
	s_cbranch_execz .LBB123_514
; %bb.513:                              ;   in Loop: Header=BB123_511 Depth=1
	v_pk_mov_b32 v[12:13], s[56:57], s[56:57] op_sel:[0,1]
	v_mad_u64_u32 v[12:13], s[36:37], v6, s58, v[12:13]
	v_mul_lo_u32 v2, v6, s59
	v_mul_lo_u32 v9, v7, s58
	v_add3_u32 v13, v9, v13, v2
	global_load_ubyte v12, v[12:13], off
.LBB123_514:                            ;   in Loop: Header=BB123_511 Depth=1
	s_or_b64 exec, exec, s[2:3]
	s_waitcnt vmcnt(0)
	v_and_b32_e32 v2, 0xff, v8
	v_cmp_gt_u64_e32 vcc, s[60:61], v[0:1]
	v_cmp_eq_u16_sdwa s[2:3], v2, v22 src0_sel:DWORD src1_sel:BYTE_0
	s_and_b64 s[38:39], vcc, s[2:3]
	v_cndmask_b32_e64 v2, 0, 1, s[38:39]
	v_cmp_ne_u32_e32 vcc, 0, v2
	s_cmp_lg_u64 vcc, 0
	s_cselect_b64 s[2:3], -1, 0
	s_and_b64 s[2:3], s[0:1], s[2:3]
	s_and_saveexec_b64 s[36:37], s[2:3]
	s_cbranch_execz .LBB123_518
; %bb.515:                              ;   in Loop: Header=BB123_511 Depth=1
	s_mov_b64 s[42:43], exec
	v_mbcnt_lo_u32_b32 v2, s42, 0
	v_mbcnt_hi_u32_b32 v9, s43, v2
	s_bcnt1_i32_b64 s44, vcc
	v_cmp_eq_u32_e64 s[2:3], 0, v9
                                        ; implicit-def: $vgpr4_vgpr5
	s_and_saveexec_b64 s[40:41], s[2:3]
	s_cbranch_execz .LBB123_517
; %bb.516:                              ;   in Loop: Header=BB123_511 Depth=1
	s_bcnt1_i32_b64 s2, s[42:43]
	s_mul_i32 s2, s44, s2
	v_mov_b32_e32 v2, s2
	ds_add_rtn_u64 v[4:5], v3, v[2:3] offset:5136
.LBB123_517:                            ;   in Loop: Header=BB123_511 Depth=1
	s_or_b64 exec, exec, s[40:41]
	s_waitcnt lgkmcnt(0)
	v_readfirstlane_b32 s2, v5
	v_readfirstlane_b32 s3, v4
	v_mov_b32_e32 v4, s3
	v_mov_b32_e32 v5, s2
	v_mad_u64_u32 v[4:5], s[2:3], s44, v9, v[4:5]
.LBB123_518:                            ;   in Loop: Header=BB123_511 Depth=1
	s_or_b64 exec, exec, s[36:37]
	ds_bpermute_b32 v4, v26, v4
	ds_bpermute_b32 v5, v26, v5
	s_cmp_eq_u64 vcc, 0
	s_cselect_b64 s[36:37], -1, 0
	s_mov_b64 s[40:41], -1
	s_mov_b64 s[42:43], -1
	s_waitcnt lgkmcnt(0)
	v_cmp_gt_u64_e64 s[2:3], s[62:63], v[4:5]
	s_or_b64 s[36:37], s[36:37], s[2:3]
	v_cndmask_b32_e64 v8, v8, v12, s[36:37]
	s_and_b64 s[44:45], s[38:39], s[36:37]
	s_mov_b64 s[2:3], -1
	s_and_saveexec_b64 s[38:39], s[44:45]
	s_cbranch_execz .LBB123_524
; %bb.519:                              ;   in Loop: Header=BB123_511 Depth=1
	v_and_b32_e32 v8, vcc_lo, v10
	v_and_b32_e32 v2, vcc_hi, v11
	v_bcnt_u32_b32 v8, v8, 0
	v_bcnt_u32_b32 v2, v2, v8
	v_mov_b32_e32 v9, s63
	v_sub_co_u32_e32 v8, vcc, s62, v4
	v_subb_co_u32_e32 v9, vcc, v9, v5, vcc
	v_cmp_le_u64_e64 s[40:41], v[8:9], v[2:3]
	v_cmp_gt_u64_e32 vcc, v[8:9], v[2:3]
	s_mov_b64 s[44:45], -1
	s_and_saveexec_b64 s[42:43], vcc
	s_cbranch_execz .LBB123_523
; %bb.520:                              ;   in Loop: Header=BB123_511 Depth=1
	v_add_co_u32_e32 v8, vcc, v4, v2
	v_addc_co_u32_e32 v9, vcc, 0, v5, vcc
	v_cmp_gt_u64_e32 vcc, s[62:63], v[8:9]
	s_mov_b64 s[46:47], s[40:41]
	s_and_saveexec_b64 s[44:45], vcc
	s_cbranch_execz .LBB123_522
; %bb.521:                              ;   in Loop: Header=BB123_511 Depth=1
	v_mul_lo_u32 v2, v9, s20
	v_mul_lo_u32 v13, v8, s21
	v_mad_u64_u32 v[14:15], s[46:47], v8, s20, 0
	v_pk_mov_b32 v[16:17], s[16:17], s[16:17] op_sel:[0,1]
	v_add3_u32 v15, v15, v13, v2
	v_mad_u64_u32 v[16:17], s[46:47], v8, s18, v[16:17]
	v_mul_lo_u32 v2, v8, s19
	v_mul_lo_u32 v8, v9, s18
	v_add3_u32 v17, v8, v17, v2
	v_lshlrev_b64 v[8:9], 3, v[14:15]
	v_mov_b32_e32 v2, s49
	v_add_co_u32_e32 v8, vcc, s48, v8
	v_addc_co_u32_e32 v9, vcc, v2, v9, vcc
	s_or_b64 s[46:47], s[40:41], exec
	global_store_byte v[16:17], v22, off
	global_store_dwordx2 v[8:9], v[0:1], off
.LBB123_522:                            ;   in Loop: Header=BB123_511 Depth=1
	s_or_b64 exec, exec, s[44:45]
	s_andn2_b64 s[40:41], s[40:41], exec
	s_and_b64 s[46:47], s[46:47], exec
	s_xor_b64 s[44:45], exec, -1
	s_or_b64 s[40:41], s[40:41], s[46:47]
.LBB123_523:                            ;   in Loop: Header=BB123_511 Depth=1
	s_or_b64 exec, exec, s[42:43]
	s_orn2_b64 s[42:43], s[44:45], exec
	s_or_b64 s[36:37], s[36:37], exec
	s_orn2_b64 s[40:41], s[40:41], exec
	v_mov_b32_e32 v8, v12
.LBB123_524:                            ;   in Loop: Header=BB123_511 Depth=1
	s_or_b64 exec, exec, s[38:39]
	s_and_saveexec_b64 s[38:39], s[40:41]
	s_cbranch_execz .LBB123_509
; %bb.525:                              ;   in Loop: Header=BB123_511 Depth=1
	s_xor_b64 s[2:3], s[36:37], -1
	s_or_b64 s[42:43], s[42:43], exec
	s_orn2_b64 s[2:3], s[2:3], exec
	s_branch .LBB123_509
.LBB123_526:
	s_or_b64 exec, exec, s[26:27]
	s_mov_b64 s[0:1], 0
	s_and_saveexec_b64 s[2:3], s[24:25]
	s_xor_b64 s[2:3], exec, s[2:3]
	s_cbranch_execnz .LBB123_532
.LBB123_527:
	s_or_b64 exec, exec, s[2:3]
	s_and_b64 s[2:3], s[0:1], exec
	s_andn2_b64 s[4:5], s[4:5], exec
	s_or_b64 exec, exec, s[22:23]
	s_and_saveexec_b64 s[0:1], s[4:5]
	s_xor_b64 s[0:1], exec, s[0:1]
	s_cbranch_execz .LBB123_483
.LBB123_528:
	s_or_b64 s[2:3], s[2:3], exec
	s_trap 2
	s_branch .LBB123_483
.LBB123_529:
	s_or_b64 s[10:11], s[10:11], exec
	s_trap 2
	s_branch .LBB123_489
.LBB123_530:
	s_or_b64 s[12:13], s[12:13], exec
	s_trap 2
	s_branch .LBB123_487
.LBB123_531:
	s_trap 2
	s_or_b64 s[14:15], s[14:15], exec
	s_branch .LBB123_485
.LBB123_532:
	s_mov_b64 s[0:1], exec
	s_trap 2
	s_branch .LBB123_527
	.section	.rodata,"a",@progbits
	.p2align	6, 0x0
	.amdhsa_kernel _ZN2at6native6sbtopk10gatherTopKIhmLi2ELb0EEEvNS_4cuda6detail10TensorInfoIKT_T0_EES8_S8_bS8_S8_NS5_IS6_S8_EES8_NS5_IlS8_EES8_PS6_
		.amdhsa_group_segment_fixed_size 5152
		.amdhsa_private_segment_fixed_size 0
		.amdhsa_kernarg_size 1568
		.amdhsa_user_sgpr_count 6
		.amdhsa_user_sgpr_private_segment_buffer 1
		.amdhsa_user_sgpr_dispatch_ptr 0
		.amdhsa_user_sgpr_queue_ptr 0
		.amdhsa_user_sgpr_kernarg_segment_ptr 1
		.amdhsa_user_sgpr_dispatch_id 0
		.amdhsa_user_sgpr_flat_scratch_init 0
		.amdhsa_user_sgpr_kernarg_preload_length 0
		.amdhsa_user_sgpr_kernarg_preload_offset 0
		.amdhsa_user_sgpr_private_segment_size 0
		.amdhsa_uses_dynamic_stack 0
		.amdhsa_system_sgpr_private_segment_wavefront_offset 0
		.amdhsa_system_sgpr_workgroup_id_x 1
		.amdhsa_system_sgpr_workgroup_id_y 1
		.amdhsa_system_sgpr_workgroup_id_z 1
		.amdhsa_system_sgpr_workgroup_info 0
		.amdhsa_system_vgpr_workitem_id 0
		.amdhsa_next_free_vgpr 43
		.amdhsa_next_free_sgpr 96
		.amdhsa_accum_offset 44
		.amdhsa_reserve_vcc 1
		.amdhsa_reserve_flat_scratch 0
		.amdhsa_float_round_mode_32 0
		.amdhsa_float_round_mode_16_64 0
		.amdhsa_float_denorm_mode_32 3
		.amdhsa_float_denorm_mode_16_64 3
		.amdhsa_dx10_clamp 1
		.amdhsa_ieee_mode 1
		.amdhsa_fp16_overflow 0
		.amdhsa_tg_split 0
		.amdhsa_exception_fp_ieee_invalid_op 0
		.amdhsa_exception_fp_denorm_src 0
		.amdhsa_exception_fp_ieee_div_zero 0
		.amdhsa_exception_fp_ieee_overflow 0
		.amdhsa_exception_fp_ieee_underflow 0
		.amdhsa_exception_fp_ieee_inexact 0
		.amdhsa_exception_int_div_zero 0
	.end_amdhsa_kernel
	.section	.text._ZN2at6native6sbtopk10gatherTopKIhmLi2ELb0EEEvNS_4cuda6detail10TensorInfoIKT_T0_EES8_S8_bS8_S8_NS5_IS6_S8_EES8_NS5_IlS8_EES8_PS6_,"axG",@progbits,_ZN2at6native6sbtopk10gatherTopKIhmLi2ELb0EEEvNS_4cuda6detail10TensorInfoIKT_T0_EES8_S8_bS8_S8_NS5_IS6_S8_EES8_NS5_IlS8_EES8_PS6_,comdat
.Lfunc_end123:
	.size	_ZN2at6native6sbtopk10gatherTopKIhmLi2ELb0EEEvNS_4cuda6detail10TensorInfoIKT_T0_EES8_S8_bS8_S8_NS5_IS6_S8_EES8_NS5_IlS8_EES8_PS6_, .Lfunc_end123-_ZN2at6native6sbtopk10gatherTopKIhmLi2ELb0EEEvNS_4cuda6detail10TensorInfoIKT_T0_EES8_S8_bS8_S8_NS5_IS6_S8_EES8_NS5_IlS8_EES8_PS6_
                                        ; -- End function
	.section	.AMDGPU.csdata,"",@progbits
; Kernel info:
; codeLenInByte = 26200
; NumSgprs: 100
; NumVgprs: 43
; NumAgprs: 0
; TotalNumVgprs: 43
; ScratchSize: 0
; MemoryBound: 0
; FloatMode: 240
; IeeeMode: 1
; LDSByteSize: 5152 bytes/workgroup (compile time only)
; SGPRBlocks: 12
; VGPRBlocks: 5
; NumSGPRsForWavesPerEU: 100
; NumVGPRsForWavesPerEU: 43
; AccumOffset: 44
; Occupancy: 8
; WaveLimiterHint : 1
; COMPUTE_PGM_RSRC2:SCRATCH_EN: 0
; COMPUTE_PGM_RSRC2:USER_SGPR: 6
; COMPUTE_PGM_RSRC2:TRAP_HANDLER: 0
; COMPUTE_PGM_RSRC2:TGID_X_EN: 1
; COMPUTE_PGM_RSRC2:TGID_Y_EN: 1
; COMPUTE_PGM_RSRC2:TGID_Z_EN: 1
; COMPUTE_PGM_RSRC2:TIDIG_COMP_CNT: 0
; COMPUTE_PGM_RSRC3_GFX90A:ACCUM_OFFSET: 10
; COMPUTE_PGM_RSRC3_GFX90A:TG_SPLIT: 0
	.section	.text._ZN2at6native6mbtopk23computeBlockDigitCountsIhmjLi3EEEvNS_4cuda6detail10TensorInfoIKT_T0_EEjPjjS8_iijT1_PSB_Ps,"axG",@progbits,_ZN2at6native6mbtopk23computeBlockDigitCountsIhmjLi3EEEvNS_4cuda6detail10TensorInfoIKT_T0_EEjPjjS8_iijT1_PSB_Ps,comdat
	.protected	_ZN2at6native6mbtopk23computeBlockDigitCountsIhmjLi3EEEvNS_4cuda6detail10TensorInfoIKT_T0_EEjPjjS8_iijT1_PSB_Ps ; -- Begin function _ZN2at6native6mbtopk23computeBlockDigitCountsIhmjLi3EEEvNS_4cuda6detail10TensorInfoIKT_T0_EEjPjjS8_iijT1_PSB_Ps
	.globl	_ZN2at6native6mbtopk23computeBlockDigitCountsIhmjLi3EEEvNS_4cuda6detail10TensorInfoIKT_T0_EEjPjjS8_iijT1_PSB_Ps
	.p2align	8
	.type	_ZN2at6native6mbtopk23computeBlockDigitCountsIhmjLi3EEEvNS_4cuda6detail10TensorInfoIKT_T0_EEjPjjS8_iijT1_PSB_Ps,@function
_ZN2at6native6mbtopk23computeBlockDigitCountsIhmjLi3EEEvNS_4cuda6detail10TensorInfoIKT_T0_EEjPjjS8_iijT1_PSB_Ps: ; @_ZN2at6native6mbtopk23computeBlockDigitCountsIhmjLi3EEEvNS_4cuda6detail10TensorInfoIKT_T0_EEjPjjS8_iijT1_PSB_Ps
; %bb.0:
	s_load_dwordx4 s[0:3], s[4:5], 0x1c0
	s_load_dword s9, s[4:5], 0x1b0
	s_load_dwordx2 s[10:11], s[4:5], 0x1e0
	s_mov_b32 s21, 0
	s_waitcnt lgkmcnt(0)
	v_cvt_f32_u32_e32 v1, s2
	s_mul_i32 s8, s11, s8
	s_add_i32 s7, s8, s7
	v_rcp_iflag_f32_e32 v1, v1
	s_mul_i32 s24, s7, s10
	s_sub_i32 s11, 0, s2
	s_add_i32 s24, s24, s6
	v_mul_f32_e32 v1, 0x4f7ffffe, v1
	v_cvt_u32_f32_e32 v1, v1
	v_readfirstlane_b32 s6, v1
	s_mul_i32 s11, s11, s6
	s_mul_hi_u32 s7, s6, s11
	s_add_i32 s6, s6, s7
	s_mul_hi_u32 s6, s24, s6
	s_mul_i32 s7, s6, s2
	s_sub_i32 s7, s24, s7
	s_add_i32 s8, s6, 1
	s_sub_i32 s10, s7, s2
	s_cmp_ge_u32 s7, s2
	s_cselect_b32 s6, s8, s6
	s_cselect_b32 s7, s10, s7
	s_add_i32 s8, s6, 1
	s_cmp_ge_u32 s7, s2
	s_cselect_b32 s20, s8, s6
	s_cmp_ge_u32 s20, s9
	s_cbranch_scc1 .LBB124_33
; %bb.1:
	s_load_dwordx4 s[8:11], s[4:5], 0x1d0
	s_load_dwordx4 s[12:15], s[4:5], 0x10
	s_lshl_b64 s[6:7], s[20:21], 2
	s_waitcnt lgkmcnt(0)
	s_add_u32 s22, s8, s6
	v_pk_mov_b32 v[2:3], s[14:15], s[14:15] op_sel:[0,1]
	v_cmp_lt_u64_e32 vcc, s[20:21], v[2:3]
	s_addc_u32 s23, s9, s7
	s_mov_b64 s[8:9], 0
	s_mov_b64 s[6:7], 0
	s_cbranch_vccnz .LBB124_3
; %bb.2:
	v_cvt_f32_u32_e32 v1, s14
	s_sub_i32 s6, 0, s14
	s_mov_b32 s7, 0
	v_rcp_iflag_f32_e32 v1, v1
	v_mul_f32_e32 v1, 0x4f7ffffe, v1
	v_cvt_u32_f32_e32 v1, v1
	v_readfirstlane_b32 s9, v1
	s_mul_i32 s6, s6, s9
	s_mul_hi_u32 s6, s9, s6
	s_add_i32 s9, s9, s6
	s_mul_hi_u32 s6, s20, s9
	s_mul_i32 s16, s6, s14
	s_sub_i32 s16, s20, s16
	s_add_i32 s9, s6, 1
	s_sub_i32 s17, s16, s14
	s_cmp_ge_u32 s16, s14
	s_cselect_b32 s6, s9, s6
	s_cselect_b32 s16, s17, s16
	s_add_i32 s9, s6, 1
	s_cmp_ge_u32 s16, s14
	s_cselect_b32 s6, s9, s6
.LBB124_3:
	v_pk_mov_b32 v[2:3], s[12:13], s[12:13] op_sel:[0,1]
	v_cmp_lt_u64_e32 vcc, s[6:7], v[2:3]
	s_cbranch_vccnz .LBB124_5
; %bb.4:
	v_cvt_f32_u32_e32 v1, s12
	s_sub_i32 s8, 0, s12
	v_rcp_iflag_f32_e32 v1, v1
	v_mul_f32_e32 v1, 0x4f7ffffe, v1
	v_cvt_u32_f32_e32 v1, v1
	v_readfirstlane_b32 s9, v1
	s_mul_i32 s8, s8, s9
	s_mul_hi_u32 s8, s9, s8
	s_add_i32 s9, s9, s8
	s_mul_hi_u32 s8, s6, s9
	s_mul_i32 s16, s8, s12
	s_sub_i32 s16, s6, s16
	s_add_i32 s9, s8, 1
	s_sub_i32 s17, s16, s12
	s_cmp_ge_u32 s16, s12
	s_cselect_b32 s8, s9, s8
	s_cselect_b32 s16, s17, s16
	s_add_i32 s9, s8, 1
	s_cmp_ge_u32 s16, s12
	s_cselect_b32 s8, s9, s8
.LBB124_5:
	s_movk_i32 s9, 0x100
	v_cmp_gt_u32_e32 vcc, s9, v0
	v_lshlrev_b32_e32 v1, 2, v0
	s_and_saveexec_b64 s[16:17], vcc
	s_cbranch_execz .LBB124_7
; %bb.6:
	v_mov_b32_e32 v2, 0
	ds_write_b32 v1, v2
.LBB124_7:
	s_or_b64 exec, exec, s[16:17]
	s_load_dword s21, s[4:5], 0x1a0
	s_mul_i32 s9, s20, s2
	s_sub_i32 s9, s24, s9
	s_add_i32 s16, s9, 1
	s_mul_i32 s9, s1, s9
	s_lshl_b32 s25, s9, 8
	s_waitcnt lgkmcnt(0)
	s_sub_i32 s9, s21, s25
	s_add_u32 s9, s9, 0xff
	s_addc_u32 s17, 0, 0
	v_mov_b32_e32 v2, s9
	v_alignbit_b32 v2, s17, v2, 8
	s_cmp_lt_u32 s16, s2
	v_readfirstlane_b32 s2, v2
	s_cselect_b32 s27, s1, s2
	s_cmp_lt_i32 s27, 1
	s_mov_b32 s26, 0
	s_barrier
	s_cbranch_scc1 .LBB124_29
; %bb.8:
	s_load_dwordx4 s[16:19], s[4:5], 0xd0
	s_load_dwordx2 s[28:29], s[4:5], 0x0
	s_load_dword s2, s[22:23], 0x0
	s_mul_i32 s1, s6, s15
	s_load_dwordx2 s[22:23], s[4:5], 0xe0
	s_mul_hi_u32 s9, s6, s14
	s_add_i32 s9, s9, s1
	s_mul_i32 s1, s6, s14
	s_sub_u32 s1, s20, s1
	s_subb_u32 s9, 0, s9
	s_waitcnt lgkmcnt(0)
	s_mul_i32 s14, s1, s23
	s_mul_hi_u32 s15, s1, s22
	s_add_i32 s14, s15, s14
	s_mul_i32 s9, s9, s22
	s_add_i32 s14, s14, s9
	s_mul_i32 s9, s8, s13
	s_mul_hi_u32 s13, s8, s12
	s_add_i32 s13, s13, s9
	s_mul_i32 s9, s8, s12
	s_sub_u32 s6, s6, s9
	s_subb_u32 s7, s7, s13
	s_mul_i32 s9, s6, s19
	s_mul_hi_u32 s12, s6, s18
	s_add_i32 s9, s12, s9
	s_mul_i32 s7, s7, s18
	s_add_i32 s9, s9, s7
	s_mul_i32 s7, s8, s17
	s_mul_hi_u32 s12, s8, s16
	s_add_i32 s12, s12, s7
	s_mul_i32 s7, s8, s16
	s_add_u32 s7, s28, s7
	s_mul_i32 s6, s6, s18
	s_addc_u32 s8, s29, s12
	s_load_dwordx2 s[4:5], s[4:5], 0x1b8
	s_add_u32 s6, s7, s6
	s_mul_i32 s1, s1, s22
	s_addc_u32 s7, s8, s9
	s_add_u32 s6, s6, s1
	s_addc_u32 s7, s7, s14
	s_and_b32 s12, s0, 0xff
	s_cmp_lt_u32 s27, 4
	s_cbranch_scc1 .LBB124_23
; %bb.9:
	s_and_b32 s26, s27, 0x7ffffffc
	v_add_u32_e32 v2, s25, v0
	s_mov_b32 s13, 0
	v_mov_b32_e32 v3, 1
	s_branch .LBB124_11
.LBB124_10:                             ;   in Loop: Header=BB124_11 Depth=1
	s_or_b64 exec, exec, s[8:9]
	s_add_i32 s13, s13, 4
	s_cmp_eq_u32 s26, s13
	v_add_u32_e32 v2, 0x400, v2
	s_cbranch_scc1 .LBB124_23
.LBB124_11:                             ; =>This Inner Loop Header: Depth=1
	v_cmp_gt_u32_e64 s[0:1], s21, v2
	s_and_saveexec_b64 s[8:9], s[0:1]
	s_cbranch_execz .LBB124_14
; %bb.12:                               ;   in Loop: Header=BB124_11 Depth=1
	v_pk_mov_b32 v[4:5], s[6:7], s[6:7] op_sel:[0,1]
	s_waitcnt lgkmcnt(0)
	v_mad_u64_u32 v[4:5], s[0:1], v2, s4, v[4:5]
	v_mov_b32_e32 v6, v5
	v_mad_u64_u32 v[6:7], s[0:1], v2, s5, v[6:7]
	v_mov_b32_e32 v5, v6
	global_load_ubyte v4, v[4:5], off
	s_waitcnt vmcnt(0)
	v_xor_b32_e32 v5, s2, v4
	v_and_b32_e32 v5, s3, v5
	v_cmp_eq_u32_e64 s[0:1], 0, v5
	s_and_b64 exec, exec, s[0:1]
	s_cbranch_execz .LBB124_14
; %bb.13:                               ;   in Loop: Header=BB124_11 Depth=1
	v_lshrrev_b32_e32 v4, s12, v4
	v_lshlrev_b32_e32 v4, 2, v4
	ds_add_u32 v4, v3
.LBB124_14:                             ;   in Loop: Header=BB124_11 Depth=1
	s_or_b64 exec, exec, s[8:9]
	v_add_u32_e32 v4, 0x100, v2
	v_cmp_gt_u32_e64 s[0:1], s21, v4
	s_and_saveexec_b64 s[8:9], s[0:1]
	s_cbranch_execz .LBB124_17
; %bb.15:                               ;   in Loop: Header=BB124_11 Depth=1
	v_pk_mov_b32 v[6:7], s[6:7], s[6:7] op_sel:[0,1]
	s_waitcnt lgkmcnt(0)
	v_mad_u64_u32 v[6:7], s[0:1], v4, s4, v[6:7]
	v_mov_b32_e32 v8, v7
	v_mad_u64_u32 v[4:5], s[0:1], v4, s5, v[8:9]
	v_mov_b32_e32 v7, v4
	global_load_ubyte v4, v[6:7], off
	s_waitcnt vmcnt(0)
	v_xor_b32_e32 v5, s2, v4
	v_and_b32_e32 v5, s3, v5
	v_cmp_eq_u32_e64 s[0:1], 0, v5
	s_and_b64 exec, exec, s[0:1]
	s_cbranch_execz .LBB124_17
; %bb.16:                               ;   in Loop: Header=BB124_11 Depth=1
	v_lshrrev_b32_e32 v4, s12, v4
	v_lshlrev_b32_e32 v4, 2, v4
	ds_add_u32 v4, v3
.LBB124_17:                             ;   in Loop: Header=BB124_11 Depth=1
	s_or_b64 exec, exec, s[8:9]
	v_add_u32_e32 v4, 0x200, v2
	;; [unrolled: 24-line block ×3, first 2 shown]
	v_cmp_gt_u32_e64 s[0:1], s21, v4
	s_and_saveexec_b64 s[8:9], s[0:1]
	s_cbranch_execz .LBB124_10
; %bb.21:                               ;   in Loop: Header=BB124_11 Depth=1
	v_pk_mov_b32 v[6:7], s[6:7], s[6:7] op_sel:[0,1]
	s_waitcnt lgkmcnt(0)
	v_mad_u64_u32 v[6:7], s[0:1], v4, s4, v[6:7]
	v_mov_b32_e32 v8, v7
	v_mad_u64_u32 v[4:5], s[0:1], v4, s5, v[8:9]
	v_mov_b32_e32 v7, v4
	global_load_ubyte v4, v[6:7], off
	s_waitcnt vmcnt(0)
	v_xor_b32_e32 v5, s2, v4
	v_and_b32_e32 v5, s3, v5
	v_cmp_eq_u32_e64 s[0:1], 0, v5
	s_and_b64 exec, exec, s[0:1]
	s_cbranch_execz .LBB124_10
; %bb.22:                               ;   in Loop: Header=BB124_11 Depth=1
	v_lshrrev_b32_e32 v4, s12, v4
	v_lshlrev_b32_e32 v4, 2, v4
	ds_add_u32 v4, v3
	s_branch .LBB124_10
.LBB124_23:
	s_and_b32 s13, s27, 3
	s_cmp_eq_u32 s13, 0
	s_cbranch_scc1 .LBB124_29
; %bb.24:
	s_lshl_b32 s0, s26, 8
	s_add_i32 s0, s0, s25
	v_add_u32_e32 v2, s0, v0
	v_mov_b32_e32 v3, 1
	s_branch .LBB124_26
.LBB124_25:                             ;   in Loop: Header=BB124_26 Depth=1
	s_or_b64 exec, exec, s[8:9]
	s_add_i32 s13, s13, -1
	s_cmp_lg_u32 s13, 0
	v_add_u32_e32 v2, 0x100, v2
	s_cbranch_scc0 .LBB124_29
.LBB124_26:                             ; =>This Inner Loop Header: Depth=1
	v_cmp_gt_u32_e64 s[0:1], s21, v2
	s_and_saveexec_b64 s[8:9], s[0:1]
	s_cbranch_execz .LBB124_25
; %bb.27:                               ;   in Loop: Header=BB124_26 Depth=1
	v_pk_mov_b32 v[4:5], s[6:7], s[6:7] op_sel:[0,1]
	s_waitcnt lgkmcnt(0)
	v_mad_u64_u32 v[4:5], s[0:1], v2, s4, v[4:5]
	v_mov_b32_e32 v6, v5
	v_mad_u64_u32 v[6:7], s[0:1], v2, s5, v[6:7]
	v_mov_b32_e32 v5, v6
	global_load_ubyte v4, v[4:5], off
	s_waitcnt vmcnt(0)
	v_xor_b32_e32 v5, s2, v4
	v_and_b32_e32 v5, s3, v5
	v_cmp_eq_u32_e64 s[0:1], 0, v5
	s_and_b64 exec, exec, s[0:1]
	s_cbranch_execz .LBB124_25
; %bb.28:                               ;   in Loop: Header=BB124_26 Depth=1
	v_lshrrev_b32_e32 v4, s12, v4
	v_lshlrev_b32_e32 v4, 2, v4
	ds_add_u32 v4, v3
	s_branch .LBB124_25
.LBB124_29:
	v_mov_b32_e32 v2, 0
	s_waitcnt lgkmcnt(0)
	s_barrier
	s_and_saveexec_b64 s[0:1], vcc
	s_cbranch_execz .LBB124_31
; %bb.30:
	ds_read_b32 v2, v1
.LBB124_31:
	s_or_b64 exec, exec, s[0:1]
	s_and_saveexec_b64 s[0:1], vcc
	s_cbranch_execz .LBB124_33
; %bb.32:
	v_lshl_or_b32 v0, s24, 8, v0
	v_mov_b32_e32 v1, 0
	v_lshlrev_b64 v[0:1], 1, v[0:1]
	v_mov_b32_e32 v3, s11
	v_add_co_u32_e32 v0, vcc, s10, v0
	v_addc_co_u32_e32 v1, vcc, v3, v1, vcc
	s_waitcnt lgkmcnt(0)
	global_store_short v[0:1], v2, off
.LBB124_33:
	s_endpgm
	.section	.rodata,"a",@progbits
	.p2align	6, 0x0
	.amdhsa_kernel _ZN2at6native6mbtopk23computeBlockDigitCountsIhmjLi3EEEvNS_4cuda6detail10TensorInfoIKT_T0_EEjPjjS8_iijT1_PSB_Ps
		.amdhsa_group_segment_fixed_size 1024
		.amdhsa_private_segment_fixed_size 0
		.amdhsa_kernarg_size 736
		.amdhsa_user_sgpr_count 6
		.amdhsa_user_sgpr_private_segment_buffer 1
		.amdhsa_user_sgpr_dispatch_ptr 0
		.amdhsa_user_sgpr_queue_ptr 0
		.amdhsa_user_sgpr_kernarg_segment_ptr 1
		.amdhsa_user_sgpr_dispatch_id 0
		.amdhsa_user_sgpr_flat_scratch_init 0
		.amdhsa_user_sgpr_kernarg_preload_length 0
		.amdhsa_user_sgpr_kernarg_preload_offset 0
		.amdhsa_user_sgpr_private_segment_size 0
		.amdhsa_uses_dynamic_stack 0
		.amdhsa_system_sgpr_private_segment_wavefront_offset 0
		.amdhsa_system_sgpr_workgroup_id_x 1
		.amdhsa_system_sgpr_workgroup_id_y 1
		.amdhsa_system_sgpr_workgroup_id_z 1
		.amdhsa_system_sgpr_workgroup_info 0
		.amdhsa_system_vgpr_workitem_id 0
		.amdhsa_next_free_vgpr 10
		.amdhsa_next_free_sgpr 30
		.amdhsa_accum_offset 12
		.amdhsa_reserve_vcc 1
		.amdhsa_reserve_flat_scratch 0
		.amdhsa_float_round_mode_32 0
		.amdhsa_float_round_mode_16_64 0
		.amdhsa_float_denorm_mode_32 3
		.amdhsa_float_denorm_mode_16_64 3
		.amdhsa_dx10_clamp 1
		.amdhsa_ieee_mode 1
		.amdhsa_fp16_overflow 0
		.amdhsa_tg_split 0
		.amdhsa_exception_fp_ieee_invalid_op 0
		.amdhsa_exception_fp_denorm_src 0
		.amdhsa_exception_fp_ieee_div_zero 0
		.amdhsa_exception_fp_ieee_overflow 0
		.amdhsa_exception_fp_ieee_underflow 0
		.amdhsa_exception_fp_ieee_inexact 0
		.amdhsa_exception_int_div_zero 0
	.end_amdhsa_kernel
	.section	.text._ZN2at6native6mbtopk23computeBlockDigitCountsIhmjLi3EEEvNS_4cuda6detail10TensorInfoIKT_T0_EEjPjjS8_iijT1_PSB_Ps,"axG",@progbits,_ZN2at6native6mbtopk23computeBlockDigitCountsIhmjLi3EEEvNS_4cuda6detail10TensorInfoIKT_T0_EEjPjjS8_iijT1_PSB_Ps,comdat
.Lfunc_end124:
	.size	_ZN2at6native6mbtopk23computeBlockDigitCountsIhmjLi3EEEvNS_4cuda6detail10TensorInfoIKT_T0_EEjPjjS8_iijT1_PSB_Ps, .Lfunc_end124-_ZN2at6native6mbtopk23computeBlockDigitCountsIhmjLi3EEEvNS_4cuda6detail10TensorInfoIKT_T0_EEjPjjS8_iijT1_PSB_Ps
                                        ; -- End function
	.section	.AMDGPU.csdata,"",@progbits
; Kernel info:
; codeLenInByte = 1460
; NumSgprs: 34
; NumVgprs: 10
; NumAgprs: 0
; TotalNumVgprs: 10
; ScratchSize: 0
; MemoryBound: 0
; FloatMode: 240
; IeeeMode: 1
; LDSByteSize: 1024 bytes/workgroup (compile time only)
; SGPRBlocks: 4
; VGPRBlocks: 1
; NumSGPRsForWavesPerEU: 34
; NumVGPRsForWavesPerEU: 10
; AccumOffset: 12
; Occupancy: 8
; WaveLimiterHint : 1
; COMPUTE_PGM_RSRC2:SCRATCH_EN: 0
; COMPUTE_PGM_RSRC2:USER_SGPR: 6
; COMPUTE_PGM_RSRC2:TRAP_HANDLER: 0
; COMPUTE_PGM_RSRC2:TGID_X_EN: 1
; COMPUTE_PGM_RSRC2:TGID_Y_EN: 1
; COMPUTE_PGM_RSRC2:TGID_Z_EN: 1
; COMPUTE_PGM_RSRC2:TIDIG_COMP_CNT: 0
; COMPUTE_PGM_RSRC3_GFX90A:ACCUM_OFFSET: 2
; COMPUTE_PGM_RSRC3_GFX90A:TG_SPLIT: 0
	.section	.text._ZN2at6native6mbtopk10gatherTopKIhmLi3EEEvNS_4cuda6detail10TensorInfoIKT_T0_EES8_S8_bjS8_NS5_IS6_S8_EES8_NS5_IlS8_EES8_jjPS6_PjSD_j,"axG",@progbits,_ZN2at6native6mbtopk10gatherTopKIhmLi3EEEvNS_4cuda6detail10TensorInfoIKT_T0_EES8_S8_bjS8_NS5_IS6_S8_EES8_NS5_IlS8_EES8_jjPS6_PjSD_j,comdat
	.protected	_ZN2at6native6mbtopk10gatherTopKIhmLi3EEEvNS_4cuda6detail10TensorInfoIKT_T0_EES8_S8_bjS8_NS5_IS6_S8_EES8_NS5_IlS8_EES8_jjPS6_PjSD_j ; -- Begin function _ZN2at6native6mbtopk10gatherTopKIhmLi3EEEvNS_4cuda6detail10TensorInfoIKT_T0_EES8_S8_bjS8_NS5_IS6_S8_EES8_NS5_IlS8_EES8_jjPS6_PjSD_j
	.globl	_ZN2at6native6mbtopk10gatherTopKIhmLi3EEEvNS_4cuda6detail10TensorInfoIKT_T0_EES8_S8_bjS8_NS5_IS6_S8_EES8_NS5_IlS8_EES8_jjPS6_PjSD_j
	.p2align	8
	.type	_ZN2at6native6mbtopk10gatherTopKIhmLi3EEEvNS_4cuda6detail10TensorInfoIKT_T0_EES8_S8_bjS8_NS5_IS6_S8_EES8_NS5_IlS8_EES8_jjPS6_PjSD_j,@function
_ZN2at6native6mbtopk10gatherTopKIhmLi3EEEvNS_4cuda6detail10TensorInfoIKT_T0_EES8_S8_bjS8_NS5_IS6_S8_EES8_NS5_IlS8_EES8_jjPS6_PjSD_j: ; @_ZN2at6native6mbtopk10gatherTopKIhmLi3EEEvNS_4cuda6detail10TensorInfoIKT_T0_EES8_S8_bjS8_NS5_IS6_S8_EES8_NS5_IlS8_EES8_jjPS6_PjSD_j
; %bb.0:
	s_load_dwordx2 s[0:1], s[4:5], 0x538
	s_load_dword s2, s[4:5], 0x530
	s_waitcnt lgkmcnt(0)
	s_mul_i32 s1, s1, s8
	s_add_i32 s1, s1, s7
	s_mul_i32 s0, s1, s0
	s_add_i32 s0, s0, s6
	s_cmp_ge_u32 s0, s2
	s_cbranch_scc1 .LBB125_54
; %bb.1:
	s_load_dwordx2 s[34:35], s[4:5], 0x510
	s_load_dwordx4 s[8:11], s[4:5], 0x1a0
	s_load_dwordx4 s[12:15], s[4:5], 0x10
	s_mov_b32 s7, 0
	s_waitcnt lgkmcnt(0)
	v_cvt_f32_u32_e32 v1, s35
	s_sub_i32 s2, 0, s35
	s_lshl_b32 s1, s34, 8
	v_rcp_iflag_f32_e32 v1, v1
	v_mul_f32_e32 v1, 0x4f7ffffe, v1
	v_cvt_u32_f32_e32 v1, v1
	v_readfirstlane_b32 s3, v1
	s_mul_i32 s2, s2, s3
	s_mul_hi_u32 s2, s3, s2
	s_add_i32 s3, s3, s2
	s_mul_hi_u32 s2, s0, s3
	s_mul_i32 s3, s2, s35
	s_sub_i32 s3, s0, s3
	s_add_i32 s6, s2, 1
	s_sub_i32 s16, s3, s35
	s_cmp_ge_u32 s3, s35
	s_cselect_b32 s2, s6, s2
	s_cselect_b32 s3, s16, s3
	s_add_i32 s6, s2, 1
	s_cmp_ge_u32 s3, s35
	s_cselect_b32 s6, s6, s2
	s_mul_i32 s52, s6, s35
	s_sub_i32 s76, s0, s52
	s_add_i32 s0, s76, 1
	s_cmp_lt_u32 s0, s35
	s_mul_i32 s33, s76, s1
	s_cbranch_scc1 .LBB125_3
; %bb.2:
	s_sub_u32 s0, s8, s33
	s_subb_u32 s1, s9, 0
	s_add_u32 s0, s0, 0xff
	s_addc_u32 s1, s1, 0
	s_ashr_i32 s2, s1, 31
	s_lshr_b32 s2, s2, 24
	s_add_u32 s0, s0, s2
	s_addc_u32 s1, s1, 0
	v_mov_b32_e32 v1, s0
	v_alignbit_b32 v1, s1, v1, 8
	v_readfirstlane_b32 s34, v1
.LBB125_3:
	v_pk_mov_b32 v[2:3], s[14:15], s[14:15] op_sel:[0,1]
	v_cmp_lt_u64_e32 vcc, s[6:7], v[2:3]
	s_mov_b64 s[50:51], 0
	s_mov_b64 s[48:49], 0
	s_cbranch_vccnz .LBB125_5
; %bb.4:
	v_cvt_f32_u32_e32 v1, s14
	s_sub_i32 s0, 0, s14
	s_mov_b32 s49, 0
	v_rcp_iflag_f32_e32 v1, v1
	v_mul_f32_e32 v1, 0x4f7ffffe, v1
	v_cvt_u32_f32_e32 v1, v1
	v_readfirstlane_b32 s1, v1
	s_mul_i32 s0, s0, s1
	s_mul_hi_u32 s0, s1, s0
	s_add_i32 s1, s1, s0
	s_mul_hi_u32 s0, s6, s1
	s_mul_i32 s2, s0, s14
	s_sub_i32 s2, s6, s2
	s_add_i32 s1, s0, 1
	s_sub_i32 s3, s2, s14
	s_cmp_ge_u32 s2, s14
	s_cselect_b32 s0, s1, s0
	s_cselect_b32 s2, s3, s2
	s_add_i32 s1, s0, 1
	s_cmp_ge_u32 s2, s14
	s_cselect_b32 s48, s1, s0
.LBB125_5:
	s_load_dwordx4 s[16:19], s[4:5], 0x1d0
	v_pk_mov_b32 v[2:3], s[12:13], s[12:13] op_sel:[0,1]
	v_cmp_lt_u64_e32 vcc, s[48:49], v[2:3]
	s_cbranch_vccnz .LBB125_7
; %bb.6:
	v_cvt_f32_u32_e32 v1, s12
	s_sub_i32 s0, 0, s12
	v_rcp_iflag_f32_e32 v1, v1
	v_mul_f32_e32 v1, 0x4f7ffffe, v1
	v_cvt_u32_f32_e32 v1, v1
	v_readfirstlane_b32 s1, v1
	s_mul_i32 s0, s0, s1
	s_mul_hi_u32 s0, s1, s0
	s_add_i32 s1, s1, s0
	s_mul_hi_u32 s0, s48, s1
	s_mul_i32 s2, s0, s12
	s_sub_i32 s2, s48, s2
	s_add_i32 s1, s0, 1
	s_sub_i32 s3, s2, s12
	s_cmp_ge_u32 s2, s12
	s_cselect_b32 s0, s1, s0
	s_cselect_b32 s2, s3, s2
	s_add_i32 s1, s0, 1
	s_cmp_ge_u32 s2, s12
	s_cselect_b32 s50, s1, s0
.LBB125_7:
	s_waitcnt lgkmcnt(0)
	v_pk_mov_b32 v[2:3], s[18:19], s[18:19] op_sel:[0,1]
	v_cmp_lt_u64_e32 vcc, s[6:7], v[2:3]
	s_mov_b64 s[56:57], 0
	s_mov_b64 s[54:55], 0
	s_cbranch_vccnz .LBB125_9
; %bb.8:
	v_cvt_f32_u32_e32 v1, s18
	s_sub_i32 s0, 0, s18
	s_mov_b32 s55, 0
	v_rcp_iflag_f32_e32 v1, v1
	v_mul_f32_e32 v1, 0x4f7ffffe, v1
	v_cvt_u32_f32_e32 v1, v1
	v_readfirstlane_b32 s1, v1
	s_mul_i32 s0, s0, s1
	s_mul_hi_u32 s0, s1, s0
	s_add_i32 s1, s1, s0
	s_mul_hi_u32 s0, s6, s1
	s_mul_i32 s2, s0, s18
	s_sub_i32 s2, s6, s2
	s_add_i32 s1, s0, 1
	s_sub_i32 s3, s2, s18
	s_cmp_ge_u32 s2, s18
	s_cselect_b32 s0, s1, s0
	s_cselect_b32 s2, s3, s2
	s_add_i32 s1, s0, 1
	s_cmp_ge_u32 s2, s18
	s_cselect_b32 s54, s1, s0
.LBB125_9:
	s_load_dwordx4 s[20:23], s[4:5], 0x378
	v_pk_mov_b32 v[2:3], s[16:17], s[16:17] op_sel:[0,1]
	v_cmp_lt_u64_e32 vcc, s[54:55], v[2:3]
	s_cbranch_vccnz .LBB125_11
; %bb.10:
	v_cvt_f32_u32_e32 v1, s16
	s_sub_i32 s0, 0, s16
	v_rcp_iflag_f32_e32 v1, v1
	v_mul_f32_e32 v1, 0x4f7ffffe, v1
	v_cvt_u32_f32_e32 v1, v1
	v_readfirstlane_b32 s1, v1
	s_mul_i32 s0, s0, s1
	s_mul_hi_u32 s0, s1, s0
	s_add_i32 s1, s1, s0
	s_mul_hi_u32 s0, s54, s1
	s_mul_i32 s2, s0, s16
	s_sub_i32 s2, s54, s2
	s_add_i32 s1, s0, 1
	s_sub_i32 s3, s2, s16
	s_cmp_ge_u32 s2, s16
	s_cselect_b32 s0, s1, s0
	s_cselect_b32 s2, s3, s2
	s_add_i32 s1, s0, 1
	s_cmp_ge_u32 s2, s16
	s_cselect_b32 s56, s1, s0
.LBB125_11:
	s_waitcnt lgkmcnt(0)
	v_pk_mov_b32 v[2:3], s[22:23], s[22:23] op_sel:[0,1]
	v_cmp_lt_u64_e32 vcc, s[6:7], v[2:3]
	s_mov_b64 s[58:59], 0
	s_mov_b64 s[60:61], 0
	s_cbranch_vccnz .LBB125_13
; %bb.12:
	v_cvt_f32_u32_e32 v1, s22
	s_sub_i32 s0, 0, s22
	s_mov_b32 s61, 0
	v_rcp_iflag_f32_e32 v1, v1
	v_mul_f32_e32 v1, 0x4f7ffffe, v1
	v_cvt_u32_f32_e32 v1, v1
	v_readfirstlane_b32 s1, v1
	s_mul_i32 s0, s0, s1
	s_mul_hi_u32 s0, s1, s0
	s_add_i32 s1, s1, s0
	s_mul_hi_u32 s0, s6, s1
	s_mul_i32 s2, s0, s22
	s_sub_i32 s2, s6, s2
	s_add_i32 s1, s0, 1
	s_sub_i32 s3, s2, s22
	s_cmp_ge_u32 s2, s22
	s_cselect_b32 s0, s1, s0
	s_cselect_b32 s2, s3, s2
	s_add_i32 s1, s0, 1
	s_cmp_ge_u32 s2, s22
	s_cselect_b32 s60, s1, s0
.LBB125_13:
	s_load_dwordx2 s[62:63], s[4:5], 0xe0
	s_load_dwordx4 s[40:43], s[4:5], 0xd0
	s_load_dwordx2 s[64:65], s[4:5], 0x2a0
	s_load_dwordx4 s[44:47], s[4:5], 0x290
	;; [unrolled: 2-line block ×3, first 2 shown]
	v_pk_mov_b32 v[2:3], s[20:21], s[20:21] op_sel:[0,1]
	v_cmp_lt_u64_e32 vcc, s[60:61], v[2:3]
	s_cbranch_vccnz .LBB125_15
; %bb.14:
	v_cvt_f32_u32_e32 v1, s20
	s_sub_i32 s0, 0, s20
	v_rcp_iflag_f32_e32 v1, v1
	v_mul_f32_e32 v1, 0x4f7ffffe, v1
	v_cvt_u32_f32_e32 v1, v1
	v_readfirstlane_b32 s1, v1
	s_mul_i32 s0, s0, s1
	s_mul_hi_u32 s0, s1, s0
	s_add_i32 s1, s1, s0
	s_mul_hi_u32 s0, s60, s1
	s_mul_i32 s2, s0, s20
	s_sub_i32 s2, s60, s2
	s_add_i32 s1, s0, 1
	s_sub_i32 s3, s2, s20
	s_cmp_ge_u32 s2, s20
	s_cselect_b32 s0, s1, s0
	s_cselect_b32 s2, s3, s2
	s_add_i32 s1, s0, 1
	s_cmp_ge_u32 s2, s20
	s_cselect_b32 s58, s1, s0
.LBB125_15:
	s_load_dwordx4 s[24:27], s[4:5], 0x518
	s_load_dwordx2 s[66:67], s[4:5], 0x0
	v_mov_b32_e32 v1, 0
	s_mov_b32 s53, 0
	v_cmp_eq_u32_e64 s[2:3], 0, v0
	s_waitcnt lgkmcnt(0)
	s_add_u32 s0, s24, s6
	s_addc_u32 s1, s25, 0
	global_load_ubyte v5, v1, s[0:1]
	v_cmp_ne_u32_e64 s[0:1], 0, v0
	s_and_saveexec_b64 s[24:25], s[2:3]
	s_cbranch_execz .LBB125_31
; %bb.16:
	s_load_dwordx2 s[70:71], s[4:5], 0x528
	s_lshl_b64 s[72:73], s[52:53], 2
	s_add_u32 s28, s26, s72
	s_addc_u32 s29, s27, s73
	s_mov_b32 s51, 0
	s_waitcnt lgkmcnt(0)
	s_add_u32 s30, s70, s72
	s_addc_u32 s31, s71, s73
	s_cmp_lt_u32 s35, 4
	s_cbranch_scc1 .LBB125_28
; %bb.17:
	s_mov_b32 s52, 0
.LBB125_18:                             ; =>This Inner Loop Header: Depth=1
	s_add_u32 s28, s26, s72
	s_addc_u32 s29, s27, s73
	s_load_dwordx4 s[28:31], s[28:29], 0x0
	s_add_u32 s74, s70, s72
	s_addc_u32 s75, s71, s73
	s_cmp_ge_u32 s52, s76
	s_cbranch_scc0 .LBB125_25
; %bb.19:                               ;   in Loop: Header=BB125_18 Depth=1
	s_add_i32 s57, s52, 1
	s_cmp_ge_u32 s57, s76
	s_cbranch_scc0 .LBB125_26
.LBB125_20:                             ;   in Loop: Header=BB125_18 Depth=1
	s_add_i32 s57, s57, 1
	s_cmp_ge_u32 s57, s76
	s_cbranch_scc0 .LBB125_27
.LBB125_21:                             ;   in Loop: Header=BB125_18 Depth=1
	s_add_i32 s57, s57, 1
	s_cmp_ge_u32 s57, s76
	s_cbranch_scc1 .LBB125_23
.LBB125_22:                             ;   in Loop: Header=BB125_18 Depth=1
	s_load_dword s59, s[74:75], 0xc
	s_waitcnt lgkmcnt(0)
	s_add_i32 s53, s53, s31
	s_add_i32 s7, s59, s7
.LBB125_23:                             ;   in Loop: Header=BB125_18 Depth=1
	s_waitcnt lgkmcnt(0)
	s_add_i32 s28, s28, s51
	s_add_i32 s28, s28, s29
	;; [unrolled: 1-line block ×4, first 2 shown]
	s_add_u32 s26, s26, 16
	s_addc_u32 s27, s27, 0
	s_add_u32 s70, s70, 16
	s_addc_u32 s71, s71, 0
	s_add_i32 s59, s57, 4
	s_add_u32 s30, s70, s72
	s_addc_u32 s31, s71, s73
	s_add_u32 s28, s26, s72
	s_addc_u32 s29, s27, s73
	s_add_i32 s57, s57, 1
	s_cmp_ge_u32 s59, s35
	s_cbranch_scc1 .LBB125_29
; %bb.24:                               ;   in Loop: Header=BB125_18 Depth=1
	s_mov_b32 s52, s57
	s_branch .LBB125_18
.LBB125_25:                             ;   in Loop: Header=BB125_18 Depth=1
	s_load_dword s57, s[74:75], 0x0
	s_waitcnt lgkmcnt(0)
	s_add_i32 s53, s28, s53
	s_add_i32 s7, s57, s7
	;; [unrolled: 1-line block ×3, first 2 shown]
	s_cmp_ge_u32 s57, s76
	s_cbranch_scc1 .LBB125_20
.LBB125_26:                             ;   in Loop: Header=BB125_18 Depth=1
	s_load_dword s59, s[74:75], 0x4
	s_waitcnt lgkmcnt(0)
	s_add_i32 s53, s53, s29
	s_add_i32 s7, s59, s7
	;; [unrolled: 1-line block ×3, first 2 shown]
	s_cmp_ge_u32 s57, s76
	s_cbranch_scc1 .LBB125_21
.LBB125_27:                             ;   in Loop: Header=BB125_18 Depth=1
	s_load_dword s59, s[74:75], 0x8
	s_waitcnt lgkmcnt(0)
	s_add_i32 s53, s53, s30
	s_add_i32 s7, s59, s7
	;; [unrolled: 1-line block ×3, first 2 shown]
	s_cmp_ge_u32 s57, s76
	s_cbranch_scc0 .LBB125_22
	s_branch .LBB125_23
.LBB125_28:
	s_mov_b32 s26, 0
	s_cmp_ge_u32 s26, s35
	s_cbranch_scc0 .LBB125_52
	s_branch .LBB125_30
.LBB125_29:
	s_add_i32 s26, s52, 4
	s_cmp_ge_u32 s26, s35
	s_cbranch_scc0 .LBB125_52
.LBB125_30:
	v_mov_b32_e32 v2, s7
	v_mov_b32_e32 v3, s51
	;; [unrolled: 1-line block ×4, first 2 shown]
	ds_write_b96 v1, v[2:4] offset:1056
.LBB125_31:
	s_or_b64 exec, exec, s[24:25]
	s_load_dwordx4 s[24:27], s[4:5], 0x1b8
	s_load_dwordx4 s[28:31], s[4:5], 0x360
	s_cmp_eq_u32 s34, 0
	s_waitcnt lgkmcnt(0)
	s_barrier
	s_cbranch_scc1 .LBB125_54
; %bb.32:
	s_mul_i32 s7, s60, s23
	s_mul_hi_u32 s23, s60, s22
	s_add_i32 s23, s23, s7
	s_mul_i32 s7, s60, s22
	s_sub_u32 s7, s6, s7
	s_subb_u32 s22, 0, s23
	s_mul_i32 s23, s7, s69
	s_mul_hi_u32 s35, s7, s68
	s_add_i32 s23, s35, s23
	s_mul_i32 s22, s22, s68
	s_add_i32 s23, s23, s22
	s_mul_i32 s22, s7, s68
	s_mul_i32 s7, s56, s17
	s_mul_hi_u32 s17, s56, s16
	s_add_i32 s17, s17, s7
	s_mul_i32 s7, s56, s16
	s_sub_u32 s7, s54, s7
	s_subb_u32 s16, s55, s17
	s_mul_i32 s17, s7, s47
	s_mul_hi_u32 s35, s7, s46
	s_add_i32 s17, s35, s17
	s_mul_i32 s16, s16, s46
	s_add_i32 s35, s17, s16
	s_mul_i32 s46, s7, s46
	s_mul_i32 s7, s56, s45
	s_mul_hi_u32 s16, s56, s44
	s_add_i32 s45, s16, s7
	s_mul_i32 s7, s54, s19
	s_mul_hi_u32 s16, s54, s18
	s_add_i32 s16, s16, s7
	s_mul_i32 s7, s54, s18
	s_sub_u32 s7, s6, s7
	s_subb_u32 s16, 0, s16
	s_mul_i32 s17, s7, s65
	s_mul_hi_u32 s18, s7, s64
	s_add_i32 s17, s18, s17
	s_mul_i32 s16, s16, s64
	s_mul_i32 s19, s7, s64
	;; [unrolled: 1-line block ×3, first 2 shown]
	s_mul_hi_u32 s13, s50, s12
	s_add_i32 s18, s17, s16
	s_add_i32 s13, s13, s7
	s_mul_i32 s7, s50, s12
	s_sub_u32 s7, s48, s7
	s_subb_u32 s12, s49, s13
	s_mul_i32 s13, s7, s43
	s_mul_hi_u32 s16, s7, s42
	s_add_i32 s13, s16, s13
	s_mul_i32 s12, s12, s42
	s_add_i32 s13, s13, s12
	s_mul_i32 s12, s7, s42
	s_mul_i32 s7, s50, s41
	s_mul_hi_u32 s16, s50, s40
	s_add_i32 s41, s16, s7
	s_mul_i32 s7, s48, s15
	s_mul_hi_u32 s15, s48, s14
	s_add_i32 s15, s15, s7
	s_mul_i32 s7, s48, s14
	s_sub_u32 s6, s6, s7
	s_subb_u32 s7, 0, s15
	s_mul_i32 s14, s6, s63
	s_mul_hi_u32 s15, s6, s62
	s_add_i32 s14, s15, s14
	s_mul_i32 s7, s7, s62
	s_add_i32 s14, s14, s7
	s_mul_i32 s15, s6, s62
	s_mul_i32 s6, s58, s21
	s_mul_hi_u32 s7, s58, s20
	s_add_i32 s7, s7, s6
	s_mul_i32 s6, s58, s20
	s_sub_u32 s6, s60, s6
	s_subb_u32 s7, s61, s7
	s_mul_i32 s16, s6, s39
	s_mul_hi_u32 s17, s6, s38
	s_add_i32 s16, s17, s16
	s_mul_i32 s7, s7, s38
	s_add_i32 s7, s16, s7
	s_mul_i32 s16, s58, s37
	s_mul_hi_u32 s17, s58, s36
	s_mul_i32 s40, s50, s40
	s_add_i32 s17, s17, s16
	s_add_u32 s20, s66, s40
	s_addc_u32 s21, s67, s41
	s_add_u32 s12, s20, s12
	s_addc_u32 s13, s21, s13
	s_add_u32 s12, s12, s15
	s_mul_i32 s44, s56, s44
	s_addc_u32 s13, s13, s14
	s_add_u32 s14, s26, s44
	s_addc_u32 s15, s27, s45
	s_add_u32 s14, s14, s46
	s_addc_u32 s15, s15, s35
	s_mul_i32 s16, s58, s36
	s_add_u32 s14, s14, s19
	v_mov_b32_e32 v1, 0
	s_addc_u32 s15, s15, s18
	s_lshl_b64 s[16:17], s[16:17], 3
	ds_read_b96 v[2:4], v1 offset:1056
	s_mul_i32 s6, s6, s38
	s_add_u32 s16, s30, s16
	s_addc_u32 s17, s31, s17
	s_lshl_b64 s[6:7], s[6:7], 3
	s_add_u32 s16, s16, s6
	s_addc_u32 s17, s17, s7
	s_lshl_b64 s[6:7], s[22:23], 3
	s_add_u32 s20, s16, s6
	s_load_dword s6, s[4:5], 0x1b0
	s_waitcnt lgkmcnt(0)
	v_add_u32_e32 v2, v2, v3
	v_lshrrev_b32_e32 v3, 5, v0
	v_add_lshl_u32 v8, v3, v0, 2
	v_lshlrev_b32_e32 v3, 2, v0
	v_lshrrev_b32_e32 v6, 3, v0
	s_addc_u32 s21, s17, s7
	s_load_dwordx2 s[16:17], s[4:5], 0x508
	v_add_lshl_u32 v9, v6, v3, 2
	v_add_u32_e32 v3, -1, v0
	v_lshrrev_b32_e32 v6, 5, v3
	v_add_lshl_u32 v10, v6, v3, 2
	v_mbcnt_lo_u32_b32 v3, -1, 0
	s_bitcmp1_b32 s6, 0
	v_mbcnt_hi_u32_b32 v11, -1, v3
	s_cselect_b64 s[4:5], -1, 0
	v_cmp_gt_u32_e64 s[6:7], 64, v0
	v_add_u32_e32 v0, s33, v0
	v_and_b32_e32 v12, 15, v11
	v_bfe_i32 v13, v11, 4, 1
	v_add_u32_e32 v14, -1, v11
	v_and_b32_e32 v15, 64, v11
                                        ; implicit-def: $vgpr16
	s_branch .LBB125_35
.LBB125_33:                             ;   in Loop: Header=BB125_35 Depth=1
	s_or_b64 exec, exec, s[18:19]
	v_add_u32_e32 v2, v3, v2
.LBB125_34:                             ;   in Loop: Header=BB125_35 Depth=1
	s_add_i32 s34, s34, -1
	v_add_u32_e32 v4, v17, v4
	s_cmp_lg_u32 s34, 0
	v_add_u32_e32 v0, 0x100, v0
	s_cbranch_scc0 .LBB125_54
.LBB125_35:                             ; =>This Inner Loop Header: Depth=1
	v_cmp_gt_u64_e32 vcc, s[8:9], v[0:1]
	v_mov_b32_e32 v3, v1
	v_mov_b32_e32 v6, v1
	s_and_saveexec_b64 s[18:19], vcc
	s_cbranch_execz .LBB125_37
; %bb.36:                               ;   in Loop: Header=BB125_35 Depth=1
	v_pk_mov_b32 v[6:7], s[12:13], s[12:13] op_sel:[0,1]
	v_mad_u64_u32 v[6:7], s[22:23], v0, s24, v[6:7]
	v_mov_b32_e32 v16, v7
	v_mad_u64_u32 v[16:17], s[22:23], v0, s25, v[16:17]
	v_mov_b32_e32 v7, v16
	global_load_ubyte v16, v[6:7], off
	s_waitcnt vmcnt(0)
	v_cmp_gt_u16_sdwa s[22:23], v16, v5 src0_sel:DWORD src1_sel:BYTE_0
	v_cndmask_b32_e64 v3, 0, 1, s[22:23]
	v_cmp_lt_u16_sdwa s[22:23], v16, v5 src0_sel:DWORD src1_sel:BYTE_0
	v_cndmask_b32_e64 v6, 0, 1, s[22:23]
	v_cndmask_b32_e64 v3, v6, v3, s[4:5]
	v_cmp_eq_u16_sdwa s[22:23], v16, v5 src0_sel:DWORD src1_sel:BYTE_0
	v_and_b32_e32 v3, 1, v3
	v_cndmask_b32_e64 v6, 0, 1, s[22:23]
.LBB125_37:                             ;   in Loop: Header=BB125_35 Depth=1
	s_or_b64 exec, exec, s[18:19]
	ds_write_b32 v8, v3
	s_waitcnt lgkmcnt(0)
	s_barrier
	s_and_saveexec_b64 s[18:19], s[6:7]
	s_cbranch_execz .LBB125_39
; %bb.38:                               ;   in Loop: Header=BB125_35 Depth=1
	ds_read2_b32 v[18:19], v9 offset1:1
	ds_read2_b32 v[20:21], v9 offset0:2 offset1:3
	v_cmp_ne_u32_e32 vcc, 0, v12
	; wave barrier
	s_waitcnt lgkmcnt(1)
	v_add_u32_e32 v7, v19, v18
	s_waitcnt lgkmcnt(0)
	v_add3_u32 v7, v7, v20, v21
	s_nop 1
	v_mov_b32_dpp v17, v7 row_shr:1 row_mask:0xf bank_mask:0xf
	v_cndmask_b32_e32 v17, 0, v17, vcc
	v_add_u32_e32 v7, v17, v7
	v_cmp_lt_u32_e32 vcc, 1, v12
	s_nop 0
	v_mov_b32_dpp v17, v7 row_shr:2 row_mask:0xf bank_mask:0xf
	v_cndmask_b32_e32 v17, 0, v17, vcc
	v_add_u32_e32 v7, v7, v17
	v_cmp_lt_u32_e32 vcc, 3, v12
	;; [unrolled: 5-line block ×4, first 2 shown]
	s_nop 0
	v_mov_b32_dpp v17, v7 row_bcast:15 row_mask:0xf bank_mask:0xf
	v_and_b32_e32 v17, v13, v17
	v_add_u32_e32 v7, v7, v17
	s_nop 1
	v_mov_b32_dpp v17, v7 row_bcast:31 row_mask:0xf bank_mask:0xf
	v_cndmask_b32_e32 v17, 0, v17, vcc
	v_cmp_lt_i32_e32 vcc, v14, v15
	v_add_u32_e32 v7, v7, v17
	v_cndmask_b32_e32 v17, v14, v11, vcc
	v_lshlrev_b32_e32 v17, 2, v17
	ds_bpermute_b32 v7, v17, v7
	s_waitcnt lgkmcnt(0)
	v_add_u32_e32 v7, v7, v18
	v_cndmask_b32_e64 v7, v7, v3, s[2:3]
	ds_write_b32 v9, v7
	; wave barrier
	ds_read2_b32 v[18:19], v9 offset0:1 offset1:2
	ds_read_b32 v17, v9 offset:12
	s_waitcnt lgkmcnt(1)
	v_add_u32_e32 v7, v18, v7
	v_add_u32_e32 v18, v19, v7
	ds_write2_b32 v9, v7, v18 offset0:1 offset1:2
	s_waitcnt lgkmcnt(1)
	v_add_u32_e32 v7, v17, v18
	ds_write_b32 v9, v7 offset:12
.LBB125_39:                             ;   in Loop: Header=BB125_35 Depth=1
	s_or_b64 exec, exec, s[18:19]
	v_mov_b32_e32 v7, 0
	s_waitcnt lgkmcnt(0)
	s_barrier
	s_and_saveexec_b64 s[18:19], s[0:1]
	s_cbranch_execz .LBB125_41
; %bb.40:                               ;   in Loop: Header=BB125_35 Depth=1
	ds_read_b32 v7, v10
.LBB125_41:                             ;   in Loop: Header=BB125_35 Depth=1
	s_or_b64 exec, exec, s[18:19]
	ds_read_b32 v17, v1 offset:1048
	v_cmp_ne_u32_e32 vcc, 0, v3
	s_waitcnt lgkmcnt(0)
	s_barrier
	s_and_saveexec_b64 s[18:19], vcc
	s_cbranch_execz .LBB125_43
; %bb.42:                               ;   in Loop: Header=BB125_35 Depth=1
	v_add_u32_e32 v3, v7, v4
	v_pk_mov_b32 v[18:19], s[14:15], s[14:15] op_sel:[0,1]
	v_mad_u64_u32 v[18:19], s[22:23], v3, s28, v[18:19]
	v_mov_b32_e32 v20, v19
	v_mad_u64_u32 v[20:21], s[22:23], v3, s29, v[20:21]
	v_mov_b32_e32 v19, v20
	global_store_byte v[18:19], v16, off
	v_mad_u64_u32 v[18:19], s[22:23], v3, s16, 0
	v_mov_b32_e32 v20, v19
	v_mad_u64_u32 v[20:21], s[22:23], v3, s17, v[20:21]
	v_mov_b32_e32 v19, v20
	v_lshlrev_b64 v[18:19], 3, v[18:19]
	v_mov_b32_e32 v3, s21
	v_add_co_u32_e32 v18, vcc, s20, v18
	v_addc_co_u32_e32 v19, vcc, v3, v19, vcc
	global_store_dwordx2 v[18:19], v[0:1], off
.LBB125_43:                             ;   in Loop: Header=BB125_35 Depth=1
	s_or_b64 exec, exec, s[18:19]
	v_mov_b32_e32 v3, v1
	v_cmp_le_u64_e32 vcc, s[10:11], v[2:3]
	s_cbranch_vccnz .LBB125_34
; %bb.44:                               ;   in Loop: Header=BB125_35 Depth=1
	ds_write_b32 v8, v6
	s_waitcnt lgkmcnt(0)
	s_barrier
	s_and_saveexec_b64 s[18:19], s[6:7]
	s_cbranch_execz .LBB125_46
; %bb.45:                               ;   in Loop: Header=BB125_35 Depth=1
	ds_read2_b32 v[18:19], v9 offset1:1
	ds_read2_b32 v[20:21], v9 offset0:2 offset1:3
	v_cmp_ne_u32_e32 vcc, 0, v12
	; wave barrier
	s_waitcnt lgkmcnt(1)
	v_add_u32_e32 v3, v19, v18
	s_waitcnt lgkmcnt(0)
	v_add3_u32 v3, v3, v20, v21
	s_nop 1
	v_mov_b32_dpp v7, v3 row_shr:1 row_mask:0xf bank_mask:0xf
	v_cndmask_b32_e32 v7, 0, v7, vcc
	v_add_u32_e32 v3, v7, v3
	v_cmp_lt_u32_e32 vcc, 1, v12
	s_nop 0
	v_mov_b32_dpp v7, v3 row_shr:2 row_mask:0xf bank_mask:0xf
	v_cndmask_b32_e32 v7, 0, v7, vcc
	v_add_u32_e32 v3, v3, v7
	v_cmp_lt_u32_e32 vcc, 3, v12
	;; [unrolled: 5-line block ×4, first 2 shown]
	s_nop 0
	v_mov_b32_dpp v7, v3 row_bcast:15 row_mask:0xf bank_mask:0xf
	v_and_b32_e32 v7, v13, v7
	v_add_u32_e32 v3, v3, v7
	s_nop 1
	v_mov_b32_dpp v7, v3 row_bcast:31 row_mask:0xf bank_mask:0xf
	v_cndmask_b32_e32 v7, 0, v7, vcc
	v_cmp_lt_i32_e32 vcc, v14, v15
	v_add_u32_e32 v3, v3, v7
	v_cndmask_b32_e32 v7, v14, v11, vcc
	v_lshlrev_b32_e32 v7, 2, v7
	ds_bpermute_b32 v3, v7, v3
	s_waitcnt lgkmcnt(0)
	v_add_u32_e32 v3, v3, v18
	v_cndmask_b32_e64 v3, v3, v6, s[2:3]
	ds_write_b32 v9, v3
	; wave barrier
	ds_read2_b32 v[18:19], v9 offset0:1 offset1:2
	ds_read_b32 v7, v9 offset:12
	s_waitcnt lgkmcnt(1)
	v_add_u32_e32 v3, v18, v3
	v_add_u32_e32 v18, v19, v3
	ds_write2_b32 v9, v3, v18 offset0:1 offset1:2
	s_waitcnt lgkmcnt(1)
	v_add_u32_e32 v3, v7, v18
	ds_write_b32 v9, v3 offset:12
.LBB125_46:                             ;   in Loop: Header=BB125_35 Depth=1
	s_or_b64 exec, exec, s[18:19]
	v_mov_b32_e32 v7, 0
	s_waitcnt lgkmcnt(0)
	s_barrier
	s_and_saveexec_b64 s[18:19], s[0:1]
	s_cbranch_execz .LBB125_48
; %bb.47:                               ;   in Loop: Header=BB125_35 Depth=1
	ds_read_b32 v7, v10
.LBB125_48:                             ;   in Loop: Header=BB125_35 Depth=1
	s_or_b64 exec, exec, s[18:19]
	ds_read_b32 v3, v1 offset:1048
	v_cmp_ne_u32_e32 vcc, 0, v6
	s_waitcnt lgkmcnt(0)
	s_barrier
	s_and_saveexec_b64 s[18:19], vcc
	s_cbranch_execz .LBB125_33
; %bb.49:                               ;   in Loop: Header=BB125_35 Depth=1
	v_add_u32_e32 v6, v7, v2
	v_mov_b32_e32 v7, v1
	v_cmp_gt_u64_e32 vcc, s[10:11], v[6:7]
	s_and_b64 exec, exec, vcc
	s_cbranch_execz .LBB125_33
; %bb.50:                               ;   in Loop: Header=BB125_35 Depth=1
	v_pk_mov_b32 v[18:19], s[14:15], s[14:15] op_sel:[0,1]
	v_mad_u64_u32 v[18:19], s[22:23], v6, s28, v[18:19]
	v_mov_b32_e32 v20, v19
	v_mad_u64_u32 v[20:21], s[22:23], v6, s29, v[20:21]
	v_mov_b32_e32 v19, v20
	global_store_byte v[18:19], v16, off
	v_mad_u64_u32 v[18:19], s[22:23], v6, s16, 0
	v_mov_b32_e32 v20, v19
	v_mad_u64_u32 v[6:7], s[22:23], v6, s17, v[20:21]
	v_mov_b32_e32 v19, v6
	v_lshlrev_b64 v[6:7], 3, v[18:19]
	v_mov_b32_e32 v18, s21
	v_add_co_u32_e32 v6, vcc, s20, v6
	v_addc_co_u32_e32 v7, vcc, v18, v7, vcc
	global_store_dwordx2 v[6:7], v[0:1], off
	s_branch .LBB125_33
.LBB125_51:                             ;   in Loop: Header=BB125_52 Depth=1
	s_add_u32 s28, s28, 4
	s_addc_u32 s29, s29, 0
	s_waitcnt lgkmcnt(0)
	s_add_i32 s51, s27, s51
	s_add_u32 s30, s30, 4
	s_addc_u32 s31, s31, 0
	s_add_i32 s26, s26, 1
	s_cmp_lt_u32 s26, s35
	s_cbranch_scc0 .LBB125_30
.LBB125_52:                             ; =>This Inner Loop Header: Depth=1
	s_load_dword s27, s[28:29], 0x0
	s_cmp_ge_u32 s26, s76
	s_cbranch_scc1 .LBB125_51
; %bb.53:                               ;   in Loop: Header=BB125_52 Depth=1
	s_load_dword s52, s[30:31], 0x0
	s_waitcnt lgkmcnt(0)
	s_add_i32 s53, s27, s53
	s_add_i32 s7, s52, s7
	s_branch .LBB125_51
.LBB125_54:
	s_endpgm
	.section	.rodata,"a",@progbits
	.p2align	6, 0x0
	.amdhsa_kernel _ZN2at6native6mbtopk10gatherTopKIhmLi3EEEvNS_4cuda6detail10TensorInfoIKT_T0_EES8_S8_bjS8_NS5_IS6_S8_EES8_NS5_IlS8_EES8_jjPS6_PjSD_j
		.amdhsa_group_segment_fixed_size 1068
		.amdhsa_private_segment_fixed_size 0
		.amdhsa_kernarg_size 1592
		.amdhsa_user_sgpr_count 6
		.amdhsa_user_sgpr_private_segment_buffer 1
		.amdhsa_user_sgpr_dispatch_ptr 0
		.amdhsa_user_sgpr_queue_ptr 0
		.amdhsa_user_sgpr_kernarg_segment_ptr 1
		.amdhsa_user_sgpr_dispatch_id 0
		.amdhsa_user_sgpr_flat_scratch_init 0
		.amdhsa_user_sgpr_kernarg_preload_length 0
		.amdhsa_user_sgpr_kernarg_preload_offset 0
		.amdhsa_user_sgpr_private_segment_size 0
		.amdhsa_uses_dynamic_stack 0
		.amdhsa_system_sgpr_private_segment_wavefront_offset 0
		.amdhsa_system_sgpr_workgroup_id_x 1
		.amdhsa_system_sgpr_workgroup_id_y 1
		.amdhsa_system_sgpr_workgroup_id_z 1
		.amdhsa_system_sgpr_workgroup_info 0
		.amdhsa_system_vgpr_workitem_id 0
		.amdhsa_next_free_vgpr 22
		.amdhsa_next_free_sgpr 77
		.amdhsa_accum_offset 24
		.amdhsa_reserve_vcc 1
		.amdhsa_reserve_flat_scratch 0
		.amdhsa_float_round_mode_32 0
		.amdhsa_float_round_mode_16_64 0
		.amdhsa_float_denorm_mode_32 3
		.amdhsa_float_denorm_mode_16_64 3
		.amdhsa_dx10_clamp 1
		.amdhsa_ieee_mode 1
		.amdhsa_fp16_overflow 0
		.amdhsa_tg_split 0
		.amdhsa_exception_fp_ieee_invalid_op 0
		.amdhsa_exception_fp_denorm_src 0
		.amdhsa_exception_fp_ieee_div_zero 0
		.amdhsa_exception_fp_ieee_overflow 0
		.amdhsa_exception_fp_ieee_underflow 0
		.amdhsa_exception_fp_ieee_inexact 0
		.amdhsa_exception_int_div_zero 0
	.end_amdhsa_kernel
	.section	.text._ZN2at6native6mbtopk10gatherTopKIhmLi3EEEvNS_4cuda6detail10TensorInfoIKT_T0_EES8_S8_bjS8_NS5_IS6_S8_EES8_NS5_IlS8_EES8_jjPS6_PjSD_j,"axG",@progbits,_ZN2at6native6mbtopk10gatherTopKIhmLi3EEEvNS_4cuda6detail10TensorInfoIKT_T0_EES8_S8_bjS8_NS5_IS6_S8_EES8_NS5_IlS8_EES8_jjPS6_PjSD_j,comdat
.Lfunc_end125:
	.size	_ZN2at6native6mbtopk10gatherTopKIhmLi3EEEvNS_4cuda6detail10TensorInfoIKT_T0_EES8_S8_bjS8_NS5_IS6_S8_EES8_NS5_IlS8_EES8_jjPS6_PjSD_j, .Lfunc_end125-_ZN2at6native6mbtopk10gatherTopKIhmLi3EEEvNS_4cuda6detail10TensorInfoIKT_T0_EES8_S8_bjS8_NS5_IS6_S8_EES8_NS5_IlS8_EES8_jjPS6_PjSD_j
                                        ; -- End function
	.section	.AMDGPU.csdata,"",@progbits
; Kernel info:
; codeLenInByte = 3164
; NumSgprs: 81
; NumVgprs: 22
; NumAgprs: 0
; TotalNumVgprs: 22
; ScratchSize: 0
; MemoryBound: 0
; FloatMode: 240
; IeeeMode: 1
; LDSByteSize: 1068 bytes/workgroup (compile time only)
; SGPRBlocks: 10
; VGPRBlocks: 2
; NumSGPRsForWavesPerEU: 81
; NumVGPRsForWavesPerEU: 22
; AccumOffset: 24
; Occupancy: 8
; WaveLimiterHint : 1
; COMPUTE_PGM_RSRC2:SCRATCH_EN: 0
; COMPUTE_PGM_RSRC2:USER_SGPR: 6
; COMPUTE_PGM_RSRC2:TRAP_HANDLER: 0
; COMPUTE_PGM_RSRC2:TGID_X_EN: 1
; COMPUTE_PGM_RSRC2:TGID_Y_EN: 1
; COMPUTE_PGM_RSRC2:TGID_Z_EN: 1
; COMPUTE_PGM_RSRC2:TIDIG_COMP_CNT: 0
; COMPUTE_PGM_RSRC3_GFX90A:ACCUM_OFFSET: 5
; COMPUTE_PGM_RSRC3_GFX90A:TG_SPLIT: 0
	.section	.text._ZN2at6native6sbtopk10gatherTopKIhmLi3ELb0EEEvNS_4cuda6detail10TensorInfoIKT_T0_EES8_S8_bS8_S8_NS5_IS6_S8_EES8_NS5_IlS8_EES8_PS6_,"axG",@progbits,_ZN2at6native6sbtopk10gatherTopKIhmLi3ELb0EEEvNS_4cuda6detail10TensorInfoIKT_T0_EES8_S8_bS8_S8_NS5_IS6_S8_EES8_NS5_IlS8_EES8_PS6_,comdat
	.protected	_ZN2at6native6sbtopk10gatherTopKIhmLi3ELb0EEEvNS_4cuda6detail10TensorInfoIKT_T0_EES8_S8_bS8_S8_NS5_IS6_S8_EES8_NS5_IlS8_EES8_PS6_ ; -- Begin function _ZN2at6native6sbtopk10gatherTopKIhmLi3ELb0EEEvNS_4cuda6detail10TensorInfoIKT_T0_EES8_S8_bS8_S8_NS5_IS6_S8_EES8_NS5_IlS8_EES8_PS6_
	.globl	_ZN2at6native6sbtopk10gatherTopKIhmLi3ELb0EEEvNS_4cuda6detail10TensorInfoIKT_T0_EES8_S8_bS8_S8_NS5_IS6_S8_EES8_NS5_IlS8_EES8_PS6_
	.p2align	8
	.type	_ZN2at6native6sbtopk10gatherTopKIhmLi3ELb0EEEvNS_4cuda6detail10TensorInfoIKT_T0_EES8_S8_bS8_S8_NS5_IS6_S8_EES8_NS5_IlS8_EES8_PS6_,@function
_ZN2at6native6sbtopk10gatherTopKIhmLi3ELb0EEEvNS_4cuda6detail10TensorInfoIKT_T0_EES8_S8_bS8_S8_NS5_IS6_S8_EES8_NS5_IlS8_EES8_PS6_: ; @_ZN2at6native6sbtopk10gatherTopKIhmLi3ELb0EEEvNS_4cuda6detail10TensorInfoIKT_T0_EES8_S8_bS8_S8_NS5_IS6_S8_EES8_NS5_IlS8_EES8_PS6_
; %bb.0:
	s_load_dwordx4 s[56:59], s[4:5], 0x1b8
	s_load_dwordx2 s[18:19], s[4:5], 0x520
	s_mov_b64 s[26:27], s[4:5]
	s_add_u32 s16, s26, 0x520
	s_addc_u32 s17, s27, 0
	s_waitcnt lgkmcnt(0)
	v_mov_b32_e32 v2, s56
	s_mul_i32 s0, s19, s8
	s_add_i32 s0, s0, s7
	s_mul_i32 s0, s0, s18
	v_mov_b32_e32 v3, s57
	s_add_i32 s28, s0, s6
	s_mov_b32 s29, 0
	v_cmp_ge_u64_e32 vcc, s[28:29], v[2:3]
	s_cbranch_vccnz .LBB126_476
; %bb.1:
	s_load_dwordx4 s[0:3], s[26:27], 0x10
	s_mov_b64 s[8:9], 0
	s_mov_b64 s[4:5], 0
	s_waitcnt lgkmcnt(0)
	v_pk_mov_b32 v[2:3], s[2:3], s[2:3] op_sel:[0,1]
	v_cmp_lt_u64_e32 vcc, s[28:29], v[2:3]
	s_cbranch_vccnz .LBB126_3
; %bb.2:
	v_cvt_f32_u32_e32 v1, s2
	s_sub_i32 s4, 0, s2
	s_mov_b32 s5, 0
	v_rcp_iflag_f32_e32 v1, v1
	v_mul_f32_e32 v1, 0x4f7ffffe, v1
	v_cvt_u32_f32_e32 v1, v1
	v_readfirstlane_b32 s7, v1
	s_mul_i32 s4, s4, s7
	s_mul_hi_u32 s4, s7, s4
	s_add_i32 s7, s7, s4
	s_mul_hi_u32 s4, s28, s7
	s_mul_i32 s9, s4, s2
	s_sub_i32 s9, s28, s9
	s_add_i32 s7, s4, 1
	s_sub_i32 s10, s9, s2
	s_cmp_ge_u32 s9, s2
	s_cselect_b32 s4, s7, s4
	s_cselect_b32 s9, s10, s9
	s_add_i32 s7, s4, 1
	s_cmp_ge_u32 s9, s2
	s_cselect_b32 s4, s7, s4
.LBB126_3:
	s_load_dwordx4 s[12:15], s[26:27], 0x1d8
	v_pk_mov_b32 v[2:3], s[0:1], s[0:1] op_sel:[0,1]
	v_cmp_lt_u64_e32 vcc, s[4:5], v[2:3]
	s_cbranch_vccnz .LBB126_5
; %bb.4:
	v_cvt_f32_u32_e32 v1, s0
	s_sub_i32 s7, 0, s0
	v_rcp_iflag_f32_e32 v1, v1
	v_mul_f32_e32 v1, 0x4f7ffffe, v1
	v_cvt_u32_f32_e32 v1, v1
	v_readfirstlane_b32 s8, v1
	s_mul_i32 s7, s7, s8
	s_mul_hi_u32 s7, s8, s7
	s_add_i32 s8, s8, s7
	s_mul_hi_u32 s7, s4, s8
	s_mul_i32 s9, s7, s0
	s_sub_i32 s9, s4, s9
	s_add_i32 s8, s7, 1
	s_sub_i32 s10, s9, s0
	s_cmp_ge_u32 s9, s0
	s_cselect_b32 s7, s8, s7
	s_cselect_b32 s9, s10, s9
	s_add_i32 s8, s7, 1
	s_cmp_ge_u32 s9, s0
	s_cselect_b32 s8, s8, s7
.LBB126_5:
	s_waitcnt lgkmcnt(0)
	v_pk_mov_b32 v[2:3], s[14:15], s[14:15] op_sel:[0,1]
	v_cmp_lt_u64_e32 vcc, s[28:29], v[2:3]
	s_mov_b64 s[10:11], 0
                                        ; implicit-def: $vgpr43 : SGPR spill to VGPR lane
	v_writelane_b32 v43, s10, 0
	s_mov_b64 s[20:21], 0
	v_writelane_b32 v43, s11, 1
	s_cbranch_vccnz .LBB126_7
; %bb.6:
	v_cvt_f32_u32_e32 v1, s14
	s_sub_i32 s7, 0, s14
	s_mov_b32 s21, 0
	v_rcp_iflag_f32_e32 v1, v1
	v_mul_f32_e32 v1, 0x4f7ffffe, v1
	v_cvt_u32_f32_e32 v1, v1
	v_readfirstlane_b32 s9, v1
	s_mul_i32 s7, s7, s9
	s_mul_hi_u32 s7, s9, s7
	s_add_i32 s9, s9, s7
	s_mul_hi_u32 s7, s28, s9
	s_mul_i32 s10, s7, s14
	s_sub_i32 s10, s28, s10
	s_add_i32 s9, s7, 1
	s_sub_i32 s11, s10, s14
	s_cmp_ge_u32 s10, s14
	s_cselect_b32 s7, s9, s7
	s_cselect_b32 s10, s11, s10
	s_add_i32 s9, s7, 1
	s_cmp_ge_u32 s10, s14
	s_cselect_b32 s20, s9, s7
.LBB126_7:
	s_load_dwordx4 s[36:39], s[26:27], 0x380
	v_pk_mov_b32 v[2:3], s[12:13], s[12:13] op_sel:[0,1]
	v_cmp_lt_u64_e32 vcc, s[20:21], v[2:3]
	s_cbranch_vccnz .LBB126_9
; %bb.8:
	v_cvt_f32_u32_e32 v1, s12
	s_sub_i32 s7, 0, s12
	v_rcp_iflag_f32_e32 v1, v1
	v_mul_f32_e32 v1, 0x4f7ffffe, v1
	v_cvt_u32_f32_e32 v1, v1
	v_readfirstlane_b32 s9, v1
	s_mul_i32 s7, s7, s9
	s_mul_hi_u32 s7, s9, s7
	s_add_i32 s9, s9, s7
	s_mul_hi_u32 s7, s20, s9
	s_mul_i32 s10, s7, s12
	s_sub_i32 s10, s20, s10
	s_add_i32 s9, s7, 1
	s_sub_i32 s11, s10, s12
	s_cmp_ge_u32 s10, s12
	s_cselect_b32 s7, s9, s7
	s_cselect_b32 s10, s11, s10
	s_add_i32 s9, s7, 1
	s_cmp_ge_u32 s10, s12
	s_cselect_b32 s10, s9, s7
	v_writelane_b32 v43, s10, 0
	v_writelane_b32 v43, s11, 1
.LBB126_9:
	v_writelane_b32 v43, s20, 2
	v_writelane_b32 v43, s21, 3
	;; [unrolled: 1-line block ×6, first 2 shown]
	s_load_dwordx2 s[10:11], s[26:27], 0xe0
	s_load_dwordx4 s[12:15], s[26:27], 0xd0
	s_waitcnt lgkmcnt(0)
	v_pk_mov_b32 v[2:3], s[38:39], s[38:39] op_sel:[0,1]
	v_cmp_lt_u64_e32 vcc, s[28:29], v[2:3]
	s_mov_b64 s[20:21], 0
	v_writelane_b32 v43, s20, 8
	s_mov_b64 s[22:23], 0
	v_writelane_b32 v43, s21, 9
	s_cbranch_vccnz .LBB126_11
; %bb.10:
	v_cvt_f32_u32_e32 v1, s38
	s_sub_i32 s7, 0, s38
	s_mov_b32 s23, 0
	v_rcp_iflag_f32_e32 v1, v1
	v_mul_f32_e32 v1, 0x4f7ffffe, v1
	v_cvt_u32_f32_e32 v1, v1
	v_readfirstlane_b32 s9, v1
	s_mul_i32 s7, s7, s9
	s_mul_hi_u32 s7, s9, s7
	s_add_i32 s9, s9, s7
	s_mul_hi_u32 s7, s28, s9
	s_mul_i32 s19, s7, s38
	s_sub_i32 s19, s28, s19
	s_add_i32 s9, s7, 1
	s_sub_i32 s20, s19, s38
	s_cmp_ge_u32 s19, s38
	s_cselect_b32 s7, s9, s7
	s_cselect_b32 s19, s20, s19
	s_add_i32 s9, s7, 1
	s_cmp_ge_u32 s19, s38
	s_cselect_b32 s22, s9, s7
.LBB126_11:
	s_load_dwordx2 s[20:21], s[26:27], 0x450
	s_load_dwordx4 s[40:43], s[26:27], 0x440
	v_pk_mov_b32 v[2:3], s[36:37], s[36:37] op_sel:[0,1]
	s_waitcnt lgkmcnt(0)
	v_writelane_b32 v43, s20, 10
	v_writelane_b32 v43, s21, 11
	s_load_dwordx2 s[20:21], s[26:27], 0x2a8
	v_writelane_b32 v43, s40, 12
	v_writelane_b32 v43, s41, 13
	;; [unrolled: 1-line block ×4, first 2 shown]
	s_load_dwordx4 s[40:43], s[26:27], 0x298
	s_waitcnt lgkmcnt(0)
	v_writelane_b32 v43, s20, 16
	v_writelane_b32 v43, s21, 17
	s_load_dwordx2 s[20:21], s[26:27], 0x0
	v_writelane_b32 v43, s40, 18
	v_writelane_b32 v43, s41, 19
	;; [unrolled: 1-line block ×5, first 2 shown]
	v_cmp_lt_u64_e32 vcc, s[22:23], v[2:3]
	v_writelane_b32 v43, s23, 23
	s_cbranch_vccnz .LBB126_13
; %bb.12:
	v_cvt_f32_u32_e32 v1, s36
	s_sub_i32 s7, 0, s36
	v_readlane_b32 s22, v43, 22
	v_readlane_b32 s23, v43, 23
	v_rcp_iflag_f32_e32 v1, v1
	v_mul_f32_e32 v1, 0x4f7ffffe, v1
	v_cvt_u32_f32_e32 v1, v1
	v_readfirstlane_b32 s9, v1
	s_mul_i32 s7, s7, s9
	s_mul_hi_u32 s7, s9, s7
	s_add_i32 s9, s9, s7
	s_mul_hi_u32 s7, s22, s9
	s_mul_i32 s19, s7, s36
	s_sub_i32 s19, s22, s19
	s_add_i32 s9, s7, 1
	s_sub_i32 s22, s19, s36
	s_cmp_ge_u32 s19, s36
	s_cselect_b32 s7, s9, s7
	s_cselect_b32 s19, s22, s19
	s_add_i32 s9, s7, 1
	s_cmp_ge_u32 s19, s36
	s_cselect_b32 s22, s9, s7
	v_writelane_b32 v43, s22, 8
	v_writelane_b32 v43, s23, 9
.LBB126_13:
	s_load_dwordx2 s[22:23], s[26:27], 0x370
	v_writelane_b32 v43, s36, 24
	v_writelane_b32 v43, s37, 25
	v_writelane_b32 v43, s38, 26
	v_writelane_b32 v43, s39, 27
	s_waitcnt lgkmcnt(0)
	v_writelane_b32 v43, s22, 28
	v_writelane_b32 v43, s23, 29
	s_load_dwordx2 s[22:23], s[26:27], 0x1c8
	s_load_dwordx4 s[60:63], s[26:27], 0x1a0
	s_mov_b32 s95, 0
	v_cmp_eq_u32_e64 s[24:25], 0, v0
	s_waitcnt lgkmcnt(0)
	v_writelane_b32 v43, s22, 30
	v_writelane_b32 v43, s23, 31
	s_mov_b64 s[22:23], exec
	v_writelane_b32 v43, s24, 32
	v_writelane_b32 v43, s25, 33
	s_and_b64 s[24:25], s[22:23], s[24:25]
	s_mov_b64 exec, s[24:25]
	s_cbranch_execz .LBB126_15
; %bb.14:
	v_mov_b32_e32 v2, 0
	v_mov_b32_e32 v4, s60
	;; [unrolled: 1-line block ×4, first 2 shown]
	ds_write_b32 v2, v2 offset:5144
	ds_write_b128 v2, v[2:5] offset:5120
.LBB126_15:
	s_or_b64 exec, exec, s[22:23]
	s_mul_i32 s1, s8, s1
	s_mul_hi_u32 s7, s8, s0
	s_add_i32 s7, s7, s1
	s_mul_i32 s0, s8, s0
	s_sub_u32 s0, s4, s0
	s_subb_u32 s1, s5, s7
	s_mul_i32 s5, s0, s15
	s_mul_hi_u32 s7, s0, s14
	s_add_i32 s5, s7, s5
	s_mul_i32 s1, s1, s14
	s_add_i32 s5, s5, s1
	s_mul_i32 s1, s8, s13
	s_mul_hi_u32 s7, s8, s12
	s_add_i32 s7, s7, s1
	s_mul_i32 s1, s8, s12
	s_mul_i32 s3, s4, s3
	s_mul_hi_u32 s8, s4, s2
	s_add_i32 s8, s8, s3
	s_mul_i32 s2, s4, s2
	s_mov_b32 s4, s28
	v_writelane_b32 v43, s4, 34
	s_sub_u32 s2, s28, s2
	v_writelane_b32 v43, s5, 35
	s_subb_u32 s3, 0, s8
	s_mul_i32 s4, s2, s11
	s_mul_hi_u32 s8, s2, s10
	s_add_i32 s4, s8, s4
	s_mul_i32 s3, s3, s10
	s_add_i32 s4, s4, s3
	s_add_u32 s1, s20, s1
	s_mul_i32 s0, s0, s14
	s_addc_u32 s3, s21, s7
	v_writelane_b32 v43, s26, 36
	s_load_dword s7, s[26:27], 0x1b0
	s_add_u32 s0, s1, s0
	s_mul_i32 s2, s2, s10
	s_addc_u32 s1, s3, s5
	s_add_u32 s56, s0, s2
	s_addc_u32 s57, s1, s4
	s_waitcnt lgkmcnt(0)
	s_bitcmp1_b32 s7, 0
	v_writelane_b32 v43, s27, 37
	s_cselect_b64 s[0:1], -1, 0
	v_writelane_b32 v43, s0, 38
	v_mbcnt_lo_u32_b32 v1, -1, 0
	v_writelane_b32 v43, s1, 39
	s_xor_b64 s[0:1], s[0:1], -1
	v_mbcnt_hi_u32_b32 v27, -1, v1
	v_writelane_b32 v43, s0, 40
	v_cmp_gt_u32_e32 vcc, 64, v0
	v_cmp_gt_i32_e64 s[10:11], 4, v27
	v_writelane_b32 v43, s1, 41
	s_and_b64 s[2:3], vcc, s[10:11]
	v_mov_b32_e32 v2, 0xc00
	v_writelane_b32 v43, s2, 42
	v_mov_b32_e32 v3, 0
	v_writelane_b32 v43, s3, 43
	v_cmp_gt_u64_e64 s[2:3], s[60:61], v[2:3]
	v_writelane_b32 v43, s2, 44
	v_pk_mov_b32 v[16:17], s[56:57], s[56:57] op_sel:[0,1]
	v_writelane_b32 v43, s3, 45
	v_mad_u64_u32 v[12:13], s[2:3], v0, s58, v[16:17]
	v_mov_b32_e32 v15, 0
	v_mov_b32_e32 v2, v13
	v_mov_b32_e32 v1, v15
	v_mad_u64_u32 v[2:3], s[2:3], v0, s59, v[2:3]
	v_cmp_gt_u64_e64 s[2:3], s[60:61], v[0:1]
	v_writelane_b32 v43, s2, 46
	v_writelane_b32 v43, s3, 47
	v_cmp_gt_u32_e64 s[2:3], 2, v0
	v_writelane_b32 v43, s2, 48
	s_barrier
	v_writelane_b32 v43, s3, 49
	s_load_dword s2, s[16:17], 0xc
	v_mov_b32_e32 v13, v2
	v_lshrrev_b32_e32 v2, 4, v0
	v_and_b32_e32 v28, 60, v2
	v_lshlrev_b32_e32 v2, 2, v27
	s_waitcnt lgkmcnt(0)
	s_and_b32 s33, s2, 0xffff
	s_bfe_u32 s3, s2, 0xa0006
	v_cmp_gt_u16_e64 s[4:5], s2, 63
	v_writelane_b32 v43, s4, 50
	s_add_u32 s2, s33, -1
	v_writelane_b32 v43, s5, 51
	s_addc_u32 s4, 0, -1
	v_writelane_b32 v43, s2, 52
	s_add_u32 s2, s2, s60
	s_addc_u32 s75, s4, s61
	s_cmp_lt_u32 s6, s18
	v_writelane_b32 v43, s2, 53
	s_cselect_b32 s2, 12, 18
	v_writelane_b32 v43, s4, 54
	s_add_u32 s4, s16, s2
	s_addc_u32 s5, s17, 0
	v_writelane_b32 v43, s4, 55
	v_writelane_b32 v43, s5, 56
	s_add_i32 s2, s3, -1
	s_bfe_u32 s4, s33, 0x30006
	s_cmp_gt_u32 s2, 6
	s_cselect_b64 s[6:7], -1, 0
	v_writelane_b32 v43, s6, 57
	s_and_b32 s76, s3, 0x3f8
	v_and_b32_e32 v26, 0x100, v2
	v_lshlrev_b64 v[2:3], v27, -1
	v_writelane_b32 v43, s7, 58
	s_cmp_lg_u32 s4, 0
	v_not_b32_e32 v10, v2
	v_writelane_b32 v43, s4, 59
	s_cselect_b64 s[2:3], -1, 0
	v_mov_b32_e32 v2, 0xc00
	v_cmp_eq_u32_e64 s[0:1], 0, v27
	v_lshlrev_b32_e32 v18, 2, v0
	v_mov_b32_e32 v19, v15
	v_not_b32_e32 v11, v3
	s_mov_b32 s92, s95
	s_mov_b32 s77, 6
	v_writelane_b32 v43, s2, 60
	v_lshl_or_b32 v29, v27, 3, v2
	s_mov_b64 s[86:87], 0
	v_pk_mov_b32 v[20:21], s[62:63], s[62:63] op_sel:[0,1]
	v_mov_b32_e32 v30, 0x4f800000
	v_mov_b32_e32 v33, 0
	s_mov_b32 s93, 0
	v_mov_b32_e32 v32, 0
	v_mov_b32_e32 v31, 0
	v_writelane_b32 v43, s3, 61
                                        ; implicit-def: $sgpr2_sgpr3
                                        ; implicit-def: $sgpr64_sgpr65
                                        ; implicit-def: $sgpr68_sgpr69
                                        ; implicit-def: $sgpr70_sgpr71
                                        ; implicit-def: $sgpr66_sgpr67
                                        ; implicit-def: $sgpr82_sgpr83
                                        ; implicit-def: $sgpr88_sgpr89
                                        ; implicit-def: $sgpr78_sgpr79
                                        ; implicit-def: $sgpr84_sgpr85
                                        ; implicit-def: $sgpr30_sgpr31
	s_branch .LBB126_18
.LBB126_16:                             ;   in Loop: Header=BB126_18 Depth=1
	s_or_b64 exec, exec, s[10:11]
	s_andn2_b64 s[10:11], s[30:31], exec
	s_and_b64 s[8:9], s[8:9], exec
	s_or_b64 s[30:31], s[10:11], s[8:9]
	s_andn2_b64 s[84:85], s[84:85], exec
	s_andn2_b64 s[78:79], s[78:79], exec
	;; [unrolled: 1-line block ×4, first 2 shown]
	s_orn2_b64 s[6:7], s[6:7], exec
	v_mov_b32_e32 v31, v9
	v_mov_b32_e32 v32, v8
	v_pk_mov_b32 v[20:21], v[2:3], v[2:3] op_sel:[0,1]
	v_mov_b32_e32 v33, v22
.LBB126_17:                             ;   in Loop: Header=BB126_18 Depth=1
	s_or_b64 exec, exec, s[4:5]
	s_and_b64 s[4:5], exec, s[6:7]
	s_or_b64 s[86:87], s[4:5], s[86:87]
	s_andn2_b64 s[4:5], s[66:67], exec
	s_and_b64 s[6:7], s[30:31], exec
	s_or_b64 s[66:67], s[4:5], s[6:7]
	s_andn2_b64 s[4:5], s[70:71], exec
	s_and_b64 s[6:7], s[84:85], exec
	;; [unrolled: 3-line block ×5, first 2 shown]
	s_or_b64 s[2:3], s[2:3], s[4:5]
	s_andn2_b64 exec, exec, s[86:87]
	s_cbranch_execz .LBB126_472
.LBB126_18:                             ; =>This Loop Header: Depth=1
                                        ;     Child Loop BB126_23 Depth 2
                                        ;     Child Loop BB126_38 Depth 2
	;; [unrolled: 1-line block ×24, first 2 shown]
	ds_read_b128 v[2:5], v15 offset:5120
	s_waitcnt lgkmcnt(0)
	v_readfirstlane_b32 s9, v3
	v_readfirstlane_b32 s8, v2
	s_cmp_lg_u64 s[8:9], 0
	s_cbranch_scc1 .LBB126_45
; %bb.19:                               ;   in Loop: Header=BB126_18 Depth=1
	v_readlane_b32 s4, v43, 44
	v_readlane_b32 s5, v43, 45
	s_and_b64 vcc, exec, s[4:5]
	s_cbranch_vccz .LBB126_31
; %bb.20:                               ;   in Loop: Header=BB126_18 Depth=1
	s_mov_b64 s[4:5], 0xc01
	v_cmp_gt_u64_e32 vcc, s[4:5], v[4:5]
	s_mov_b64 s[8:9], 0
	s_mov_b64 s[4:5], 0
	s_cbranch_vccz .LBB126_32
; %bb.21:                               ;   in Loop: Header=BB126_18 Depth=1
	v_readlane_b32 s4, v43, 55
	v_readlane_b32 s5, v43, 56
	global_load_ubyte v5, v[12:13], off
	v_pk_mov_b32 v[2:3], v[0:1], v[0:1] op_sel:[0,1]
	s_nop 2
	global_load_ushort v4, v15, s[4:5]
	s_mov_b64 s[4:5], 0
	s_branch .LBB126_23
.LBB126_22:                             ;   in Loop: Header=BB126_23 Depth=2
	s_or_b64 exec, exec, s[6:7]
	s_waitcnt vmcnt(0)
	v_mov_b32_e32 v5, v6
	s_andn2_b64 exec, exec, s[4:5]
	s_cbranch_execz .LBB126_103
.LBB126_23:                             ;   Parent Loop BB126_18 Depth=1
                                        ; =>  This Inner Loop Header: Depth=2
	s_waitcnt vmcnt(0)
	v_add_co_u32_sdwa v2, vcc, v2, v4 dst_sel:DWORD dst_unused:UNUSED_PAD src0_sel:DWORD src1_sel:WORD_0
	v_addc_co_u32_e32 v3, vcc, 0, v3, vcc
	v_cmp_gt_u64_e64 s[6:7], s[60:61], v[2:3]
	v_cmp_le_u64_e32 vcc, s[60:61], v[2:3]
	s_waitcnt lgkmcnt(0)
	v_mov_b32_e32 v7, 0
	v_mov_b32_e32 v6, 0
	s_and_saveexec_b64 s[10:11], s[6:7]
	s_cbranch_execz .LBB126_25
; %bb.24:                               ;   in Loop: Header=BB126_23 Depth=2
	v_mad_u64_u32 v[8:9], s[6:7], v2, s58, v[16:17]
	v_mul_lo_u32 v6, v2, s59
	v_mul_lo_u32 v14, v3, s58
	v_add3_u32 v9, v14, v9, v6
	global_load_ubyte v6, v[8:9], off
.LBB126_25:                             ;   in Loop: Header=BB126_23 Depth=2
	s_or_b64 exec, exec, s[10:11]
	v_and_b32_e32 v8, v5, v31
	v_cmp_eq_u32_sdwa s[10:11], v8, v32 src0_sel:BYTE_0 src1_sel:DWORD
	s_cmp_lg_u64 s[10:11], 0
	s_cselect_b64 s[6:7], -1, 0
	s_and_b64 s[6:7], s[0:1], s[6:7]
	s_and_saveexec_b64 s[12:13], s[6:7]
	s_cbranch_execz .LBB126_29
; %bb.26:                               ;   in Loop: Header=BB126_23 Depth=2
	s_mov_b64 s[16:17], exec
	v_mbcnt_lo_u32_b32 v7, s16, 0
	v_mbcnt_hi_u32_b32 v7, s17, v7
	s_bcnt1_i32_b64 s18, s[10:11]
	v_cmp_eq_u32_e64 s[6:7], 0, v7
                                        ; implicit-def: $vgpr8
	s_and_saveexec_b64 s[14:15], s[6:7]
	s_cbranch_execz .LBB126_28
; %bb.27:                               ;   in Loop: Header=BB126_23 Depth=2
	s_bcnt1_i32_b64 s6, s[16:17]
	s_mul_i32 s6, s18, s6
	v_mov_b32_e32 v8, s6
	ds_add_rtn_u32 v8, v15, v8 offset:5144
.LBB126_28:                             ;   in Loop: Header=BB126_23 Depth=2
	s_or_b64 exec, exec, s[14:15]
	s_waitcnt lgkmcnt(0)
	v_readfirstlane_b32 s6, v8
	v_mov_b32_e32 v8, s6
	v_mad_u32_u24 v7, s18, v7, v8
.LBB126_29:                             ;   in Loop: Header=BB126_23 Depth=2
	s_or_b64 exec, exec, s[12:13]
	ds_bpermute_b32 v7, v26, v7
	s_and_b64 s[6:7], exec, vcc
	s_or_b64 s[4:5], s[6:7], s[4:5]
	s_and_saveexec_b64 s[6:7], s[10:11]
	s_cbranch_execz .LBB126_22
; %bb.30:                               ;   in Loop: Header=BB126_23 Depth=2
	v_and_b32_e32 v9, s10, v10
	v_and_b32_e32 v8, s11, v11
	v_bcnt_u32_b32 v9, v9, 0
	v_bcnt_u32_b32 v8, v8, v9
	s_waitcnt lgkmcnt(0)
	v_add_u32_e32 v7, v7, v8
	ds_write_b8 v7, v5
	s_branch .LBB126_22
.LBB126_31:                             ;   in Loop: Header=BB126_18 Depth=1
	s_mov_b64 s[8:9], -1
	s_mov_b64 s[4:5], 0
.LBB126_32:                             ;   in Loop: Header=BB126_18 Depth=1
	s_and_b64 vcc, exec, s[8:9]
	s_cbranch_vccz .LBB126_43
.LBB126_33:                             ;   in Loop: Header=BB126_18 Depth=1
	v_mov_b32_e32 v4, 0
	s_mov_b64 s[4:5], exec
	v_readlane_b32 s6, v43, 46
	v_readlane_b32 s7, v43, 47
	s_and_b64 s[6:7], s[4:5], s[6:7]
	s_mov_b64 exec, s[6:7]
	s_cbranch_execz .LBB126_35
; %bb.34:                               ;   in Loop: Header=BB126_18 Depth=1
	global_load_ubyte v4, v[12:13], off
.LBB126_35:                             ;   in Loop: Header=BB126_18 Depth=1
	s_or_b64 exec, exec, s[4:5]
	s_mov_b64 s[4:5], exec
	v_readlane_b32 s6, v43, 46
	v_readlane_b32 s7, v43, 47
	s_and_b64 s[6:7], s[4:5], s[6:7]
	s_mov_b64 exec, s[6:7]
	s_cbranch_execz .LBB126_40
; %bb.36:                               ;   in Loop: Header=BB126_18 Depth=1
	v_readlane_b32 s6, v43, 55
	v_readlane_b32 s7, v43, 56
	s_mov_b64 s[8:9], 0
	v_mov_b32_e32 v5, v0
	s_nop 2
	global_load_ushort v2, v15, s[6:7]
	s_waitcnt vmcnt(0)
	v_and_b32_e32 v6, 0xffff, v2
	v_pk_mov_b32 v[2:3], v[0:1], v[0:1] op_sel:[0,1]
	s_branch .LBB126_38
.LBB126_37:                             ;   in Loop: Header=BB126_38 Depth=2
	s_or_b64 exec, exec, s[10:11]
	s_and_b64 s[6:7], exec, vcc
	s_or_b64 s[8:9], s[6:7], s[8:9]
	ds_write_b8 v5, v4
	v_add_u32_e32 v5, v5, v6
	s_waitcnt vmcnt(0)
	v_mov_b32_e32 v4, v7
	s_andn2_b64 exec, exec, s[8:9]
	s_cbranch_execz .LBB126_40
.LBB126_38:                             ;   Parent Loop BB126_18 Depth=1
                                        ; =>  This Inner Loop Header: Depth=2
	v_add_co_u32_e32 v2, vcc, v2, v6
	v_addc_co_u32_e32 v3, vcc, 0, v3, vcc
	v_cmp_gt_u64_e64 s[6:7], s[60:61], v[2:3]
	v_cmp_le_u64_e32 vcc, s[60:61], v[2:3]
	v_mov_b32_e32 v7, 0
	s_and_saveexec_b64 s[10:11], s[6:7]
	s_cbranch_execz .LBB126_37
; %bb.39:                               ;   in Loop: Header=BB126_38 Depth=2
	v_pk_mov_b32 v[8:9], s[56:57], s[56:57] op_sel:[0,1]
	v_mad_u64_u32 v[8:9], s[6:7], v2, s58, v[8:9]
	v_mul_lo_u32 v7, v2, s59
	v_mul_lo_u32 v14, v3, s58
	v_add3_u32 v9, v14, v9, v7
	global_load_ubyte v7, v[8:9], off
	s_branch .LBB126_37
.LBB126_40:                             ;   in Loop: Header=BB126_18 Depth=1
	s_or_b64 exec, exec, s[4:5]
	s_waitcnt lgkmcnt(0)
	s_barrier
	s_mov_b64 s[4:5], exec
	v_readlane_b32 s6, v43, 32
	v_readlane_b32 s7, v43, 33
	s_and_b64 s[6:7], s[4:5], s[6:7]
	s_mov_b64 exec, s[6:7]
	s_cbranch_execz .LBB126_42
; %bb.41:                               ;   in Loop: Header=BB126_18 Depth=1
	v_pk_mov_b32 v[2:3], s[60:61], s[60:61] op_sel:[0,1]
	ds_write_b64 v15, v[2:3] offset:5120
.LBB126_42:                             ;   in Loop: Header=BB126_18 Depth=1
	s_or_b64 exec, exec, s[4:5]
	s_mov_b64 s[4:5], -1
	s_waitcnt lgkmcnt(0)
	s_barrier
                                        ; implicit-def: $sgpr8_sgpr9
.LBB126_43:                             ;   in Loop: Header=BB126_18 Depth=1
	s_and_b64 vcc, exec, s[4:5]
	s_cbranch_vccz .LBB126_45
; %bb.44:                               ;   in Loop: Header=BB126_18 Depth=1
	ds_read_b64 v[2:3], v15 offset:5120
	s_waitcnt lgkmcnt(0)
	v_readfirstlane_b32 s8, v2
.LBB126_45:                             ;   in Loop: Header=BB126_18 Depth=1
	s_cmp_lt_i32 s8, 1
	s_cbranch_scc0 .LBB126_60
; %bb.46:                               ;   in Loop: Header=BB126_18 Depth=1
	v_readlane_b32 s4, v43, 55
	v_readlane_b32 s5, v43, 56
	s_nop 4
	global_load_ushort v34, v15, s[4:5]
	s_mov_b32 s4, s95
	s_waitcnt vmcnt(0)
	v_readfirstlane_b32 s5, v34
	s_and_b32 s5, 0xffff, s5
	s_lshl_b32 s9, s5, 2
	s_mov_b32 s5, s61
	s_cmp_lg_u64 s[4:5], 0
	s_cbranch_scc0 .LBB126_80
; %bb.47:                               ;   in Loop: Header=BB126_18 Depth=1
	v_cvt_f32_u32_e32 v2, s9
	s_sub_u32 s4, 0, s9
	s_subb_u32 s5, 0, 0
	v_mac_f32_e32 v2, 0, v30
	v_rcp_f32_e32 v2, v2
	v_mul_f32_e32 v2, 0x5f7ffffc, v2
	v_mul_f32_e32 v3, 0x2f800000, v2
	v_trunc_f32_e32 v3, v3
	v_mac_f32_e32 v2, 0xcf800000, v3
	v_cvt_u32_f32_e32 v3, v3
	v_cvt_u32_f32_e32 v2, v2
	v_readfirstlane_b32 s6, v3
	v_readfirstlane_b32 s7, v2
	s_mul_i32 s10, s4, s6
	s_mul_hi_u32 s12, s4, s7
	s_mul_i32 s11, s5, s7
	s_add_i32 s10, s12, s10
	s_mul_i32 s13, s4, s7
	s_add_i32 s10, s10, s11
	s_mul_hi_u32 s12, s7, s13
	s_mul_hi_u32 s11, s7, s10
	s_mul_i32 s7, s7, s10
	s_add_u32 s7, s12, s7
	s_addc_u32 s11, 0, s11
	s_mul_hi_u32 s14, s6, s13
	s_mul_i32 s13, s6, s13
	s_add_u32 s7, s7, s13
	s_mul_hi_u32 s12, s6, s10
	s_addc_u32 s7, s11, s14
	s_addc_u32 s11, s12, 0
	s_mul_i32 s10, s6, s10
	s_add_u32 s7, s7, s10
	s_addc_u32 s10, 0, s11
	v_add_co_u32_e32 v2, vcc, s7, v2
	s_cmp_lg_u64 vcc, 0
	s_addc_u32 s6, s6, s10
	v_readfirstlane_b32 s10, v2
	s_mul_i32 s7, s4, s6
	s_mul_hi_u32 s11, s4, s10
	s_add_i32 s7, s11, s7
	s_mul_i32 s5, s5, s10
	s_add_i32 s7, s7, s5
	s_mul_i32 s4, s4, s10
	s_mul_hi_u32 s11, s6, s4
	s_mul_i32 s12, s6, s4
	s_mul_i32 s14, s10, s7
	s_mul_hi_u32 s4, s10, s4
	s_mul_hi_u32 s13, s10, s7
	s_add_u32 s4, s4, s14
	s_addc_u32 s10, 0, s13
	s_add_u32 s4, s4, s12
	s_mul_hi_u32 s5, s6, s7
	s_addc_u32 s4, s10, s11
	s_addc_u32 s5, s5, 0
	s_mul_i32 s7, s6, s7
	s_add_u32 s4, s4, s7
	s_addc_u32 s5, 0, s5
	v_add_co_u32_e32 v2, vcc, s4, v2
	s_cmp_lg_u64 vcc, 0
	s_addc_u32 s4, s6, s5
	v_readfirstlane_b32 s7, v2
	s_mul_i32 s6, s60, s4
	s_mul_hi_u32 s10, s60, s7
	s_mul_hi_u32 s5, s60, s4
	s_add_u32 s6, s10, s6
	s_addc_u32 s5, 0, s5
	s_mul_hi_u32 s11, s61, s7
	s_mul_i32 s7, s61, s7
	s_add_u32 s6, s6, s7
	s_mul_hi_u32 s10, s61, s4
	s_addc_u32 s5, s5, s11
	s_addc_u32 s6, s10, 0
	s_mul_i32 s4, s61, s4
	s_add_u32 s4, s5, s4
	s_addc_u32 s5, 0, s6
	s_mul_hi_u32 s6, s9, s4
	s_mul_i32 s4, s9, s4
	s_mul_i32 s5, s9, s5
	v_mov_b32_e32 v2, s4
	s_add_i32 s6, s6, s5
	v_sub_co_u32_e32 v2, vcc, s60, v2
	s_cmp_lg_u64 vcc, 0
	s_subb_u32 s4, s61, s6
	v_subrev_co_u32_e32 v3, vcc, s9, v2
	s_cmp_lg_u64 vcc, 0
	s_subb_u32 s5, s4, 0
	v_subrev_co_u32_e32 v4, vcc, s9, v3
	s_cmp_lg_u64 vcc, 0
	s_subb_u32 s6, s5, 0
	v_cmp_le_u32_e32 vcc, s9, v3
	s_cmp_eq_u32 s5, 0
	v_cndmask_b32_e64 v5, 0, -1, vcc
	s_cselect_b64 vcc, -1, 0
	v_cndmask_b32_e32 v5, -1, v5, vcc
	v_mov_b32_e32 v6, s5
	v_mov_b32_e32 v7, s6
	v_cmp_ne_u32_e32 vcc, 0, v5
	v_cndmask_b32_e32 v5, v6, v7, vcc
	v_cndmask_b32_e32 v4, v3, v4, vcc
	v_cmp_le_u32_e32 vcc, s9, v2
	s_cmp_eq_u32 s4, 0
	v_cndmask_b32_e64 v3, 0, -1, vcc
	s_cselect_b64 vcc, -1, 0
	v_cndmask_b32_e32 v3, -1, v3, vcc
	v_mov_b32_e32 v6, s4
	v_cmp_ne_u32_e32 vcc, 0, v3
	v_cndmask_b32_e32 v3, v6, v5, vcc
	v_cndmask_b32_e32 v2, v2, v4, vcc
	s_cbranch_execnz .LBB126_49
.LBB126_48:                             ;   in Loop: Header=BB126_18 Depth=1
	v_cvt_f32_u32_e32 v2, s9
	s_sub_i32 s4, 0, s9
	v_rcp_iflag_f32_e32 v2, v2
	v_mul_f32_e32 v2, 0x4f7ffffe, v2
	v_cvt_u32_f32_e32 v2, v2
	v_mul_lo_u32 v3, s4, v2
	v_mul_hi_u32 v3, v2, v3
	v_add_u32_e32 v2, v2, v3
	v_mul_hi_u32 v2, s60, v2
	v_mul_lo_u32 v2, v2, s9
	v_sub_u32_e32 v2, s60, v2
	v_subrev_u32_e32 v3, s9, v2
	v_cmp_le_u32_e32 vcc, s9, v2
	v_cndmask_b32_e32 v2, v2, v3, vcc
	v_subrev_u32_e32 v3, s9, v2
	v_cmp_le_u32_e32 vcc, s9, v2
	v_cndmask_b32_e32 v14, v2, v3, vcc
	v_pk_mov_b32 v[2:3], v[14:15], v[14:15] op_sel:[0,1]
.LBB126_49:                             ;   in Loop: Header=BB126_18 Depth=1
	v_mov_b32_e32 v4, s61
	v_sub_co_u32_e32 v22, vcc, s60, v2
	v_subb_co_u32_e32 v23, vcc, v4, v3, vcc
	v_pk_mov_b32 v[2:3], 0, 0
	v_cmp_gt_u64_e32 vcc, v[22:23], v[18:19]
	s_mov_b64 s[10:11], 0
	v_pk_mov_b32 v[4:5], v[2:3], v[2:3] op_sel:[0,1]
	v_pk_mov_b32 v[6:7], v[2:3], v[2:3] op_sel:[0,1]
	;; [unrolled: 1-line block ×3, first 2 shown]
	s_and_saveexec_b64 s[54:55], vcc
	s_cbranch_execz .LBB126_53
; %bb.50:                               ;   in Loop: Header=BB126_18 Depth=1
	s_and_b32 s4, s77, 0xfe
	s_mov_b64 s[80:81], 0
	s_mov_b64 s[72:73], 0
	;; [unrolled: 1-line block ×4, first 2 shown]
	v_pk_mov_b32 v[24:25], v[18:19], v[18:19] op_sel:[0,1]
.LBB126_51:                             ;   Parent Loop BB126_18 Depth=1
                                        ; =>  This Inner Loop Header: Depth=2
	v_pk_mov_b32 v[2:3], s[56:57], s[56:57] op_sel:[0,1]
	v_mul_lo_u32 v4, v24, s59
	v_mul_lo_u32 v5, v25, s58
	v_mad_u64_u32 v[2:3], s[6:7], v24, s58, v[2:3]
	v_mov_b32_e32 v6, s59
	v_add3_u32 v3, v5, v3, v4
	v_add_co_u32_e64 v4, s[6:7], s58, v2
	v_addc_co_u32_e64 v5, s[6:7], v3, v6, s[6:7]
	v_mov_b32_e32 v7, s59
	global_load_ubyte v9, v[2:3], off
	global_load_ubyte v6, v[4:5], off
	v_add_co_u32_e64 v2, s[6:7], s58, v4
	v_addc_co_u32_e64 v3, s[6:7], v5, v7, s[6:7]
	v_mov_b32_e32 v8, s59
	v_add_co_u32_e64 v4, s[6:7], s58, v2
	global_load_ubyte v2, v[2:3], off
	v_addc_co_u32_e64 v5, s[6:7], v3, v8, s[6:7]
	global_load_ubyte v3, v[4:5], off
	v_add_co_u32_e32 v24, vcc, s9, v24
	v_addc_co_u32_e32 v25, vcc, 0, v25, vcc
	v_cmp_ge_u64_e32 vcc, v[24:25], v[22:23]
	s_waitcnt vmcnt(3)
	v_and_b32_e32 v4, v31, v9
	v_bfe_u32 v5, v9, s4, 2
	v_cmp_eq_u32_e64 s[16:17], v4, v32
	s_waitcnt vmcnt(2)
	v_and_b32_e32 v4, v31, v6
	v_bfe_u32 v6, v6, s4, 2
	v_cmp_eq_u32_e64 s[6:7], 0, v5
	v_cmp_eq_u32_e64 s[14:15], v4, v32
	;; [unrolled: 1-line block ×3, first 2 shown]
	s_and_b64 s[6:7], s[16:17], s[6:7]
	v_cmp_eq_u32_e64 s[34:35], 1, v5
	v_cmp_eq_u32_e64 s[36:37], 2, v5
	;; [unrolled: 1-line block ×3, first 2 shown]
	s_waitcnt vmcnt(1)
	v_and_b32_e32 v4, v31, v2
	v_bfe_u32 v2, v2, s4, 2
	v_cndmask_b32_e64 v5, 0, 1, s[6:7]
	s_and_b64 s[26:27], s[14:15], s[26:27]
	v_cmp_eq_u32_e64 s[22:23], v4, v32
	s_waitcnt vmcnt(0)
	v_and_b32_e32 v4, v31, v3
	v_bfe_u32 v3, v3, s4, 2
	v_cmp_eq_u32_e64 s[6:7], 0, v2
	v_cmp_eq_u32_e64 s[42:43], 1, v2
	;; [unrolled: 1-line block ×4, first 2 shown]
	v_cmp_ne_u32_e64 s[46:47], 0, v5
	v_cndmask_b32_e64 v2, 0, 1, s[26:27]
	v_cmp_eq_u32_e64 s[26:27], v4, v32
	v_cmp_eq_u32_e64 s[48:49], 0, v3
	s_bcnt1_i32_b64 s5, s[46:47]
	v_cmp_ne_u32_e64 s[46:47], 0, v2
	s_and_b64 s[6:7], s[22:23], s[6:7]
	v_cndmask_b32_e64 v2, 0, 1, s[6:7]
	s_bcnt1_i32_b64 s74, s[46:47]
	s_and_b64 s[46:47], s[26:27], s[48:49]
	v_cmp_ne_u32_e64 s[6:7], 0, v2
	v_cndmask_b32_e64 v2, 0, 1, s[46:47]
	s_bcnt1_i32_b64 s46, s[6:7]
	v_cmp_ne_u32_e64 s[6:7], 0, v2
	s_bcnt1_i32_b64 s6, s[6:7]
	s_add_u32 s5, s5, s90
	s_addc_u32 s7, 0, s91
	s_add_u32 s5, s5, s74
	s_addc_u32 s7, s7, 0
	;; [unrolled: 2-line block ×3, first 2 shown]
	s_add_u32 s90, s5, s6
	v_cmp_eq_u32_e64 s[38:39], 1, v6
	s_addc_u32 s91, s7, 0
	s_and_b64 s[6:7], s[16:17], s[34:35]
	v_cndmask_b32_e64 v4, 0, 1, s[6:7]
	s_and_b64 s[6:7], s[14:15], s[38:39]
	v_cmp_eq_u32_e64 s[50:51], 1, v3
	v_cndmask_b32_e64 v5, 0, 1, s[6:7]
	s_and_b64 s[6:7], s[22:23], s[42:43]
	v_cmp_eq_u32_e64 s[40:41], 2, v6
	v_cmp_eq_u32_e64 s[20:21], 3, v6
	v_cndmask_b32_e64 v6, 0, 1, s[6:7]
	s_and_b64 s[6:7], s[26:27], s[50:51]
	v_cndmask_b32_e64 v7, 0, 1, s[6:7]
	v_cmp_ne_u32_e64 s[6:7], 0, v4
	v_cmp_ne_u32_e64 s[34:35], 0, v5
	v_cmp_ne_u32_e64 s[38:39], 0, v6
	v_cmp_ne_u32_e64 s[42:43], 0, v7
	s_bcnt1_i32_b64 s5, s[6:7]
	s_bcnt1_i32_b64 s6, s[34:35]
	;; [unrolled: 1-line block ×4, first 2 shown]
	s_add_u32 s5, s5, s12
	s_addc_u32 s12, 0, s13
	s_add_u32 s5, s5, s6
	s_addc_u32 s6, s12, 0
	;; [unrolled: 2-line block ×4, first 2 shown]
	s_and_b64 s[6:7], s[16:17], s[36:37]
	v_cndmask_b32_e64 v6, 0, 1, s[6:7]
	s_and_b64 s[6:7], s[14:15], s[40:41]
	v_cmp_eq_u32_e64 s[52:53], 2, v3
	v_cndmask_b32_e64 v7, 0, 1, s[6:7]
	s_and_b64 s[6:7], s[22:23], s[44:45]
	v_cndmask_b32_e64 v8, 0, 1, s[6:7]
	s_and_b64 s[6:7], s[26:27], s[52:53]
	v_cndmask_b32_e64 v9, 0, 1, s[6:7]
	v_cmp_ne_u32_e64 s[6:7], 0, v6
	v_cmp_ne_u32_e64 s[34:35], 0, v7
	;; [unrolled: 1-line block ×4, first 2 shown]
	s_bcnt1_i32_b64 s5, s[6:7]
	s_bcnt1_i32_b64 s6, s[34:35]
	;; [unrolled: 1-line block ×4, first 2 shown]
	s_add_u32 s5, s5, s72
	s_addc_u32 s35, 0, s73
	s_add_u32 s5, s5, s6
	s_addc_u32 s6, s35, 0
	;; [unrolled: 2-line block ×4, first 2 shown]
	s_and_b64 s[6:7], s[16:17], s[18:19]
	v_cndmask_b32_e64 v8, 0, 1, s[6:7]
	s_and_b64 s[6:7], s[14:15], s[20:21]
	v_cmp_eq_u32_e64 s[28:29], 3, v3
	v_cndmask_b32_e64 v9, 0, 1, s[6:7]
	s_and_b64 s[6:7], s[22:23], s[24:25]
	v_cndmask_b32_e64 v14, 0, 1, s[6:7]
	s_and_b64 s[6:7], s[26:27], s[28:29]
	v_cndmask_b32_e64 v35, 0, 1, s[6:7]
	v_cmp_ne_u32_e64 s[6:7], 0, v8
	v_cmp_ne_u32_e64 s[14:15], 0, v9
	;; [unrolled: 1-line block ×4, first 2 shown]
	s_bcnt1_i32_b64 s5, s[6:7]
	s_bcnt1_i32_b64 s6, s[14:15]
	;; [unrolled: 1-line block ×4, first 2 shown]
	s_add_u32 s5, s5, s80
	s_addc_u32 s15, 0, s81
	s_add_u32 s5, s5, s6
	s_addc_u32 s6, s15, 0
	;; [unrolled: 2-line block ×4, first 2 shown]
	v_pk_mov_b32 v[2:3], s[90:91], s[90:91] op_sel:[0,1]
	v_pk_mov_b32 v[4:5], s[12:13], s[12:13] op_sel:[0,1]
	;; [unrolled: 1-line block ×3, first 2 shown]
	s_or_b64 s[10:11], vcc, s[10:11]
	v_pk_mov_b32 v[8:9], s[80:81], s[80:81] op_sel:[0,1]
	s_andn2_b64 exec, exec, s[10:11]
	s_cbranch_execnz .LBB126_51
; %bb.52:                               ;   in Loop: Header=BB126_18 Depth=1
	s_or_b64 exec, exec, s[10:11]
.LBB126_53:                             ;   in Loop: Header=BB126_18 Depth=1
	s_or_b64 exec, exec, s[54:55]
	v_add_co_u32_e32 v22, vcc, v22, v0
	v_addc_co_u32_e32 v23, vcc, 0, v23, vcc
	v_cmp_gt_u64_e32 vcc, s[60:61], v[22:23]
	v_mov_b32_e32 v14, 0
	s_and_saveexec_b64 s[4:5], vcc
	s_cbranch_execz .LBB126_55
; %bb.54:                               ;   in Loop: Header=BB126_18 Depth=1
	v_pk_mov_b32 v[24:25], s[56:57], s[56:57] op_sel:[0,1]
	v_mad_u64_u32 v[24:25], s[6:7], v22, s58, v[24:25]
	v_mul_lo_u32 v14, v22, s59
	v_mul_lo_u32 v35, v23, s58
	v_add3_u32 v25, v35, v25, v14
	global_load_ubyte v14, v[24:25], off
.LBB126_55:                             ;   in Loop: Header=BB126_18 Depth=1
	s_or_b64 exec, exec, s[4:5]
	s_and_saveexec_b64 s[4:5], vcc
	s_cbranch_execz .LBB126_62
; %bb.56:                               ;   in Loop: Header=BB126_18 Depth=1
	s_and_b32 s9, s77, 0xfe
	s_mov_b64 s[10:11], 0
	s_branch .LBB126_58
.LBB126_57:                             ;   in Loop: Header=BB126_58 Depth=2
	s_or_b64 exec, exec, s[12:13]
	s_waitcnt vmcnt(0)
	v_and_b32_e32 v14, 0xff, v14
	s_and_b64 s[6:7], exec, vcc
	v_and_b32_e32 v25, v31, v14
	v_bfe_u32 v14, v14, s9, 2
	s_or_b64 s[10:11], s[6:7], s[10:11]
	v_cmp_eq_u32_e32 vcc, v25, v32
	v_cmp_eq_u32_e64 s[6:7], 0, v14
	s_and_b64 s[6:7], vcc, s[6:7]
	v_cndmask_b32_e64 v25, 0, 1, s[6:7]
	v_cmp_ne_u32_e64 s[6:7], 0, v25
	s_bcnt1_i32_b64 s6, s[6:7]
	v_add_co_u32_e64 v2, s[6:7], s6, v2
	v_addc_co_u32_e64 v3, s[6:7], 0, v3, s[6:7]
	v_cmp_eq_u32_e64 s[6:7], 1, v14
	s_and_b64 s[6:7], vcc, s[6:7]
	v_cndmask_b32_e64 v25, 0, 1, s[6:7]
	v_cmp_ne_u32_e64 s[6:7], 0, v25
	s_bcnt1_i32_b64 s6, s[6:7]
	v_add_co_u32_e64 v4, s[6:7], s6, v4
	v_addc_co_u32_e64 v5, s[6:7], 0, v5, s[6:7]
	;; [unrolled: 7-line block ×3, first 2 shown]
	v_cmp_eq_u32_e64 s[6:7], 3, v14
	s_and_b64 s[6:7], vcc, s[6:7]
	v_cndmask_b32_e64 v14, 0, 1, s[6:7]
	v_cmp_ne_u32_e32 vcc, 0, v14
	s_bcnt1_i32_b64 s6, vcc
	v_add_co_u32_e32 v8, vcc, s6, v8
	v_addc_co_u32_e32 v9, vcc, 0, v9, vcc
	v_mov_b32_e32 v14, v24
	s_andn2_b64 exec, exec, s[10:11]
	s_cbranch_execz .LBB126_61
.LBB126_58:                             ;   Parent Loop BB126_18 Depth=1
                                        ; =>  This Inner Loop Header: Depth=2
	v_add_co_u32_sdwa v22, vcc, v22, v34 dst_sel:DWORD dst_unused:UNUSED_PAD src0_sel:DWORD src1_sel:WORD_0
	v_addc_co_u32_e32 v23, vcc, 0, v23, vcc
	v_cmp_gt_u64_e64 s[6:7], s[60:61], v[22:23]
	v_cmp_le_u64_e32 vcc, s[60:61], v[22:23]
	v_mov_b32_e32 v24, 0
	s_and_saveexec_b64 s[12:13], s[6:7]
	s_cbranch_execz .LBB126_57
; %bb.59:                               ;   in Loop: Header=BB126_58 Depth=2
	v_pk_mov_b32 v[24:25], s[56:57], s[56:57] op_sel:[0,1]
	v_mad_u64_u32 v[24:25], s[6:7], v22, s58, v[24:25]
	v_mul_lo_u32 v35, v22, s59
	v_mul_lo_u32 v36, v23, s58
	v_add3_u32 v25, v36, v25, v35
	global_load_ubyte v24, v[24:25], off
	s_branch .LBB126_57
.LBB126_60:                             ;   in Loop: Header=BB126_18 Depth=1
                                        ; implicit-def: $vgpr8_vgpr9
                                        ; implicit-def: $vgpr4_vgpr5
	s_cbranch_execnz .LBB126_63
	s_branch .LBB126_72
.LBB126_61:                             ;   in Loop: Header=BB126_18 Depth=1
	s_or_b64 exec, exec, s[10:11]
.LBB126_62:                             ;   in Loop: Header=BB126_18 Depth=1
	s_or_b64 exec, exec, s[4:5]
	s_branch .LBB126_72
.LBB126_63:                             ;   in Loop: Header=BB126_18 Depth=1
	v_readlane_b32 s4, v43, 55
	v_readlane_b32 s5, v43, 56
	s_mov_b64 s[10:11], 0
	s_nop 3
	global_load_ushort v14, v15, s[4:5]
	s_waitcnt vmcnt(0)
	v_readfirstlane_b32 s4, v14
	s_and_b32 s4, 0xffff, s4
	s_lshl_b32 s9, s4, 2
	v_cvt_f32_u32_e32 v2, s9
	s_sub_i32 s4, 0, s9
	v_rcp_iflag_f32_e32 v4, v2
	v_pk_mov_b32 v[2:3], 0, 0
	v_pk_mov_b32 v[6:7], v[2:3], v[2:3] op_sel:[0,1]
	v_mul_f32_e32 v4, 0x4f7ffffe, v4
	v_cvt_u32_f32_e32 v8, v4
	v_pk_mov_b32 v[4:5], v[2:3], v[2:3] op_sel:[0,1]
	v_readfirstlane_b32 s5, v8
	s_mul_i32 s4, s4, s5
	s_mul_hi_u32 s4, s5, s4
	s_add_i32 s5, s5, s4
	s_mul_hi_u32 s4, s8, s5
	s_mul_i32 s4, s4, s9
	s_sub_i32 s4, s8, s4
	s_sub_i32 s5, s4, s9
	s_cmp_ge_u32 s4, s9
	s_cselect_b32 s4, s5, s4
	s_sub_i32 s5, s4, s9
	s_cmp_ge_u32 s4, s9
	s_cselect_b32 s4, s5, s4
	s_sub_i32 s94, s8, s4
	v_cmp_gt_u32_e32 vcc, s94, v18
	v_pk_mov_b32 v[8:9], v[2:3], v[2:3] op_sel:[0,1]
	s_and_saveexec_b64 s[12:13], vcc
	s_cbranch_execz .LBB126_67
; %bb.64:                               ;   in Loop: Header=BB126_18 Depth=1
	s_and_b32 s74, s77, 0xfe
	v_mov_b32_e32 v24, v18
	s_mov_b64 s[72:73], 0
	s_mov_b64 s[80:81], 0
	;; [unrolled: 1-line block ×4, first 2 shown]
	v_pk_mov_b32 v[22:23], v[18:19], v[18:19] op_sel:[0,1]
.LBB126_65:                             ;   Parent Loop BB126_18 Depth=1
                                        ; =>  This Inner Loop Header: Depth=2
	ds_read_b32 v2, v24
	v_add_co_u32_e32 v22, vcc, s9, v22
	v_addc_co_u32_e32 v23, vcc, 0, v23, vcc
	s_waitcnt lgkmcnt(0)
	v_and_b32_e32 v4, 0xff, v2
	v_bfe_u32 v5, v2, 8, 8
	v_and_b32_e32 v6, v31, v4
	v_bfe_u32 v4, v4, s74, 2
	v_lshrrev_b32_e32 v3, 24, v2
	v_bfe_u32 v2, v2, 16, 8
	v_and_b32_e32 v7, v31, v5
	v_bfe_u32 v5, v5, s74, 2
	v_cmp_eq_u32_e64 s[20:21], v6, v32
	v_cmp_eq_u32_e64 s[6:7], 0, v4
	v_and_b32_e32 v8, v31, v2
	v_bfe_u32 v2, v2, s74, 2
	v_cmp_eq_u32_e64 s[18:19], v7, v32
	v_cmp_eq_u32_e64 s[34:35], 0, v5
	s_and_b64 s[6:7], s[20:21], s[6:7]
	v_and_b32_e32 v9, v31, v3
	v_bfe_u32 v3, v3, s74, 2
	v_cmp_eq_u32_e64 s[16:17], v8, v32
	v_cmp_eq_u32_e64 s[36:37], 0, v2
	;; [unrolled: 1-line block ×5, first 2 shown]
	v_cndmask_b32_e64 v2, 0, 1, s[6:7]
	s_and_b64 s[6:7], s[18:19], s[34:35]
	v_cmp_eq_u32_e64 s[14:15], v9, v32
	v_cmp_eq_u32_e64 s[38:39], 0, v3
	v_cmp_eq_u32_e64 s[46:47], 1, v3
	v_cmp_eq_u32_e64 s[54:55], 2, v3
	v_cmp_eq_u32_e64 s[22:23], 3, v3
	v_cndmask_b32_e64 v3, 0, 1, s[6:7]
	s_and_b64 s[6:7], s[16:17], s[36:37]
	v_cmp_eq_u32_e64 s[40:41], 1, v4
	v_cmp_eq_u32_e64 s[48:49], 2, v4
	;; [unrolled: 1-line block ×3, first 2 shown]
	v_cndmask_b32_e64 v4, 0, 1, s[6:7]
	s_and_b64 s[6:7], s[14:15], s[38:39]
	v_cmp_eq_u32_e64 s[42:43], 1, v5
	v_cmp_eq_u32_e64 s[50:51], 2, v5
	;; [unrolled: 1-line block ×3, first 2 shown]
	v_cndmask_b32_e64 v5, 0, 1, s[6:7]
	v_cmp_ne_u32_e64 s[6:7], 0, v2
	v_cmp_ne_u32_e64 s[34:35], 0, v3
	v_cmp_ne_u32_e64 s[36:37], 0, v4
	v_cmp_ne_u32_e64 s[38:39], 0, v5
	s_bcnt1_i32_b64 s6, s[6:7]
	s_bcnt1_i32_b64 s7, s[34:35]
	s_bcnt1_i32_b64 s34, s[36:37]
	s_bcnt1_i32_b64 s35, s[38:39]
	s_add_u32 s4, s6, s4
	s_addc_u32 s5, 0, s5
	s_add_u32 s4, s4, s7
	s_addc_u32 s5, s5, 0
	s_add_u32 s4, s4, s34
	s_addc_u32 s5, s5, 0
	s_add_u32 s4, s4, s35
	s_addc_u32 s5, s5, 0
	s_and_b64 s[6:7], s[20:21], s[40:41]
	v_cndmask_b32_e64 v4, 0, 1, s[6:7]
	s_and_b64 s[6:7], s[18:19], s[42:43]
	v_cndmask_b32_e64 v5, 0, 1, s[6:7]
	s_and_b64 s[6:7], s[16:17], s[44:45]
	v_cndmask_b32_e64 v6, 0, 1, s[6:7]
	s_and_b64 s[6:7], s[14:15], s[46:47]
	v_cndmask_b32_e64 v7, 0, 1, s[6:7]
	v_cmp_ne_u32_e64 s[6:7], 0, v4
	v_cmp_ne_u32_e64 s[34:35], 0, v5
	v_cmp_ne_u32_e64 s[36:37], 0, v6
	v_cmp_ne_u32_e64 s[38:39], 0, v7
	s_bcnt1_i32_b64 s6, s[6:7]
	s_bcnt1_i32_b64 s7, s[34:35]
	s_bcnt1_i32_b64 s34, s[36:37]
	s_bcnt1_i32_b64 s35, s[38:39]
	s_add_u32 s6, s6, s90
	s_addc_u32 s36, 0, s91
	s_add_u32 s6, s6, s7
	s_addc_u32 s7, s36, 0
	s_add_u32 s6, s6, s34
	s_addc_u32 s7, s7, 0
	s_add_u32 s90, s6, s35
	s_addc_u32 s91, s7, 0
	s_and_b64 s[6:7], s[20:21], s[48:49]
	v_cndmask_b32_e64 v6, 0, 1, s[6:7]
	s_and_b64 s[6:7], s[18:19], s[50:51]
	v_cndmask_b32_e64 v7, 0, 1, s[6:7]
	s_and_b64 s[6:7], s[16:17], s[52:53]
	v_cndmask_b32_e64 v8, 0, 1, s[6:7]
	s_and_b64 s[6:7], s[14:15], s[54:55]
	;; [unrolled: 24-line block ×3, first 2 shown]
	v_cndmask_b32_e64 v34, 0, 1, s[6:7]
	v_cmp_ne_u32_e64 s[6:7], 0, v8
	v_cmp_ne_u32_e64 s[14:15], 0, v9
	;; [unrolled: 1-line block ×4, first 2 shown]
	s_bcnt1_i32_b64 s6, s[6:7]
	s_bcnt1_i32_b64 s7, s[14:15]
	s_bcnt1_i32_b64 s14, s[16:17]
	s_bcnt1_i32_b64 s15, s[18:19]
	s_add_u32 s6, s6, s72
	s_addc_u32 s16, 0, s73
	s_add_u32 s6, s6, s7
	s_addc_u32 s7, s16, 0
	;; [unrolled: 2-line block ×3, first 2 shown]
	s_add_u32 s72, s6, s15
	v_cmp_le_u64_e32 vcc, s[94:95], v[22:23]
	s_addc_u32 s73, s7, 0
	v_add_u32_e32 v24, s9, v24
	v_pk_mov_b32 v[2:3], s[4:5], s[4:5] op_sel:[0,1]
	v_pk_mov_b32 v[4:5], s[90:91], s[90:91] op_sel:[0,1]
	;; [unrolled: 1-line block ×3, first 2 shown]
	s_or_b64 s[10:11], vcc, s[10:11]
	v_pk_mov_b32 v[8:9], s[72:73], s[72:73] op_sel:[0,1]
	s_andn2_b64 exec, exec, s[10:11]
	s_cbranch_execnz .LBB126_65
; %bb.66:                               ;   in Loop: Header=BB126_18 Depth=1
	s_or_b64 exec, exec, s[10:11]
.LBB126_67:                             ;   in Loop: Header=BB126_18 Depth=1
	s_or_b64 exec, exec, s[12:13]
	v_and_b32_e32 v24, 0xffff, v14
	v_add_u32_e32 v14, s94, v0
	v_cmp_gt_u32_e32 vcc, s8, v14
	s_and_saveexec_b64 s[4:5], vcc
	s_cbranch_execz .LBB126_71
; %bb.68:                               ;   in Loop: Header=BB126_18 Depth=1
	s_and_b32 s94, s8, 0x7fffffff
	s_and_b32 s10, s77, 0xfe
	s_mov_b64 s[8:9], 0
	v_pk_mov_b32 v[22:23], v[14:15], v[14:15] op_sel:[0,1]
.LBB126_69:                             ;   Parent Loop BB126_18 Depth=1
                                        ; =>  This Inner Loop Header: Depth=2
	ds_read_u8 v25, v14
	v_add_co_u32_e32 v22, vcc, v22, v24
	v_addc_co_u32_e32 v23, vcc, 0, v23, vcc
	s_waitcnt lgkmcnt(0)
	v_and_b32_e32 v34, v31, v25
	v_bfe_u32 v25, v25, s10, 2
	v_cmp_eq_u32_e64 s[6:7], v34, v32
	v_cmp_eq_u32_e64 s[14:15], 0, v25
	;; [unrolled: 1-line block ×3, first 2 shown]
	s_and_b64 s[12:13], s[6:7], s[14:15]
	v_cmp_eq_u32_e64 s[18:19], 2, v25
	v_cmp_eq_u32_e64 s[20:21], 3, v25
	v_cndmask_b32_e64 v25, 0, 1, s[12:13]
	s_and_b64 s[12:13], s[6:7], s[16:17]
	v_cndmask_b32_e64 v34, 0, 1, s[12:13]
	s_and_b64 s[12:13], s[6:7], s[18:19]
	s_and_b64 s[6:7], s[6:7], s[20:21]
	v_cndmask_b32_e64 v35, 0, 1, s[12:13]
	v_cndmask_b32_e64 v36, 0, 1, s[6:7]
	v_cmp_ne_u32_e64 s[6:7], 0, v25
	v_cmp_ne_u32_e64 s[14:15], 0, v34
	;; [unrolled: 1-line block ×4, first 2 shown]
	v_cmp_le_u64_e32 vcc, s[94:95], v[22:23]
	s_bcnt1_i32_b64 s6, s[6:7]
	s_bcnt1_i32_b64 s7, s[14:15]
	;; [unrolled: 1-line block ×4, first 2 shown]
	s_or_b64 s[8:9], vcc, s[8:9]
	v_add_co_u32_e32 v2, vcc, s6, v2
	v_addc_co_u32_e32 v3, vcc, 0, v3, vcc
	v_add_co_u32_e32 v4, vcc, s7, v4
	v_addc_co_u32_e32 v5, vcc, 0, v5, vcc
	;; [unrolled: 2-line block ×3, first 2 shown]
	v_add_co_u32_e32 v8, vcc, s12, v8
	v_add_u32_e32 v14, v14, v24
	v_addc_co_u32_e32 v9, vcc, 0, v9, vcc
	s_andn2_b64 exec, exec, s[8:9]
	s_cbranch_execnz .LBB126_69
; %bb.70:                               ;   in Loop: Header=BB126_18 Depth=1
	s_or_b64 exec, exec, s[8:9]
.LBB126_71:                             ;   in Loop: Header=BB126_18 Depth=1
	s_or_b64 exec, exec, s[4:5]
.LBB126_72:                             ;   in Loop: Header=BB126_18 Depth=1
	s_lshl_b32 s6, s93, 6
	s_and_saveexec_b64 s[4:5], s[0:1]
	s_cbranch_execz .LBB126_74
; %bb.73:                               ;   in Loop: Header=BB126_18 Depth=1
	s_waitcnt vmcnt(0)
	v_or_b32_e32 v14, s6, v28
	v_lshlrev_b32_e32 v14, 3, v14
	ds_write_b128 v14, v[2:5] offset:3072
	ds_write_b128 v14, v[6:9] offset:3088
.LBB126_74:                             ;   in Loop: Header=BB126_18 Depth=1
	s_or_b64 exec, exec, s[4:5]
	s_waitcnt lgkmcnt(0)
	s_barrier
	s_mov_b64 s[4:5], exec
	v_readlane_b32 s8, v43, 42
	v_readlane_b32 s9, v43, 43
	s_and_b64 s[8:9], s[4:5], s[8:9]
	s_mov_b64 exec, s[8:9]
	s_cbranch_execz .LBB126_86
; %bb.75:                               ;   in Loop: Header=BB126_18 Depth=1
	v_readlane_b32 s8, v43, 50
	v_readlane_b32 s9, v43, 51
	s_andn2_b64 vcc, exec, s[8:9]
	v_pk_mov_b32 v[2:3], 0, 0
	s_cbranch_vccnz .LBB126_85
; %bb.76:                               ;   in Loop: Header=BB126_18 Depth=1
	v_readlane_b32 s8, v43, 57
	v_readlane_b32 s9, v43, 58
	s_andn2_b64 vcc, exec, s[8:9]
	s_cbranch_vccnz .LBB126_81
; %bb.77:                               ;   in Loop: Header=BB126_18 Depth=1
	s_waitcnt vmcnt(0)
	v_lshl_add_u32 v4, s93, 9, v29
	s_mov_b32 s7, 0
	v_pk_mov_b32 v[2:3], 0, 0
.LBB126_78:                             ;   Parent Loop BB126_18 Depth=1
                                        ; =>  This Inner Loop Header: Depth=2
	ds_read2_b64 v[6:9], v4 offset1:4
	ds_read2_b64 v[22:25], v4 offset0:8 offset1:12
	ds_read2_b64 v[34:37], v4 offset0:16 offset1:20
	;; [unrolled: 1-line block ×3, first 2 shown]
	s_add_i32 s7, s7, 8
	s_waitcnt lgkmcnt(3)
	v_add_co_u32_e32 v2, vcc, v6, v2
	v_addc_co_u32_e32 v3, vcc, v7, v3, vcc
	v_add_co_u32_e32 v2, vcc, v8, v2
	v_addc_co_u32_e32 v3, vcc, v9, v3, vcc
	s_waitcnt lgkmcnt(2)
	v_add_co_u32_e32 v2, vcc, v22, v2
	v_addc_co_u32_e32 v3, vcc, v23, v3, vcc
	v_add_co_u32_e32 v2, vcc, v24, v2
	v_addc_co_u32_e32 v3, vcc, v25, v3, vcc
	;; [unrolled: 5-line block ×3, first 2 shown]
	s_waitcnt lgkmcnt(0)
	v_add_co_u32_e32 v2, vcc, v38, v2
	v_addc_co_u32_e32 v3, vcc, v39, v3, vcc
	v_add_co_u32_e32 v2, vcc, v40, v2
	v_add_u32_e32 v4, 0x100, v4
	s_cmp_eq_u32 s76, s7
	v_addc_co_u32_e32 v3, vcc, v41, v3, vcc
	s_cbranch_scc0 .LBB126_78
; %bb.79:                               ;   in Loop: Header=BB126_18 Depth=1
	s_mov_b32 s7, s76
	s_branch .LBB126_82
.LBB126_80:                             ;   in Loop: Header=BB126_18 Depth=1
                                        ; implicit-def: $vgpr2_vgpr3
	s_branch .LBB126_48
.LBB126_81:                             ;   in Loop: Header=BB126_18 Depth=1
	s_mov_b32 s7, 0
	v_pk_mov_b32 v[2:3], 0, 0
.LBB126_82:                             ;   in Loop: Header=BB126_18 Depth=1
	v_readlane_b32 s8, v43, 60
	v_readlane_b32 s9, v43, 61
	s_andn2_b64 vcc, exec, s[8:9]
	s_cbranch_vccnz .LBB126_85
; %bb.83:                               ;   in Loop: Header=BB126_18 Depth=1
	s_lshl_b32 s8, s93, 9
	s_lshl_b32 s7, s7, 5
	s_add_i32 s8, s8, s7
	s_waitcnt vmcnt(0)
	v_add_u32_e32 v4, s8, v29
	v_readlane_b32 s7, v43, 59
.LBB126_84:                             ;   Parent Loop BB126_18 Depth=1
                                        ; =>  This Inner Loop Header: Depth=2
	ds_read_b64 v[6:7], v4
	s_add_i32 s7, s7, -1
	v_add_u32_e32 v4, 32, v4
	s_cmp_lg_u32 s7, 0
	s_waitcnt lgkmcnt(0)
	v_add_co_u32_e32 v2, vcc, v6, v2
	v_addc_co_u32_e32 v3, vcc, v7, v3, vcc
	s_cbranch_scc1 .LBB126_84
.LBB126_85:                             ;   in Loop: Header=BB126_18 Depth=1
	s_waitcnt vmcnt(0)
	v_add_lshl_u32 v4, s6, v27, 3
	ds_write_b64 v4, v[2:3] offset:3072
.LBB126_86:                             ;   in Loop: Header=BB126_18 Depth=1
	s_or_b64 exec, exec, s[4:5]
	s_lshl_b32 s4, s6, 3
	v_mov_b32_e32 v6, s4
	s_waitcnt lgkmcnt(0)
	s_barrier
	s_waitcnt vmcnt(0)
	ds_read_b128 v[2:5], v6 offset:3072
	ds_read_b128 v[6:9], v6 offset:3088
	s_and_b32 s47, s77, 0xfe
	v_readlane_b32 s4, v43, 40
	s_lshl_b32 s94, 3, s47
	v_readlane_b32 s5, v43, 41
	s_waitcnt lgkmcnt(1)
	v_readfirstlane_b32 s17, v3
	v_readfirstlane_b32 s16, v2
	;; [unrolled: 1-line block ×4, first 2 shown]
	s_waitcnt lgkmcnt(0)
	v_readfirstlane_b32 s23, v7
	v_readfirstlane_b32 s22, v6
	;; [unrolled: 1-line block ×4, first 2 shown]
	s_not_b32 s46, s94
	s_andn2_b64 vcc, exec, s[4:5]
	v_cmp_eq_u64_e64 s[14:15], 1, v[20:21]
	s_cbranch_vccnz .LBB126_101
; %bb.87:                               ;   in Loop: Header=BB126_18 Depth=1
	s_cmp_eq_u64 s[16:17], 1
	s_cselect_b64 s[4:5], -1, 0
	s_and_b64 s[6:7], s[4:5], s[14:15]
	s_mov_b64 s[4:5], -1
	v_mov_b32_e32 v8, v32
	v_mov_b32_e32 v9, v31
	;; [unrolled: 1-line block ×3, first 2 shown]
                                        ; implicit-def: $sgpr20_sgpr21
                                        ; implicit-def: $sgpr36_sgpr37
                                        ; implicit-def: $sgpr34_sgpr35
	s_and_saveexec_b64 s[8:9], s[6:7]
	s_cbranch_execz .LBB126_122
; %bb.88:                               ;   in Loop: Header=BB126_18 Depth=1
	ds_read_b64 v[2:3], v15 offset:5120
	s_waitcnt lgkmcnt(0)
	s_barrier
	v_readfirstlane_b32 s4, v2
	v_readfirstlane_b32 s5, v3
	s_mov_b64 s[10:11], exec
	v_readlane_b32 s12, v43, 48
	v_readlane_b32 s13, v43, 49
	s_and_b64 s[12:13], s[10:11], s[12:13]
	s_mov_b64 exec, s[12:13]
	s_cbranch_execz .LBB126_90
; %bb.89:                               ;   in Loop: Header=BB126_18 Depth=1
	ds_write_b8 v0, v15 offset:3072
.LBB126_90:                             ;   in Loop: Header=BB126_18 Depth=1
	s_or_b64 exec, exec, s[10:11]
	v_and_b32_e32 v8, s46, v32
	v_or_b32_e32 v9, s94, v31
	s_cmp_eq_u64 s[4:5], 0
	s_waitcnt lgkmcnt(0)
	s_barrier
	s_cbranch_scc1 .LBB126_106
; %bb.91:                               ;   in Loop: Header=BB126_18 Depth=1
	v_readlane_b32 s10, v43, 52
	s_add_u32 s20, s10, s4
	v_readlane_b32 s10, v43, 54
	s_addc_u32 s11, s10, s5
	s_mov_b32 s10, s95
	s_cmp_lg_u64 s[10:11], 0
	s_cbranch_scc0 .LBB126_148
; %bb.92:                               ;   in Loop: Header=BB126_18 Depth=1
	v_cvt_f32_u32_e32 v2, s33
	s_sub_u32 s10, 0, s33
	s_subb_u32 s12, 0, 0
	v_mac_f32_e32 v2, 0, v30
	v_rcp_f32_e32 v2, v2
	v_mul_f32_e32 v2, 0x5f7ffffc, v2
	v_mul_f32_e32 v3, 0x2f800000, v2
	v_trunc_f32_e32 v3, v3
	v_mac_f32_e32 v2, 0xcf800000, v3
	v_cvt_u32_f32_e32 v3, v3
	v_cvt_u32_f32_e32 v2, v2
	v_readfirstlane_b32 s13, v3
	v_readfirstlane_b32 s21, v2
	s_mul_i32 s26, s10, s13
	s_mul_hi_u32 s28, s10, s21
	s_mul_i32 s27, s12, s21
	s_add_i32 s26, s28, s26
	s_mul_i32 s29, s10, s21
	s_add_i32 s26, s26, s27
	s_mul_hi_u32 s28, s21, s29
	s_mul_hi_u32 s27, s21, s26
	s_mul_i32 s21, s21, s26
	s_add_u32 s21, s28, s21
	s_addc_u32 s27, 0, s27
	s_mul_hi_u32 s34, s13, s29
	s_mul_i32 s29, s13, s29
	s_add_u32 s21, s21, s29
	s_mul_hi_u32 s28, s13, s26
	s_addc_u32 s21, s27, s34
	s_addc_u32 s27, s28, 0
	s_mul_i32 s26, s13, s26
	s_add_u32 s21, s21, s26
	s_addc_u32 s26, 0, s27
	v_add_co_u32_e32 v2, vcc, s21, v2
	s_cmp_lg_u64 vcc, 0
	s_addc_u32 s13, s13, s26
	v_readfirstlane_b32 s26, v2
	s_mul_i32 s21, s10, s13
	s_mul_hi_u32 s27, s10, s26
	s_add_i32 s21, s27, s21
	s_mul_i32 s12, s12, s26
	s_add_i32 s21, s21, s12
	s_mul_i32 s10, s10, s26
	s_mul_hi_u32 s27, s13, s10
	s_mul_i32 s28, s13, s10
	s_mul_i32 s34, s26, s21
	s_mul_hi_u32 s10, s26, s10
	s_mul_hi_u32 s29, s26, s21
	s_add_u32 s10, s10, s34
	s_addc_u32 s26, 0, s29
	s_add_u32 s10, s10, s28
	s_mul_hi_u32 s12, s13, s21
	s_addc_u32 s10, s26, s27
	s_addc_u32 s12, s12, 0
	s_mul_i32 s21, s13, s21
	s_add_u32 s10, s10, s21
	s_addc_u32 s12, 0, s12
	v_add_co_u32_e32 v2, vcc, s10, v2
	s_cmp_lg_u64 vcc, 0
	s_addc_u32 s10, s13, s12
	v_readfirstlane_b32 s21, v2
	s_mul_i32 s13, s20, s10
	s_mul_hi_u32 s26, s20, s21
	s_mul_hi_u32 s12, s20, s10
	s_add_u32 s13, s26, s13
	s_addc_u32 s12, 0, s12
	s_mul_hi_u32 s27, s11, s21
	s_mul_i32 s21, s11, s21
	s_add_u32 s13, s13, s21
	s_mul_hi_u32 s26, s11, s10
	s_addc_u32 s12, s12, s27
	s_addc_u32 s13, s26, 0
	s_mul_i32 s10, s11, s10
	s_add_u32 s10, s12, s10
	s_addc_u32 s12, 0, s13
	s_mul_hi_u32 s13, s33, s10
	s_mul_i32 s10, s33, s10
	s_mul_i32 s12, s33, s12
	v_mov_b32_e32 v2, s10
	s_add_i32 s13, s13, s12
	v_sub_co_u32_e32 v2, vcc, s20, v2
	s_cmp_lg_u64 vcc, 0
	s_subb_u32 s10, s11, s13
	v_subrev_co_u32_e32 v3, vcc, s33, v2
	s_cmp_lg_u64 vcc, 0
	s_subb_u32 s12, s10, 0
	v_subrev_co_u32_e32 v4, vcc, s33, v3
	s_cmp_lg_u64 vcc, 0
	s_subb_u32 s13, s12, 0
	v_cmp_le_u32_e32 vcc, s33, v3
	s_cmp_eq_u32 s12, 0
	v_cndmask_b32_e64 v5, 0, -1, vcc
	s_cselect_b64 vcc, -1, 0
	v_cndmask_b32_e32 v5, -1, v5, vcc
	v_mov_b32_e32 v6, s12
	v_mov_b32_e32 v7, s13
	v_cmp_ne_u32_e32 vcc, 0, v5
	v_cndmask_b32_e32 v5, v6, v7, vcc
	v_cndmask_b32_e32 v4, v3, v4, vcc
	v_cmp_le_u32_e32 vcc, s33, v2
	s_cmp_eq_u32 s10, 0
	v_cndmask_b32_e64 v3, 0, -1, vcc
	s_cselect_b64 vcc, -1, 0
	v_cndmask_b32_e32 v3, -1, v3, vcc
	v_mov_b32_e32 v6, s10
	v_cmp_ne_u32_e32 vcc, 0, v3
	v_cndmask_b32_e32 v3, v6, v5, vcc
	v_cndmask_b32_e32 v2, v2, v4, vcc
	s_cbranch_execnz .LBB126_94
.LBB126_93:                             ;   in Loop: Header=BB126_18 Depth=1
	v_cvt_f32_u32_e32 v2, s33
	s_sub_i32 s10, 0, s33
	v_rcp_iflag_f32_e32 v2, v2
	v_mul_f32_e32 v2, 0x4f7ffffe, v2
	v_cvt_u32_f32_e32 v2, v2
	v_mul_lo_u32 v3, s10, v2
	v_mul_hi_u32 v3, v2, v3
	v_add_u32_e32 v2, v2, v3
	v_mul_hi_u32 v2, s20, v2
	v_mul_lo_u32 v2, v2, s33
	v_sub_u32_e32 v2, s20, v2
	v_subrev_u32_e32 v3, s33, v2
	v_cmp_le_u32_e32 vcc, s33, v2
	v_cndmask_b32_e32 v2, v2, v3, vcc
	v_subrev_u32_e32 v3, s33, v2
	v_cmp_le_u32_e32 vcc, s33, v2
	v_cndmask_b32_e32 v14, v2, v3, vcc
	v_pk_mov_b32 v[2:3], v[14:15], v[14:15] op_sel:[0,1]
.LBB126_94:                             ;   in Loop: Header=BB126_18 Depth=1
	v_mov_b32_e32 v4, s11
	v_sub_co_u32_e32 v2, vcc, s20, v2
	v_subb_co_u32_e32 v3, vcc, v4, v3, vcc
	v_cmp_gt_u64_e32 vcc, v[2:3], v[0:1]
	s_mov_b64 s[10:11], 0
                                        ; implicit-def: $vgpr22
	s_and_saveexec_b64 s[12:13], vcc
	s_cbranch_execz .LBB126_108
; %bb.95:                               ;   in Loop: Header=BB126_18 Depth=1
	v_mov_b32_e32 v6, v0
	v_pk_mov_b32 v[4:5], v[0:1], v[0:1] op_sel:[0,1]
                                        ; implicit-def: $sgpr20_sgpr21
	s_branch .LBB126_97
.LBB126_96:                             ;   in Loop: Header=BB126_97 Depth=2
	s_or_b64 exec, exec, s[26:27]
	s_waitcnt lgkmcnt(0)
	s_barrier
	ds_read_u16 v7, v15 offset:3072
	v_mov_b32_e32 v14, s92
	v_add_co_u32_e32 v4, vcc, s33, v4
	v_addc_co_u32_e32 v5, vcc, v5, v14, vcc
	s_waitcnt lgkmcnt(0)
	v_cmp_ne_u16_sdwa s[26:27], v7, v15 src0_sel:BYTE_0 src1_sel:DWORD
	v_cmp_ge_u64_e32 vcc, v[4:5], v[2:3]
	s_or_b64 s[28:29], vcc, s[26:27]
	s_and_b64 s[28:29], exec, s[28:29]
	s_or_b64 s[10:11], s[28:29], s[10:11]
	s_andn2_b64 s[20:21], s[20:21], exec
	s_and_b64 s[26:27], s[26:27], exec
	v_add_u32_e32 v6, s33, v6
	s_or_b64 s[20:21], s[20:21], s[26:27]
	s_barrier
	s_andn2_b64 exec, exec, s[10:11]
	s_cbranch_execz .LBB126_107
.LBB126_97:                             ;   Parent Loop BB126_18 Depth=1
                                        ; =>  This Inner Loop Header: Depth=2
	v_cmp_gt_u64_e32 vcc, s[4:5], v[4:5]
	v_mov_b32_e32 v7, 0
	s_and_saveexec_b64 s[26:27], vcc
	s_cbranch_execz .LBB126_99
; %bb.98:                               ;   in Loop: Header=BB126_97 Depth=2
	ds_read_u8 v7, v6
.LBB126_99:                             ;   in Loop: Header=BB126_97 Depth=2
	s_or_b64 exec, exec, s[26:27]
	s_waitcnt lgkmcnt(0)
	v_and_b32_e32 v14, v7, v9
	v_cmp_eq_u32_sdwa s[26:27], v14, v8 src0_sel:BYTE_0 src1_sel:DWORD
	s_and_b64 s[28:29], vcc, s[26:27]
	s_and_saveexec_b64 s[26:27], s[28:29]
	s_cbranch_execz .LBB126_96
; %bb.100:                              ;   in Loop: Header=BB126_97 Depth=2
	v_lshlrev_b16_e32 v7, 8, v7
	v_or_b32_e32 v7, 1, v7
	ds_write_b16 v15, v7 offset:3072
	s_branch .LBB126_96
.LBB126_101:                            ;   in Loop: Header=BB126_18 Depth=1
	s_mov_b64 s[28:29], 0
	s_mov_b64 s[26:27], 0
                                        ; implicit-def: $sgpr34_sgpr35
                                        ; implicit-def: $sgpr36_sgpr37
                                        ; implicit-def: $sgpr20_sgpr21
                                        ; implicit-def: $vgpr6
                                        ; implicit-def: $vgpr2_vgpr3
                                        ; implicit-def: $vgpr8
                                        ; implicit-def: $vgpr9
                                        ; implicit-def: $vgpr22
	s_cbranch_execnz .LBB126_280
.LBB126_102:                            ;   in Loop: Header=BB126_18 Depth=1
	s_mov_b64 s[14:15], s[20:21]
	s_mov_b64 s[38:39], s[20:21]
	s_and_saveexec_b64 s[4:5], s[28:29]
	s_cbranch_execnz .LBB126_468
	s_branch .LBB126_469
.LBB126_103:                            ;   in Loop: Header=BB126_18 Depth=1
	s_or_b64 exec, exec, s[4:5]
	s_waitcnt lgkmcnt(0)
	s_barrier
	s_mov_b64 s[4:5], exec
	v_readlane_b32 s6, v43, 32
	v_readlane_b32 s7, v43, 33
	s_and_b64 s[6:7], s[4:5], s[6:7]
	s_mov_b64 exec, s[6:7]
	s_cbranch_execz .LBB126_105
; %bb.104:                              ;   in Loop: Header=BB126_18 Depth=1
	ds_read_b32 v2, v15 offset:5144
	s_waitcnt lgkmcnt(0)
	v_ashrrev_i32_e32 v3, 31, v2
	ds_write_b64 v15, v[2:3] offset:5120
.LBB126_105:                            ;   in Loop: Header=BB126_18 Depth=1
	s_or_b64 exec, exec, s[4:5]
	s_waitcnt lgkmcnt(0)
	s_barrier
	s_mov_b64 s[4:5], -1
	s_and_b64 vcc, exec, s[8:9]
	s_cbranch_vccnz .LBB126_33
	s_branch .LBB126_43
.LBB126_106:                            ;   in Loop: Header=BB126_18 Depth=1
	s_mov_b64 s[20:21], -1
	s_mov_b64 s[10:11], 0
                                        ; implicit-def: $sgpr34_sgpr35
                                        ; implicit-def: $vgpr22
	s_mov_b64 s[36:37], s[20:21]
	s_cbranch_execnz .LBB126_109
	s_branch .LBB126_121
.LBB126_107:                            ;   in Loop: Header=BB126_18 Depth=1
	s_or_b64 exec, exec, s[10:11]
	v_lshrrev_b16_e32 v22, 8, v7
	s_and_b64 s[10:11], s[20:21], exec
.LBB126_108:                            ;   in Loop: Header=BB126_18 Depth=1
	s_or_b64 exec, exec, s[12:13]
	s_mov_b64 s[34:35], -1
	s_mov_b64 s[20:21], 0
	s_mov_b64 s[36:37], s[20:21]
	s_branch .LBB126_121
.LBB126_109:                            ;   in Loop: Header=BB126_18 Depth=1
	s_mov_b32 s74, s95
	s_cmp_lg_u64 s[74:75], 0
	s_cbranch_scc0 .LBB126_149
; %bb.110:                              ;   in Loop: Header=BB126_18 Depth=1
	v_cvt_f32_u32_e32 v2, s33
	s_sub_u32 s4, 0, s33
	s_subb_u32 s5, 0, 0
	v_mac_f32_e32 v2, 0, v30
	v_rcp_f32_e32 v2, v2
	v_mul_f32_e32 v2, 0x5f7ffffc, v2
	v_mul_f32_e32 v3, 0x2f800000, v2
	v_trunc_f32_e32 v3, v3
	v_mac_f32_e32 v2, 0xcf800000, v3
	v_cvt_u32_f32_e32 v3, v3
	v_cvt_u32_f32_e32 v2, v2
	v_readfirstlane_b32 s10, v3
	v_readfirstlane_b32 s11, v2
	s_mul_i32 s12, s4, s10
	s_mul_hi_u32 s20, s4, s11
	s_mul_i32 s13, s5, s11
	s_add_i32 s12, s20, s12
	s_mul_i32 s21, s4, s11
	s_add_i32 s12, s12, s13
	s_mul_hi_u32 s20, s11, s21
	s_mul_hi_u32 s13, s11, s12
	s_mul_i32 s11, s11, s12
	s_add_u32 s11, s20, s11
	s_addc_u32 s13, 0, s13
	s_mul_hi_u32 s26, s10, s21
	s_mul_i32 s21, s10, s21
	s_add_u32 s11, s11, s21
	s_mul_hi_u32 s20, s10, s12
	s_addc_u32 s11, s13, s26
	s_addc_u32 s13, s20, 0
	s_mul_i32 s12, s10, s12
	s_add_u32 s11, s11, s12
	s_addc_u32 s12, 0, s13
	v_add_co_u32_e32 v2, vcc, s11, v2
	s_cmp_lg_u64 vcc, 0
	s_addc_u32 s10, s10, s12
	v_readfirstlane_b32 s12, v2
	s_mul_i32 s11, s4, s10
	s_mul_hi_u32 s13, s4, s12
	s_add_i32 s11, s13, s11
	s_mul_i32 s5, s5, s12
	s_add_i32 s11, s11, s5
	s_mul_i32 s4, s4, s12
	s_mul_hi_u32 s13, s10, s4
	s_mul_i32 s20, s10, s4
	s_mul_i32 s26, s12, s11
	s_mul_hi_u32 s4, s12, s4
	s_mul_hi_u32 s21, s12, s11
	s_add_u32 s4, s4, s26
	s_addc_u32 s12, 0, s21
	s_add_u32 s4, s4, s20
	s_mul_hi_u32 s5, s10, s11
	s_addc_u32 s4, s12, s13
	s_addc_u32 s5, s5, 0
	s_mul_i32 s11, s10, s11
	s_add_u32 s4, s4, s11
	s_addc_u32 s5, 0, s5
	v_add_co_u32_e32 v2, vcc, s4, v2
	s_cmp_lg_u64 vcc, 0
	s_addc_u32 s4, s10, s5
	v_readlane_b32 s20, v43, 53
	v_readfirstlane_b32 s11, v2
	s_mul_i32 s10, s20, s4
	s_mul_hi_u32 s12, s20, s11
	s_mul_hi_u32 s5, s20, s4
	s_add_u32 s10, s12, s10
	s_addc_u32 s5, 0, s5
	s_mul_hi_u32 s13, s75, s11
	s_mul_i32 s11, s75, s11
	s_add_u32 s10, s10, s11
	s_mul_hi_u32 s12, s75, s4
	s_addc_u32 s5, s5, s13
	s_addc_u32 s10, s12, 0
	s_mul_i32 s4, s75, s4
	s_add_u32 s4, s5, s4
	s_addc_u32 s5, 0, s10
	s_mul_hi_u32 s10, s33, s4
	s_mul_i32 s4, s33, s4
	s_mul_i32 s5, s33, s5
	v_mov_b32_e32 v2, s4
	s_add_i32 s10, s10, s5
	v_sub_co_u32_e32 v2, vcc, s20, v2
	s_cmp_lg_u64 vcc, 0
	s_subb_u32 s4, s75, s10
	v_subrev_co_u32_e32 v3, vcc, s33, v2
	s_cmp_lg_u64 vcc, 0
	s_subb_u32 s5, s4, 0
	v_subrev_co_u32_e32 v4, vcc, s33, v3
	s_cmp_lg_u64 vcc, 0
	s_subb_u32 s10, s5, 0
	v_cmp_le_u32_e32 vcc, s33, v3
	s_cmp_eq_u32 s5, 0
	v_cndmask_b32_e64 v5, 0, -1, vcc
	s_cselect_b64 vcc, -1, 0
	v_cndmask_b32_e32 v5, -1, v5, vcc
	v_mov_b32_e32 v6, s5
	v_mov_b32_e32 v7, s10
	v_cmp_ne_u32_e32 vcc, 0, v5
	v_cndmask_b32_e32 v5, v6, v7, vcc
	v_cndmask_b32_e32 v4, v3, v4, vcc
	v_cmp_le_u32_e32 vcc, s33, v2
	s_cmp_eq_u32 s4, 0
	v_cndmask_b32_e64 v3, 0, -1, vcc
	s_cselect_b64 vcc, -1, 0
	v_cndmask_b32_e32 v3, -1, v3, vcc
	v_mov_b32_e32 v6, s4
	v_cmp_ne_u32_e32 vcc, 0, v3
	v_cndmask_b32_e32 v3, v6, v5, vcc
	v_cndmask_b32_e32 v2, v2, v4, vcc
	s_cbranch_execnz .LBB126_112
.LBB126_111:                            ;   in Loop: Header=BB126_18 Depth=1
	v_cvt_f32_u32_e32 v2, s33
	s_sub_i32 s4, 0, s33
	v_rcp_iflag_f32_e32 v2, v2
	v_mul_f32_e32 v2, 0x4f7ffffe, v2
	v_cvt_u32_f32_e32 v2, v2
	v_mul_lo_u32 v3, s4, v2
	v_mul_hi_u32 v3, v2, v3
	v_add_u32_e32 v2, v2, v3
	v_readlane_b32 s4, v43, 53
	v_mul_hi_u32 v2, s4, v2
	v_mul_lo_u32 v2, v2, s33
	v_sub_u32_e32 v2, s4, v2
	v_subrev_u32_e32 v3, s33, v2
	v_cmp_le_u32_e32 vcc, s33, v2
	v_cndmask_b32_e32 v2, v2, v3, vcc
	v_subrev_u32_e32 v3, s33, v2
	v_cmp_le_u32_e32 vcc, s33, v2
	v_cndmask_b32_e32 v14, v2, v3, vcc
	v_pk_mov_b32 v[2:3], v[14:15], v[14:15] op_sel:[0,1]
.LBB126_112:                            ;   in Loop: Header=BB126_18 Depth=1
	v_readlane_b32 s4, v43, 53
	v_mov_b32_e32 v4, s75
	v_sub_co_u32_e32 v2, vcc, s4, v2
	v_subb_co_u32_e32 v3, vcc, v4, v3, vcc
	v_cmp_gt_u64_e32 vcc, v[2:3], v[0:1]
	s_mov_b64 s[10:11], 0
                                        ; implicit-def: $vgpr22
	s_and_saveexec_b64 s[4:5], vcc
	s_cbranch_execz .LBB126_120
; %bb.113:                              ;   in Loop: Header=BB126_18 Depth=1
	v_pk_mov_b32 v[4:5], v[0:1], v[0:1] op_sel:[0,1]
                                        ; implicit-def: $sgpr12_sgpr13
	s_branch .LBB126_115
.LBB126_114:                            ;   in Loop: Header=BB126_115 Depth=2
	s_or_b64 exec, exec, s[20:21]
	s_waitcnt lgkmcnt(0)
	s_barrier
	ds_read_u16 v6, v15 offset:3072
	v_mov_b32_e32 v7, s92
	v_add_co_u32_e32 v4, vcc, s33, v4
	v_addc_co_u32_e32 v5, vcc, v5, v7, vcc
	s_waitcnt lgkmcnt(0)
	v_cmp_ne_u16_sdwa s[20:21], v6, v15 src0_sel:BYTE_0 src1_sel:DWORD
	v_cmp_ge_u64_e32 vcc, v[4:5], v[2:3]
	s_or_b64 s[26:27], vcc, s[20:21]
	s_and_b64 s[26:27], exec, s[26:27]
	s_or_b64 s[10:11], s[26:27], s[10:11]
	s_andn2_b64 s[12:13], s[12:13], exec
	s_and_b64 s[20:21], s[20:21], exec
	s_or_b64 s[12:13], s[12:13], s[20:21]
	s_barrier
	s_andn2_b64 exec, exec, s[10:11]
	s_cbranch_execz .LBB126_119
.LBB126_115:                            ;   Parent Loop BB126_18 Depth=1
                                        ; =>  This Inner Loop Header: Depth=2
	v_cmp_gt_u64_e32 vcc, s[60:61], v[4:5]
	v_mov_b32_e32 v6, 0
	s_and_saveexec_b64 s[20:21], vcc
	s_cbranch_execz .LBB126_117
; %bb.116:                              ;   in Loop: Header=BB126_115 Depth=2
	v_pk_mov_b32 v[6:7], s[56:57], s[56:57] op_sel:[0,1]
	v_mad_u64_u32 v[6:7], s[26:27], v4, s58, v[6:7]
	v_mul_lo_u32 v14, v4, s59
	v_mul_lo_u32 v22, v5, s58
	v_add3_u32 v7, v22, v7, v14
	global_load_ubyte v6, v[6:7], off
.LBB126_117:                            ;   in Loop: Header=BB126_115 Depth=2
	s_or_b64 exec, exec, s[20:21]
	s_waitcnt vmcnt(0)
	v_and_b32_e32 v7, v6, v9
	v_cmp_eq_u32_sdwa s[20:21], v7, v8 src0_sel:BYTE_0 src1_sel:DWORD
	s_and_b64 s[26:27], vcc, s[20:21]
	s_and_saveexec_b64 s[20:21], s[26:27]
	s_cbranch_execz .LBB126_114
; %bb.118:                              ;   in Loop: Header=BB126_115 Depth=2
	v_lshlrev_b16_e32 v6, 8, v6
	v_or_b32_e32 v6, 1, v6
	ds_write_b16 v15, v6 offset:3072
	s_branch .LBB126_114
.LBB126_119:                            ;   in Loop: Header=BB126_18 Depth=1
	s_or_b64 exec, exec, s[10:11]
	v_lshrrev_b16_e32 v22, 8, v6
	s_and_b64 s[10:11], s[12:13], exec
.LBB126_120:                            ;   in Loop: Header=BB126_18 Depth=1
	s_or_b64 exec, exec, s[4:5]
	s_mov_b64 s[36:37], -1
	s_mov_b64 s[20:21], 0
	s_mov_b64 s[34:35], 0
.LBB126_121:                            ;   in Loop: Header=BB126_18 Depth=1
	s_orn2_b64 s[4:5], s[10:11], exec
.LBB126_122:                            ;   in Loop: Header=BB126_18 Depth=1
	s_or_b64 exec, exec, s[8:9]
	s_mov_b64 s[38:39], 0
	s_mov_b64 s[28:29], 0
	;; [unrolled: 1-line block ×3, first 2 shown]
                                        ; implicit-def: $vgpr6
                                        ; implicit-def: $vgpr2_vgpr3
	s_and_saveexec_b64 s[40:41], s[4:5]
	s_cbranch_execz .LBB126_279
; %bb.123:                              ;   in Loop: Header=BB126_18 Depth=1
	v_mov_b32_e32 v2, 1
	s_xor_b64 s[8:9], s[6:7], -1
	s_mov_b64 s[6:7], 0
	v_mov_b32_e32 v3, 0
	v_mov_b32_e32 v6, 1
	s_and_saveexec_b64 s[4:5], s[8:9]
	s_cbranch_execz .LBB126_133
; %bb.124:                              ;   in Loop: Header=BB126_18 Depth=1
	v_cmp_ge_u64_e32 vcc, s[16:17], v[20:21]
                                        ; implicit-def: $sgpr10
                                        ; implicit-def: $sgpr6_sgpr7
	s_and_saveexec_b64 s[8:9], vcc
	s_xor_b64 s[8:9], exec, s[8:9]
	s_cbranch_execz .LBB126_130
; %bb.125:                              ;   in Loop: Header=BB126_18 Depth=1
	ds_read_b64 v[2:3], v15 offset:5120
	s_waitcnt lgkmcnt(0)
	v_cmp_ne_u64_e32 vcc, 0, v[2:3]
	s_cbranch_vccnz .LBB126_129
; %bb.126:                              ;   in Loop: Header=BB126_18 Depth=1
	s_mov_b64 s[6:7], exec
	v_readlane_b32 s10, v43, 32
	v_readlane_b32 s11, v43, 33
	s_and_b64 s[10:11], s[6:7], s[10:11]
	s_mov_b64 exec, s[10:11]
	s_cbranch_execz .LBB126_128
; %bb.127:                              ;   in Loop: Header=BB126_18 Depth=1
	v_pk_mov_b32 v[2:3], s[16:17], s[16:17] op_sel:[0,1]
	ds_write_b64 v15, v[2:3] offset:5128
.LBB126_128:                            ;   in Loop: Header=BB126_18 Depth=1
	s_or_b64 exec, exec, s[6:7]
	s_waitcnt lgkmcnt(0)
	s_barrier
.LBB126_129:                            ;   in Loop: Header=BB126_18 Depth=1
	v_and_b32_e32 v8, s46, v8
	v_or_b32_e32 v9, s94, v9
	s_mov_b64 s[6:7], 0
	s_mov_b32 s10, 8
.LBB126_130:                            ;   in Loop: Header=BB126_18 Depth=1
	s_or_saveexec_b64 s[8:9], s[8:9]
	v_mov_b32_e32 v6, s10
	v_pk_mov_b32 v[2:3], v[20:21], v[20:21] op_sel:[0,1]
	s_xor_b64 exec, exec, s[8:9]
; %bb.131:                              ;   in Loop: Header=BB126_18 Depth=1
	v_mov_b32_e32 v3, s17
	v_subrev_co_u32_e32 v2, vcc, s16, v20
	v_subb_co_u32_e32 v3, vcc, v21, v3, vcc
	v_mov_b32_e32 v6, 0
	s_or_b64 s[6:7], s[6:7], exec
; %bb.132:                              ;   in Loop: Header=BB126_18 Depth=1
	s_or_b64 exec, exec, s[8:9]
	s_and_b64 s[6:7], s[6:7], exec
.LBB126_133:                            ;   in Loop: Header=BB126_18 Depth=1
	s_or_b64 exec, exec, s[4:5]
	s_mov_b64 s[26:27], -1
                                        ; implicit-def: $sgpr4_sgpr5
                                        ; implicit-def: $sgpr8_sgpr9
                                        ; implicit-def: $sgpr10_sgpr11
	s_and_saveexec_b64 s[12:13], s[6:7]
	s_xor_b64 s[6:7], exec, s[12:13]
	s_cbranch_execz .LBB126_276
; %bb.134:                              ;   in Loop: Header=BB126_18 Depth=1
	s_cmp_eq_u64 s[18:19], 1
	s_cselect_b64 s[4:5], -1, 0
	v_cmp_eq_u64_e32 vcc, 1, v[2:3]
	s_and_b64 s[8:9], s[4:5], vcc
	s_mov_b64 s[4:5], -1
                                        ; implicit-def: $sgpr26_sgpr27
                                        ; implicit-def: $sgpr42_sgpr43
                                        ; implicit-def: $sgpr28_sgpr29
	s_and_saveexec_b64 s[44:45], s[8:9]
	s_cbranch_execz .LBB126_166
; %bb.135:                              ;   in Loop: Header=BB126_18 Depth=1
	ds_read_b64 v[4:5], v15 offset:5120
	s_waitcnt lgkmcnt(0)
	s_barrier
	v_readfirstlane_b32 s4, v4
	v_readfirstlane_b32 s5, v5
	s_mov_b64 s[10:11], exec
	v_readlane_b32 s12, v43, 48
	v_readlane_b32 s13, v43, 49
	s_and_b64 s[12:13], s[10:11], s[12:13]
	s_mov_b64 exec, s[12:13]
	s_cbranch_execz .LBB126_137
; %bb.136:                              ;   in Loop: Header=BB126_18 Depth=1
	ds_write_b8 v0, v15 offset:3072
.LBB126_137:                            ;   in Loop: Header=BB126_18 Depth=1
	s_or_b64 exec, exec, s[10:11]
	v_and_b32_e32 v4, s46, v8
	v_lshl_or_b32 v8, 1, s47, v4
	v_or_b32_e32 v9, s94, v9
	s_cmp_eq_u64 s[4:5], 0
	s_waitcnt lgkmcnt(0)
	s_barrier
	s_cbranch_scc1 .LBB126_150
; %bb.138:                              ;   in Loop: Header=BB126_18 Depth=1
	v_readlane_b32 s10, v43, 52
	s_add_u32 s26, s10, s4
	v_readlane_b32 s10, v43, 54
	s_addc_u32 s11, s10, s5
	s_mov_b32 s10, s95
	s_cmp_lg_u64 s[10:11], 0
	s_cbranch_scc0 .LBB126_192
; %bb.139:                              ;   in Loop: Header=BB126_18 Depth=1
	v_cvt_f32_u32_e32 v4, s33
	s_sub_u32 s10, 0, s33
	s_subb_u32 s12, 0, 0
	v_mac_f32_e32 v4, 0, v30
	v_rcp_f32_e32 v4, v4
	v_mul_f32_e32 v4, 0x5f7ffffc, v4
	v_mul_f32_e32 v5, 0x2f800000, v4
	v_trunc_f32_e32 v5, v5
	v_mac_f32_e32 v4, 0xcf800000, v5
	v_cvt_u32_f32_e32 v5, v5
	v_cvt_u32_f32_e32 v4, v4
	v_readfirstlane_b32 s13, v5
	v_readfirstlane_b32 s27, v4
	s_mul_i32 s28, s10, s13
	s_mul_hi_u32 s42, s10, s27
	s_mul_i32 s29, s12, s27
	s_add_i32 s28, s42, s28
	s_mul_i32 s43, s10, s27
	s_add_i32 s28, s28, s29
	s_mul_hi_u32 s42, s27, s43
	s_mul_hi_u32 s29, s27, s28
	s_mul_i32 s27, s27, s28
	s_add_u32 s27, s42, s27
	s_addc_u32 s29, 0, s29
	s_mul_hi_u32 s48, s13, s43
	s_mul_i32 s43, s13, s43
	s_add_u32 s27, s27, s43
	s_mul_hi_u32 s42, s13, s28
	s_addc_u32 s27, s29, s48
	s_addc_u32 s29, s42, 0
	s_mul_i32 s28, s13, s28
	s_add_u32 s27, s27, s28
	s_addc_u32 s28, 0, s29
	v_add_co_u32_e32 v4, vcc, s27, v4
	s_cmp_lg_u64 vcc, 0
	s_addc_u32 s13, s13, s28
	v_readfirstlane_b32 s28, v4
	s_mul_i32 s27, s10, s13
	s_mul_hi_u32 s29, s10, s28
	s_add_i32 s27, s29, s27
	s_mul_i32 s12, s12, s28
	s_add_i32 s27, s27, s12
	s_mul_i32 s10, s10, s28
	s_mul_hi_u32 s29, s13, s10
	s_mul_i32 s42, s13, s10
	s_mul_i32 s48, s28, s27
	s_mul_hi_u32 s10, s28, s10
	s_mul_hi_u32 s43, s28, s27
	s_add_u32 s10, s10, s48
	s_addc_u32 s28, 0, s43
	s_add_u32 s10, s10, s42
	s_mul_hi_u32 s12, s13, s27
	s_addc_u32 s10, s28, s29
	s_addc_u32 s12, s12, 0
	s_mul_i32 s27, s13, s27
	s_add_u32 s10, s10, s27
	s_addc_u32 s12, 0, s12
	v_add_co_u32_e32 v4, vcc, s10, v4
	s_cmp_lg_u64 vcc, 0
	s_addc_u32 s10, s13, s12
	v_readfirstlane_b32 s27, v4
	s_mul_i32 s13, s26, s10
	s_mul_hi_u32 s28, s26, s27
	s_mul_hi_u32 s12, s26, s10
	s_add_u32 s13, s28, s13
	s_addc_u32 s12, 0, s12
	s_mul_hi_u32 s29, s11, s27
	s_mul_i32 s27, s11, s27
	s_add_u32 s13, s13, s27
	s_mul_hi_u32 s28, s11, s10
	s_addc_u32 s12, s12, s29
	s_addc_u32 s13, s28, 0
	s_mul_i32 s10, s11, s10
	s_add_u32 s10, s12, s10
	s_addc_u32 s12, 0, s13
	s_mul_hi_u32 s13, s33, s10
	s_mul_i32 s10, s33, s10
	s_mul_i32 s12, s33, s12
	v_mov_b32_e32 v4, s10
	s_add_i32 s13, s13, s12
	v_sub_co_u32_e32 v4, vcc, s26, v4
	s_cmp_lg_u64 vcc, 0
	s_subb_u32 s10, s11, s13
	v_subrev_co_u32_e32 v5, vcc, s33, v4
	s_cmp_lg_u64 vcc, 0
	s_subb_u32 s12, s10, 0
	v_subrev_co_u32_e32 v6, vcc, s33, v5
	s_cmp_lg_u64 vcc, 0
	s_subb_u32 s13, s12, 0
	v_cmp_le_u32_e32 vcc, s33, v5
	s_cmp_eq_u32 s12, 0
	v_cndmask_b32_e64 v7, 0, -1, vcc
	s_cselect_b64 vcc, -1, 0
	v_cndmask_b32_e32 v7, -1, v7, vcc
	v_mov_b32_e32 v14, s12
	v_mov_b32_e32 v22, s13
	v_cmp_ne_u32_e32 vcc, 0, v7
	v_cndmask_b32_e32 v7, v14, v22, vcc
	v_cndmask_b32_e32 v6, v5, v6, vcc
	v_cmp_le_u32_e32 vcc, s33, v4
	s_cmp_eq_u32 s10, 0
	v_cndmask_b32_e64 v5, 0, -1, vcc
	s_cselect_b64 vcc, -1, 0
	v_cndmask_b32_e32 v5, -1, v5, vcc
	v_mov_b32_e32 v14, s10
	v_cmp_ne_u32_e32 vcc, 0, v5
	v_cndmask_b32_e32 v5, v14, v7, vcc
	v_cndmask_b32_e32 v4, v4, v6, vcc
	s_cbranch_execnz .LBB126_141
.LBB126_140:                            ;   in Loop: Header=BB126_18 Depth=1
	v_cvt_f32_u32_e32 v4, s33
	s_sub_i32 s10, 0, s33
	v_rcp_iflag_f32_e32 v4, v4
	v_mul_f32_e32 v4, 0x4f7ffffe, v4
	v_cvt_u32_f32_e32 v4, v4
	v_mul_lo_u32 v5, s10, v4
	v_mul_hi_u32 v5, v4, v5
	v_add_u32_e32 v4, v4, v5
	v_mul_hi_u32 v4, s26, v4
	v_mul_lo_u32 v4, v4, s33
	v_sub_u32_e32 v4, s26, v4
	v_subrev_u32_e32 v5, s33, v4
	v_cmp_le_u32_e32 vcc, s33, v4
	v_cndmask_b32_e32 v4, v4, v5, vcc
	v_subrev_u32_e32 v5, s33, v4
	v_cmp_le_u32_e32 vcc, s33, v4
	v_cndmask_b32_e32 v14, v4, v5, vcc
	v_pk_mov_b32 v[4:5], v[14:15], v[14:15] op_sel:[0,1]
.LBB126_141:                            ;   in Loop: Header=BB126_18 Depth=1
	v_mov_b32_e32 v6, s11
	v_sub_co_u32_e32 v4, vcc, s26, v4
	v_subb_co_u32_e32 v5, vcc, v6, v5, vcc
	v_cmp_gt_u64_e32 vcc, v[4:5], v[0:1]
	s_mov_b64 s[10:11], 0
                                        ; implicit-def: $vgpr22
	s_and_saveexec_b64 s[12:13], vcc
	s_cbranch_execz .LBB126_152
; %bb.142:                              ;   in Loop: Header=BB126_18 Depth=1
	v_mov_b32_e32 v14, v0
	v_pk_mov_b32 v[6:7], v[0:1], v[0:1] op_sel:[0,1]
                                        ; implicit-def: $sgpr26_sgpr27
	s_branch .LBB126_144
.LBB126_143:                            ;   in Loop: Header=BB126_144 Depth=2
	s_or_b64 exec, exec, s[28:29]
	s_waitcnt lgkmcnt(0)
	s_barrier
	ds_read_u16 v22, v15 offset:3072
	v_mov_b32_e32 v23, s92
	v_add_co_u32_e32 v6, vcc, s33, v6
	v_addc_co_u32_e32 v7, vcc, v7, v23, vcc
	s_waitcnt lgkmcnt(0)
	v_cmp_ne_u16_sdwa s[28:29], v22, v15 src0_sel:BYTE_0 src1_sel:DWORD
	v_cmp_ge_u64_e32 vcc, v[6:7], v[4:5]
	s_or_b64 s[42:43], vcc, s[28:29]
	s_and_b64 s[42:43], exec, s[42:43]
	s_or_b64 s[10:11], s[42:43], s[10:11]
	s_andn2_b64 s[26:27], s[26:27], exec
	s_and_b64 s[28:29], s[28:29], exec
	v_add_u32_e32 v14, s33, v14
	s_or_b64 s[26:27], s[26:27], s[28:29]
	s_barrier
	s_andn2_b64 exec, exec, s[10:11]
	s_cbranch_execz .LBB126_151
.LBB126_144:                            ;   Parent Loop BB126_18 Depth=1
                                        ; =>  This Inner Loop Header: Depth=2
	v_cmp_gt_u64_e32 vcc, s[4:5], v[6:7]
	v_mov_b32_e32 v22, 0
	s_and_saveexec_b64 s[28:29], vcc
	s_cbranch_execz .LBB126_146
; %bb.145:                              ;   in Loop: Header=BB126_144 Depth=2
	ds_read_u8 v22, v14
.LBB126_146:                            ;   in Loop: Header=BB126_144 Depth=2
	s_or_b64 exec, exec, s[28:29]
	s_waitcnt lgkmcnt(0)
	v_and_b32_e32 v23, v22, v9
	v_cmp_eq_u32_sdwa s[28:29], v23, v8 src0_sel:BYTE_0 src1_sel:DWORD
	s_and_b64 s[42:43], vcc, s[28:29]
	s_and_saveexec_b64 s[28:29], s[42:43]
	s_cbranch_execz .LBB126_143
; %bb.147:                              ;   in Loop: Header=BB126_144 Depth=2
	v_lshlrev_b16_e32 v22, 8, v22
	v_or_b32_e32 v22, 1, v22
	ds_write_b16 v15, v22 offset:3072
	s_branch .LBB126_143
.LBB126_148:                            ;   in Loop: Header=BB126_18 Depth=1
                                        ; implicit-def: $vgpr2_vgpr3
	s_branch .LBB126_93
.LBB126_149:                            ;   in Loop: Header=BB126_18 Depth=1
                                        ; implicit-def: $vgpr2_vgpr3
	s_branch .LBB126_111
.LBB126_150:                            ;   in Loop: Header=BB126_18 Depth=1
	s_mov_b64 s[26:27], -1
	s_mov_b64 s[10:11], 0
                                        ; implicit-def: $sgpr28_sgpr29
                                        ; implicit-def: $vgpr22
	s_mov_b64 s[42:43], s[26:27]
	s_cbranch_execnz .LBB126_153
	s_branch .LBB126_165
.LBB126_151:                            ;   in Loop: Header=BB126_18 Depth=1
	s_or_b64 exec, exec, s[10:11]
	v_lshrrev_b16_e32 v22, 8, v22
	s_and_b64 s[10:11], s[26:27], exec
.LBB126_152:                            ;   in Loop: Header=BB126_18 Depth=1
	s_or_b64 exec, exec, s[12:13]
	s_mov_b64 s[28:29], -1
	s_mov_b64 s[26:27], 0
	s_mov_b64 s[42:43], s[26:27]
	s_branch .LBB126_165
.LBB126_153:                            ;   in Loop: Header=BB126_18 Depth=1
	s_mov_b32 s74, s95
	s_cmp_lg_u64 s[74:75], 0
	s_cbranch_scc0 .LBB126_193
; %bb.154:                              ;   in Loop: Header=BB126_18 Depth=1
	v_cvt_f32_u32_e32 v4, s33
	s_sub_u32 s4, 0, s33
	s_subb_u32 s5, 0, 0
	v_mac_f32_e32 v4, 0, v30
	v_rcp_f32_e32 v4, v4
	v_mul_f32_e32 v4, 0x5f7ffffc, v4
	v_mul_f32_e32 v5, 0x2f800000, v4
	v_trunc_f32_e32 v5, v5
	v_mac_f32_e32 v4, 0xcf800000, v5
	v_cvt_u32_f32_e32 v5, v5
	v_cvt_u32_f32_e32 v4, v4
	v_readfirstlane_b32 s10, v5
	v_readfirstlane_b32 s11, v4
	s_mul_i32 s12, s4, s10
	s_mul_hi_u32 s26, s4, s11
	s_mul_i32 s13, s5, s11
	s_add_i32 s12, s26, s12
	s_mul_i32 s27, s4, s11
	s_add_i32 s12, s12, s13
	s_mul_hi_u32 s26, s11, s27
	s_mul_hi_u32 s13, s11, s12
	s_mul_i32 s11, s11, s12
	s_add_u32 s11, s26, s11
	s_addc_u32 s13, 0, s13
	s_mul_hi_u32 s28, s10, s27
	s_mul_i32 s27, s10, s27
	s_add_u32 s11, s11, s27
	s_mul_hi_u32 s26, s10, s12
	s_addc_u32 s11, s13, s28
	s_addc_u32 s13, s26, 0
	s_mul_i32 s12, s10, s12
	s_add_u32 s11, s11, s12
	s_addc_u32 s12, 0, s13
	v_add_co_u32_e32 v4, vcc, s11, v4
	s_cmp_lg_u64 vcc, 0
	s_addc_u32 s10, s10, s12
	v_readfirstlane_b32 s12, v4
	s_mul_i32 s11, s4, s10
	s_mul_hi_u32 s13, s4, s12
	s_add_i32 s11, s13, s11
	s_mul_i32 s5, s5, s12
	s_add_i32 s11, s11, s5
	s_mul_i32 s4, s4, s12
	s_mul_hi_u32 s13, s10, s4
	s_mul_i32 s26, s10, s4
	s_mul_i32 s28, s12, s11
	s_mul_hi_u32 s4, s12, s4
	s_mul_hi_u32 s27, s12, s11
	s_add_u32 s4, s4, s28
	s_addc_u32 s12, 0, s27
	s_add_u32 s4, s4, s26
	s_mul_hi_u32 s5, s10, s11
	s_addc_u32 s4, s12, s13
	s_addc_u32 s5, s5, 0
	s_mul_i32 s11, s10, s11
	s_add_u32 s4, s4, s11
	s_addc_u32 s5, 0, s5
	v_add_co_u32_e32 v4, vcc, s4, v4
	s_cmp_lg_u64 vcc, 0
	s_addc_u32 s4, s10, s5
	v_readlane_b32 s26, v43, 53
	v_readfirstlane_b32 s11, v4
	s_mul_i32 s10, s26, s4
	s_mul_hi_u32 s12, s26, s11
	s_mul_hi_u32 s5, s26, s4
	s_add_u32 s10, s12, s10
	s_addc_u32 s5, 0, s5
	s_mul_hi_u32 s13, s75, s11
	s_mul_i32 s11, s75, s11
	s_add_u32 s10, s10, s11
	s_mul_hi_u32 s12, s75, s4
	s_addc_u32 s5, s5, s13
	s_addc_u32 s10, s12, 0
	s_mul_i32 s4, s75, s4
	s_add_u32 s4, s5, s4
	s_addc_u32 s5, 0, s10
	s_mul_hi_u32 s10, s33, s4
	s_mul_i32 s4, s33, s4
	s_mul_i32 s5, s33, s5
	v_mov_b32_e32 v4, s4
	s_add_i32 s10, s10, s5
	v_sub_co_u32_e32 v4, vcc, s26, v4
	s_cmp_lg_u64 vcc, 0
	s_subb_u32 s4, s75, s10
	v_subrev_co_u32_e32 v5, vcc, s33, v4
	s_cmp_lg_u64 vcc, 0
	s_subb_u32 s5, s4, 0
	v_subrev_co_u32_e32 v6, vcc, s33, v5
	s_cmp_lg_u64 vcc, 0
	s_subb_u32 s10, s5, 0
	v_cmp_le_u32_e32 vcc, s33, v5
	s_cmp_eq_u32 s5, 0
	v_cndmask_b32_e64 v7, 0, -1, vcc
	s_cselect_b64 vcc, -1, 0
	v_cndmask_b32_e32 v7, -1, v7, vcc
	v_mov_b32_e32 v14, s5
	v_mov_b32_e32 v22, s10
	v_cmp_ne_u32_e32 vcc, 0, v7
	v_cndmask_b32_e32 v7, v14, v22, vcc
	v_cndmask_b32_e32 v6, v5, v6, vcc
	v_cmp_le_u32_e32 vcc, s33, v4
	s_cmp_eq_u32 s4, 0
	v_cndmask_b32_e64 v5, 0, -1, vcc
	s_cselect_b64 vcc, -1, 0
	v_cndmask_b32_e32 v5, -1, v5, vcc
	v_mov_b32_e32 v14, s4
	v_cmp_ne_u32_e32 vcc, 0, v5
	v_cndmask_b32_e32 v5, v14, v7, vcc
	v_cndmask_b32_e32 v4, v4, v6, vcc
	s_cbranch_execnz .LBB126_156
.LBB126_155:                            ;   in Loop: Header=BB126_18 Depth=1
	v_cvt_f32_u32_e32 v4, s33
	s_sub_i32 s4, 0, s33
	v_rcp_iflag_f32_e32 v4, v4
	v_mul_f32_e32 v4, 0x4f7ffffe, v4
	v_cvt_u32_f32_e32 v4, v4
	v_mul_lo_u32 v5, s4, v4
	v_mul_hi_u32 v5, v4, v5
	v_add_u32_e32 v4, v4, v5
	v_readlane_b32 s4, v43, 53
	v_mul_hi_u32 v4, s4, v4
	v_mul_lo_u32 v4, v4, s33
	v_sub_u32_e32 v4, s4, v4
	v_subrev_u32_e32 v5, s33, v4
	v_cmp_le_u32_e32 vcc, s33, v4
	v_cndmask_b32_e32 v4, v4, v5, vcc
	v_subrev_u32_e32 v5, s33, v4
	v_cmp_le_u32_e32 vcc, s33, v4
	v_cndmask_b32_e32 v14, v4, v5, vcc
	v_pk_mov_b32 v[4:5], v[14:15], v[14:15] op_sel:[0,1]
.LBB126_156:                            ;   in Loop: Header=BB126_18 Depth=1
	v_readlane_b32 s4, v43, 53
	v_mov_b32_e32 v6, s75
	v_sub_co_u32_e32 v4, vcc, s4, v4
	v_subb_co_u32_e32 v5, vcc, v6, v5, vcc
	v_cmp_gt_u64_e32 vcc, v[4:5], v[0:1]
	s_mov_b64 s[10:11], 0
                                        ; implicit-def: $vgpr22
	s_and_saveexec_b64 s[4:5], vcc
	s_cbranch_execz .LBB126_164
; %bb.157:                              ;   in Loop: Header=BB126_18 Depth=1
	v_pk_mov_b32 v[6:7], v[0:1], v[0:1] op_sel:[0,1]
                                        ; implicit-def: $sgpr12_sgpr13
	s_branch .LBB126_159
.LBB126_158:                            ;   in Loop: Header=BB126_159 Depth=2
	s_or_b64 exec, exec, s[26:27]
	s_waitcnt lgkmcnt(0)
	s_barrier
	ds_read_u16 v14, v15 offset:3072
	v_mov_b32_e32 v22, s92
	v_add_co_u32_e32 v6, vcc, s33, v6
	v_addc_co_u32_e32 v7, vcc, v7, v22, vcc
	s_waitcnt lgkmcnt(0)
	v_cmp_ne_u16_sdwa s[26:27], v14, v15 src0_sel:BYTE_0 src1_sel:DWORD
	v_cmp_ge_u64_e32 vcc, v[6:7], v[4:5]
	s_or_b64 s[28:29], vcc, s[26:27]
	s_and_b64 s[28:29], exec, s[28:29]
	s_or_b64 s[10:11], s[28:29], s[10:11]
	s_andn2_b64 s[12:13], s[12:13], exec
	s_and_b64 s[26:27], s[26:27], exec
	s_or_b64 s[12:13], s[12:13], s[26:27]
	s_barrier
	s_andn2_b64 exec, exec, s[10:11]
	s_cbranch_execz .LBB126_163
.LBB126_159:                            ;   Parent Loop BB126_18 Depth=1
                                        ; =>  This Inner Loop Header: Depth=2
	v_cmp_gt_u64_e32 vcc, s[60:61], v[6:7]
	v_mov_b32_e32 v14, 0
	s_and_saveexec_b64 s[26:27], vcc
	s_cbranch_execz .LBB126_161
; %bb.160:                              ;   in Loop: Header=BB126_159 Depth=2
	v_pk_mov_b32 v[22:23], s[56:57], s[56:57] op_sel:[0,1]
	v_mad_u64_u32 v[22:23], s[28:29], v6, s58, v[22:23]
	v_mul_lo_u32 v14, v6, s59
	v_mul_lo_u32 v24, v7, s58
	v_add3_u32 v23, v24, v23, v14
	global_load_ubyte v14, v[22:23], off
.LBB126_161:                            ;   in Loop: Header=BB126_159 Depth=2
	s_or_b64 exec, exec, s[26:27]
	s_waitcnt vmcnt(0)
	v_and_b32_e32 v22, v14, v9
	v_cmp_eq_u32_sdwa s[26:27], v22, v8 src0_sel:BYTE_0 src1_sel:DWORD
	s_and_b64 s[28:29], vcc, s[26:27]
	s_and_saveexec_b64 s[26:27], s[28:29]
	s_cbranch_execz .LBB126_158
; %bb.162:                              ;   in Loop: Header=BB126_159 Depth=2
	v_lshlrev_b16_e32 v14, 8, v14
	v_or_b32_e32 v14, 1, v14
	ds_write_b16 v15, v14 offset:3072
	s_branch .LBB126_158
.LBB126_163:                            ;   in Loop: Header=BB126_18 Depth=1
	s_or_b64 exec, exec, s[10:11]
	v_lshrrev_b16_e32 v22, 8, v14
	s_and_b64 s[10:11], s[12:13], exec
.LBB126_164:                            ;   in Loop: Header=BB126_18 Depth=1
	s_or_b64 exec, exec, s[4:5]
	s_mov_b64 s[42:43], -1
	s_mov_b64 s[26:27], 0
	s_mov_b64 s[28:29], 0
.LBB126_165:                            ;   in Loop: Header=BB126_18 Depth=1
	s_orn2_b64 s[4:5], s[10:11], exec
.LBB126_166:                            ;   in Loop: Header=BB126_18 Depth=1
	s_or_b64 exec, exec, s[44:45]
	s_mov_b64 s[12:13], 0
                                        ; implicit-def: $vgpr6
	s_and_saveexec_b64 s[44:45], s[4:5]
	s_cbranch_execz .LBB126_275
; %bb.167:                              ;   in Loop: Header=BB126_18 Depth=1
	v_mov_b32_e32 v4, 1
	s_xor_b64 s[8:9], s[8:9], -1
	s_mov_b64 s[48:49], 0
	v_mov_b32_e32 v5, 0
	v_mov_b32_e32 v6, 1
	s_and_saveexec_b64 s[4:5], s[8:9]
	s_cbranch_execz .LBB126_177
; %bb.168:                              ;   in Loop: Header=BB126_18 Depth=1
	v_cmp_ge_u64_e32 vcc, s[18:19], v[2:3]
                                        ; implicit-def: $sgpr12
                                        ; implicit-def: $sgpr8_sgpr9
	s_and_saveexec_b64 s[10:11], vcc
	s_xor_b64 s[10:11], exec, s[10:11]
	s_cbranch_execz .LBB126_174
; %bb.169:                              ;   in Loop: Header=BB126_18 Depth=1
	ds_read_b64 v[4:5], v15 offset:5120
	s_waitcnt lgkmcnt(0)
	v_cmp_ne_u64_e32 vcc, 0, v[4:5]
	s_cbranch_vccnz .LBB126_173
; %bb.170:                              ;   in Loop: Header=BB126_18 Depth=1
	s_mov_b64 s[8:9], exec
	v_readlane_b32 s12, v43, 32
	v_readlane_b32 s13, v43, 33
	s_and_b64 s[12:13], s[8:9], s[12:13]
	s_mov_b64 exec, s[12:13]
	s_cbranch_execz .LBB126_172
; %bb.171:                              ;   in Loop: Header=BB126_18 Depth=1
	v_pk_mov_b32 v[4:5], s[18:19], s[18:19] op_sel:[0,1]
	ds_write_b64 v15, v[4:5] offset:5128
.LBB126_172:                            ;   in Loop: Header=BB126_18 Depth=1
	s_or_b64 exec, exec, s[8:9]
	s_waitcnt lgkmcnt(0)
	s_barrier
.LBB126_173:                            ;   in Loop: Header=BB126_18 Depth=1
	v_and_b32_e32 v4, s46, v8
	v_lshl_or_b32 v8, 1, s47, v4
	v_or_b32_e32 v9, s94, v9
	s_mov_b64 s[8:9], 0
	s_mov_b32 s12, 8
.LBB126_174:                            ;   in Loop: Header=BB126_18 Depth=1
	s_or_saveexec_b64 s[10:11], s[10:11]
	v_mov_b32_e32 v6, s12
	s_xor_b64 exec, exec, s[10:11]
; %bb.175:                              ;   in Loop: Header=BB126_18 Depth=1
	v_mov_b32_e32 v4, s19
	v_subrev_co_u32_e32 v2, vcc, s18, v2
	v_subb_co_u32_e32 v3, vcc, v3, v4, vcc
	v_mov_b32_e32 v6, 0
	s_or_b64 s[8:9], s[8:9], exec
; %bb.176:                              ;   in Loop: Header=BB126_18 Depth=1
	s_or_b64 exec, exec, s[10:11]
	s_and_b64 s[48:49], s[8:9], exec
	v_pk_mov_b32 v[4:5], v[2:3], v[2:3] op_sel:[0,1]
.LBB126_177:                            ;   in Loop: Header=BB126_18 Depth=1
	s_or_b64 exec, exec, s[4:5]
	s_mov_b64 s[4:5], -1
                                        ; implicit-def: $sgpr8_sgpr9
                                        ; implicit-def: $sgpr10_sgpr11
                                        ; implicit-def: $sgpr12_sgpr13
	s_and_saveexec_b64 s[50:51], s[48:49]
	s_cbranch_execz .LBB126_274
; %bb.178:                              ;   in Loop: Header=BB126_18 Depth=1
	s_cmp_eq_u64 s[22:23], 1
	s_cselect_b64 s[4:5], -1, 0
	v_cmp_eq_u64_e32 vcc, 1, v[4:5]
	s_and_b64 s[54:55], s[4:5], vcc
	s_mov_b64 s[10:11], -1
                                        ; implicit-def: $sgpr8_sgpr9
                                        ; implicit-def: $sgpr48_sgpr49
                                        ; implicit-def: $vcc
	s_and_saveexec_b64 s[52:53], s[54:55]
	s_cbranch_execz .LBB126_210
; %bb.179:                              ;   in Loop: Header=BB126_18 Depth=1
	ds_read_b64 v[2:3], v15 offset:5120
	s_waitcnt lgkmcnt(0)
	s_barrier
	v_readfirstlane_b32 s4, v2
	v_readfirstlane_b32 s5, v3
	s_mov_b64 s[8:9], exec
	v_readlane_b32 s10, v43, 48
	v_readlane_b32 s11, v43, 49
	s_and_b64 s[10:11], s[8:9], s[10:11]
	s_mov_b64 exec, s[10:11]
	s_cbranch_execz .LBB126_181
; %bb.180:                              ;   in Loop: Header=BB126_18 Depth=1
	ds_write_b8 v0, v15 offset:3072
.LBB126_181:                            ;   in Loop: Header=BB126_18 Depth=1
	s_or_b64 exec, exec, s[8:9]
	v_and_b32_e32 v2, s46, v8
	v_lshl_or_b32 v8, 2, s47, v2
	v_or_b32_e32 v9, s94, v9
	s_cmp_eq_u64 s[4:5], 0
	s_waitcnt lgkmcnt(0)
	s_barrier
	s_cbranch_scc1 .LBB126_194
; %bb.182:                              ;   in Loop: Header=BB126_18 Depth=1
	v_readlane_b32 s8, v43, 52
	s_add_u32 s12, s8, s4
	v_readlane_b32 s8, v43, 54
	s_addc_u32 s9, s8, s5
	s_mov_b32 s8, s95
	s_cmp_lg_u64 s[8:9], 0
	s_cbranch_scc0 .LBB126_228
; %bb.183:                              ;   in Loop: Header=BB126_18 Depth=1
	v_cvt_f32_u32_e32 v2, s33
	s_sub_u32 s8, 0, s33
	s_subb_u32 s10, 0, 0
	v_mac_f32_e32 v2, 0, v30
	v_rcp_f32_e32 v2, v2
	v_mul_f32_e32 v2, 0x5f7ffffc, v2
	v_mul_f32_e32 v3, 0x2f800000, v2
	v_trunc_f32_e32 v3, v3
	v_mac_f32_e32 v2, 0xcf800000, v3
	v_cvt_u32_f32_e32 v3, v3
	v_cvt_u32_f32_e32 v2, v2
	v_readfirstlane_b32 s11, v3
	v_readfirstlane_b32 s13, v2
	s_mul_i32 s48, s8, s11
	s_mul_hi_u32 s72, s8, s13
	s_mul_i32 s49, s10, s13
	s_add_i32 s48, s72, s48
	s_mul_i32 s73, s8, s13
	s_add_i32 s48, s48, s49
	s_mul_hi_u32 s72, s13, s73
	s_mul_hi_u32 s49, s13, s48
	s_mul_i32 s13, s13, s48
	s_add_u32 s13, s72, s13
	s_addc_u32 s49, 0, s49
	s_mul_hi_u32 s74, s11, s73
	s_mul_i32 s73, s11, s73
	s_add_u32 s13, s13, s73
	s_mul_hi_u32 s72, s11, s48
	s_addc_u32 s13, s49, s74
	s_addc_u32 s49, s72, 0
	s_mul_i32 s48, s11, s48
	s_add_u32 s13, s13, s48
	s_addc_u32 s48, 0, s49
	v_add_co_u32_e32 v2, vcc, s13, v2
	s_cmp_lg_u64 vcc, 0
	s_addc_u32 s11, s11, s48
	v_readfirstlane_b32 s48, v2
	s_mul_i32 s13, s8, s11
	s_mul_hi_u32 s49, s8, s48
	s_add_i32 s13, s49, s13
	s_mul_i32 s10, s10, s48
	s_add_i32 s13, s13, s10
	s_mul_i32 s8, s8, s48
	s_mul_hi_u32 s49, s11, s8
	s_mul_i32 s72, s11, s8
	s_mul_i32 s74, s48, s13
	s_mul_hi_u32 s8, s48, s8
	s_mul_hi_u32 s73, s48, s13
	s_add_u32 s8, s8, s74
	s_addc_u32 s48, 0, s73
	s_add_u32 s8, s8, s72
	s_mul_hi_u32 s10, s11, s13
	s_addc_u32 s8, s48, s49
	s_addc_u32 s10, s10, 0
	s_mul_i32 s13, s11, s13
	s_add_u32 s8, s8, s13
	s_addc_u32 s10, 0, s10
	v_add_co_u32_e32 v2, vcc, s8, v2
	s_cmp_lg_u64 vcc, 0
	s_addc_u32 s8, s11, s10
	v_readfirstlane_b32 s13, v2
	s_mul_i32 s11, s12, s8
	s_mul_hi_u32 s48, s12, s13
	s_mul_hi_u32 s10, s12, s8
	s_add_u32 s11, s48, s11
	s_addc_u32 s10, 0, s10
	s_mul_hi_u32 s49, s9, s13
	s_mul_i32 s13, s9, s13
	s_add_u32 s11, s11, s13
	s_mul_hi_u32 s48, s9, s8
	s_addc_u32 s10, s10, s49
	s_addc_u32 s11, s48, 0
	s_mul_i32 s8, s9, s8
	s_add_u32 s8, s10, s8
	s_addc_u32 s10, 0, s11
	s_mul_hi_u32 s11, s33, s8
	s_mul_i32 s8, s33, s8
	s_mul_i32 s10, s33, s10
	v_mov_b32_e32 v2, s8
	s_add_i32 s11, s11, s10
	v_sub_co_u32_e32 v2, vcc, s12, v2
	s_cmp_lg_u64 vcc, 0
	s_subb_u32 s8, s9, s11
	v_subrev_co_u32_e32 v3, vcc, s33, v2
	s_cmp_lg_u64 vcc, 0
	s_subb_u32 s10, s8, 0
	v_subrev_co_u32_e32 v6, vcc, s33, v3
	s_cmp_lg_u64 vcc, 0
	s_subb_u32 s11, s10, 0
	v_cmp_le_u32_e32 vcc, s33, v3
	s_cmp_eq_u32 s10, 0
	v_cndmask_b32_e64 v7, 0, -1, vcc
	s_cselect_b64 vcc, -1, 0
	v_cndmask_b32_e32 v7, -1, v7, vcc
	v_mov_b32_e32 v14, s10
	v_mov_b32_e32 v22, s11
	v_cmp_ne_u32_e32 vcc, 0, v7
	v_cndmask_b32_e32 v7, v14, v22, vcc
	v_cndmask_b32_e32 v6, v3, v6, vcc
	v_cmp_le_u32_e32 vcc, s33, v2
	s_cmp_eq_u32 s8, 0
	v_cndmask_b32_e64 v3, 0, -1, vcc
	s_cselect_b64 vcc, -1, 0
	v_cndmask_b32_e32 v3, -1, v3, vcc
	v_mov_b32_e32 v14, s8
	v_cmp_ne_u32_e32 vcc, 0, v3
	v_cndmask_b32_e32 v3, v14, v7, vcc
	v_cndmask_b32_e32 v2, v2, v6, vcc
	s_cbranch_execnz .LBB126_185
.LBB126_184:                            ;   in Loop: Header=BB126_18 Depth=1
	v_cvt_f32_u32_e32 v2, s33
	s_sub_i32 s8, 0, s33
	v_rcp_iflag_f32_e32 v2, v2
	v_mul_f32_e32 v2, 0x4f7ffffe, v2
	v_cvt_u32_f32_e32 v2, v2
	v_mul_lo_u32 v3, s8, v2
	v_mul_hi_u32 v3, v2, v3
	v_add_u32_e32 v2, v2, v3
	v_mul_hi_u32 v2, s12, v2
	v_mul_lo_u32 v2, v2, s33
	v_sub_u32_e32 v2, s12, v2
	v_subrev_u32_e32 v3, s33, v2
	v_cmp_le_u32_e32 vcc, s33, v2
	v_cndmask_b32_e32 v2, v2, v3, vcc
	v_subrev_u32_e32 v3, s33, v2
	v_cmp_le_u32_e32 vcc, s33, v2
	v_cndmask_b32_e32 v14, v2, v3, vcc
	v_pk_mov_b32 v[2:3], v[14:15], v[14:15] op_sel:[0,1]
.LBB126_185:                            ;   in Loop: Header=BB126_18 Depth=1
	v_mov_b32_e32 v6, s9
	v_sub_co_u32_e32 v2, vcc, s12, v2
	v_subb_co_u32_e32 v3, vcc, v6, v3, vcc
	v_cmp_gt_u64_e32 vcc, v[2:3], v[0:1]
	s_mov_b64 s[10:11], 0
                                        ; implicit-def: $vgpr22
	s_and_saveexec_b64 s[8:9], vcc
	s_cbranch_execz .LBB126_196
; %bb.186:                              ;   in Loop: Header=BB126_18 Depth=1
	v_mov_b32_e32 v14, v0
	v_pk_mov_b32 v[6:7], v[0:1], v[0:1] op_sel:[0,1]
                                        ; implicit-def: $sgpr12_sgpr13
	s_branch .LBB126_188
.LBB126_187:                            ;   in Loop: Header=BB126_188 Depth=2
	s_or_b64 exec, exec, s[48:49]
	s_waitcnt lgkmcnt(0)
	s_barrier
	ds_read_u16 v22, v15 offset:3072
	v_mov_b32_e32 v23, s92
	v_add_co_u32_e32 v6, vcc, s33, v6
	v_addc_co_u32_e32 v7, vcc, v7, v23, vcc
	s_waitcnt lgkmcnt(0)
	v_cmp_ne_u16_sdwa s[48:49], v22, v15 src0_sel:BYTE_0 src1_sel:DWORD
	v_cmp_ge_u64_e32 vcc, v[6:7], v[2:3]
	s_or_b64 s[72:73], vcc, s[48:49]
	s_and_b64 s[72:73], exec, s[72:73]
	s_or_b64 s[10:11], s[72:73], s[10:11]
	s_andn2_b64 s[12:13], s[12:13], exec
	s_and_b64 s[48:49], s[48:49], exec
	v_add_u32_e32 v14, s33, v14
	s_or_b64 s[12:13], s[12:13], s[48:49]
	s_barrier
	s_andn2_b64 exec, exec, s[10:11]
	s_cbranch_execz .LBB126_195
.LBB126_188:                            ;   Parent Loop BB126_18 Depth=1
                                        ; =>  This Inner Loop Header: Depth=2
	v_cmp_gt_u64_e32 vcc, s[4:5], v[6:7]
	v_mov_b32_e32 v22, 0
	s_and_saveexec_b64 s[48:49], vcc
	s_cbranch_execz .LBB126_190
; %bb.189:                              ;   in Loop: Header=BB126_188 Depth=2
	ds_read_u8 v22, v14
.LBB126_190:                            ;   in Loop: Header=BB126_188 Depth=2
	s_or_b64 exec, exec, s[48:49]
	s_waitcnt lgkmcnt(0)
	v_and_b32_e32 v23, v22, v9
	v_cmp_eq_u32_sdwa s[48:49], v23, v8 src0_sel:BYTE_0 src1_sel:DWORD
	s_and_b64 s[72:73], vcc, s[48:49]
	s_and_saveexec_b64 s[48:49], s[72:73]
	s_cbranch_execz .LBB126_187
; %bb.191:                              ;   in Loop: Header=BB126_188 Depth=2
	v_lshlrev_b16_e32 v22, 8, v22
	v_or_b32_e32 v22, 1, v22
	ds_write_b16 v15, v22 offset:3072
	s_branch .LBB126_187
.LBB126_192:                            ;   in Loop: Header=BB126_18 Depth=1
                                        ; implicit-def: $vgpr4_vgpr5
	s_branch .LBB126_140
.LBB126_193:                            ;   in Loop: Header=BB126_18 Depth=1
                                        ; implicit-def: $vgpr4_vgpr5
	s_branch .LBB126_155
.LBB126_194:                            ;   in Loop: Header=BB126_18 Depth=1
	s_mov_b64 s[8:9], -1
	s_mov_b64 s[10:11], 0
                                        ; implicit-def: $sgpr4_sgpr5
                                        ; implicit-def: $vgpr22
	s_mov_b64 s[48:49], s[8:9]
	s_cbranch_execnz .LBB126_197
	s_branch .LBB126_209
.LBB126_195:                            ;   in Loop: Header=BB126_18 Depth=1
	s_or_b64 exec, exec, s[10:11]
	v_lshrrev_b16_e32 v22, 8, v22
	s_and_b64 s[10:11], s[12:13], exec
.LBB126_196:                            ;   in Loop: Header=BB126_18 Depth=1
	s_or_b64 exec, exec, s[8:9]
	s_mov_b64 s[4:5], -1
	s_mov_b64 s[8:9], 0
	s_mov_b64 s[48:49], s[8:9]
	s_branch .LBB126_209
.LBB126_197:                            ;   in Loop: Header=BB126_18 Depth=1
	s_mov_b32 s74, s95
	s_cmp_lg_u64 s[74:75], 0
	s_cbranch_scc0 .LBB126_229
; %bb.198:                              ;   in Loop: Header=BB126_18 Depth=1
	v_cvt_f32_u32_e32 v2, s33
	s_sub_u32 s4, 0, s33
	s_subb_u32 s5, 0, 0
	v_mac_f32_e32 v2, 0, v30
	v_rcp_f32_e32 v2, v2
	v_mul_f32_e32 v2, 0x5f7ffffc, v2
	v_mul_f32_e32 v3, 0x2f800000, v2
	v_trunc_f32_e32 v3, v3
	v_mac_f32_e32 v2, 0xcf800000, v3
	v_cvt_u32_f32_e32 v3, v3
	v_cvt_u32_f32_e32 v2, v2
	v_readfirstlane_b32 s8, v3
	v_readfirstlane_b32 s9, v2
	s_mul_i32 s10, s4, s8
	s_mul_hi_u32 s12, s4, s9
	s_mul_i32 s11, s5, s9
	s_add_i32 s10, s12, s10
	s_mul_i32 s13, s4, s9
	s_add_i32 s10, s10, s11
	s_mul_hi_u32 s12, s9, s13
	s_mul_hi_u32 s11, s9, s10
	s_mul_i32 s9, s9, s10
	s_add_u32 s9, s12, s9
	s_addc_u32 s11, 0, s11
	s_mul_hi_u32 s48, s8, s13
	s_mul_i32 s13, s8, s13
	s_add_u32 s9, s9, s13
	s_mul_hi_u32 s12, s8, s10
	s_addc_u32 s9, s11, s48
	s_addc_u32 s11, s12, 0
	s_mul_i32 s10, s8, s10
	s_add_u32 s9, s9, s10
	s_addc_u32 s10, 0, s11
	v_add_co_u32_e32 v2, vcc, s9, v2
	s_cmp_lg_u64 vcc, 0
	s_addc_u32 s8, s8, s10
	v_readfirstlane_b32 s10, v2
	s_mul_i32 s9, s4, s8
	s_mul_hi_u32 s11, s4, s10
	s_add_i32 s9, s11, s9
	s_mul_i32 s5, s5, s10
	s_add_i32 s9, s9, s5
	s_mul_i32 s4, s4, s10
	s_mul_hi_u32 s11, s8, s4
	s_mul_i32 s12, s8, s4
	s_mul_i32 s48, s10, s9
	s_mul_hi_u32 s4, s10, s4
	s_mul_hi_u32 s13, s10, s9
	s_add_u32 s4, s4, s48
	s_addc_u32 s10, 0, s13
	s_add_u32 s4, s4, s12
	s_mul_hi_u32 s5, s8, s9
	s_addc_u32 s4, s10, s11
	s_addc_u32 s5, s5, 0
	s_mul_i32 s9, s8, s9
	s_add_u32 s4, s4, s9
	s_addc_u32 s5, 0, s5
	v_add_co_u32_e32 v2, vcc, s4, v2
	s_cmp_lg_u64 vcc, 0
	s_addc_u32 s4, s8, s5
	v_readlane_b32 s12, v43, 53
	v_readfirstlane_b32 s9, v2
	s_mul_i32 s8, s12, s4
	s_mul_hi_u32 s10, s12, s9
	s_mul_hi_u32 s5, s12, s4
	s_add_u32 s8, s10, s8
	s_addc_u32 s5, 0, s5
	s_mul_hi_u32 s11, s75, s9
	s_mul_i32 s9, s75, s9
	s_add_u32 s8, s8, s9
	s_mul_hi_u32 s10, s75, s4
	s_addc_u32 s5, s5, s11
	s_addc_u32 s8, s10, 0
	s_mul_i32 s4, s75, s4
	s_add_u32 s4, s5, s4
	s_addc_u32 s5, 0, s8
	s_mul_hi_u32 s8, s33, s4
	s_mul_i32 s4, s33, s4
	s_mul_i32 s5, s33, s5
	v_mov_b32_e32 v2, s4
	s_add_i32 s8, s8, s5
	v_sub_co_u32_e32 v2, vcc, s12, v2
	s_cmp_lg_u64 vcc, 0
	s_subb_u32 s4, s75, s8
	v_subrev_co_u32_e32 v3, vcc, s33, v2
	s_cmp_lg_u64 vcc, 0
	s_subb_u32 s5, s4, 0
	v_subrev_co_u32_e32 v6, vcc, s33, v3
	s_cmp_lg_u64 vcc, 0
	s_subb_u32 s8, s5, 0
	v_cmp_le_u32_e32 vcc, s33, v3
	s_cmp_eq_u32 s5, 0
	v_cndmask_b32_e64 v7, 0, -1, vcc
	s_cselect_b64 vcc, -1, 0
	v_cndmask_b32_e32 v7, -1, v7, vcc
	v_mov_b32_e32 v14, s5
	v_mov_b32_e32 v22, s8
	v_cmp_ne_u32_e32 vcc, 0, v7
	v_cndmask_b32_e32 v7, v14, v22, vcc
	v_cndmask_b32_e32 v6, v3, v6, vcc
	v_cmp_le_u32_e32 vcc, s33, v2
	s_cmp_eq_u32 s4, 0
	v_cndmask_b32_e64 v3, 0, -1, vcc
	s_cselect_b64 vcc, -1, 0
	v_cndmask_b32_e32 v3, -1, v3, vcc
	v_mov_b32_e32 v14, s4
	v_cmp_ne_u32_e32 vcc, 0, v3
	v_cndmask_b32_e32 v3, v14, v7, vcc
	v_cndmask_b32_e32 v2, v2, v6, vcc
	s_cbranch_execnz .LBB126_200
.LBB126_199:                            ;   in Loop: Header=BB126_18 Depth=1
	v_cvt_f32_u32_e32 v2, s33
	s_sub_i32 s4, 0, s33
	v_rcp_iflag_f32_e32 v2, v2
	v_mul_f32_e32 v2, 0x4f7ffffe, v2
	v_cvt_u32_f32_e32 v2, v2
	v_mul_lo_u32 v3, s4, v2
	v_mul_hi_u32 v3, v2, v3
	v_add_u32_e32 v2, v2, v3
	v_readlane_b32 s4, v43, 53
	v_mul_hi_u32 v2, s4, v2
	v_mul_lo_u32 v2, v2, s33
	v_sub_u32_e32 v2, s4, v2
	v_subrev_u32_e32 v3, s33, v2
	v_cmp_le_u32_e32 vcc, s33, v2
	v_cndmask_b32_e32 v2, v2, v3, vcc
	v_subrev_u32_e32 v3, s33, v2
	v_cmp_le_u32_e32 vcc, s33, v2
	v_cndmask_b32_e32 v14, v2, v3, vcc
	v_pk_mov_b32 v[2:3], v[14:15], v[14:15] op_sel:[0,1]
.LBB126_200:                            ;   in Loop: Header=BB126_18 Depth=1
	v_readlane_b32 s4, v43, 53
	v_mov_b32_e32 v6, s75
	v_sub_co_u32_e32 v2, vcc, s4, v2
	v_subb_co_u32_e32 v3, vcc, v6, v3, vcc
	v_cmp_gt_u64_e32 vcc, v[2:3], v[0:1]
	s_mov_b64 s[10:11], 0
                                        ; implicit-def: $vgpr22
	s_and_saveexec_b64 s[4:5], vcc
	s_cbranch_execz .LBB126_208
; %bb.201:                              ;   in Loop: Header=BB126_18 Depth=1
	s_mov_b64 s[8:9], 0
	v_pk_mov_b32 v[6:7], v[0:1], v[0:1] op_sel:[0,1]
                                        ; implicit-def: $sgpr10_sgpr11
	s_branch .LBB126_203
.LBB126_202:                            ;   in Loop: Header=BB126_203 Depth=2
	s_or_b64 exec, exec, s[12:13]
	s_waitcnt lgkmcnt(0)
	s_barrier
	ds_read_u16 v14, v15 offset:3072
	v_mov_b32_e32 v22, s92
	v_add_co_u32_e32 v6, vcc, s33, v6
	v_addc_co_u32_e32 v7, vcc, v7, v22, vcc
	s_waitcnt lgkmcnt(0)
	v_cmp_ne_u16_sdwa s[12:13], v14, v15 src0_sel:BYTE_0 src1_sel:DWORD
	v_cmp_ge_u64_e32 vcc, v[6:7], v[2:3]
	s_or_b64 s[48:49], vcc, s[12:13]
	s_and_b64 s[48:49], exec, s[48:49]
	s_or_b64 s[8:9], s[48:49], s[8:9]
	s_andn2_b64 s[10:11], s[10:11], exec
	s_and_b64 s[12:13], s[12:13], exec
	s_or_b64 s[10:11], s[10:11], s[12:13]
	s_barrier
	s_andn2_b64 exec, exec, s[8:9]
	s_cbranch_execz .LBB126_207
.LBB126_203:                            ;   Parent Loop BB126_18 Depth=1
                                        ; =>  This Inner Loop Header: Depth=2
	v_cmp_gt_u64_e32 vcc, s[60:61], v[6:7]
	v_mov_b32_e32 v14, 0
	s_and_saveexec_b64 s[12:13], vcc
	s_cbranch_execz .LBB126_205
; %bb.204:                              ;   in Loop: Header=BB126_203 Depth=2
	v_pk_mov_b32 v[22:23], s[56:57], s[56:57] op_sel:[0,1]
	v_mad_u64_u32 v[22:23], s[48:49], v6, s58, v[22:23]
	v_mul_lo_u32 v14, v6, s59
	v_mul_lo_u32 v24, v7, s58
	v_add3_u32 v23, v24, v23, v14
	global_load_ubyte v14, v[22:23], off
.LBB126_205:                            ;   in Loop: Header=BB126_203 Depth=2
	s_or_b64 exec, exec, s[12:13]
	s_waitcnt vmcnt(0)
	v_and_b32_e32 v22, v14, v9
	v_cmp_eq_u32_sdwa s[12:13], v22, v8 src0_sel:BYTE_0 src1_sel:DWORD
	s_and_b64 s[48:49], vcc, s[12:13]
	s_and_saveexec_b64 s[12:13], s[48:49]
	s_cbranch_execz .LBB126_202
; %bb.206:                              ;   in Loop: Header=BB126_203 Depth=2
	v_lshlrev_b16_e32 v14, 8, v14
	v_or_b32_e32 v14, 1, v14
	ds_write_b16 v15, v14 offset:3072
	s_branch .LBB126_202
.LBB126_207:                            ;   in Loop: Header=BB126_18 Depth=1
	s_or_b64 exec, exec, s[8:9]
	v_lshrrev_b16_e32 v22, 8, v14
	s_and_b64 s[10:11], s[10:11], exec
.LBB126_208:                            ;   in Loop: Header=BB126_18 Depth=1
	s_or_b64 exec, exec, s[4:5]
	s_mov_b64 s[48:49], -1
	s_mov_b64 s[8:9], 0
	s_mov_b64 s[4:5], 0
.LBB126_209:                            ;   in Loop: Header=BB126_18 Depth=1
	s_orn2_b64 s[10:11], s[10:11], exec
	s_mov_b64 vcc, s[4:5]
.LBB126_210:                            ;   in Loop: Header=BB126_18 Depth=1
	s_or_b64 exec, exec, s[52:53]
	s_mov_b64 s[4:5], 0
                                        ; implicit-def: $vgpr6
	s_and_saveexec_b64 s[52:53], s[10:11]
	s_cbranch_execz .LBB126_273
; %bb.211:                              ;   in Loop: Header=BB126_18 Depth=1
	v_mov_b32_e32 v2, 1
	s_xor_b64 s[10:11], s[54:55], -1
	s_mov_b64 s[80:81], 0
	v_mov_b32_e32 v3, 0
	v_mov_b32_e32 v6, 1
	s_and_saveexec_b64 s[4:5], s[10:11]
	s_cbranch_execz .LBB126_221
; %bb.212:                              ;   in Loop: Header=BB126_18 Depth=1
	s_mov_b64 s[90:91], vcc
	v_cmp_ge_u64_e32 vcc, s[22:23], v[4:5]
                                        ; implicit-def: $sgpr54
                                        ; implicit-def: $sgpr10_sgpr11
	s_and_saveexec_b64 s[12:13], vcc
	s_xor_b64 s[12:13], exec, s[12:13]
	s_cbranch_execz .LBB126_218
; %bb.213:                              ;   in Loop: Header=BB126_18 Depth=1
	ds_read_b64 v[2:3], v15 offset:5120
	s_waitcnt lgkmcnt(0)
	v_cmp_ne_u64_e32 vcc, 0, v[2:3]
	s_cbranch_vccnz .LBB126_217
; %bb.214:                              ;   in Loop: Header=BB126_18 Depth=1
	s_mov_b64 s[10:11], exec
	v_readlane_b32 s54, v43, 32
	v_readlane_b32 s55, v43, 33
	s_and_b64 s[54:55], s[10:11], s[54:55]
	s_mov_b64 exec, s[54:55]
	s_cbranch_execz .LBB126_216
; %bb.215:                              ;   in Loop: Header=BB126_18 Depth=1
	v_pk_mov_b32 v[2:3], s[22:23], s[22:23] op_sel:[0,1]
	ds_write_b64 v15, v[2:3] offset:5128
.LBB126_216:                            ;   in Loop: Header=BB126_18 Depth=1
	s_or_b64 exec, exec, s[10:11]
	s_waitcnt lgkmcnt(0)
	s_barrier
.LBB126_217:                            ;   in Loop: Header=BB126_18 Depth=1
	v_and_b32_e32 v2, s46, v8
	v_lshl_or_b32 v8, 2, s47, v2
	v_or_b32_e32 v9, s94, v9
	s_mov_b64 s[10:11], 0
	s_mov_b32 s54, 8
.LBB126_218:                            ;   in Loop: Header=BB126_18 Depth=1
	s_or_saveexec_b64 s[12:13], s[12:13]
	v_mov_b32_e32 v6, s54
	s_xor_b64 exec, exec, s[12:13]
; %bb.219:                              ;   in Loop: Header=BB126_18 Depth=1
	v_mov_b32_e32 v2, s23
	v_subrev_co_u32_e32 v4, vcc, s22, v4
	v_subb_co_u32_e32 v5, vcc, v5, v2, vcc
	v_mov_b32_e32 v6, 0
	s_or_b64 s[10:11], s[10:11], exec
; %bb.220:                              ;   in Loop: Header=BB126_18 Depth=1
	s_or_b64 exec, exec, s[12:13]
	s_and_b64 s[80:81], s[10:11], exec
	v_pk_mov_b32 v[2:3], v[4:5], v[4:5] op_sel:[0,1]
	s_mov_b64 vcc, s[90:91]
.LBB126_221:                            ;   in Loop: Header=BB126_18 Depth=1
	s_or_b64 exec, exec, s[4:5]
	s_mov_b64 s[72:73], -1
                                        ; implicit-def: $sgpr4_sgpr5
                                        ; implicit-def: $sgpr12_sgpr13
                                        ; implicit-def: $sgpr10_sgpr11
	s_and_saveexec_b64 s[54:55], s[80:81]
	s_cbranch_execz .LBB126_272
; %bb.222:                              ;   in Loop: Header=BB126_18 Depth=1
	v_writelane_b32 v43, vcc_lo, 62
	s_cmp_eq_u64 s[24:25], 1
	v_writelane_b32 v43, vcc_hi, 63
	s_cselect_b64 s[4:5], -1, 0
	v_cmp_eq_u64_e32 vcc, 1, v[2:3]
	s_mov_b64 s[80:81], -1
	s_and_b64 s[72:73], s[4:5], vcc
                                        ; implicit-def: $sgpr4_sgpr5
                                        ; implicit-def: $sgpr12_sgpr13
                                        ; implicit-def: $sgpr10_sgpr11
	s_mov_b64 s[90:91], exec
                                        ; implicit-def: $vgpr42 : SGPR spill to VGPR lane
	v_writelane_b32 v42, s72, 0
	v_writelane_b32 v42, s73, 1
	s_and_b64 s[72:73], s[90:91], s[72:73]
	s_mov_b64 exec, s[72:73]
	s_cbranch_execz .LBB126_259
; %bb.223:                              ;   in Loop: Header=BB126_18 Depth=1
	ds_read_b64 v[4:5], v15 offset:5120
	s_waitcnt lgkmcnt(0)
	s_barrier
	v_readfirstlane_b32 s4, v4
	v_readfirstlane_b32 s5, v5
	s_mov_b64 s[10:11], exec
	v_readlane_b32 s12, v43, 48
	v_readlane_b32 s13, v43, 49
	s_and_b64 s[12:13], s[10:11], s[12:13]
	s_mov_b64 exec, s[12:13]
	s_cbranch_execz .LBB126_225
; %bb.224:                              ;   in Loop: Header=BB126_18 Depth=1
	ds_write_b8 v0, v15 offset:3072
.LBB126_225:                            ;   in Loop: Header=BB126_18 Depth=1
	s_or_b64 exec, exec, s[10:11]
	v_or_b32_e32 v8, s94, v8
	v_or_b32_e32 v9, s94, v9
	s_cmp_eq_u64 s[4:5], 0
	v_writelane_b32 v42, s90, 2
	s_waitcnt lgkmcnt(0)
	s_barrier
	v_writelane_b32 v42, s91, 3
	s_cbranch_scc1 .LBB126_230
; %bb.226:                              ;   in Loop: Header=BB126_18 Depth=1
	v_readlane_b32 s10, v43, 52
	s_add_u32 s72, s10, s4
	v_readlane_b32 s10, v43, 54
	s_addc_u32 s11, s10, s5
	s_mov_b32 s10, s95
	s_cmp_lg_u64 s[10:11], 0
	s_cbranch_scc0 .LBB126_231
; %bb.227:                              ;   in Loop: Header=BB126_18 Depth=1
	v_cvt_f32_u32_e32 v4, s33
	s_sub_u32 s10, 0, s33
	s_subb_u32 s12, 0, 0
	v_mac_f32_e32 v4, 0, v30
	v_rcp_f32_e32 v4, v4
	v_mul_f32_e32 v4, 0x5f7ffffc, v4
	v_mul_f32_e32 v5, 0x2f800000, v4
	v_trunc_f32_e32 v5, v5
	v_mac_f32_e32 v4, 0xcf800000, v5
	v_cvt_u32_f32_e32 v5, v5
	v_cvt_u32_f32_e32 v4, v4
	v_readfirstlane_b32 s13, v5
	v_readfirstlane_b32 s73, v4
	s_mul_i32 s74, s10, s13
	s_mul_hi_u32 s81, s10, s73
	s_mul_i32 s80, s12, s73
	s_add_i32 s74, s81, s74
	s_mul_i32 s90, s10, s73
	s_add_i32 s74, s74, s80
	s_mul_hi_u32 s81, s73, s90
	s_mul_hi_u32 s80, s73, s74
	s_mul_i32 s73, s73, s74
	s_add_u32 s73, s81, s73
	s_addc_u32 s80, 0, s80
	s_mul_hi_u32 s91, s13, s90
	s_mul_i32 s90, s13, s90
	s_add_u32 s73, s73, s90
	s_mul_hi_u32 s81, s13, s74
	s_addc_u32 s73, s80, s91
	s_addc_u32 s80, s81, 0
	s_mul_i32 s74, s13, s74
	s_add_u32 s73, s73, s74
	s_addc_u32 s74, 0, s80
	v_add_co_u32_e32 v4, vcc, s73, v4
	s_cmp_lg_u64 vcc, 0
	s_addc_u32 s13, s13, s74
	v_readfirstlane_b32 s74, v4
	s_mul_i32 s73, s10, s13
	s_mul_hi_u32 s80, s10, s74
	s_add_i32 s73, s80, s73
	s_mul_i32 s12, s12, s74
	s_add_i32 s73, s73, s12
	s_mul_i32 s10, s10, s74
	s_mul_hi_u32 s80, s13, s10
	s_mul_i32 s81, s13, s10
	s_mul_i32 s91, s74, s73
	s_mul_hi_u32 s10, s74, s10
	s_mul_hi_u32 s90, s74, s73
	s_add_u32 s10, s10, s91
	s_addc_u32 s74, 0, s90
	s_add_u32 s10, s10, s81
	s_mul_hi_u32 s12, s13, s73
	s_addc_u32 s10, s74, s80
	s_addc_u32 s12, s12, 0
	s_mul_i32 s73, s13, s73
	s_add_u32 s10, s10, s73
	s_addc_u32 s12, 0, s12
	v_add_co_u32_e32 v4, vcc, s10, v4
	s_cmp_lg_u64 vcc, 0
	s_addc_u32 s10, s13, s12
	v_readfirstlane_b32 s73, v4
	s_mul_i32 s13, s72, s10
	s_mul_hi_u32 s74, s72, s73
	s_mul_hi_u32 s12, s72, s10
	s_add_u32 s13, s74, s13
	s_addc_u32 s12, 0, s12
	s_mul_hi_u32 s80, s11, s73
	s_mul_i32 s73, s11, s73
	s_add_u32 s13, s13, s73
	s_mul_hi_u32 s74, s11, s10
	s_addc_u32 s12, s12, s80
	s_addc_u32 s13, s74, 0
	s_mul_i32 s10, s11, s10
	s_add_u32 s10, s12, s10
	s_addc_u32 s12, 0, s13
	s_mul_hi_u32 s13, s33, s10
	s_mul_i32 s10, s33, s10
	s_mul_i32 s12, s33, s12
	v_mov_b32_e32 v4, s10
	s_add_i32 s13, s13, s12
	v_sub_co_u32_e32 v4, vcc, s72, v4
	s_cmp_lg_u64 vcc, 0
	s_subb_u32 s10, s11, s13
	v_subrev_co_u32_e32 v5, vcc, s33, v4
	s_cmp_lg_u64 vcc, 0
	s_subb_u32 s12, s10, 0
	v_subrev_co_u32_e32 v6, vcc, s33, v5
	s_cmp_lg_u64 vcc, 0
	s_subb_u32 s13, s12, 0
	v_cmp_le_u32_e32 vcc, s33, v5
	s_cmp_eq_u32 s12, 0
	v_cndmask_b32_e64 v7, 0, -1, vcc
	s_cselect_b64 vcc, -1, 0
	v_cndmask_b32_e32 v7, -1, v7, vcc
	v_mov_b32_e32 v14, s12
	v_mov_b32_e32 v22, s13
	v_cmp_ne_u32_e32 vcc, 0, v7
	v_cndmask_b32_e32 v7, v14, v22, vcc
	v_cndmask_b32_e32 v6, v5, v6, vcc
	v_cmp_le_u32_e32 vcc, s33, v4
	s_cmp_eq_u32 s10, 0
	v_cndmask_b32_e64 v5, 0, -1, vcc
	s_cselect_b64 vcc, -1, 0
	v_cndmask_b32_e32 v5, -1, v5, vcc
	v_mov_b32_e32 v14, s10
	v_cmp_ne_u32_e32 vcc, 0, v5
	v_cndmask_b32_e32 v5, v14, v7, vcc
	v_cndmask_b32_e32 v4, v4, v6, vcc
	s_mov_b64 s[12:13], 0
	s_branch .LBB126_232
.LBB126_228:                            ;   in Loop: Header=BB126_18 Depth=1
                                        ; implicit-def: $vgpr2_vgpr3
	s_branch .LBB126_184
.LBB126_229:                            ;   in Loop: Header=BB126_18 Depth=1
                                        ; implicit-def: $vgpr2_vgpr3
	s_branch .LBB126_199
.LBB126_230:                            ;   in Loop: Header=BB126_18 Depth=1
	s_mov_b64 s[4:5], -1
	s_mov_b64 s[72:73], 0
                                        ; implicit-def: $sgpr10_sgpr11
                                        ; implicit-def: $vgpr22
	s_branch .LBB126_243
.LBB126_231:                            ;   in Loop: Header=BB126_18 Depth=1
	s_mov_b64 s[12:13], -1
                                        ; implicit-def: $vgpr4_vgpr5
.LBB126_232:                            ;   in Loop: Header=BB126_18 Depth=1
	s_andn2_b64 vcc, exec, s[12:13]
	s_cbranch_vccnz .LBB126_234
; %bb.233:                              ;   in Loop: Header=BB126_18 Depth=1
	v_cvt_f32_u32_e32 v4, s33
	s_sub_i32 s10, 0, s33
	v_rcp_iflag_f32_e32 v4, v4
	v_mul_f32_e32 v4, 0x4f7ffffe, v4
	v_cvt_u32_f32_e32 v4, v4
	v_mul_lo_u32 v5, s10, v4
	v_mul_hi_u32 v5, v4, v5
	v_add_u32_e32 v4, v4, v5
	v_mul_hi_u32 v4, s72, v4
	v_mul_lo_u32 v4, v4, s33
	v_sub_u32_e32 v4, s72, v4
	v_subrev_u32_e32 v5, s33, v4
	v_cmp_le_u32_e32 vcc, s33, v4
	v_cndmask_b32_e32 v4, v4, v5, vcc
	v_subrev_u32_e32 v5, s33, v4
	v_cmp_le_u32_e32 vcc, s33, v4
	v_cndmask_b32_e32 v14, v4, v5, vcc
	v_pk_mov_b32 v[4:5], v[14:15], v[14:15] op_sel:[0,1]
.LBB126_234:                            ;   in Loop: Header=BB126_18 Depth=1
	v_mov_b32_e32 v6, s11
	v_sub_co_u32_e32 v4, vcc, s72, v4
	v_subb_co_u32_e32 v5, vcc, v6, v5, vcc
	v_cmp_gt_u64_e32 vcc, v[4:5], v[0:1]
	s_mov_b64 s[72:73], 0
                                        ; implicit-def: $vgpr22
	s_and_saveexec_b64 s[10:11], vcc
	s_cbranch_execz .LBB126_242
; %bb.235:                              ;   in Loop: Header=BB126_18 Depth=1
	s_mov_b64 s[12:13], 0
	v_mov_b32_e32 v14, v0
	v_pk_mov_b32 v[6:7], v[0:1], v[0:1] op_sel:[0,1]
                                        ; implicit-def: $sgpr72_sgpr73
	s_branch .LBB126_237
.LBB126_236:                            ;   in Loop: Header=BB126_237 Depth=2
	s_or_b64 exec, exec, s[80:81]
	s_waitcnt lgkmcnt(0)
	s_barrier
	ds_read_u16 v22, v15 offset:3072
	v_mov_b32_e32 v23, s92
	v_add_co_u32_e32 v6, vcc, s33, v6
	v_addc_co_u32_e32 v7, vcc, v7, v23, vcc
	s_waitcnt lgkmcnt(0)
	v_cmp_ne_u16_sdwa s[80:81], v22, v15 src0_sel:BYTE_0 src1_sel:DWORD
	v_cmp_ge_u64_e32 vcc, v[6:7], v[4:5]
	s_or_b64 s[90:91], vcc, s[80:81]
	s_and_b64 s[90:91], exec, s[90:91]
	s_or_b64 s[12:13], s[90:91], s[12:13]
	s_andn2_b64 s[72:73], s[72:73], exec
	s_and_b64 s[80:81], s[80:81], exec
	v_add_u32_e32 v14, s33, v14
	s_or_b64 s[72:73], s[72:73], s[80:81]
	s_barrier
	s_andn2_b64 exec, exec, s[12:13]
	s_cbranch_execz .LBB126_241
.LBB126_237:                            ;   Parent Loop BB126_18 Depth=1
                                        ; =>  This Inner Loop Header: Depth=2
	v_cmp_gt_u64_e32 vcc, s[4:5], v[6:7]
	v_mov_b32_e32 v22, 0
	s_and_saveexec_b64 s[80:81], vcc
	s_cbranch_execz .LBB126_239
; %bb.238:                              ;   in Loop: Header=BB126_237 Depth=2
	ds_read_u8 v22, v14
.LBB126_239:                            ;   in Loop: Header=BB126_237 Depth=2
	s_or_b64 exec, exec, s[80:81]
	s_waitcnt lgkmcnt(0)
	v_and_b32_e32 v23, v22, v9
	v_cmp_eq_u32_sdwa s[80:81], v23, v8 src0_sel:BYTE_0 src1_sel:DWORD
	s_and_b64 s[90:91], vcc, s[80:81]
	s_and_saveexec_b64 s[80:81], s[90:91]
	s_cbranch_execz .LBB126_236
; %bb.240:                              ;   in Loop: Header=BB126_237 Depth=2
	v_lshlrev_b16_e32 v22, 8, v22
	v_or_b32_e32 v22, 1, v22
	ds_write_b16 v15, v22 offset:3072
	s_branch .LBB126_236
.LBB126_241:                            ;   in Loop: Header=BB126_18 Depth=1
	s_or_b64 exec, exec, s[12:13]
	v_lshrrev_b16_e32 v22, 8, v22
	s_and_b64 s[72:73], s[72:73], exec
.LBB126_242:                            ;   in Loop: Header=BB126_18 Depth=1
	s_or_b64 exec, exec, s[10:11]
	s_mov_b64 s[10:11], -1
	s_mov_b64 s[4:5], 0
.LBB126_243:                            ;   in Loop: Header=BB126_18 Depth=1
	s_and_b64 vcc, exec, s[4:5]
	s_mov_b64 s[12:13], s[4:5]
	s_cbranch_vccz .LBB126_258
; %bb.244:                              ;   in Loop: Header=BB126_18 Depth=1
	s_mov_b32 s74, s95
	s_cmp_lg_u64 s[74:75], 0
	s_cbranch_scc0 .LBB126_246
; %bb.245:                              ;   in Loop: Header=BB126_18 Depth=1
	v_cvt_f32_u32_e32 v4, s33
	s_sub_u32 s4, 0, s33
	s_subb_u32 s5, 0, 0
	v_mac_f32_e32 v4, 0, v30
	v_rcp_f32_e32 v4, v4
	v_mul_f32_e32 v4, 0x5f7ffffc, v4
	v_mul_f32_e32 v5, 0x2f800000, v4
	v_trunc_f32_e32 v5, v5
	v_mac_f32_e32 v4, 0xcf800000, v5
	v_cvt_u32_f32_e32 v5, v5
	v_cvt_u32_f32_e32 v4, v4
	v_readfirstlane_b32 s10, v5
	v_readfirstlane_b32 s11, v4
	s_mul_i32 s12, s4, s10
	s_mul_hi_u32 s72, s4, s11
	s_mul_i32 s13, s5, s11
	s_add_i32 s12, s72, s12
	s_mul_i32 s73, s4, s11
	s_add_i32 s12, s12, s13
	s_mul_hi_u32 s72, s11, s73
	s_mul_hi_u32 s13, s11, s12
	s_mul_i32 s11, s11, s12
	s_add_u32 s11, s72, s11
	s_addc_u32 s13, 0, s13
	s_mul_hi_u32 s74, s10, s73
	s_mul_i32 s73, s10, s73
	s_add_u32 s11, s11, s73
	s_mul_hi_u32 s72, s10, s12
	s_addc_u32 s11, s13, s74
	s_addc_u32 s13, s72, 0
	s_mul_i32 s12, s10, s12
	s_add_u32 s11, s11, s12
	s_addc_u32 s12, 0, s13
	v_add_co_u32_e32 v4, vcc, s11, v4
	s_cmp_lg_u64 vcc, 0
	s_addc_u32 s10, s10, s12
	v_readfirstlane_b32 s12, v4
	s_mul_i32 s11, s4, s10
	s_mul_hi_u32 s13, s4, s12
	s_add_i32 s11, s13, s11
	s_mul_i32 s5, s5, s12
	s_add_i32 s11, s11, s5
	s_mul_i32 s4, s4, s12
	s_mul_hi_u32 s13, s10, s4
	s_mul_i32 s72, s10, s4
	s_mul_i32 s74, s12, s11
	s_mul_hi_u32 s4, s12, s4
	s_mul_hi_u32 s73, s12, s11
	s_add_u32 s4, s4, s74
	s_addc_u32 s12, 0, s73
	s_add_u32 s4, s4, s72
	s_mul_hi_u32 s5, s10, s11
	s_addc_u32 s4, s12, s13
	s_addc_u32 s5, s5, 0
	s_mul_i32 s11, s10, s11
	s_add_u32 s4, s4, s11
	s_addc_u32 s5, 0, s5
	v_add_co_u32_e32 v4, vcc, s4, v4
	s_cmp_lg_u64 vcc, 0
	s_addc_u32 s4, s10, s5
	v_readlane_b32 s72, v43, 53
	v_readfirstlane_b32 s11, v4
	s_mul_i32 s10, s72, s4
	s_mul_hi_u32 s12, s72, s11
	s_mul_hi_u32 s5, s72, s4
	s_add_u32 s10, s12, s10
	s_addc_u32 s5, 0, s5
	s_mul_hi_u32 s13, s75, s11
	s_mul_i32 s11, s75, s11
	s_add_u32 s10, s10, s11
	s_mul_hi_u32 s12, s75, s4
	s_addc_u32 s5, s5, s13
	s_addc_u32 s10, s12, 0
	s_mul_i32 s4, s75, s4
	s_add_u32 s4, s5, s4
	s_addc_u32 s5, 0, s10
	s_mul_hi_u32 s10, s33, s4
	s_mul_i32 s4, s33, s4
	s_mul_i32 s5, s33, s5
	v_mov_b32_e32 v4, s4
	s_add_i32 s10, s10, s5
	v_sub_co_u32_e32 v4, vcc, s72, v4
	s_cmp_lg_u64 vcc, 0
	s_subb_u32 s4, s75, s10
	v_subrev_co_u32_e32 v5, vcc, s33, v4
	s_cmp_lg_u64 vcc, 0
	s_subb_u32 s5, s4, 0
	v_subrev_co_u32_e32 v6, vcc, s33, v5
	s_cmp_lg_u64 vcc, 0
	s_subb_u32 s10, s5, 0
	v_cmp_le_u32_e32 vcc, s33, v5
	s_cmp_eq_u32 s5, 0
	v_cndmask_b32_e64 v7, 0, -1, vcc
	s_cselect_b64 vcc, -1, 0
	v_cndmask_b32_e32 v7, -1, v7, vcc
	v_mov_b32_e32 v14, s5
	v_mov_b32_e32 v22, s10
	v_cmp_ne_u32_e32 vcc, 0, v7
	v_cndmask_b32_e32 v7, v14, v22, vcc
	v_cndmask_b32_e32 v6, v5, v6, vcc
	v_cmp_le_u32_e32 vcc, s33, v4
	s_cmp_eq_u32 s4, 0
	v_cndmask_b32_e64 v5, 0, -1, vcc
	s_cselect_b64 vcc, -1, 0
	v_cndmask_b32_e32 v5, -1, v5, vcc
	v_mov_b32_e32 v14, s4
	v_cmp_ne_u32_e32 vcc, 0, v5
	v_cndmask_b32_e32 v5, v14, v7, vcc
	v_cndmask_b32_e32 v4, v4, v6, vcc
	s_mov_b64 s[4:5], 0
	s_branch .LBB126_247
.LBB126_246:                            ;   in Loop: Header=BB126_18 Depth=1
	s_mov_b64 s[4:5], -1
                                        ; implicit-def: $vgpr4_vgpr5
.LBB126_247:                            ;   in Loop: Header=BB126_18 Depth=1
	s_andn2_b64 vcc, exec, s[4:5]
	s_cbranch_vccnz .LBB126_249
; %bb.248:                              ;   in Loop: Header=BB126_18 Depth=1
	v_cvt_f32_u32_e32 v4, s33
	s_sub_i32 s4, 0, s33
	v_rcp_iflag_f32_e32 v4, v4
	v_mul_f32_e32 v4, 0x4f7ffffe, v4
	v_cvt_u32_f32_e32 v4, v4
	v_mul_lo_u32 v5, s4, v4
	v_mul_hi_u32 v5, v4, v5
	v_add_u32_e32 v4, v4, v5
	v_readlane_b32 s4, v43, 53
	v_mul_hi_u32 v4, s4, v4
	v_mul_lo_u32 v4, v4, s33
	v_sub_u32_e32 v4, s4, v4
	v_subrev_u32_e32 v5, s33, v4
	v_cmp_le_u32_e32 vcc, s33, v4
	v_cndmask_b32_e32 v4, v4, v5, vcc
	v_subrev_u32_e32 v5, s33, v4
	v_cmp_le_u32_e32 vcc, s33, v4
	v_cndmask_b32_e32 v14, v4, v5, vcc
	v_pk_mov_b32 v[4:5], v[14:15], v[14:15] op_sel:[0,1]
.LBB126_249:                            ;   in Loop: Header=BB126_18 Depth=1
	v_readlane_b32 s4, v43, 53
	v_mov_b32_e32 v6, s75
	v_sub_co_u32_e32 v4, vcc, s4, v4
	v_subb_co_u32_e32 v5, vcc, v6, v5, vcc
	v_cmp_gt_u64_e32 vcc, v[4:5], v[0:1]
	s_mov_b64 s[72:73], 0
                                        ; implicit-def: $vgpr22
	s_and_saveexec_b64 s[4:5], vcc
	s_cbranch_execz .LBB126_257
; %bb.250:                              ;   in Loop: Header=BB126_18 Depth=1
	s_mov_b64 s[10:11], 0
	v_pk_mov_b32 v[6:7], v[0:1], v[0:1] op_sel:[0,1]
                                        ; implicit-def: $sgpr12_sgpr13
	s_branch .LBB126_252
.LBB126_251:                            ;   in Loop: Header=BB126_252 Depth=2
	s_or_b64 exec, exec, s[72:73]
	s_waitcnt lgkmcnt(0)
	s_barrier
	ds_read_u16 v14, v15 offset:3072
	v_mov_b32_e32 v22, s92
	v_add_co_u32_e32 v6, vcc, s33, v6
	v_addc_co_u32_e32 v7, vcc, v7, v22, vcc
	s_waitcnt lgkmcnt(0)
	v_cmp_ne_u16_sdwa s[72:73], v14, v15 src0_sel:BYTE_0 src1_sel:DWORD
	v_cmp_ge_u64_e32 vcc, v[6:7], v[4:5]
	s_or_b64 s[80:81], vcc, s[72:73]
	s_and_b64 s[80:81], exec, s[80:81]
	s_or_b64 s[10:11], s[80:81], s[10:11]
	s_andn2_b64 s[12:13], s[12:13], exec
	s_and_b64 s[72:73], s[72:73], exec
	s_or_b64 s[12:13], s[12:13], s[72:73]
	s_barrier
	s_andn2_b64 exec, exec, s[10:11]
	s_cbranch_execz .LBB126_256
.LBB126_252:                            ;   Parent Loop BB126_18 Depth=1
                                        ; =>  This Inner Loop Header: Depth=2
	v_cmp_gt_u64_e32 vcc, s[60:61], v[6:7]
	v_mov_b32_e32 v14, 0
	s_and_saveexec_b64 s[72:73], vcc
	s_cbranch_execz .LBB126_254
; %bb.253:                              ;   in Loop: Header=BB126_252 Depth=2
	v_pk_mov_b32 v[22:23], s[56:57], s[56:57] op_sel:[0,1]
	v_mad_u64_u32 v[22:23], s[80:81], v6, s58, v[22:23]
	v_mul_lo_u32 v14, v6, s59
	v_mul_lo_u32 v24, v7, s58
	v_add3_u32 v23, v24, v23, v14
	global_load_ubyte v14, v[22:23], off
.LBB126_254:                            ;   in Loop: Header=BB126_252 Depth=2
	s_or_b64 exec, exec, s[72:73]
	s_waitcnt vmcnt(0)
	v_and_b32_e32 v22, v14, v9
	v_cmp_eq_u32_sdwa s[72:73], v22, v8 src0_sel:BYTE_0 src1_sel:DWORD
	s_and_b64 s[80:81], vcc, s[72:73]
	s_and_saveexec_b64 s[72:73], s[80:81]
	s_cbranch_execz .LBB126_251
; %bb.255:                              ;   in Loop: Header=BB126_252 Depth=2
	v_lshlrev_b16_e32 v14, 8, v14
	v_or_b32_e32 v14, 1, v14
	ds_write_b16 v15, v14 offset:3072
	s_branch .LBB126_251
.LBB126_256:                            ;   in Loop: Header=BB126_18 Depth=1
	s_or_b64 exec, exec, s[10:11]
	v_lshrrev_b16_e32 v22, 8, v14
	s_and_b64 s[72:73], s[12:13], exec
.LBB126_257:                            ;   in Loop: Header=BB126_18 Depth=1
	s_or_b64 exec, exec, s[4:5]
	s_mov_b64 s[12:13], -1
	s_mov_b64 s[4:5], 0
	s_mov_b64 s[10:11], 0
.LBB126_258:                            ;   in Loop: Header=BB126_18 Depth=1
	v_readlane_b32 s90, v42, 2
	s_orn2_b64 s[80:81], s[72:73], exec
	v_readlane_b32 s91, v42, 3
.LBB126_259:                            ;   in Loop: Header=BB126_18 Depth=1
	s_or_b64 exec, exec, s[90:91]
	s_mov_b64 s[90:91], 0
                                        ; implicit-def: $vgpr6
                                        ; implicit-def: $vgpr4_vgpr5
	s_and_saveexec_b64 s[72:73], s[80:81]
	v_readlane_b32 vcc_lo, v43, 62
	v_readlane_b32 vcc_hi, v43, 63
	s_cbranch_execz .LBB126_271
; %bb.260:                              ;   in Loop: Header=BB126_18 Depth=1
	v_readlane_b32 s80, v42, 0
	v_readlane_b32 s81, v42, 1
	v_mov_b32_e32 v4, 1
	s_xor_b64 s[90:91], s[80:81], -1
	v_mov_b32_e32 v6, 1
	v_mov_b32_e32 v5, 0
	s_and_saveexec_b64 s[80:81], s[90:91]
	s_cbranch_execz .LBB126_270
; %bb.261:                              ;   in Loop: Header=BB126_18 Depth=1
	v_cmp_ge_u64_e32 vcc, s[24:25], v[2:3]
                                        ; implicit-def: $sgpr74
	s_and_saveexec_b64 s[90:91], vcc
	s_xor_b64 s[90:91], exec, s[90:91]
	s_cbranch_execz .LBB126_267
; %bb.262:                              ;   in Loop: Header=BB126_18 Depth=1
	ds_read_b64 v[4:5], v15 offset:5120
	s_waitcnt lgkmcnt(0)
	v_cmp_ne_u64_e32 vcc, 0, v[4:5]
	s_cbranch_vccnz .LBB126_266
; %bb.263:                              ;   in Loop: Header=BB126_18 Depth=1
	v_writelane_b32 v42, s54, 4
	v_writelane_b32 v42, s55, 5
	s_mov_b64 s[54:55], exec
	v_writelane_b32 v42, s54, 6
	v_writelane_b32 v42, s55, 7
	v_readlane_b32 vcc_lo, v43, 32
	v_readlane_b32 s54, v42, 6
	v_readlane_b32 vcc_hi, v43, 33
	v_readlane_b32 s55, v42, 7
	s_and_b64 vcc, s[54:55], vcc
	s_mov_b64 exec, vcc
	s_cbranch_execz .LBB126_265
; %bb.264:                              ;   in Loop: Header=BB126_18 Depth=1
	v_pk_mov_b32 v[4:5], s[24:25], s[24:25] op_sel:[0,1]
	ds_write_b64 v15, v[4:5] offset:5128
.LBB126_265:                            ;   in Loop: Header=BB126_18 Depth=1
	v_readlane_b32 vcc_lo, v42, 6
	v_readlane_b32 vcc_hi, v42, 7
	s_or_b64 exec, exec, vcc
	v_readlane_b32 s54, v42, 4
	v_readlane_b32 s55, v42, 5
	s_waitcnt lgkmcnt(0)
	s_barrier
.LBB126_266:                            ;   in Loop: Header=BB126_18 Depth=1
	v_or_b32_e32 v8, s94, v8
	v_or_b32_e32 v9, s94, v9
	s_mov_b32 s74, 8
.LBB126_267:                            ;   in Loop: Header=BB126_18 Depth=1
	s_or_saveexec_b64 s[90:91], s[90:91]
	v_mov_b32_e32 v6, s74
	s_xor_b64 exec, exec, s[90:91]
; %bb.268:                              ;   in Loop: Header=BB126_18 Depth=1
	v_mov_b32_e32 v4, s25
	v_subrev_co_u32_e32 v2, vcc, s24, v2
	v_subb_co_u32_e32 v3, vcc, v3, v4, vcc
	v_mov_b32_e32 v6, 8
; %bb.269:                              ;   in Loop: Header=BB126_18 Depth=1
	s_or_b64 exec, exec, s[90:91]
	v_readlane_b32 vcc_lo, v43, 62
	v_pk_mov_b32 v[4:5], v[2:3], v[2:3] op_sel:[0,1]
	v_readlane_b32 vcc_hi, v43, 63
.LBB126_270:                            ;   in Loop: Header=BB126_18 Depth=1
	s_or_b64 exec, exec, s[80:81]
	s_mov_b64 s[90:91], exec
.LBB126_271:                            ;   in Loop: Header=BB126_18 Depth=1
	s_or_b64 exec, exec, s[72:73]
	s_orn2_b64 s[72:73], s[90:91], exec
	v_pk_mov_b32 v[2:3], v[4:5], v[4:5] op_sel:[0,1]
.LBB126_272:                            ;   in Loop: Header=BB126_18 Depth=1
	s_or_b64 exec, exec, s[54:55]
	s_andn2_b64 s[8:9], s[8:9], exec
	s_and_b64 s[4:5], s[4:5], exec
	s_or_b64 s[8:9], s[8:9], s[4:5]
	s_andn2_b64 s[4:5], s[48:49], exec
	s_and_b64 s[12:13], s[12:13], exec
	s_or_b64 s[48:49], s[4:5], s[12:13]
	s_andn2_b64 s[4:5], vcc, exec
	s_and_b64 s[10:11], s[10:11], exec
	s_or_b64 vcc, s[4:5], s[10:11]
	s_and_b64 s[4:5], s[72:73], exec
	v_pk_mov_b32 v[4:5], v[2:3], v[2:3] op_sel:[0,1]
.LBB126_273:                            ;   in Loop: Header=BB126_18 Depth=1
	s_or_b64 exec, exec, s[52:53]
	s_and_b64 s[12:13], s[8:9], exec
	s_and_b64 s[10:11], s[48:49], exec
	s_and_b64 s[8:9], vcc, exec
	s_orn2_b64 s[4:5], s[4:5], exec
.LBB126_274:                            ;   in Loop: Header=BB126_18 Depth=1
	s_or_b64 exec, exec, s[50:51]
	s_andn2_b64 s[26:27], s[26:27], exec
	s_and_b64 s[12:13], s[12:13], exec
	s_or_b64 s[26:27], s[26:27], s[12:13]
	s_andn2_b64 s[12:13], s[42:43], exec
	s_and_b64 s[10:11], s[10:11], exec
	s_or_b64 s[42:43], s[12:13], s[10:11]
	;; [unrolled: 3-line block ×3, first 2 shown]
	s_and_b64 s[12:13], s[4:5], exec
	v_pk_mov_b32 v[2:3], v[4:5], v[4:5] op_sel:[0,1]
.LBB126_275:                            ;   in Loop: Header=BB126_18 Depth=1
	s_or_b64 exec, exec, s[44:45]
	s_and_b64 s[10:11], s[26:27], exec
	s_and_b64 s[8:9], s[42:43], exec
	;; [unrolled: 1-line block ×3, first 2 shown]
	s_orn2_b64 s[26:27], s[12:13], exec
.LBB126_276:                            ;   in Loop: Header=BB126_18 Depth=1
	s_or_b64 exec, exec, s[6:7]
	s_mov_b64 s[6:7], 0
	s_mov_b64 s[12:13], 0
	s_and_saveexec_b64 s[28:29], s[26:27]
	s_xor_b64 s[26:27], exec, s[28:29]
; %bb.277:                              ;   in Loop: Header=BB126_18 Depth=1
	v_cmp_eq_u32_e32 vcc, 8, v6
	v_cmp_ne_u32_e64 s[6:7], 8, v6
	s_andn2_b64 s[10:11], s[10:11], exec
	s_andn2_b64 s[8:9], s[8:9], exec
	;; [unrolled: 1-line block ×3, first 2 shown]
	s_and_b64 s[12:13], s[6:7], exec
	s_and_b64 s[6:7], vcc, exec
; %bb.278:                              ;   in Loop: Header=BB126_18 Depth=1
	s_or_b64 exec, exec, s[26:27]
	s_andn2_b64 s[20:21], s[20:21], exec
	s_and_b64 s[10:11], s[10:11], exec
	s_or_b64 s[20:21], s[20:21], s[10:11]
	s_andn2_b64 s[10:11], s[36:37], exec
	s_and_b64 s[8:9], s[8:9], exec
	s_or_b64 s[36:37], s[10:11], s[8:9]
	;; [unrolled: 3-line block ×3, first 2 shown]
	s_and_b64 s[26:27], s[12:13], exec
	s_and_b64 s[28:29], s[6:7], exec
.LBB126_279:                            ;   in Loop: Header=BB126_18 Depth=1
	s_or_b64 exec, exec, s[40:41]
	s_and_b64 vcc, exec, s[38:39]
	s_cbranch_vccz .LBB126_102
.LBB126_280:                            ;   in Loop: Header=BB126_18 Depth=1
	s_cmp_eq_u64 s[24:25], 1
	s_cselect_b64 s[4:5], -1, 0
	s_and_b64 s[6:7], s[4:5], s[14:15]
	s_mov_b64 s[4:5], -1
                                        ; implicit-def: $sgpr14_sgpr15
                                        ; implicit-def: $sgpr38_sgpr39
                                        ; implicit-def: $sgpr20_sgpr21
	s_and_saveexec_b64 s[8:9], s[6:7]
	s_cbranch_execz .LBB126_310
; %bb.281:                              ;   in Loop: Header=BB126_18 Depth=1
	ds_read_b64 v[2:3], v15 offset:5120
	s_waitcnt lgkmcnt(0)
	s_barrier
	v_readfirstlane_b32 s4, v2
	v_readfirstlane_b32 s5, v3
	s_mov_b64 s[10:11], exec
	v_readlane_b32 s12, v43, 48
	v_readlane_b32 s13, v43, 49
	s_and_b64 s[12:13], s[10:11], s[12:13]
	s_mov_b64 exec, s[12:13]
	s_cbranch_execz .LBB126_283
; %bb.282:                              ;   in Loop: Header=BB126_18 Depth=1
	ds_write_b8 v0, v15 offset:3072
.LBB126_283:                            ;   in Loop: Header=BB126_18 Depth=1
	s_or_b64 exec, exec, s[10:11]
	v_or_b32_e32 v32, s94, v32
	v_or_b32_e32 v31, s94, v31
	s_cmp_eq_u64 s[4:5], 0
	s_waitcnt lgkmcnt(0)
	s_barrier
	s_cbranch_scc1 .LBB126_294
; %bb.284:                              ;   in Loop: Header=BB126_18 Depth=1
	v_readlane_b32 s10, v43, 52
	s_add_u32 s14, s10, s4
	v_readlane_b32 s10, v43, 54
	s_addc_u32 s11, s10, s5
	s_mov_b32 s10, s95
	s_cmp_lg_u64 s[10:11], 0
	s_cbranch_scc0 .LBB126_336
; %bb.285:                              ;   in Loop: Header=BB126_18 Depth=1
	v_cvt_f32_u32_e32 v2, s33
	s_sub_u32 s10, 0, s33
	s_subb_u32 s12, 0, 0
	v_mac_f32_e32 v2, 0, v30
	v_rcp_f32_e32 v2, v2
	v_mul_f32_e32 v2, 0x5f7ffffc, v2
	v_mul_f32_e32 v3, 0x2f800000, v2
	v_trunc_f32_e32 v3, v3
	v_mac_f32_e32 v2, 0xcf800000, v3
	v_cvt_u32_f32_e32 v3, v3
	v_cvt_u32_f32_e32 v2, v2
	v_readfirstlane_b32 s13, v3
	v_readfirstlane_b32 s15, v2
	s_mul_i32 s20, s10, s13
	s_mul_hi_u32 s34, s10, s15
	s_mul_i32 s21, s12, s15
	s_add_i32 s20, s34, s20
	s_mul_i32 s35, s10, s15
	s_add_i32 s20, s20, s21
	s_mul_hi_u32 s34, s15, s35
	s_mul_hi_u32 s21, s15, s20
	s_mul_i32 s15, s15, s20
	s_add_u32 s15, s34, s15
	s_addc_u32 s21, 0, s21
	s_mul_hi_u32 s36, s13, s35
	s_mul_i32 s35, s13, s35
	s_add_u32 s15, s15, s35
	s_mul_hi_u32 s34, s13, s20
	s_addc_u32 s15, s21, s36
	s_addc_u32 s21, s34, 0
	s_mul_i32 s20, s13, s20
	s_add_u32 s15, s15, s20
	s_addc_u32 s20, 0, s21
	v_add_co_u32_e32 v2, vcc, s15, v2
	s_cmp_lg_u64 vcc, 0
	s_addc_u32 s13, s13, s20
	v_readfirstlane_b32 s20, v2
	s_mul_i32 s15, s10, s13
	s_mul_hi_u32 s21, s10, s20
	s_add_i32 s15, s21, s15
	s_mul_i32 s12, s12, s20
	s_add_i32 s15, s15, s12
	s_mul_i32 s10, s10, s20
	s_mul_hi_u32 s21, s13, s10
	s_mul_i32 s34, s13, s10
	s_mul_i32 s36, s20, s15
	s_mul_hi_u32 s10, s20, s10
	s_mul_hi_u32 s35, s20, s15
	s_add_u32 s10, s10, s36
	s_addc_u32 s20, 0, s35
	s_add_u32 s10, s10, s34
	s_mul_hi_u32 s12, s13, s15
	s_addc_u32 s10, s20, s21
	s_addc_u32 s12, s12, 0
	s_mul_i32 s15, s13, s15
	s_add_u32 s10, s10, s15
	s_addc_u32 s12, 0, s12
	v_add_co_u32_e32 v2, vcc, s10, v2
	s_cmp_lg_u64 vcc, 0
	s_addc_u32 s10, s13, s12
	v_readfirstlane_b32 s15, v2
	s_mul_i32 s13, s14, s10
	s_mul_hi_u32 s20, s14, s15
	s_mul_hi_u32 s12, s14, s10
	s_add_u32 s13, s20, s13
	s_addc_u32 s12, 0, s12
	s_mul_hi_u32 s21, s11, s15
	s_mul_i32 s15, s11, s15
	s_add_u32 s13, s13, s15
	s_mul_hi_u32 s20, s11, s10
	s_addc_u32 s12, s12, s21
	s_addc_u32 s13, s20, 0
	s_mul_i32 s10, s11, s10
	s_add_u32 s10, s12, s10
	s_addc_u32 s12, 0, s13
	s_mul_hi_u32 s13, s33, s10
	s_mul_i32 s10, s33, s10
	s_mul_i32 s12, s33, s12
	v_mov_b32_e32 v2, s10
	s_add_i32 s13, s13, s12
	v_sub_co_u32_e32 v2, vcc, s14, v2
	s_cmp_lg_u64 vcc, 0
	s_subb_u32 s10, s11, s13
	v_subrev_co_u32_e32 v3, vcc, s33, v2
	s_cmp_lg_u64 vcc, 0
	s_subb_u32 s12, s10, 0
	v_subrev_co_u32_e32 v4, vcc, s33, v3
	s_cmp_lg_u64 vcc, 0
	s_subb_u32 s13, s12, 0
	v_cmp_le_u32_e32 vcc, s33, v3
	s_cmp_eq_u32 s12, 0
	v_cndmask_b32_e64 v5, 0, -1, vcc
	s_cselect_b64 vcc, -1, 0
	v_cndmask_b32_e32 v5, -1, v5, vcc
	v_mov_b32_e32 v6, s12
	v_mov_b32_e32 v7, s13
	v_cmp_ne_u32_e32 vcc, 0, v5
	v_cndmask_b32_e32 v5, v6, v7, vcc
	v_cndmask_b32_e32 v4, v3, v4, vcc
	v_cmp_le_u32_e32 vcc, s33, v2
	s_cmp_eq_u32 s10, 0
	v_cndmask_b32_e64 v3, 0, -1, vcc
	s_cselect_b64 vcc, -1, 0
	v_cndmask_b32_e32 v3, -1, v3, vcc
	v_mov_b32_e32 v6, s10
	v_cmp_ne_u32_e32 vcc, 0, v3
	v_cndmask_b32_e32 v3, v6, v5, vcc
	v_cndmask_b32_e32 v2, v2, v4, vcc
	s_cbranch_execnz .LBB126_287
.LBB126_286:                            ;   in Loop: Header=BB126_18 Depth=1
	v_cvt_f32_u32_e32 v2, s33
	s_sub_i32 s10, 0, s33
	v_rcp_iflag_f32_e32 v2, v2
	v_mul_f32_e32 v2, 0x4f7ffffe, v2
	v_cvt_u32_f32_e32 v2, v2
	v_mul_lo_u32 v3, s10, v2
	v_mul_hi_u32 v3, v2, v3
	v_add_u32_e32 v2, v2, v3
	v_mul_hi_u32 v2, s14, v2
	v_mul_lo_u32 v2, v2, s33
	v_sub_u32_e32 v2, s14, v2
	v_subrev_u32_e32 v3, s33, v2
	v_cmp_le_u32_e32 vcc, s33, v2
	v_cndmask_b32_e32 v2, v2, v3, vcc
	v_subrev_u32_e32 v3, s33, v2
	v_cmp_le_u32_e32 vcc, s33, v2
	v_cndmask_b32_e32 v14, v2, v3, vcc
	v_pk_mov_b32 v[2:3], v[14:15], v[14:15] op_sel:[0,1]
.LBB126_287:                            ;   in Loop: Header=BB126_18 Depth=1
	v_mov_b32_e32 v4, s11
	v_sub_co_u32_e32 v2, vcc, s14, v2
	v_subb_co_u32_e32 v3, vcc, v4, v3, vcc
	v_cmp_gt_u64_e32 vcc, v[2:3], v[0:1]
	s_mov_b64 s[10:11], 0
                                        ; implicit-def: $vgpr33
	s_and_saveexec_b64 s[12:13], vcc
	s_cbranch_execz .LBB126_296
; %bb.288:                              ;   in Loop: Header=BB126_18 Depth=1
	v_mov_b32_e32 v6, v0
	v_pk_mov_b32 v[4:5], v[0:1], v[0:1] op_sel:[0,1]
                                        ; implicit-def: $sgpr14_sgpr15
	s_branch .LBB126_290
.LBB126_289:                            ;   in Loop: Header=BB126_290 Depth=2
	s_or_b64 exec, exec, s[20:21]
	s_waitcnt lgkmcnt(0)
	s_barrier
	ds_read_u16 v7, v15 offset:3072
	v_mov_b32_e32 v8, s92
	v_add_co_u32_e32 v4, vcc, s33, v4
	v_addc_co_u32_e32 v5, vcc, v5, v8, vcc
	s_waitcnt lgkmcnt(0)
	v_cmp_ne_u16_sdwa s[20:21], v7, v15 src0_sel:BYTE_0 src1_sel:DWORD
	v_cmp_ge_u64_e32 vcc, v[4:5], v[2:3]
	s_or_b64 s[34:35], vcc, s[20:21]
	s_and_b64 s[34:35], exec, s[34:35]
	s_or_b64 s[10:11], s[34:35], s[10:11]
	s_andn2_b64 s[14:15], s[14:15], exec
	s_and_b64 s[20:21], s[20:21], exec
	v_add_u32_e32 v6, s33, v6
	s_or_b64 s[14:15], s[14:15], s[20:21]
	s_barrier
	s_andn2_b64 exec, exec, s[10:11]
	s_cbranch_execz .LBB126_295
.LBB126_290:                            ;   Parent Loop BB126_18 Depth=1
                                        ; =>  This Inner Loop Header: Depth=2
	v_cmp_gt_u64_e32 vcc, s[4:5], v[4:5]
	v_mov_b32_e32 v7, 0
	s_and_saveexec_b64 s[20:21], vcc
	s_cbranch_execz .LBB126_292
; %bb.291:                              ;   in Loop: Header=BB126_290 Depth=2
	ds_read_u8 v7, v6
.LBB126_292:                            ;   in Loop: Header=BB126_290 Depth=2
	s_or_b64 exec, exec, s[20:21]
	s_waitcnt lgkmcnt(0)
	v_and_b32_e32 v8, v7, v31
	v_cmp_eq_u32_sdwa s[20:21], v8, v32 src0_sel:BYTE_0 src1_sel:DWORD
	s_and_b64 s[34:35], vcc, s[20:21]
	s_and_saveexec_b64 s[20:21], s[34:35]
	s_cbranch_execz .LBB126_289
; %bb.293:                              ;   in Loop: Header=BB126_290 Depth=2
	v_lshlrev_b16_e32 v7, 8, v7
	v_or_b32_e32 v7, 1, v7
	ds_write_b16 v15, v7 offset:3072
	s_branch .LBB126_289
.LBB126_294:                            ;   in Loop: Header=BB126_18 Depth=1
	s_mov_b64 s[14:15], -1
	s_mov_b64 s[10:11], 0
                                        ; implicit-def: $sgpr38_sgpr39
                                        ; implicit-def: $vgpr33
	s_mov_b64 s[20:21], s[14:15]
	s_cbranch_execnz .LBB126_297
	s_branch .LBB126_309
.LBB126_295:                            ;   in Loop: Header=BB126_18 Depth=1
	s_or_b64 exec, exec, s[10:11]
	v_lshrrev_b16_e32 v33, 8, v7
	s_and_b64 s[10:11], s[14:15], exec
.LBB126_296:                            ;   in Loop: Header=BB126_18 Depth=1
	s_or_b64 exec, exec, s[12:13]
	s_mov_b64 s[14:15], 0
	s_mov_b64 s[38:39], -1
	s_mov_b64 s[20:21], s[14:15]
	s_branch .LBB126_309
.LBB126_297:                            ;   in Loop: Header=BB126_18 Depth=1
	s_mov_b32 s74, s95
	s_cmp_lg_u64 s[74:75], 0
	s_cbranch_scc0 .LBB126_337
; %bb.298:                              ;   in Loop: Header=BB126_18 Depth=1
	v_cvt_f32_u32_e32 v2, s33
	s_sub_u32 s4, 0, s33
	s_subb_u32 s5, 0, 0
	v_mac_f32_e32 v2, 0, v30
	v_rcp_f32_e32 v2, v2
	v_mul_f32_e32 v2, 0x5f7ffffc, v2
	v_mul_f32_e32 v3, 0x2f800000, v2
	v_trunc_f32_e32 v3, v3
	v_mac_f32_e32 v2, 0xcf800000, v3
	v_cvt_u32_f32_e32 v3, v3
	v_cvt_u32_f32_e32 v2, v2
	v_readfirstlane_b32 s10, v3
	v_readfirstlane_b32 s11, v2
	s_mul_i32 s12, s4, s10
	s_mul_hi_u32 s14, s4, s11
	s_mul_i32 s13, s5, s11
	s_add_i32 s12, s14, s12
	s_mul_i32 s15, s4, s11
	s_add_i32 s12, s12, s13
	s_mul_hi_u32 s14, s11, s15
	s_mul_hi_u32 s13, s11, s12
	s_mul_i32 s11, s11, s12
	s_add_u32 s11, s14, s11
	s_addc_u32 s13, 0, s13
	s_mul_hi_u32 s20, s10, s15
	s_mul_i32 s15, s10, s15
	s_add_u32 s11, s11, s15
	s_mul_hi_u32 s14, s10, s12
	s_addc_u32 s11, s13, s20
	s_addc_u32 s13, s14, 0
	s_mul_i32 s12, s10, s12
	s_add_u32 s11, s11, s12
	s_addc_u32 s12, 0, s13
	v_add_co_u32_e32 v2, vcc, s11, v2
	s_cmp_lg_u64 vcc, 0
	s_addc_u32 s10, s10, s12
	v_readfirstlane_b32 s12, v2
	s_mul_i32 s11, s4, s10
	s_mul_hi_u32 s13, s4, s12
	s_add_i32 s11, s13, s11
	s_mul_i32 s5, s5, s12
	s_add_i32 s11, s11, s5
	s_mul_i32 s4, s4, s12
	s_mul_hi_u32 s13, s10, s4
	s_mul_i32 s14, s10, s4
	s_mul_i32 s20, s12, s11
	s_mul_hi_u32 s4, s12, s4
	s_mul_hi_u32 s15, s12, s11
	s_add_u32 s4, s4, s20
	s_addc_u32 s12, 0, s15
	s_add_u32 s4, s4, s14
	s_mul_hi_u32 s5, s10, s11
	s_addc_u32 s4, s12, s13
	s_addc_u32 s5, s5, 0
	s_mul_i32 s11, s10, s11
	s_add_u32 s4, s4, s11
	s_addc_u32 s5, 0, s5
	v_add_co_u32_e32 v2, vcc, s4, v2
	s_cmp_lg_u64 vcc, 0
	s_addc_u32 s4, s10, s5
	v_readlane_b32 s14, v43, 53
	v_readfirstlane_b32 s11, v2
	s_mul_i32 s10, s14, s4
	s_mul_hi_u32 s12, s14, s11
	s_mul_hi_u32 s5, s14, s4
	s_add_u32 s10, s12, s10
	s_addc_u32 s5, 0, s5
	s_mul_hi_u32 s13, s75, s11
	s_mul_i32 s11, s75, s11
	s_add_u32 s10, s10, s11
	s_mul_hi_u32 s12, s75, s4
	s_addc_u32 s5, s5, s13
	s_addc_u32 s10, s12, 0
	s_mul_i32 s4, s75, s4
	s_add_u32 s4, s5, s4
	s_addc_u32 s5, 0, s10
	s_mul_hi_u32 s10, s33, s4
	s_mul_i32 s4, s33, s4
	s_mul_i32 s5, s33, s5
	v_mov_b32_e32 v2, s4
	s_add_i32 s10, s10, s5
	v_sub_co_u32_e32 v2, vcc, s14, v2
	s_cmp_lg_u64 vcc, 0
	s_subb_u32 s4, s75, s10
	v_subrev_co_u32_e32 v3, vcc, s33, v2
	s_cmp_lg_u64 vcc, 0
	s_subb_u32 s5, s4, 0
	v_subrev_co_u32_e32 v4, vcc, s33, v3
	s_cmp_lg_u64 vcc, 0
	s_subb_u32 s10, s5, 0
	v_cmp_le_u32_e32 vcc, s33, v3
	s_cmp_eq_u32 s5, 0
	v_cndmask_b32_e64 v5, 0, -1, vcc
	s_cselect_b64 vcc, -1, 0
	v_cndmask_b32_e32 v5, -1, v5, vcc
	v_mov_b32_e32 v6, s5
	v_mov_b32_e32 v7, s10
	v_cmp_ne_u32_e32 vcc, 0, v5
	v_cndmask_b32_e32 v5, v6, v7, vcc
	v_cndmask_b32_e32 v4, v3, v4, vcc
	v_cmp_le_u32_e32 vcc, s33, v2
	s_cmp_eq_u32 s4, 0
	v_cndmask_b32_e64 v3, 0, -1, vcc
	s_cselect_b64 vcc, -1, 0
	v_cndmask_b32_e32 v3, -1, v3, vcc
	v_mov_b32_e32 v6, s4
	v_cmp_ne_u32_e32 vcc, 0, v3
	v_cndmask_b32_e32 v3, v6, v5, vcc
	v_cndmask_b32_e32 v2, v2, v4, vcc
	s_cbranch_execnz .LBB126_300
.LBB126_299:                            ;   in Loop: Header=BB126_18 Depth=1
	v_cvt_f32_u32_e32 v2, s33
	s_sub_i32 s4, 0, s33
	v_rcp_iflag_f32_e32 v2, v2
	v_mul_f32_e32 v2, 0x4f7ffffe, v2
	v_cvt_u32_f32_e32 v2, v2
	v_mul_lo_u32 v3, s4, v2
	v_mul_hi_u32 v3, v2, v3
	v_add_u32_e32 v2, v2, v3
	v_readlane_b32 s4, v43, 53
	v_mul_hi_u32 v2, s4, v2
	v_mul_lo_u32 v2, v2, s33
	v_sub_u32_e32 v2, s4, v2
	v_subrev_u32_e32 v3, s33, v2
	v_cmp_le_u32_e32 vcc, s33, v2
	v_cndmask_b32_e32 v2, v2, v3, vcc
	v_subrev_u32_e32 v3, s33, v2
	v_cmp_le_u32_e32 vcc, s33, v2
	v_cndmask_b32_e32 v14, v2, v3, vcc
	v_pk_mov_b32 v[2:3], v[14:15], v[14:15] op_sel:[0,1]
.LBB126_300:                            ;   in Loop: Header=BB126_18 Depth=1
	v_readlane_b32 s4, v43, 53
	v_mov_b32_e32 v4, s75
	v_sub_co_u32_e32 v2, vcc, s4, v2
	v_subb_co_u32_e32 v3, vcc, v4, v3, vcc
	v_cmp_gt_u64_e32 vcc, v[2:3], v[0:1]
	s_mov_b64 s[10:11], 0
                                        ; implicit-def: $vgpr33
	s_and_saveexec_b64 s[4:5], vcc
	s_cbranch_execz .LBB126_308
; %bb.301:                              ;   in Loop: Header=BB126_18 Depth=1
	v_pk_mov_b32 v[4:5], v[0:1], v[0:1] op_sel:[0,1]
                                        ; implicit-def: $sgpr12_sgpr13
	s_branch .LBB126_303
.LBB126_302:                            ;   in Loop: Header=BB126_303 Depth=2
	s_or_b64 exec, exec, s[14:15]
	s_waitcnt lgkmcnt(0)
	s_barrier
	ds_read_u16 v6, v15 offset:3072
	v_mov_b32_e32 v7, s92
	v_add_co_u32_e32 v4, vcc, s33, v4
	v_addc_co_u32_e32 v5, vcc, v5, v7, vcc
	s_waitcnt lgkmcnt(0)
	v_cmp_ne_u16_sdwa s[14:15], v6, v15 src0_sel:BYTE_0 src1_sel:DWORD
	v_cmp_ge_u64_e32 vcc, v[4:5], v[2:3]
	s_or_b64 s[20:21], vcc, s[14:15]
	s_and_b64 s[20:21], exec, s[20:21]
	s_or_b64 s[10:11], s[20:21], s[10:11]
	s_andn2_b64 s[12:13], s[12:13], exec
	s_and_b64 s[14:15], s[14:15], exec
	s_or_b64 s[12:13], s[12:13], s[14:15]
	s_barrier
	s_andn2_b64 exec, exec, s[10:11]
	s_cbranch_execz .LBB126_307
.LBB126_303:                            ;   Parent Loop BB126_18 Depth=1
                                        ; =>  This Inner Loop Header: Depth=2
	v_cmp_gt_u64_e32 vcc, s[60:61], v[4:5]
	v_mov_b32_e32 v6, 0
	s_and_saveexec_b64 s[14:15], vcc
	s_cbranch_execz .LBB126_305
; %bb.304:                              ;   in Loop: Header=BB126_303 Depth=2
	v_pk_mov_b32 v[6:7], s[56:57], s[56:57] op_sel:[0,1]
	v_mad_u64_u32 v[6:7], s[20:21], v4, s58, v[6:7]
	v_mul_lo_u32 v8, v4, s59
	v_mul_lo_u32 v9, v5, s58
	v_add3_u32 v7, v9, v7, v8
	global_load_ubyte v6, v[6:7], off
.LBB126_305:                            ;   in Loop: Header=BB126_303 Depth=2
	s_or_b64 exec, exec, s[14:15]
	s_waitcnt vmcnt(0)
	v_and_b32_e32 v7, v6, v31
	v_cmp_eq_u32_sdwa s[14:15], v7, v32 src0_sel:BYTE_0 src1_sel:DWORD
	s_and_b64 s[20:21], vcc, s[14:15]
	s_and_saveexec_b64 s[14:15], s[20:21]
	s_cbranch_execz .LBB126_302
; %bb.306:                              ;   in Loop: Header=BB126_303 Depth=2
	v_lshlrev_b16_e32 v6, 8, v6
	v_or_b32_e32 v6, 1, v6
	ds_write_b16 v15, v6 offset:3072
	s_branch .LBB126_302
.LBB126_307:                            ;   in Loop: Header=BB126_18 Depth=1
	s_or_b64 exec, exec, s[10:11]
	v_lshrrev_b16_e32 v33, 8, v6
	s_and_b64 s[10:11], s[12:13], exec
.LBB126_308:                            ;   in Loop: Header=BB126_18 Depth=1
	s_or_b64 exec, exec, s[4:5]
	s_mov_b64 s[38:39], 0
	s_mov_b64 s[14:15], -1
	s_mov_b64 s[20:21], 0
.LBB126_309:                            ;   in Loop: Header=BB126_18 Depth=1
	s_orn2_b64 s[4:5], s[10:11], exec
.LBB126_310:                            ;   in Loop: Header=BB126_18 Depth=1
	s_or_b64 exec, exec, s[8:9]
                                        ; implicit-def: $vgpr6
                                        ; implicit-def: $vgpr2_vgpr3
                                        ; implicit-def: $vgpr8
                                        ; implicit-def: $vgpr9
                                        ; implicit-def: $vgpr22
	s_and_saveexec_b64 s[34:35], s[4:5]
	s_cbranch_execz .LBB126_467
; %bb.311:                              ;   in Loop: Header=BB126_18 Depth=1
	v_mov_b32_e32 v2, 1
	s_xor_b64 s[8:9], s[6:7], -1
	s_mov_b64 s[6:7], 0
	v_mov_b32_e32 v3, 0
	v_mov_b32_e32 v6, 1
	s_and_saveexec_b64 s[4:5], s[8:9]
	s_cbranch_execz .LBB126_321
; %bb.312:                              ;   in Loop: Header=BB126_18 Depth=1
	v_cmp_ge_u64_e32 vcc, s[24:25], v[20:21]
                                        ; implicit-def: $sgpr10
                                        ; implicit-def: $sgpr6_sgpr7
	s_and_saveexec_b64 s[8:9], vcc
	s_xor_b64 s[8:9], exec, s[8:9]
	s_cbranch_execz .LBB126_318
; %bb.313:                              ;   in Loop: Header=BB126_18 Depth=1
	ds_read_b64 v[2:3], v15 offset:5120
	s_waitcnt lgkmcnt(0)
	v_cmp_ne_u64_e32 vcc, 0, v[2:3]
	s_cbranch_vccnz .LBB126_317
; %bb.314:                              ;   in Loop: Header=BB126_18 Depth=1
	s_mov_b64 s[6:7], exec
	v_readlane_b32 s10, v43, 32
	v_readlane_b32 s11, v43, 33
	s_and_b64 s[10:11], s[6:7], s[10:11]
	s_mov_b64 exec, s[10:11]
	s_cbranch_execz .LBB126_316
; %bb.315:                              ;   in Loop: Header=BB126_18 Depth=1
	v_pk_mov_b32 v[2:3], s[24:25], s[24:25] op_sel:[0,1]
	ds_write_b64 v15, v[2:3] offset:5128
.LBB126_316:                            ;   in Loop: Header=BB126_18 Depth=1
	s_or_b64 exec, exec, s[6:7]
	s_waitcnt lgkmcnt(0)
	s_barrier
.LBB126_317:                            ;   in Loop: Header=BB126_18 Depth=1
	v_or_b32_e32 v32, s94, v32
	v_or_b32_e32 v31, s94, v31
	s_mov_b64 s[6:7], 0
	s_mov_b32 s10, 5
.LBB126_318:                            ;   in Loop: Header=BB126_18 Depth=1
	s_or_saveexec_b64 s[8:9], s[8:9]
	v_mov_b32_e32 v6, s10
	s_xor_b64 exec, exec, s[8:9]
; %bb.319:                              ;   in Loop: Header=BB126_18 Depth=1
	v_mov_b32_e32 v2, s25
	v_subrev_co_u32_e32 v20, vcc, s24, v20
	v_subb_co_u32_e32 v21, vcc, v21, v2, vcc
	v_mov_b32_e32 v6, 0
	s_or_b64 s[6:7], s[6:7], exec
; %bb.320:                              ;   in Loop: Header=BB126_18 Depth=1
	s_or_b64 exec, exec, s[8:9]
	s_and_b64 s[6:7], s[6:7], exec
	v_pk_mov_b32 v[2:3], v[20:21], v[20:21] op_sel:[0,1]
.LBB126_321:                            ;   in Loop: Header=BB126_18 Depth=1
	s_or_b64 exec, exec, s[4:5]
	s_mov_b64 s[24:25], -1
                                        ; implicit-def: $sgpr4_sgpr5
                                        ; implicit-def: $sgpr8_sgpr9
                                        ; implicit-def: $sgpr10_sgpr11
	s_and_saveexec_b64 s[12:13], s[6:7]
	s_xor_b64 s[6:7], exec, s[12:13]
	s_cbranch_execz .LBB126_464
; %bb.322:                              ;   in Loop: Header=BB126_18 Depth=1
	s_cmp_eq_u64 s[22:23], 1
	s_cselect_b64 s[4:5], -1, 0
	v_cmp_eq_u64_e32 vcc, 1, v[2:3]
	s_and_b64 s[8:9], s[4:5], vcc
	s_mov_b64 s[4:5], -1
                                        ; implicit-def: $sgpr24_sgpr25
                                        ; implicit-def: $sgpr36_sgpr37
                                        ; implicit-def: $sgpr40_sgpr41
	s_and_saveexec_b64 s[42:43], s[8:9]
	s_cbranch_execz .LBB126_354
; %bb.323:                              ;   in Loop: Header=BB126_18 Depth=1
	ds_read_b64 v[4:5], v15 offset:5120
	s_waitcnt lgkmcnt(0)
	s_barrier
	v_readfirstlane_b32 s4, v4
	v_readfirstlane_b32 s5, v5
	s_mov_b64 s[10:11], exec
	v_readlane_b32 s12, v43, 48
	v_readlane_b32 s13, v43, 49
	s_and_b64 s[12:13], s[10:11], s[12:13]
	s_mov_b64 exec, s[12:13]
	s_cbranch_execz .LBB126_325
; %bb.324:                              ;   in Loop: Header=BB126_18 Depth=1
	ds_write_b8 v0, v15 offset:3072
.LBB126_325:                            ;   in Loop: Header=BB126_18 Depth=1
	s_or_b64 exec, exec, s[10:11]
	v_and_b32_e32 v4, s46, v32
	v_lshl_or_b32 v32, 2, s47, v4
	v_or_b32_e32 v31, s94, v31
	s_cmp_eq_u64 s[4:5], 0
	s_waitcnt lgkmcnt(0)
	s_barrier
	s_cbranch_scc1 .LBB126_338
; %bb.326:                              ;   in Loop: Header=BB126_18 Depth=1
	v_readlane_b32 s10, v43, 52
	s_add_u32 s24, s10, s4
	v_readlane_b32 s10, v43, 54
	s_addc_u32 s11, s10, s5
	s_mov_b32 s10, s95
	s_cmp_lg_u64 s[10:11], 0
	s_cbranch_scc0 .LBB126_380
; %bb.327:                              ;   in Loop: Header=BB126_18 Depth=1
	v_cvt_f32_u32_e32 v4, s33
	s_sub_u32 s10, 0, s33
	s_subb_u32 s12, 0, 0
	v_mac_f32_e32 v4, 0, v30
	v_rcp_f32_e32 v4, v4
	v_mul_f32_e32 v4, 0x5f7ffffc, v4
	v_mul_f32_e32 v5, 0x2f800000, v4
	v_trunc_f32_e32 v5, v5
	v_mac_f32_e32 v4, 0xcf800000, v5
	v_cvt_u32_f32_e32 v5, v5
	v_cvt_u32_f32_e32 v4, v4
	v_readfirstlane_b32 s13, v5
	v_readfirstlane_b32 s25, v4
	s_mul_i32 s36, s10, s13
	s_mul_hi_u32 s40, s10, s25
	s_mul_i32 s37, s12, s25
	s_add_i32 s36, s40, s36
	s_mul_i32 s41, s10, s25
	s_add_i32 s36, s36, s37
	s_mul_hi_u32 s40, s25, s41
	s_mul_hi_u32 s37, s25, s36
	s_mul_i32 s25, s25, s36
	s_add_u32 s25, s40, s25
	s_addc_u32 s37, 0, s37
	s_mul_hi_u32 s44, s13, s41
	s_mul_i32 s41, s13, s41
	s_add_u32 s25, s25, s41
	s_mul_hi_u32 s40, s13, s36
	s_addc_u32 s25, s37, s44
	s_addc_u32 s37, s40, 0
	s_mul_i32 s36, s13, s36
	s_add_u32 s25, s25, s36
	s_addc_u32 s36, 0, s37
	v_add_co_u32_e32 v4, vcc, s25, v4
	s_cmp_lg_u64 vcc, 0
	s_addc_u32 s13, s13, s36
	v_readfirstlane_b32 s36, v4
	s_mul_i32 s25, s10, s13
	s_mul_hi_u32 s37, s10, s36
	s_add_i32 s25, s37, s25
	s_mul_i32 s12, s12, s36
	s_add_i32 s25, s25, s12
	s_mul_i32 s10, s10, s36
	s_mul_hi_u32 s37, s13, s10
	s_mul_i32 s40, s13, s10
	s_mul_i32 s44, s36, s25
	s_mul_hi_u32 s10, s36, s10
	s_mul_hi_u32 s41, s36, s25
	s_add_u32 s10, s10, s44
	s_addc_u32 s36, 0, s41
	s_add_u32 s10, s10, s40
	s_mul_hi_u32 s12, s13, s25
	s_addc_u32 s10, s36, s37
	s_addc_u32 s12, s12, 0
	s_mul_i32 s25, s13, s25
	s_add_u32 s10, s10, s25
	s_addc_u32 s12, 0, s12
	v_add_co_u32_e32 v4, vcc, s10, v4
	s_cmp_lg_u64 vcc, 0
	s_addc_u32 s10, s13, s12
	v_readfirstlane_b32 s25, v4
	s_mul_i32 s13, s24, s10
	s_mul_hi_u32 s36, s24, s25
	s_mul_hi_u32 s12, s24, s10
	s_add_u32 s13, s36, s13
	s_addc_u32 s12, 0, s12
	s_mul_hi_u32 s37, s11, s25
	s_mul_i32 s25, s11, s25
	s_add_u32 s13, s13, s25
	s_mul_hi_u32 s36, s11, s10
	s_addc_u32 s12, s12, s37
	s_addc_u32 s13, s36, 0
	s_mul_i32 s10, s11, s10
	s_add_u32 s10, s12, s10
	s_addc_u32 s12, 0, s13
	s_mul_hi_u32 s13, s33, s10
	s_mul_i32 s10, s33, s10
	s_mul_i32 s12, s33, s12
	v_mov_b32_e32 v4, s10
	s_add_i32 s13, s13, s12
	v_sub_co_u32_e32 v4, vcc, s24, v4
	s_cmp_lg_u64 vcc, 0
	s_subb_u32 s10, s11, s13
	v_subrev_co_u32_e32 v5, vcc, s33, v4
	s_cmp_lg_u64 vcc, 0
	s_subb_u32 s12, s10, 0
	v_subrev_co_u32_e32 v6, vcc, s33, v5
	s_cmp_lg_u64 vcc, 0
	s_subb_u32 s13, s12, 0
	v_cmp_le_u32_e32 vcc, s33, v5
	s_cmp_eq_u32 s12, 0
	v_cndmask_b32_e64 v7, 0, -1, vcc
	s_cselect_b64 vcc, -1, 0
	v_cndmask_b32_e32 v7, -1, v7, vcc
	v_mov_b32_e32 v8, s12
	v_mov_b32_e32 v9, s13
	v_cmp_ne_u32_e32 vcc, 0, v7
	v_cndmask_b32_e32 v7, v8, v9, vcc
	v_cndmask_b32_e32 v6, v5, v6, vcc
	v_cmp_le_u32_e32 vcc, s33, v4
	s_cmp_eq_u32 s10, 0
	v_cndmask_b32_e64 v5, 0, -1, vcc
	s_cselect_b64 vcc, -1, 0
	v_cndmask_b32_e32 v5, -1, v5, vcc
	v_mov_b32_e32 v8, s10
	v_cmp_ne_u32_e32 vcc, 0, v5
	v_cndmask_b32_e32 v5, v8, v7, vcc
	v_cndmask_b32_e32 v4, v4, v6, vcc
	s_cbranch_execnz .LBB126_329
.LBB126_328:                            ;   in Loop: Header=BB126_18 Depth=1
	v_cvt_f32_u32_e32 v4, s33
	s_sub_i32 s10, 0, s33
	v_rcp_iflag_f32_e32 v4, v4
	v_mul_f32_e32 v4, 0x4f7ffffe, v4
	v_cvt_u32_f32_e32 v4, v4
	v_mul_lo_u32 v5, s10, v4
	v_mul_hi_u32 v5, v4, v5
	v_add_u32_e32 v4, v4, v5
	v_mul_hi_u32 v4, s24, v4
	v_mul_lo_u32 v4, v4, s33
	v_sub_u32_e32 v4, s24, v4
	v_subrev_u32_e32 v5, s33, v4
	v_cmp_le_u32_e32 vcc, s33, v4
	v_cndmask_b32_e32 v4, v4, v5, vcc
	v_subrev_u32_e32 v5, s33, v4
	v_cmp_le_u32_e32 vcc, s33, v4
	v_cndmask_b32_e32 v14, v4, v5, vcc
	v_pk_mov_b32 v[4:5], v[14:15], v[14:15] op_sel:[0,1]
.LBB126_329:                            ;   in Loop: Header=BB126_18 Depth=1
	v_mov_b32_e32 v6, s11
	v_sub_co_u32_e32 v4, vcc, s24, v4
	v_subb_co_u32_e32 v5, vcc, v6, v5, vcc
	v_cmp_gt_u64_e32 vcc, v[4:5], v[0:1]
	s_mov_b64 s[10:11], 0
                                        ; implicit-def: $vgpr33
	s_and_saveexec_b64 s[12:13], vcc
	s_cbranch_execz .LBB126_340
; %bb.330:                              ;   in Loop: Header=BB126_18 Depth=1
	v_mov_b32_e32 v8, v0
	v_pk_mov_b32 v[6:7], v[0:1], v[0:1] op_sel:[0,1]
                                        ; implicit-def: $sgpr24_sgpr25
	s_branch .LBB126_332
.LBB126_331:                            ;   in Loop: Header=BB126_332 Depth=2
	s_or_b64 exec, exec, s[36:37]
	s_waitcnt lgkmcnt(0)
	s_barrier
	ds_read_u16 v9, v15 offset:3072
	v_mov_b32_e32 v14, s92
	v_add_co_u32_e32 v6, vcc, s33, v6
	v_addc_co_u32_e32 v7, vcc, v7, v14, vcc
	s_waitcnt lgkmcnt(0)
	v_cmp_ne_u16_sdwa s[36:37], v9, v15 src0_sel:BYTE_0 src1_sel:DWORD
	v_cmp_ge_u64_e32 vcc, v[6:7], v[4:5]
	s_or_b64 s[40:41], vcc, s[36:37]
	s_and_b64 s[40:41], exec, s[40:41]
	s_or_b64 s[10:11], s[40:41], s[10:11]
	s_andn2_b64 s[24:25], s[24:25], exec
	s_and_b64 s[36:37], s[36:37], exec
	v_add_u32_e32 v8, s33, v8
	s_or_b64 s[24:25], s[24:25], s[36:37]
	s_barrier
	s_andn2_b64 exec, exec, s[10:11]
	s_cbranch_execz .LBB126_339
.LBB126_332:                            ;   Parent Loop BB126_18 Depth=1
                                        ; =>  This Inner Loop Header: Depth=2
	v_cmp_gt_u64_e32 vcc, s[4:5], v[6:7]
	v_mov_b32_e32 v9, 0
	s_and_saveexec_b64 s[36:37], vcc
	s_cbranch_execz .LBB126_334
; %bb.333:                              ;   in Loop: Header=BB126_332 Depth=2
	ds_read_u8 v9, v8
.LBB126_334:                            ;   in Loop: Header=BB126_332 Depth=2
	s_or_b64 exec, exec, s[36:37]
	s_waitcnt lgkmcnt(0)
	v_and_b32_e32 v14, v9, v31
	v_cmp_eq_u32_sdwa s[36:37], v14, v32 src0_sel:BYTE_0 src1_sel:DWORD
	s_and_b64 s[40:41], vcc, s[36:37]
	s_and_saveexec_b64 s[36:37], s[40:41]
	s_cbranch_execz .LBB126_331
; %bb.335:                              ;   in Loop: Header=BB126_332 Depth=2
	v_lshlrev_b16_e32 v9, 8, v9
	v_or_b32_e32 v9, 1, v9
	ds_write_b16 v15, v9 offset:3072
	s_branch .LBB126_331
.LBB126_336:                            ;   in Loop: Header=BB126_18 Depth=1
                                        ; implicit-def: $vgpr2_vgpr3
	s_branch .LBB126_286
.LBB126_337:                            ;   in Loop: Header=BB126_18 Depth=1
                                        ; implicit-def: $vgpr2_vgpr3
	s_branch .LBB126_299
.LBB126_338:                            ;   in Loop: Header=BB126_18 Depth=1
	s_mov_b64 s[24:25], -1
	s_mov_b64 s[10:11], 0
                                        ; implicit-def: $sgpr36_sgpr37
                                        ; implicit-def: $vgpr33
	s_mov_b64 s[40:41], s[24:25]
	s_cbranch_execnz .LBB126_341
	s_branch .LBB126_353
.LBB126_339:                            ;   in Loop: Header=BB126_18 Depth=1
	s_or_b64 exec, exec, s[10:11]
	v_lshrrev_b16_e32 v33, 8, v9
	s_and_b64 s[10:11], s[24:25], exec
.LBB126_340:                            ;   in Loop: Header=BB126_18 Depth=1
	s_or_b64 exec, exec, s[12:13]
	s_mov_b64 s[24:25], 0
	s_mov_b64 s[36:37], -1
	s_mov_b64 s[40:41], s[24:25]
	s_branch .LBB126_353
.LBB126_341:                            ;   in Loop: Header=BB126_18 Depth=1
	s_mov_b32 s74, s95
	s_cmp_lg_u64 s[74:75], 0
	s_cbranch_scc0 .LBB126_381
; %bb.342:                              ;   in Loop: Header=BB126_18 Depth=1
	v_cvt_f32_u32_e32 v4, s33
	s_sub_u32 s4, 0, s33
	s_subb_u32 s5, 0, 0
	v_mac_f32_e32 v4, 0, v30
	v_rcp_f32_e32 v4, v4
	v_mul_f32_e32 v4, 0x5f7ffffc, v4
	v_mul_f32_e32 v5, 0x2f800000, v4
	v_trunc_f32_e32 v5, v5
	v_mac_f32_e32 v4, 0xcf800000, v5
	v_cvt_u32_f32_e32 v5, v5
	v_cvt_u32_f32_e32 v4, v4
	v_readfirstlane_b32 s10, v5
	v_readfirstlane_b32 s11, v4
	s_mul_i32 s12, s4, s10
	s_mul_hi_u32 s24, s4, s11
	s_mul_i32 s13, s5, s11
	s_add_i32 s12, s24, s12
	s_mul_i32 s25, s4, s11
	s_add_i32 s12, s12, s13
	s_mul_hi_u32 s24, s11, s25
	s_mul_hi_u32 s13, s11, s12
	s_mul_i32 s11, s11, s12
	s_add_u32 s11, s24, s11
	s_addc_u32 s13, 0, s13
	s_mul_hi_u32 s36, s10, s25
	s_mul_i32 s25, s10, s25
	s_add_u32 s11, s11, s25
	s_mul_hi_u32 s24, s10, s12
	s_addc_u32 s11, s13, s36
	s_addc_u32 s13, s24, 0
	s_mul_i32 s12, s10, s12
	s_add_u32 s11, s11, s12
	s_addc_u32 s12, 0, s13
	v_add_co_u32_e32 v4, vcc, s11, v4
	s_cmp_lg_u64 vcc, 0
	s_addc_u32 s10, s10, s12
	v_readfirstlane_b32 s12, v4
	s_mul_i32 s11, s4, s10
	s_mul_hi_u32 s13, s4, s12
	s_add_i32 s11, s13, s11
	s_mul_i32 s5, s5, s12
	s_add_i32 s11, s11, s5
	s_mul_i32 s4, s4, s12
	s_mul_hi_u32 s13, s10, s4
	s_mul_i32 s24, s10, s4
	s_mul_i32 s36, s12, s11
	s_mul_hi_u32 s4, s12, s4
	s_mul_hi_u32 s25, s12, s11
	s_add_u32 s4, s4, s36
	s_addc_u32 s12, 0, s25
	s_add_u32 s4, s4, s24
	s_mul_hi_u32 s5, s10, s11
	s_addc_u32 s4, s12, s13
	s_addc_u32 s5, s5, 0
	s_mul_i32 s11, s10, s11
	s_add_u32 s4, s4, s11
	s_addc_u32 s5, 0, s5
	v_add_co_u32_e32 v4, vcc, s4, v4
	s_cmp_lg_u64 vcc, 0
	s_addc_u32 s4, s10, s5
	v_readlane_b32 s24, v43, 53
	v_readfirstlane_b32 s11, v4
	s_mul_i32 s10, s24, s4
	s_mul_hi_u32 s12, s24, s11
	s_mul_hi_u32 s5, s24, s4
	s_add_u32 s10, s12, s10
	s_addc_u32 s5, 0, s5
	s_mul_hi_u32 s13, s75, s11
	s_mul_i32 s11, s75, s11
	s_add_u32 s10, s10, s11
	s_mul_hi_u32 s12, s75, s4
	s_addc_u32 s5, s5, s13
	s_addc_u32 s10, s12, 0
	s_mul_i32 s4, s75, s4
	s_add_u32 s4, s5, s4
	s_addc_u32 s5, 0, s10
	s_mul_hi_u32 s10, s33, s4
	s_mul_i32 s4, s33, s4
	s_mul_i32 s5, s33, s5
	v_mov_b32_e32 v4, s4
	s_add_i32 s10, s10, s5
	v_sub_co_u32_e32 v4, vcc, s24, v4
	s_cmp_lg_u64 vcc, 0
	s_subb_u32 s4, s75, s10
	v_subrev_co_u32_e32 v5, vcc, s33, v4
	s_cmp_lg_u64 vcc, 0
	s_subb_u32 s5, s4, 0
	v_subrev_co_u32_e32 v6, vcc, s33, v5
	s_cmp_lg_u64 vcc, 0
	s_subb_u32 s10, s5, 0
	v_cmp_le_u32_e32 vcc, s33, v5
	s_cmp_eq_u32 s5, 0
	v_cndmask_b32_e64 v7, 0, -1, vcc
	s_cselect_b64 vcc, -1, 0
	v_cndmask_b32_e32 v7, -1, v7, vcc
	v_mov_b32_e32 v8, s5
	v_mov_b32_e32 v9, s10
	v_cmp_ne_u32_e32 vcc, 0, v7
	v_cndmask_b32_e32 v7, v8, v9, vcc
	v_cndmask_b32_e32 v6, v5, v6, vcc
	v_cmp_le_u32_e32 vcc, s33, v4
	s_cmp_eq_u32 s4, 0
	v_cndmask_b32_e64 v5, 0, -1, vcc
	s_cselect_b64 vcc, -1, 0
	v_cndmask_b32_e32 v5, -1, v5, vcc
	v_mov_b32_e32 v8, s4
	v_cmp_ne_u32_e32 vcc, 0, v5
	v_cndmask_b32_e32 v5, v8, v7, vcc
	v_cndmask_b32_e32 v4, v4, v6, vcc
	s_cbranch_execnz .LBB126_344
.LBB126_343:                            ;   in Loop: Header=BB126_18 Depth=1
	v_cvt_f32_u32_e32 v4, s33
	s_sub_i32 s4, 0, s33
	v_rcp_iflag_f32_e32 v4, v4
	v_mul_f32_e32 v4, 0x4f7ffffe, v4
	v_cvt_u32_f32_e32 v4, v4
	v_mul_lo_u32 v5, s4, v4
	v_mul_hi_u32 v5, v4, v5
	v_add_u32_e32 v4, v4, v5
	v_readlane_b32 s4, v43, 53
	v_mul_hi_u32 v4, s4, v4
	v_mul_lo_u32 v4, v4, s33
	v_sub_u32_e32 v4, s4, v4
	v_subrev_u32_e32 v5, s33, v4
	v_cmp_le_u32_e32 vcc, s33, v4
	v_cndmask_b32_e32 v4, v4, v5, vcc
	v_subrev_u32_e32 v5, s33, v4
	v_cmp_le_u32_e32 vcc, s33, v4
	v_cndmask_b32_e32 v14, v4, v5, vcc
	v_pk_mov_b32 v[4:5], v[14:15], v[14:15] op_sel:[0,1]
.LBB126_344:                            ;   in Loop: Header=BB126_18 Depth=1
	v_readlane_b32 s4, v43, 53
	v_mov_b32_e32 v6, s75
	v_sub_co_u32_e32 v4, vcc, s4, v4
	v_subb_co_u32_e32 v5, vcc, v6, v5, vcc
	v_cmp_gt_u64_e32 vcc, v[4:5], v[0:1]
	s_mov_b64 s[10:11], 0
                                        ; implicit-def: $vgpr33
	s_and_saveexec_b64 s[4:5], vcc
	s_cbranch_execz .LBB126_352
; %bb.345:                              ;   in Loop: Header=BB126_18 Depth=1
	v_pk_mov_b32 v[6:7], v[0:1], v[0:1] op_sel:[0,1]
                                        ; implicit-def: $sgpr12_sgpr13
	s_branch .LBB126_347
.LBB126_346:                            ;   in Loop: Header=BB126_347 Depth=2
	s_or_b64 exec, exec, s[24:25]
	s_waitcnt lgkmcnt(0)
	s_barrier
	ds_read_u16 v8, v15 offset:3072
	v_mov_b32_e32 v9, s92
	v_add_co_u32_e32 v6, vcc, s33, v6
	v_addc_co_u32_e32 v7, vcc, v7, v9, vcc
	s_waitcnt lgkmcnt(0)
	v_cmp_ne_u16_sdwa s[24:25], v8, v15 src0_sel:BYTE_0 src1_sel:DWORD
	v_cmp_ge_u64_e32 vcc, v[6:7], v[4:5]
	s_or_b64 s[36:37], vcc, s[24:25]
	s_and_b64 s[36:37], exec, s[36:37]
	s_or_b64 s[10:11], s[36:37], s[10:11]
	s_andn2_b64 s[12:13], s[12:13], exec
	s_and_b64 s[24:25], s[24:25], exec
	s_or_b64 s[12:13], s[12:13], s[24:25]
	s_barrier
	s_andn2_b64 exec, exec, s[10:11]
	s_cbranch_execz .LBB126_351
.LBB126_347:                            ;   Parent Loop BB126_18 Depth=1
                                        ; =>  This Inner Loop Header: Depth=2
	v_cmp_gt_u64_e32 vcc, s[60:61], v[6:7]
	v_mov_b32_e32 v8, 0
	s_and_saveexec_b64 s[24:25], vcc
	s_cbranch_execz .LBB126_349
; %bb.348:                              ;   in Loop: Header=BB126_347 Depth=2
	v_pk_mov_b32 v[8:9], s[56:57], s[56:57] op_sel:[0,1]
	v_mad_u64_u32 v[8:9], s[36:37], v6, s58, v[8:9]
	v_mul_lo_u32 v14, v6, s59
	v_mul_lo_u32 v20, v7, s58
	v_add3_u32 v9, v20, v9, v14
	global_load_ubyte v8, v[8:9], off
.LBB126_349:                            ;   in Loop: Header=BB126_347 Depth=2
	s_or_b64 exec, exec, s[24:25]
	s_waitcnt vmcnt(0)
	v_and_b32_e32 v9, v8, v31
	v_cmp_eq_u32_sdwa s[24:25], v9, v32 src0_sel:BYTE_0 src1_sel:DWORD
	s_and_b64 s[36:37], vcc, s[24:25]
	s_and_saveexec_b64 s[24:25], s[36:37]
	s_cbranch_execz .LBB126_346
; %bb.350:                              ;   in Loop: Header=BB126_347 Depth=2
	v_lshlrev_b16_e32 v8, 8, v8
	v_or_b32_e32 v8, 1, v8
	ds_write_b16 v15, v8 offset:3072
	s_branch .LBB126_346
.LBB126_351:                            ;   in Loop: Header=BB126_18 Depth=1
	s_or_b64 exec, exec, s[10:11]
	v_lshrrev_b16_e32 v33, 8, v8
	s_and_b64 s[10:11], s[12:13], exec
.LBB126_352:                            ;   in Loop: Header=BB126_18 Depth=1
	s_or_b64 exec, exec, s[4:5]
	s_mov_b64 s[36:37], 0
	s_mov_b64 s[24:25], -1
	s_mov_b64 s[40:41], 0
.LBB126_353:                            ;   in Loop: Header=BB126_18 Depth=1
	s_orn2_b64 s[4:5], s[10:11], exec
.LBB126_354:                            ;   in Loop: Header=BB126_18 Depth=1
	s_or_b64 exec, exec, s[42:43]
	s_mov_b64 s[12:13], 0
                                        ; implicit-def: $vgpr6
	s_and_saveexec_b64 s[42:43], s[4:5]
	s_cbranch_execz .LBB126_463
; %bb.355:                              ;   in Loop: Header=BB126_18 Depth=1
	v_mov_b32_e32 v4, 1
	s_xor_b64 s[8:9], s[8:9], -1
	s_mov_b64 s[44:45], 0
	v_mov_b32_e32 v5, 0
	v_mov_b32_e32 v6, 1
	s_and_saveexec_b64 s[4:5], s[8:9]
	s_cbranch_execz .LBB126_365
; %bb.356:                              ;   in Loop: Header=BB126_18 Depth=1
	v_cmp_ge_u64_e32 vcc, s[22:23], v[2:3]
                                        ; implicit-def: $sgpr12
                                        ; implicit-def: $sgpr8_sgpr9
	s_and_saveexec_b64 s[10:11], vcc
	s_xor_b64 s[10:11], exec, s[10:11]
	s_cbranch_execz .LBB126_362
; %bb.357:                              ;   in Loop: Header=BB126_18 Depth=1
	ds_read_b64 v[4:5], v15 offset:5120
	s_waitcnt lgkmcnt(0)
	v_cmp_ne_u64_e32 vcc, 0, v[4:5]
	s_cbranch_vccnz .LBB126_361
; %bb.358:                              ;   in Loop: Header=BB126_18 Depth=1
	s_mov_b64 s[8:9], exec
	v_readlane_b32 s12, v43, 32
	v_readlane_b32 s13, v43, 33
	s_and_b64 s[12:13], s[8:9], s[12:13]
	s_mov_b64 exec, s[12:13]
	s_cbranch_execz .LBB126_360
; %bb.359:                              ;   in Loop: Header=BB126_18 Depth=1
	v_pk_mov_b32 v[4:5], s[22:23], s[22:23] op_sel:[0,1]
	ds_write_b64 v15, v[4:5] offset:5128
.LBB126_360:                            ;   in Loop: Header=BB126_18 Depth=1
	s_or_b64 exec, exec, s[8:9]
	s_waitcnt lgkmcnt(0)
	s_barrier
.LBB126_361:                            ;   in Loop: Header=BB126_18 Depth=1
	v_and_b32_e32 v4, s46, v32
	v_lshl_or_b32 v32, 2, s47, v4
	v_or_b32_e32 v31, s94, v31
	s_mov_b64 s[8:9], 0
	s_mov_b32 s12, 5
.LBB126_362:                            ;   in Loop: Header=BB126_18 Depth=1
	s_or_saveexec_b64 s[10:11], s[10:11]
	v_mov_b32_e32 v6, s12
	s_xor_b64 exec, exec, s[10:11]
; %bb.363:                              ;   in Loop: Header=BB126_18 Depth=1
	v_mov_b32_e32 v4, s23
	v_subrev_co_u32_e32 v2, vcc, s22, v2
	v_subb_co_u32_e32 v3, vcc, v3, v4, vcc
	v_mov_b32_e32 v6, 0
	s_or_b64 s[8:9], s[8:9], exec
; %bb.364:                              ;   in Loop: Header=BB126_18 Depth=1
	s_or_b64 exec, exec, s[10:11]
	s_and_b64 s[44:45], s[8:9], exec
	v_pk_mov_b32 v[4:5], v[2:3], v[2:3] op_sel:[0,1]
.LBB126_365:                            ;   in Loop: Header=BB126_18 Depth=1
	s_or_b64 exec, exec, s[4:5]
	s_mov_b64 s[4:5], -1
                                        ; implicit-def: $sgpr8_sgpr9
                                        ; implicit-def: $sgpr10_sgpr11
                                        ; implicit-def: $sgpr12_sgpr13
	s_and_saveexec_b64 s[22:23], s[44:45]
	s_cbranch_execz .LBB126_462
; %bb.366:                              ;   in Loop: Header=BB126_18 Depth=1
	s_cmp_eq_u64 s[18:19], 1
	s_cselect_b64 s[4:5], -1, 0
	v_cmp_eq_u64_e32 vcc, 1, v[4:5]
	s_and_b64 s[50:51], s[4:5], vcc
	s_mov_b64 s[10:11], -1
                                        ; implicit-def: $sgpr8_sgpr9
                                        ; implicit-def: $sgpr44_sgpr45
                                        ; implicit-def: $sgpr80_sgpr81
	s_and_saveexec_b64 s[48:49], s[50:51]
	s_cbranch_execz .LBB126_398
; %bb.367:                              ;   in Loop: Header=BB126_18 Depth=1
	ds_read_b64 v[2:3], v15 offset:5120
	s_waitcnt lgkmcnt(0)
	s_barrier
	v_readfirstlane_b32 s4, v2
	v_readfirstlane_b32 s5, v3
	s_mov_b64 s[8:9], exec
	v_readlane_b32 s10, v43, 48
	v_readlane_b32 s11, v43, 49
	s_and_b64 s[10:11], s[8:9], s[10:11]
	s_mov_b64 exec, s[10:11]
	s_cbranch_execz .LBB126_369
; %bb.368:                              ;   in Loop: Header=BB126_18 Depth=1
	ds_write_b8 v0, v15 offset:3072
.LBB126_369:                            ;   in Loop: Header=BB126_18 Depth=1
	s_or_b64 exec, exec, s[8:9]
	v_and_b32_e32 v2, s46, v32
	v_lshl_or_b32 v32, 1, s47, v2
	v_or_b32_e32 v31, s94, v31
	s_cmp_eq_u64 s[4:5], 0
	s_waitcnt lgkmcnt(0)
	s_barrier
	s_cbranch_scc1 .LBB126_382
; %bb.370:                              ;   in Loop: Header=BB126_18 Depth=1
	v_readlane_b32 s8, v43, 52
	s_add_u32 s12, s8, s4
	v_readlane_b32 s8, v43, 54
	s_addc_u32 s9, s8, s5
	s_mov_b32 s8, s95
	s_cmp_lg_u64 s[8:9], 0
	s_cbranch_scc0 .LBB126_416
; %bb.371:                              ;   in Loop: Header=BB126_18 Depth=1
	v_cvt_f32_u32_e32 v2, s33
	s_sub_u32 s8, 0, s33
	s_subb_u32 s10, 0, 0
	v_mac_f32_e32 v2, 0, v30
	v_rcp_f32_e32 v2, v2
	v_mul_f32_e32 v2, 0x5f7ffffc, v2
	v_mul_f32_e32 v3, 0x2f800000, v2
	v_trunc_f32_e32 v3, v3
	v_mac_f32_e32 v2, 0xcf800000, v3
	v_cvt_u32_f32_e32 v3, v3
	v_cvt_u32_f32_e32 v2, v2
	v_readfirstlane_b32 s11, v3
	v_readfirstlane_b32 s13, v2
	s_mul_i32 s44, s8, s11
	s_mul_hi_u32 s52, s8, s13
	s_mul_i32 s45, s10, s13
	s_add_i32 s44, s52, s44
	s_mul_i32 s53, s8, s13
	s_add_i32 s44, s44, s45
	s_mul_hi_u32 s52, s13, s53
	s_mul_hi_u32 s45, s13, s44
	s_mul_i32 s13, s13, s44
	s_add_u32 s13, s52, s13
	s_addc_u32 s45, 0, s45
	s_mul_hi_u32 s54, s11, s53
	s_mul_i32 s53, s11, s53
	s_add_u32 s13, s13, s53
	s_mul_hi_u32 s52, s11, s44
	s_addc_u32 s13, s45, s54
	s_addc_u32 s45, s52, 0
	s_mul_i32 s44, s11, s44
	s_add_u32 s13, s13, s44
	s_addc_u32 s44, 0, s45
	v_add_co_u32_e32 v2, vcc, s13, v2
	s_cmp_lg_u64 vcc, 0
	s_addc_u32 s11, s11, s44
	v_readfirstlane_b32 s44, v2
	s_mul_i32 s13, s8, s11
	s_mul_hi_u32 s45, s8, s44
	s_add_i32 s13, s45, s13
	s_mul_i32 s10, s10, s44
	s_add_i32 s13, s13, s10
	s_mul_i32 s8, s8, s44
	s_mul_hi_u32 s45, s11, s8
	s_mul_i32 s52, s11, s8
	s_mul_i32 s54, s44, s13
	s_mul_hi_u32 s8, s44, s8
	s_mul_hi_u32 s53, s44, s13
	s_add_u32 s8, s8, s54
	s_addc_u32 s44, 0, s53
	s_add_u32 s8, s8, s52
	s_mul_hi_u32 s10, s11, s13
	s_addc_u32 s8, s44, s45
	s_addc_u32 s10, s10, 0
	s_mul_i32 s13, s11, s13
	s_add_u32 s8, s8, s13
	s_addc_u32 s10, 0, s10
	v_add_co_u32_e32 v2, vcc, s8, v2
	s_cmp_lg_u64 vcc, 0
	s_addc_u32 s8, s11, s10
	v_readfirstlane_b32 s13, v2
	s_mul_i32 s11, s12, s8
	s_mul_hi_u32 s44, s12, s13
	s_mul_hi_u32 s10, s12, s8
	s_add_u32 s11, s44, s11
	s_addc_u32 s10, 0, s10
	s_mul_hi_u32 s45, s9, s13
	s_mul_i32 s13, s9, s13
	s_add_u32 s11, s11, s13
	s_mul_hi_u32 s44, s9, s8
	s_addc_u32 s10, s10, s45
	s_addc_u32 s11, s44, 0
	s_mul_i32 s8, s9, s8
	s_add_u32 s8, s10, s8
	s_addc_u32 s10, 0, s11
	s_mul_hi_u32 s11, s33, s8
	s_mul_i32 s8, s33, s8
	s_mul_i32 s10, s33, s10
	v_mov_b32_e32 v2, s8
	s_add_i32 s11, s11, s10
	v_sub_co_u32_e32 v2, vcc, s12, v2
	s_cmp_lg_u64 vcc, 0
	s_subb_u32 s8, s9, s11
	v_subrev_co_u32_e32 v3, vcc, s33, v2
	s_cmp_lg_u64 vcc, 0
	s_subb_u32 s10, s8, 0
	v_subrev_co_u32_e32 v6, vcc, s33, v3
	s_cmp_lg_u64 vcc, 0
	s_subb_u32 s11, s10, 0
	v_cmp_le_u32_e32 vcc, s33, v3
	s_cmp_eq_u32 s10, 0
	v_cndmask_b32_e64 v7, 0, -1, vcc
	s_cselect_b64 vcc, -1, 0
	v_cndmask_b32_e32 v7, -1, v7, vcc
	v_mov_b32_e32 v8, s10
	v_mov_b32_e32 v9, s11
	v_cmp_ne_u32_e32 vcc, 0, v7
	v_cndmask_b32_e32 v7, v8, v9, vcc
	v_cndmask_b32_e32 v6, v3, v6, vcc
	v_cmp_le_u32_e32 vcc, s33, v2
	s_cmp_eq_u32 s8, 0
	v_cndmask_b32_e64 v3, 0, -1, vcc
	s_cselect_b64 vcc, -1, 0
	v_cndmask_b32_e32 v3, -1, v3, vcc
	v_mov_b32_e32 v8, s8
	v_cmp_ne_u32_e32 vcc, 0, v3
	v_cndmask_b32_e32 v3, v8, v7, vcc
	v_cndmask_b32_e32 v2, v2, v6, vcc
	s_cbranch_execnz .LBB126_373
.LBB126_372:                            ;   in Loop: Header=BB126_18 Depth=1
	v_cvt_f32_u32_e32 v2, s33
	s_sub_i32 s8, 0, s33
	v_rcp_iflag_f32_e32 v2, v2
	v_mul_f32_e32 v2, 0x4f7ffffe, v2
	v_cvt_u32_f32_e32 v2, v2
	v_mul_lo_u32 v3, s8, v2
	v_mul_hi_u32 v3, v2, v3
	v_add_u32_e32 v2, v2, v3
	v_mul_hi_u32 v2, s12, v2
	v_mul_lo_u32 v2, v2, s33
	v_sub_u32_e32 v2, s12, v2
	v_subrev_u32_e32 v3, s33, v2
	v_cmp_le_u32_e32 vcc, s33, v2
	v_cndmask_b32_e32 v2, v2, v3, vcc
	v_subrev_u32_e32 v3, s33, v2
	v_cmp_le_u32_e32 vcc, s33, v2
	v_cndmask_b32_e32 v14, v2, v3, vcc
	v_pk_mov_b32 v[2:3], v[14:15], v[14:15] op_sel:[0,1]
.LBB126_373:                            ;   in Loop: Header=BB126_18 Depth=1
	v_mov_b32_e32 v6, s9
	v_sub_co_u32_e32 v2, vcc, s12, v2
	v_subb_co_u32_e32 v3, vcc, v6, v3, vcc
	v_cmp_gt_u64_e32 vcc, v[2:3], v[0:1]
	s_mov_b64 s[10:11], 0
                                        ; implicit-def: $vgpr33
	s_and_saveexec_b64 s[8:9], vcc
	s_cbranch_execz .LBB126_384
; %bb.374:                              ;   in Loop: Header=BB126_18 Depth=1
	v_mov_b32_e32 v8, v0
	v_pk_mov_b32 v[6:7], v[0:1], v[0:1] op_sel:[0,1]
                                        ; implicit-def: $sgpr12_sgpr13
	s_branch .LBB126_376
.LBB126_375:                            ;   in Loop: Header=BB126_376 Depth=2
	s_or_b64 exec, exec, s[44:45]
	s_waitcnt lgkmcnt(0)
	s_barrier
	ds_read_u16 v9, v15 offset:3072
	v_mov_b32_e32 v14, s92
	v_add_co_u32_e32 v6, vcc, s33, v6
	v_addc_co_u32_e32 v7, vcc, v7, v14, vcc
	s_waitcnt lgkmcnt(0)
	v_cmp_ne_u16_sdwa s[44:45], v9, v15 src0_sel:BYTE_0 src1_sel:DWORD
	v_cmp_ge_u64_e32 vcc, v[6:7], v[2:3]
	s_or_b64 s[52:53], vcc, s[44:45]
	s_and_b64 s[52:53], exec, s[52:53]
	s_or_b64 s[10:11], s[52:53], s[10:11]
	s_andn2_b64 s[12:13], s[12:13], exec
	s_and_b64 s[44:45], s[44:45], exec
	v_add_u32_e32 v8, s33, v8
	s_or_b64 s[12:13], s[12:13], s[44:45]
	s_barrier
	s_andn2_b64 exec, exec, s[10:11]
	s_cbranch_execz .LBB126_383
.LBB126_376:                            ;   Parent Loop BB126_18 Depth=1
                                        ; =>  This Inner Loop Header: Depth=2
	v_cmp_gt_u64_e32 vcc, s[4:5], v[6:7]
	v_mov_b32_e32 v9, 0
	s_and_saveexec_b64 s[44:45], vcc
	s_cbranch_execz .LBB126_378
; %bb.377:                              ;   in Loop: Header=BB126_376 Depth=2
	ds_read_u8 v9, v8
.LBB126_378:                            ;   in Loop: Header=BB126_376 Depth=2
	s_or_b64 exec, exec, s[44:45]
	s_waitcnt lgkmcnt(0)
	v_and_b32_e32 v14, v9, v31
	v_cmp_eq_u32_sdwa s[44:45], v14, v32 src0_sel:BYTE_0 src1_sel:DWORD
	s_and_b64 s[52:53], vcc, s[44:45]
	s_and_saveexec_b64 s[44:45], s[52:53]
	s_cbranch_execz .LBB126_375
; %bb.379:                              ;   in Loop: Header=BB126_376 Depth=2
	v_lshlrev_b16_e32 v9, 8, v9
	v_or_b32_e32 v9, 1, v9
	ds_write_b16 v15, v9 offset:3072
	s_branch .LBB126_375
.LBB126_380:                            ;   in Loop: Header=BB126_18 Depth=1
                                        ; implicit-def: $vgpr4_vgpr5
	s_branch .LBB126_328
.LBB126_381:                            ;   in Loop: Header=BB126_18 Depth=1
                                        ; implicit-def: $vgpr4_vgpr5
	s_branch .LBB126_343
.LBB126_382:                            ;   in Loop: Header=BB126_18 Depth=1
	s_mov_b64 s[8:9], -1
	s_mov_b64 s[10:11], 0
                                        ; implicit-def: $sgpr44_sgpr45
                                        ; implicit-def: $vgpr33
	s_mov_b64 s[80:81], s[8:9]
	s_cbranch_execnz .LBB126_385
	s_branch .LBB126_397
.LBB126_383:                            ;   in Loop: Header=BB126_18 Depth=1
	s_or_b64 exec, exec, s[10:11]
	v_lshrrev_b16_e32 v33, 8, v9
	s_and_b64 s[10:11], s[12:13], exec
.LBB126_384:                            ;   in Loop: Header=BB126_18 Depth=1
	s_or_b64 exec, exec, s[8:9]
	s_mov_b64 s[8:9], 0
	s_mov_b64 s[44:45], -1
	s_mov_b64 s[80:81], s[8:9]
	s_branch .LBB126_397
.LBB126_385:                            ;   in Loop: Header=BB126_18 Depth=1
	s_mov_b32 s74, s95
	s_cmp_lg_u64 s[74:75], 0
	s_cbranch_scc0 .LBB126_417
; %bb.386:                              ;   in Loop: Header=BB126_18 Depth=1
	v_cvt_f32_u32_e32 v2, s33
	s_sub_u32 s4, 0, s33
	s_subb_u32 s5, 0, 0
	v_mac_f32_e32 v2, 0, v30
	v_rcp_f32_e32 v2, v2
	v_mul_f32_e32 v2, 0x5f7ffffc, v2
	v_mul_f32_e32 v3, 0x2f800000, v2
	v_trunc_f32_e32 v3, v3
	v_mac_f32_e32 v2, 0xcf800000, v3
	v_cvt_u32_f32_e32 v3, v3
	v_cvt_u32_f32_e32 v2, v2
	v_readfirstlane_b32 s8, v3
	v_readfirstlane_b32 s9, v2
	s_mul_i32 s10, s4, s8
	s_mul_hi_u32 s12, s4, s9
	s_mul_i32 s11, s5, s9
	s_add_i32 s10, s12, s10
	s_mul_i32 s13, s4, s9
	s_add_i32 s10, s10, s11
	s_mul_hi_u32 s12, s9, s13
	s_mul_hi_u32 s11, s9, s10
	s_mul_i32 s9, s9, s10
	s_add_u32 s9, s12, s9
	s_addc_u32 s11, 0, s11
	s_mul_hi_u32 s44, s8, s13
	s_mul_i32 s13, s8, s13
	s_add_u32 s9, s9, s13
	s_mul_hi_u32 s12, s8, s10
	s_addc_u32 s9, s11, s44
	s_addc_u32 s11, s12, 0
	s_mul_i32 s10, s8, s10
	s_add_u32 s9, s9, s10
	s_addc_u32 s10, 0, s11
	v_add_co_u32_e32 v2, vcc, s9, v2
	s_cmp_lg_u64 vcc, 0
	s_addc_u32 s8, s8, s10
	v_readfirstlane_b32 s10, v2
	s_mul_i32 s9, s4, s8
	s_mul_hi_u32 s11, s4, s10
	s_add_i32 s9, s11, s9
	s_mul_i32 s5, s5, s10
	s_add_i32 s9, s9, s5
	s_mul_i32 s4, s4, s10
	s_mul_hi_u32 s11, s8, s4
	s_mul_i32 s12, s8, s4
	s_mul_i32 s44, s10, s9
	s_mul_hi_u32 s4, s10, s4
	s_mul_hi_u32 s13, s10, s9
	s_add_u32 s4, s4, s44
	s_addc_u32 s10, 0, s13
	s_add_u32 s4, s4, s12
	s_mul_hi_u32 s5, s8, s9
	s_addc_u32 s4, s10, s11
	s_addc_u32 s5, s5, 0
	s_mul_i32 s9, s8, s9
	s_add_u32 s4, s4, s9
	s_addc_u32 s5, 0, s5
	v_add_co_u32_e32 v2, vcc, s4, v2
	s_cmp_lg_u64 vcc, 0
	s_addc_u32 s4, s8, s5
	v_readlane_b32 s12, v43, 53
	v_readfirstlane_b32 s9, v2
	s_mul_i32 s8, s12, s4
	s_mul_hi_u32 s10, s12, s9
	s_mul_hi_u32 s5, s12, s4
	s_add_u32 s8, s10, s8
	s_addc_u32 s5, 0, s5
	s_mul_hi_u32 s11, s75, s9
	s_mul_i32 s9, s75, s9
	s_add_u32 s8, s8, s9
	s_mul_hi_u32 s10, s75, s4
	s_addc_u32 s5, s5, s11
	s_addc_u32 s8, s10, 0
	s_mul_i32 s4, s75, s4
	s_add_u32 s4, s5, s4
	s_addc_u32 s5, 0, s8
	s_mul_hi_u32 s8, s33, s4
	s_mul_i32 s4, s33, s4
	s_mul_i32 s5, s33, s5
	v_mov_b32_e32 v2, s4
	s_add_i32 s8, s8, s5
	v_sub_co_u32_e32 v2, vcc, s12, v2
	s_cmp_lg_u64 vcc, 0
	s_subb_u32 s4, s75, s8
	v_subrev_co_u32_e32 v3, vcc, s33, v2
	s_cmp_lg_u64 vcc, 0
	s_subb_u32 s5, s4, 0
	v_subrev_co_u32_e32 v6, vcc, s33, v3
	s_cmp_lg_u64 vcc, 0
	s_subb_u32 s8, s5, 0
	v_cmp_le_u32_e32 vcc, s33, v3
	s_cmp_eq_u32 s5, 0
	v_cndmask_b32_e64 v7, 0, -1, vcc
	s_cselect_b64 vcc, -1, 0
	v_cndmask_b32_e32 v7, -1, v7, vcc
	v_mov_b32_e32 v8, s5
	v_mov_b32_e32 v9, s8
	v_cmp_ne_u32_e32 vcc, 0, v7
	v_cndmask_b32_e32 v7, v8, v9, vcc
	v_cndmask_b32_e32 v6, v3, v6, vcc
	v_cmp_le_u32_e32 vcc, s33, v2
	s_cmp_eq_u32 s4, 0
	v_cndmask_b32_e64 v3, 0, -1, vcc
	s_cselect_b64 vcc, -1, 0
	v_cndmask_b32_e32 v3, -1, v3, vcc
	v_mov_b32_e32 v8, s4
	v_cmp_ne_u32_e32 vcc, 0, v3
	v_cndmask_b32_e32 v3, v8, v7, vcc
	v_cndmask_b32_e32 v2, v2, v6, vcc
	s_cbranch_execnz .LBB126_388
.LBB126_387:                            ;   in Loop: Header=BB126_18 Depth=1
	v_cvt_f32_u32_e32 v2, s33
	s_sub_i32 s4, 0, s33
	v_rcp_iflag_f32_e32 v2, v2
	v_mul_f32_e32 v2, 0x4f7ffffe, v2
	v_cvt_u32_f32_e32 v2, v2
	v_mul_lo_u32 v3, s4, v2
	v_mul_hi_u32 v3, v2, v3
	v_add_u32_e32 v2, v2, v3
	v_readlane_b32 s4, v43, 53
	v_mul_hi_u32 v2, s4, v2
	v_mul_lo_u32 v2, v2, s33
	v_sub_u32_e32 v2, s4, v2
	v_subrev_u32_e32 v3, s33, v2
	v_cmp_le_u32_e32 vcc, s33, v2
	v_cndmask_b32_e32 v2, v2, v3, vcc
	v_subrev_u32_e32 v3, s33, v2
	v_cmp_le_u32_e32 vcc, s33, v2
	v_cndmask_b32_e32 v14, v2, v3, vcc
	v_pk_mov_b32 v[2:3], v[14:15], v[14:15] op_sel:[0,1]
.LBB126_388:                            ;   in Loop: Header=BB126_18 Depth=1
	v_readlane_b32 s4, v43, 53
	v_mov_b32_e32 v6, s75
	v_sub_co_u32_e32 v2, vcc, s4, v2
	v_subb_co_u32_e32 v3, vcc, v6, v3, vcc
	v_cmp_gt_u64_e32 vcc, v[2:3], v[0:1]
	s_mov_b64 s[10:11], 0
                                        ; implicit-def: $vgpr33
	s_and_saveexec_b64 s[4:5], vcc
	s_cbranch_execz .LBB126_396
; %bb.389:                              ;   in Loop: Header=BB126_18 Depth=1
	s_mov_b64 s[8:9], 0
	v_pk_mov_b32 v[6:7], v[0:1], v[0:1] op_sel:[0,1]
                                        ; implicit-def: $sgpr10_sgpr11
	s_branch .LBB126_391
.LBB126_390:                            ;   in Loop: Header=BB126_391 Depth=2
	s_or_b64 exec, exec, s[12:13]
	s_waitcnt lgkmcnt(0)
	s_barrier
	ds_read_u16 v8, v15 offset:3072
	v_mov_b32_e32 v9, s92
	v_add_co_u32_e32 v6, vcc, s33, v6
	v_addc_co_u32_e32 v7, vcc, v7, v9, vcc
	s_waitcnt lgkmcnt(0)
	v_cmp_ne_u16_sdwa s[12:13], v8, v15 src0_sel:BYTE_0 src1_sel:DWORD
	v_cmp_ge_u64_e32 vcc, v[6:7], v[2:3]
	s_or_b64 s[44:45], vcc, s[12:13]
	s_and_b64 s[44:45], exec, s[44:45]
	s_or_b64 s[8:9], s[44:45], s[8:9]
	s_andn2_b64 s[10:11], s[10:11], exec
	s_and_b64 s[12:13], s[12:13], exec
	s_or_b64 s[10:11], s[10:11], s[12:13]
	s_barrier
	s_andn2_b64 exec, exec, s[8:9]
	s_cbranch_execz .LBB126_395
.LBB126_391:                            ;   Parent Loop BB126_18 Depth=1
                                        ; =>  This Inner Loop Header: Depth=2
	v_cmp_gt_u64_e32 vcc, s[60:61], v[6:7]
	v_mov_b32_e32 v8, 0
	s_and_saveexec_b64 s[12:13], vcc
	s_cbranch_execz .LBB126_393
; %bb.392:                              ;   in Loop: Header=BB126_391 Depth=2
	v_pk_mov_b32 v[8:9], s[56:57], s[56:57] op_sel:[0,1]
	v_mad_u64_u32 v[8:9], s[44:45], v6, s58, v[8:9]
	v_mul_lo_u32 v14, v6, s59
	v_mul_lo_u32 v20, v7, s58
	v_add3_u32 v9, v20, v9, v14
	global_load_ubyte v8, v[8:9], off
.LBB126_393:                            ;   in Loop: Header=BB126_391 Depth=2
	s_or_b64 exec, exec, s[12:13]
	s_waitcnt vmcnt(0)
	v_and_b32_e32 v9, v8, v31
	v_cmp_eq_u32_sdwa s[12:13], v9, v32 src0_sel:BYTE_0 src1_sel:DWORD
	s_and_b64 s[44:45], vcc, s[12:13]
	s_and_saveexec_b64 s[12:13], s[44:45]
	s_cbranch_execz .LBB126_390
; %bb.394:                              ;   in Loop: Header=BB126_391 Depth=2
	v_lshlrev_b16_e32 v8, 8, v8
	v_or_b32_e32 v8, 1, v8
	ds_write_b16 v15, v8 offset:3072
	s_branch .LBB126_390
.LBB126_395:                            ;   in Loop: Header=BB126_18 Depth=1
	s_or_b64 exec, exec, s[8:9]
	v_lshrrev_b16_e32 v33, 8, v8
	s_and_b64 s[10:11], s[10:11], exec
.LBB126_396:                            ;   in Loop: Header=BB126_18 Depth=1
	s_or_b64 exec, exec, s[4:5]
	s_mov_b64 s[44:45], 0
	s_mov_b64 s[8:9], -1
	s_mov_b64 s[80:81], 0
.LBB126_397:                            ;   in Loop: Header=BB126_18 Depth=1
	s_orn2_b64 s[10:11], s[10:11], exec
.LBB126_398:                            ;   in Loop: Header=BB126_18 Depth=1
	s_or_b64 exec, exec, s[48:49]
	s_mov_b64 s[4:5], 0
                                        ; implicit-def: $vgpr6
	s_and_saveexec_b64 s[48:49], s[10:11]
	s_cbranch_execz .LBB126_461
; %bb.399:                              ;   in Loop: Header=BB126_18 Depth=1
	v_mov_b32_e32 v2, 1
	s_xor_b64 s[10:11], s[50:51], -1
	s_mov_b64 s[52:53], 0
	v_mov_b32_e32 v3, 0
	v_mov_b32_e32 v6, 1
	s_and_saveexec_b64 s[4:5], s[10:11]
	s_cbranch_execz .LBB126_409
; %bb.400:                              ;   in Loop: Header=BB126_18 Depth=1
	v_cmp_ge_u64_e32 vcc, s[18:19], v[4:5]
                                        ; implicit-def: $sgpr50
                                        ; implicit-def: $sgpr10_sgpr11
	s_and_saveexec_b64 s[12:13], vcc
	s_xor_b64 s[12:13], exec, s[12:13]
	s_cbranch_execz .LBB126_406
; %bb.401:                              ;   in Loop: Header=BB126_18 Depth=1
	ds_read_b64 v[2:3], v15 offset:5120
	s_waitcnt lgkmcnt(0)
	v_cmp_ne_u64_e32 vcc, 0, v[2:3]
	s_cbranch_vccnz .LBB126_405
; %bb.402:                              ;   in Loop: Header=BB126_18 Depth=1
	s_mov_b64 s[10:11], exec
	v_readlane_b32 s50, v43, 32
	v_readlane_b32 s51, v43, 33
	s_and_b64 s[50:51], s[10:11], s[50:51]
	s_mov_b64 exec, s[50:51]
	s_cbranch_execz .LBB126_404
; %bb.403:                              ;   in Loop: Header=BB126_18 Depth=1
	v_pk_mov_b32 v[2:3], s[18:19], s[18:19] op_sel:[0,1]
	ds_write_b64 v15, v[2:3] offset:5128
.LBB126_404:                            ;   in Loop: Header=BB126_18 Depth=1
	s_or_b64 exec, exec, s[10:11]
	s_waitcnt lgkmcnt(0)
	s_barrier
.LBB126_405:                            ;   in Loop: Header=BB126_18 Depth=1
	v_and_b32_e32 v2, s46, v32
	v_lshl_or_b32 v32, 1, s47, v2
	v_or_b32_e32 v31, s94, v31
	s_mov_b64 s[10:11], 0
	s_mov_b32 s50, 5
.LBB126_406:                            ;   in Loop: Header=BB126_18 Depth=1
	s_or_saveexec_b64 s[12:13], s[12:13]
	v_mov_b32_e32 v6, s50
	s_xor_b64 exec, exec, s[12:13]
; %bb.407:                              ;   in Loop: Header=BB126_18 Depth=1
	v_mov_b32_e32 v2, s19
	v_subrev_co_u32_e32 v4, vcc, s18, v4
	v_subb_co_u32_e32 v5, vcc, v5, v2, vcc
	v_mov_b32_e32 v6, 0
	s_or_b64 s[10:11], s[10:11], exec
; %bb.408:                              ;   in Loop: Header=BB126_18 Depth=1
	s_or_b64 exec, exec, s[12:13]
	s_and_b64 s[52:53], s[10:11], exec
	v_pk_mov_b32 v[2:3], v[4:5], v[4:5] op_sel:[0,1]
.LBB126_409:                            ;   in Loop: Header=BB126_18 Depth=1
	s_or_b64 exec, exec, s[4:5]
	s_mov_b64 s[50:51], -1
                                        ; implicit-def: $sgpr4_sgpr5
                                        ; implicit-def: $sgpr10_sgpr11
                                        ; implicit-def: $sgpr12_sgpr13
	s_and_saveexec_b64 s[18:19], s[52:53]
	s_cbranch_execz .LBB126_460
; %bb.410:                              ;   in Loop: Header=BB126_18 Depth=1
	s_cmp_eq_u64 s[16:17], 1
	s_cselect_b64 s[4:5], -1, 0
	v_cmp_eq_u64_e32 vcc, 1, v[2:3]
	s_and_b64 s[50:51], s[4:5], vcc
	s_mov_b64 s[54:55], -1
                                        ; implicit-def: $sgpr4_sgpr5
                                        ; implicit-def: $sgpr10_sgpr11
                                        ; implicit-def: $sgpr12_sgpr13
	s_and_saveexec_b64 s[52:53], s[50:51]
	s_cbranch_execz .LBB126_447
; %bb.411:                              ;   in Loop: Header=BB126_18 Depth=1
	ds_read_b64 v[4:5], v15 offset:5120
	s_waitcnt lgkmcnt(0)
	s_barrier
	v_readfirstlane_b32 s4, v4
	v_readfirstlane_b32 s5, v5
	s_mov_b64 s[10:11], exec
	v_readlane_b32 s12, v43, 48
	v_readlane_b32 s13, v43, 49
	s_and_b64 s[12:13], s[10:11], s[12:13]
	s_mov_b64 exec, s[12:13]
	s_cbranch_execz .LBB126_413
; %bb.412:                              ;   in Loop: Header=BB126_18 Depth=1
	ds_write_b8 v0, v15 offset:3072
.LBB126_413:                            ;   in Loop: Header=BB126_18 Depth=1
	s_or_b64 exec, exec, s[10:11]
	v_and_b32_e32 v32, s46, v32
	v_or_b32_e32 v31, s94, v31
	s_cmp_eq_u64 s[4:5], 0
	s_waitcnt lgkmcnt(0)
	s_barrier
	s_cbranch_scc1 .LBB126_418
; %bb.414:                              ;   in Loop: Header=BB126_18 Depth=1
	v_readlane_b32 s10, v43, 52
	s_add_u32 s47, s10, s4
	v_readlane_b32 s10, v43, 54
	s_addc_u32 s11, s10, s5
	s_mov_b32 s10, s95
	s_cmp_lg_u64 s[10:11], 0
	s_cbranch_scc0 .LBB126_419
; %bb.415:                              ;   in Loop: Header=BB126_18 Depth=1
	v_cvt_f32_u32_e32 v4, s33
	s_sub_u32 s10, 0, s33
	s_subb_u32 s12, 0, 0
	v_mac_f32_e32 v4, 0, v30
	v_rcp_f32_e32 v4, v4
	v_mul_f32_e32 v4, 0x5f7ffffc, v4
	v_mul_f32_e32 v5, 0x2f800000, v4
	v_trunc_f32_e32 v5, v5
	v_mac_f32_e32 v4, 0xcf800000, v5
	v_cvt_u32_f32_e32 v5, v5
	v_cvt_u32_f32_e32 v4, v4
	v_readfirstlane_b32 s13, v5
	v_readfirstlane_b32 s54, v4
	s_mul_i32 s55, s10, s13
	s_mul_hi_u32 s73, s10, s54
	s_mul_i32 s72, s12, s54
	s_add_i32 s55, s73, s55
	s_mul_i32 s74, s10, s54
	s_add_i32 s55, s55, s72
	s_mul_hi_u32 s73, s54, s74
	s_mul_hi_u32 s72, s54, s55
	s_mul_i32 s54, s54, s55
	s_add_u32 s54, s73, s54
	s_addc_u32 s72, 0, s72
	s_mul_hi_u32 s90, s13, s74
	s_mul_i32 s74, s13, s74
	s_add_u32 s54, s54, s74
	s_mul_hi_u32 s73, s13, s55
	s_addc_u32 s54, s72, s90
	s_addc_u32 s72, s73, 0
	s_mul_i32 s55, s13, s55
	s_add_u32 s54, s54, s55
	s_addc_u32 s55, 0, s72
	v_add_co_u32_e32 v4, vcc, s54, v4
	s_cmp_lg_u64 vcc, 0
	s_addc_u32 s13, s13, s55
	v_readfirstlane_b32 s55, v4
	s_mul_i32 s54, s10, s13
	s_mul_hi_u32 s72, s10, s55
	s_add_i32 s54, s72, s54
	s_mul_i32 s12, s12, s55
	s_add_i32 s54, s54, s12
	s_mul_i32 s10, s10, s55
	s_mul_hi_u32 s72, s13, s10
	s_mul_i32 s73, s13, s10
	s_mul_i32 s90, s55, s54
	s_mul_hi_u32 s10, s55, s10
	s_mul_hi_u32 s74, s55, s54
	s_add_u32 s10, s10, s90
	s_addc_u32 s55, 0, s74
	s_add_u32 s10, s10, s73
	s_mul_hi_u32 s12, s13, s54
	s_addc_u32 s10, s55, s72
	s_addc_u32 s12, s12, 0
	s_mul_i32 s54, s13, s54
	s_add_u32 s10, s10, s54
	s_addc_u32 s12, 0, s12
	v_add_co_u32_e32 v4, vcc, s10, v4
	s_cmp_lg_u64 vcc, 0
	s_addc_u32 s10, s13, s12
	v_readfirstlane_b32 s54, v4
	s_mul_i32 s13, s47, s10
	s_mul_hi_u32 s55, s47, s54
	s_mul_hi_u32 s12, s47, s10
	s_add_u32 s13, s55, s13
	s_addc_u32 s12, 0, s12
	s_mul_hi_u32 s72, s11, s54
	s_mul_i32 s54, s11, s54
	s_add_u32 s13, s13, s54
	s_mul_hi_u32 s55, s11, s10
	s_addc_u32 s12, s12, s72
	s_addc_u32 s13, s55, 0
	s_mul_i32 s10, s11, s10
	s_add_u32 s10, s12, s10
	s_addc_u32 s12, 0, s13
	s_mul_hi_u32 s13, s33, s10
	s_mul_i32 s10, s33, s10
	s_mul_i32 s12, s33, s12
	v_mov_b32_e32 v4, s10
	s_add_i32 s13, s13, s12
	v_sub_co_u32_e32 v4, vcc, s47, v4
	s_cmp_lg_u64 vcc, 0
	s_subb_u32 s10, s11, s13
	v_subrev_co_u32_e32 v5, vcc, s33, v4
	s_cmp_lg_u64 vcc, 0
	s_subb_u32 s12, s10, 0
	v_subrev_co_u32_e32 v6, vcc, s33, v5
	s_cmp_lg_u64 vcc, 0
	s_subb_u32 s13, s12, 0
	v_cmp_le_u32_e32 vcc, s33, v5
	s_cmp_eq_u32 s12, 0
	v_cndmask_b32_e64 v7, 0, -1, vcc
	s_cselect_b64 vcc, -1, 0
	v_cndmask_b32_e32 v7, -1, v7, vcc
	v_mov_b32_e32 v8, s12
	v_mov_b32_e32 v9, s13
	v_cmp_ne_u32_e32 vcc, 0, v7
	v_cndmask_b32_e32 v7, v8, v9, vcc
	v_cndmask_b32_e32 v6, v5, v6, vcc
	v_cmp_le_u32_e32 vcc, s33, v4
	s_cmp_eq_u32 s10, 0
	v_cndmask_b32_e64 v5, 0, -1, vcc
	s_cselect_b64 vcc, -1, 0
	v_cndmask_b32_e32 v5, -1, v5, vcc
	v_mov_b32_e32 v8, s10
	v_cmp_ne_u32_e32 vcc, 0, v5
	v_cndmask_b32_e32 v5, v8, v7, vcc
	v_cndmask_b32_e32 v4, v4, v6, vcc
	s_mov_b64 s[12:13], 0
	s_branch .LBB126_420
.LBB126_416:                            ;   in Loop: Header=BB126_18 Depth=1
                                        ; implicit-def: $vgpr2_vgpr3
	s_branch .LBB126_372
.LBB126_417:                            ;   in Loop: Header=BB126_18 Depth=1
                                        ; implicit-def: $vgpr2_vgpr3
	s_branch .LBB126_387
.LBB126_418:                            ;   in Loop: Header=BB126_18 Depth=1
	s_mov_b64 s[4:5], -1
	s_mov_b64 s[54:55], 0
                                        ; implicit-def: $sgpr10_sgpr11
                                        ; implicit-def: $vgpr33
	s_branch .LBB126_431
.LBB126_419:                            ;   in Loop: Header=BB126_18 Depth=1
	s_mov_b64 s[12:13], -1
                                        ; implicit-def: $vgpr4_vgpr5
.LBB126_420:                            ;   in Loop: Header=BB126_18 Depth=1
	s_andn2_b64 vcc, exec, s[12:13]
	s_cbranch_vccnz .LBB126_422
; %bb.421:                              ;   in Loop: Header=BB126_18 Depth=1
	v_cvt_f32_u32_e32 v4, s33
	s_sub_i32 s10, 0, s33
	v_rcp_iflag_f32_e32 v4, v4
	v_mul_f32_e32 v4, 0x4f7ffffe, v4
	v_cvt_u32_f32_e32 v4, v4
	v_mul_lo_u32 v5, s10, v4
	v_mul_hi_u32 v5, v4, v5
	v_add_u32_e32 v4, v4, v5
	v_mul_hi_u32 v4, s47, v4
	v_mul_lo_u32 v4, v4, s33
	v_sub_u32_e32 v4, s47, v4
	v_subrev_u32_e32 v5, s33, v4
	v_cmp_le_u32_e32 vcc, s33, v4
	v_cndmask_b32_e32 v4, v4, v5, vcc
	v_subrev_u32_e32 v5, s33, v4
	v_cmp_le_u32_e32 vcc, s33, v4
	v_cndmask_b32_e32 v14, v4, v5, vcc
	v_pk_mov_b32 v[4:5], v[14:15], v[14:15] op_sel:[0,1]
.LBB126_422:                            ;   in Loop: Header=BB126_18 Depth=1
	v_mov_b32_e32 v6, s11
	v_sub_co_u32_e32 v4, vcc, s47, v4
	v_subb_co_u32_e32 v5, vcc, v6, v5, vcc
	v_cmp_gt_u64_e32 vcc, v[4:5], v[0:1]
	s_mov_b64 s[54:55], 0
                                        ; implicit-def: $vgpr33
	s_and_saveexec_b64 s[10:11], vcc
	s_cbranch_execz .LBB126_430
; %bb.423:                              ;   in Loop: Header=BB126_18 Depth=1
	s_mov_b64 s[12:13], 0
	v_mov_b32_e32 v8, v0
	v_pk_mov_b32 v[6:7], v[0:1], v[0:1] op_sel:[0,1]
                                        ; implicit-def: $sgpr54_sgpr55
	s_branch .LBB126_425
.LBB126_424:                            ;   in Loop: Header=BB126_425 Depth=2
	s_or_b64 exec, exec, s[72:73]
	s_waitcnt lgkmcnt(0)
	s_barrier
	ds_read_u16 v9, v15 offset:3072
	v_mov_b32_e32 v14, s92
	v_add_co_u32_e32 v6, vcc, s33, v6
	v_addc_co_u32_e32 v7, vcc, v7, v14, vcc
	s_waitcnt lgkmcnt(0)
	v_cmp_ne_u16_sdwa s[72:73], v9, v15 src0_sel:BYTE_0 src1_sel:DWORD
	v_cmp_ge_u64_e32 vcc, v[6:7], v[4:5]
	s_or_b64 s[90:91], vcc, s[72:73]
	s_and_b64 s[90:91], exec, s[90:91]
	s_or_b64 s[12:13], s[90:91], s[12:13]
	s_andn2_b64 s[54:55], s[54:55], exec
	s_and_b64 s[72:73], s[72:73], exec
	v_add_u32_e32 v8, s33, v8
	s_or_b64 s[54:55], s[54:55], s[72:73]
	s_barrier
	s_andn2_b64 exec, exec, s[12:13]
	s_cbranch_execz .LBB126_429
.LBB126_425:                            ;   Parent Loop BB126_18 Depth=1
                                        ; =>  This Inner Loop Header: Depth=2
	v_cmp_gt_u64_e32 vcc, s[4:5], v[6:7]
	v_mov_b32_e32 v9, 0
	s_and_saveexec_b64 s[72:73], vcc
	s_cbranch_execz .LBB126_427
; %bb.426:                              ;   in Loop: Header=BB126_425 Depth=2
	ds_read_u8 v9, v8
.LBB126_427:                            ;   in Loop: Header=BB126_425 Depth=2
	s_or_b64 exec, exec, s[72:73]
	s_waitcnt lgkmcnt(0)
	v_and_b32_e32 v14, v9, v31
	v_cmp_eq_u32_sdwa s[72:73], v14, v32 src0_sel:BYTE_0 src1_sel:DWORD
	s_and_b64 s[90:91], vcc, s[72:73]
	s_and_saveexec_b64 s[72:73], s[90:91]
	s_cbranch_execz .LBB126_424
; %bb.428:                              ;   in Loop: Header=BB126_425 Depth=2
	v_lshlrev_b16_e32 v9, 8, v9
	v_or_b32_e32 v9, 1, v9
	ds_write_b16 v15, v9 offset:3072
	s_branch .LBB126_424
.LBB126_429:                            ;   in Loop: Header=BB126_18 Depth=1
	s_or_b64 exec, exec, s[12:13]
	v_lshrrev_b16_e32 v33, 8, v9
	s_and_b64 s[54:55], s[54:55], exec
.LBB126_430:                            ;   in Loop: Header=BB126_18 Depth=1
	s_or_b64 exec, exec, s[10:11]
	s_mov_b64 s[4:5], 0
	s_mov_b64 s[10:11], -1
.LBB126_431:                            ;   in Loop: Header=BB126_18 Depth=1
	s_and_b64 vcc, exec, s[4:5]
	s_mov_b64 s[12:13], s[4:5]
	s_cbranch_vccz .LBB126_446
; %bb.432:                              ;   in Loop: Header=BB126_18 Depth=1
	s_mov_b32 s74, s95
	s_cmp_lg_u64 s[74:75], 0
	s_cbranch_scc0 .LBB126_434
; %bb.433:                              ;   in Loop: Header=BB126_18 Depth=1
	v_cvt_f32_u32_e32 v4, s33
	s_sub_u32 s4, 0, s33
	s_subb_u32 s5, 0, 0
	v_mac_f32_e32 v4, 0, v30
	v_rcp_f32_e32 v4, v4
	v_mul_f32_e32 v4, 0x5f7ffffc, v4
	v_mul_f32_e32 v5, 0x2f800000, v4
	v_trunc_f32_e32 v5, v5
	v_mac_f32_e32 v4, 0xcf800000, v5
	v_cvt_u32_f32_e32 v5, v5
	v_cvt_u32_f32_e32 v4, v4
	v_readfirstlane_b32 s10, v5
	v_readfirstlane_b32 s11, v4
	s_mul_i32 s12, s4, s10
	s_mul_hi_u32 s47, s4, s11
	s_mul_i32 s13, s5, s11
	s_add_i32 s12, s47, s12
	s_mul_i32 s54, s4, s11
	s_add_i32 s12, s12, s13
	s_mul_hi_u32 s47, s11, s54
	s_mul_hi_u32 s13, s11, s12
	s_mul_i32 s11, s11, s12
	s_add_u32 s11, s47, s11
	s_addc_u32 s13, 0, s13
	s_mul_hi_u32 s55, s10, s54
	s_mul_i32 s54, s10, s54
	s_add_u32 s11, s11, s54
	s_mul_hi_u32 s47, s10, s12
	s_addc_u32 s11, s13, s55
	s_addc_u32 s13, s47, 0
	s_mul_i32 s12, s10, s12
	s_add_u32 s11, s11, s12
	s_addc_u32 s12, 0, s13
	v_add_co_u32_e32 v4, vcc, s11, v4
	s_cmp_lg_u64 vcc, 0
	s_addc_u32 s10, s10, s12
	v_readfirstlane_b32 s12, v4
	s_mul_i32 s11, s4, s10
	s_mul_hi_u32 s13, s4, s12
	s_add_i32 s11, s13, s11
	s_mul_i32 s5, s5, s12
	s_add_i32 s11, s11, s5
	s_mul_i32 s4, s4, s12
	s_mul_hi_u32 s13, s10, s4
	s_mul_i32 s47, s10, s4
	s_mul_i32 s55, s12, s11
	s_mul_hi_u32 s4, s12, s4
	s_mul_hi_u32 s54, s12, s11
	s_add_u32 s4, s4, s55
	s_addc_u32 s12, 0, s54
	s_add_u32 s4, s4, s47
	s_mul_hi_u32 s5, s10, s11
	s_addc_u32 s4, s12, s13
	s_addc_u32 s5, s5, 0
	s_mul_i32 s11, s10, s11
	s_add_u32 s4, s4, s11
	s_addc_u32 s5, 0, s5
	v_add_co_u32_e32 v4, vcc, s4, v4
	s_cmp_lg_u64 vcc, 0
	s_addc_u32 s4, s10, s5
	v_readlane_b32 s47, v43, 53
	v_readfirstlane_b32 s11, v4
	s_mul_i32 s10, s47, s4
	s_mul_hi_u32 s12, s47, s11
	s_mul_hi_u32 s5, s47, s4
	s_add_u32 s10, s12, s10
	s_addc_u32 s5, 0, s5
	s_mul_hi_u32 s13, s75, s11
	s_mul_i32 s11, s75, s11
	s_add_u32 s10, s10, s11
	s_mul_hi_u32 s12, s75, s4
	s_addc_u32 s5, s5, s13
	s_addc_u32 s10, s12, 0
	s_mul_i32 s4, s75, s4
	s_add_u32 s4, s5, s4
	s_addc_u32 s5, 0, s10
	s_mul_hi_u32 s10, s33, s4
	s_mul_i32 s4, s33, s4
	s_mul_i32 s5, s33, s5
	v_mov_b32_e32 v4, s4
	s_add_i32 s10, s10, s5
	v_sub_co_u32_e32 v4, vcc, s47, v4
	s_cmp_lg_u64 vcc, 0
	s_subb_u32 s4, s75, s10
	v_subrev_co_u32_e32 v5, vcc, s33, v4
	s_cmp_lg_u64 vcc, 0
	s_subb_u32 s5, s4, 0
	v_subrev_co_u32_e32 v6, vcc, s33, v5
	s_cmp_lg_u64 vcc, 0
	s_subb_u32 s10, s5, 0
	v_cmp_le_u32_e32 vcc, s33, v5
	s_cmp_eq_u32 s5, 0
	v_cndmask_b32_e64 v7, 0, -1, vcc
	s_cselect_b64 vcc, -1, 0
	v_cndmask_b32_e32 v7, -1, v7, vcc
	v_mov_b32_e32 v8, s5
	v_mov_b32_e32 v9, s10
	v_cmp_ne_u32_e32 vcc, 0, v7
	v_cndmask_b32_e32 v7, v8, v9, vcc
	v_cndmask_b32_e32 v6, v5, v6, vcc
	v_cmp_le_u32_e32 vcc, s33, v4
	s_cmp_eq_u32 s4, 0
	v_cndmask_b32_e64 v5, 0, -1, vcc
	s_cselect_b64 vcc, -1, 0
	v_cndmask_b32_e32 v5, -1, v5, vcc
	v_mov_b32_e32 v8, s4
	v_cmp_ne_u32_e32 vcc, 0, v5
	v_cndmask_b32_e32 v5, v8, v7, vcc
	v_cndmask_b32_e32 v4, v4, v6, vcc
	s_mov_b64 s[4:5], 0
	s_branch .LBB126_435
.LBB126_434:                            ;   in Loop: Header=BB126_18 Depth=1
	s_mov_b64 s[4:5], -1
                                        ; implicit-def: $vgpr4_vgpr5
.LBB126_435:                            ;   in Loop: Header=BB126_18 Depth=1
	s_andn2_b64 vcc, exec, s[4:5]
	s_cbranch_vccnz .LBB126_437
; %bb.436:                              ;   in Loop: Header=BB126_18 Depth=1
	v_cvt_f32_u32_e32 v4, s33
	s_sub_i32 s4, 0, s33
	v_rcp_iflag_f32_e32 v4, v4
	v_mul_f32_e32 v4, 0x4f7ffffe, v4
	v_cvt_u32_f32_e32 v4, v4
	v_mul_lo_u32 v5, s4, v4
	v_mul_hi_u32 v5, v4, v5
	v_add_u32_e32 v4, v4, v5
	v_readlane_b32 s4, v43, 53
	v_mul_hi_u32 v4, s4, v4
	v_mul_lo_u32 v4, v4, s33
	v_sub_u32_e32 v4, s4, v4
	v_subrev_u32_e32 v5, s33, v4
	v_cmp_le_u32_e32 vcc, s33, v4
	v_cndmask_b32_e32 v4, v4, v5, vcc
	v_subrev_u32_e32 v5, s33, v4
	v_cmp_le_u32_e32 vcc, s33, v4
	v_cndmask_b32_e32 v14, v4, v5, vcc
	v_pk_mov_b32 v[4:5], v[14:15], v[14:15] op_sel:[0,1]
.LBB126_437:                            ;   in Loop: Header=BB126_18 Depth=1
	v_readlane_b32 s4, v43, 53
	v_mov_b32_e32 v6, s75
	v_sub_co_u32_e32 v4, vcc, s4, v4
	v_subb_co_u32_e32 v5, vcc, v6, v5, vcc
	v_cmp_gt_u64_e32 vcc, v[4:5], v[0:1]
	s_mov_b64 s[54:55], 0
                                        ; implicit-def: $vgpr33
	s_and_saveexec_b64 s[4:5], vcc
	s_cbranch_execz .LBB126_445
; %bb.438:                              ;   in Loop: Header=BB126_18 Depth=1
	s_mov_b64 s[10:11], 0
	v_pk_mov_b32 v[6:7], v[0:1], v[0:1] op_sel:[0,1]
                                        ; implicit-def: $sgpr12_sgpr13
	s_branch .LBB126_440
.LBB126_439:                            ;   in Loop: Header=BB126_440 Depth=2
	s_or_b64 exec, exec, s[54:55]
	s_waitcnt lgkmcnt(0)
	s_barrier
	ds_read_u16 v8, v15 offset:3072
	v_mov_b32_e32 v9, s92
	v_add_co_u32_e32 v6, vcc, s33, v6
	v_addc_co_u32_e32 v7, vcc, v7, v9, vcc
	s_waitcnt lgkmcnt(0)
	v_cmp_ne_u16_sdwa s[54:55], v8, v15 src0_sel:BYTE_0 src1_sel:DWORD
	v_cmp_ge_u64_e32 vcc, v[6:7], v[4:5]
	s_or_b64 s[72:73], vcc, s[54:55]
	s_and_b64 s[72:73], exec, s[72:73]
	s_or_b64 s[10:11], s[72:73], s[10:11]
	s_andn2_b64 s[12:13], s[12:13], exec
	s_and_b64 s[54:55], s[54:55], exec
	s_or_b64 s[12:13], s[12:13], s[54:55]
	s_barrier
	s_andn2_b64 exec, exec, s[10:11]
	s_cbranch_execz .LBB126_444
.LBB126_440:                            ;   Parent Loop BB126_18 Depth=1
                                        ; =>  This Inner Loop Header: Depth=2
	v_cmp_gt_u64_e32 vcc, s[60:61], v[6:7]
	v_mov_b32_e32 v8, 0
	s_and_saveexec_b64 s[54:55], vcc
	s_cbranch_execz .LBB126_442
; %bb.441:                              ;   in Loop: Header=BB126_440 Depth=2
	v_pk_mov_b32 v[8:9], s[56:57], s[56:57] op_sel:[0,1]
	v_mad_u64_u32 v[8:9], s[72:73], v6, s58, v[8:9]
	v_mul_lo_u32 v14, v6, s59
	v_mul_lo_u32 v20, v7, s58
	v_add3_u32 v9, v20, v9, v14
	global_load_ubyte v8, v[8:9], off
.LBB126_442:                            ;   in Loop: Header=BB126_440 Depth=2
	s_or_b64 exec, exec, s[54:55]
	s_waitcnt vmcnt(0)
	v_and_b32_e32 v9, v8, v31
	v_cmp_eq_u32_sdwa s[54:55], v9, v32 src0_sel:BYTE_0 src1_sel:DWORD
	s_and_b64 s[72:73], vcc, s[54:55]
	s_and_saveexec_b64 s[54:55], s[72:73]
	s_cbranch_execz .LBB126_439
; %bb.443:                              ;   in Loop: Header=BB126_440 Depth=2
	v_lshlrev_b16_e32 v8, 8, v8
	v_or_b32_e32 v8, 1, v8
	ds_write_b16 v15, v8 offset:3072
	s_branch .LBB126_439
.LBB126_444:                            ;   in Loop: Header=BB126_18 Depth=1
	s_or_b64 exec, exec, s[10:11]
	v_lshrrev_b16_e32 v33, 8, v8
	s_and_b64 s[54:55], s[12:13], exec
.LBB126_445:                            ;   in Loop: Header=BB126_18 Depth=1
	s_or_b64 exec, exec, s[4:5]
	s_mov_b64 s[10:11], 0
	s_mov_b64 s[4:5], -1
	s_mov_b64 s[12:13], 0
.LBB126_446:                            ;   in Loop: Header=BB126_18 Depth=1
	s_orn2_b64 s[54:55], s[54:55], exec
.LBB126_447:                            ;   in Loop: Header=BB126_18 Depth=1
	s_or_b64 exec, exec, s[52:53]
	s_mov_b64 s[72:73], 0
                                        ; implicit-def: $vgpr6
                                        ; implicit-def: $vgpr4_vgpr5
	s_and_saveexec_b64 s[52:53], s[54:55]
	s_cbranch_execz .LBB126_459
; %bb.448:                              ;   in Loop: Header=BB126_18 Depth=1
	v_mov_b32_e32 v4, 1
	s_xor_b64 s[54:55], s[50:51], -1
	v_mov_b32_e32 v6, 1
	v_mov_b32_e32 v5, 0
	s_and_saveexec_b64 s[50:51], s[54:55]
	s_cbranch_execz .LBB126_458
; %bb.449:                              ;   in Loop: Header=BB126_18 Depth=1
	v_cmp_ge_u64_e32 vcc, s[16:17], v[2:3]
                                        ; implicit-def: $sgpr47
	s_and_saveexec_b64 s[54:55], vcc
	s_xor_b64 s[54:55], exec, s[54:55]
	s_cbranch_execz .LBB126_455
; %bb.450:                              ;   in Loop: Header=BB126_18 Depth=1
	ds_read_b64 v[4:5], v15 offset:5120
	s_waitcnt lgkmcnt(0)
	v_cmp_ne_u64_e32 vcc, 0, v[4:5]
	s_cbranch_vccnz .LBB126_454
; %bb.451:                              ;   in Loop: Header=BB126_18 Depth=1
	s_mov_b64 s[72:73], exec
	v_readlane_b32 s90, v43, 32
	v_readlane_b32 s91, v43, 33
	s_and_b64 s[90:91], s[72:73], s[90:91]
	s_mov_b64 exec, s[90:91]
	s_cbranch_execz .LBB126_453
; %bb.452:                              ;   in Loop: Header=BB126_18 Depth=1
	v_pk_mov_b32 v[4:5], s[16:17], s[16:17] op_sel:[0,1]
	ds_write_b64 v15, v[4:5] offset:5128
.LBB126_453:                            ;   in Loop: Header=BB126_18 Depth=1
	s_or_b64 exec, exec, s[72:73]
	s_waitcnt lgkmcnt(0)
	s_barrier
.LBB126_454:                            ;   in Loop: Header=BB126_18 Depth=1
	v_and_b32_e32 v32, s46, v32
	v_or_b32_e32 v31, s94, v31
	s_mov_b32 s47, 5
.LBB126_455:                            ;   in Loop: Header=BB126_18 Depth=1
	s_or_saveexec_b64 s[54:55], s[54:55]
	v_mov_b32_e32 v6, s47
	s_xor_b64 exec, exec, s[54:55]
; %bb.456:                              ;   in Loop: Header=BB126_18 Depth=1
	v_mov_b32_e32 v4, s17
	v_subrev_co_u32_e32 v2, vcc, s16, v2
	v_subb_co_u32_e32 v3, vcc, v3, v4, vcc
	v_mov_b32_e32 v6, 5
; %bb.457:                              ;   in Loop: Header=BB126_18 Depth=1
	s_or_b64 exec, exec, s[54:55]
	v_pk_mov_b32 v[4:5], v[2:3], v[2:3] op_sel:[0,1]
.LBB126_458:                            ;   in Loop: Header=BB126_18 Depth=1
	s_or_b64 exec, exec, s[50:51]
	s_mov_b64 s[72:73], exec
.LBB126_459:                            ;   in Loop: Header=BB126_18 Depth=1
	s_or_b64 exec, exec, s[52:53]
	s_orn2_b64 s[50:51], s[72:73], exec
	v_pk_mov_b32 v[2:3], v[4:5], v[4:5] op_sel:[0,1]
.LBB126_460:                            ;   in Loop: Header=BB126_18 Depth=1
	s_or_b64 exec, exec, s[18:19]
	s_andn2_b64 s[8:9], s[8:9], exec
	s_and_b64 s[4:5], s[4:5], exec
	s_or_b64 s[8:9], s[8:9], s[4:5]
	s_andn2_b64 s[4:5], s[44:45], exec
	s_and_b64 s[10:11], s[10:11], exec
	s_or_b64 s[44:45], s[4:5], s[10:11]
	;; [unrolled: 3-line block ×3, first 2 shown]
	s_and_b64 s[4:5], s[50:51], exec
	v_pk_mov_b32 v[4:5], v[2:3], v[2:3] op_sel:[0,1]
.LBB126_461:                            ;   in Loop: Header=BB126_18 Depth=1
	s_or_b64 exec, exec, s[48:49]
	s_and_b64 s[12:13], s[8:9], exec
	s_and_b64 s[10:11], s[44:45], exec
	;; [unrolled: 1-line block ×3, first 2 shown]
	s_orn2_b64 s[4:5], s[4:5], exec
.LBB126_462:                            ;   in Loop: Header=BB126_18 Depth=1
	s_or_b64 exec, exec, s[22:23]
	s_andn2_b64 s[16:17], s[24:25], exec
	s_and_b64 s[12:13], s[12:13], exec
	s_or_b64 s[24:25], s[16:17], s[12:13]
	s_andn2_b64 s[12:13], s[36:37], exec
	s_and_b64 s[10:11], s[10:11], exec
	s_or_b64 s[36:37], s[12:13], s[10:11]
	;; [unrolled: 3-line block ×3, first 2 shown]
	s_and_b64 s[12:13], s[4:5], exec
	v_pk_mov_b32 v[2:3], v[4:5], v[4:5] op_sel:[0,1]
.LBB126_463:                            ;   in Loop: Header=BB126_18 Depth=1
	s_or_b64 exec, exec, s[42:43]
	s_and_b64 s[10:11], s[24:25], exec
	s_and_b64 s[8:9], s[36:37], exec
	;; [unrolled: 1-line block ×3, first 2 shown]
	s_orn2_b64 s[24:25], s[12:13], exec
.LBB126_464:                            ;   in Loop: Header=BB126_18 Depth=1
	s_or_b64 exec, exec, s[6:7]
	s_mov_b64 s[6:7], s[28:29]
	s_mov_b64 s[12:13], s[26:27]
	s_and_saveexec_b64 s[16:17], s[24:25]
; %bb.465:                              ;   in Loop: Header=BB126_18 Depth=1
	v_cmp_ne_u32_e64 s[6:7], 5, v6
	v_cmp_eq_u32_e32 vcc, 5, v6
	s_andn2_b64 s[12:13], s[26:27], exec
	s_and_b64 s[6:7], s[6:7], exec
	s_or_b64 s[12:13], s[12:13], s[6:7]
	s_andn2_b64 s[6:7], s[28:29], exec
	s_and_b64 s[18:19], vcc, exec
	s_andn2_b64 s[10:11], s[10:11], exec
	s_andn2_b64 s[8:9], s[8:9], exec
	;; [unrolled: 1-line block ×3, first 2 shown]
	s_or_b64 s[6:7], s[6:7], s[18:19]
; %bb.466:                              ;   in Loop: Header=BB126_18 Depth=1
	s_or_b64 exec, exec, s[16:17]
	s_andn2_b64 s[14:15], s[14:15], exec
	s_and_b64 s[10:11], s[10:11], exec
	s_or_b64 s[14:15], s[14:15], s[10:11]
	s_andn2_b64 s[10:11], s[38:39], exec
	s_and_b64 s[8:9], s[8:9], exec
	s_or_b64 s[38:39], s[10:11], s[8:9]
	;; [unrolled: 3-line block ×5, first 2 shown]
	v_mov_b32_e32 v8, v32
	v_mov_b32_e32 v9, v31
	;; [unrolled: 1-line block ×3, first 2 shown]
.LBB126_467:                            ;   in Loop: Header=BB126_18 Depth=1
	s_or_b64 exec, exec, s[34:35]
	s_mov_b64 s[36:37], s[20:21]
	s_mov_b64 s[34:35], s[20:21]
	s_and_saveexec_b64 s[4:5], s[28:29]
.LBB126_468:                            ;   in Loop: Header=BB126_18 Depth=1
	v_mov_b32_e32 v6, 0
	s_andn2_b64 s[20:21], s[20:21], exec
	s_andn2_b64 s[14:15], s[14:15], exec
	;; [unrolled: 1-line block ×5, first 2 shown]
	s_or_b64 s[26:27], s[26:27], exec
.LBB126_469:                            ;   in Loop: Header=BB126_18 Depth=1
	s_or_b64 exec, exec, s[4:5]
	s_andn2_b64 s[4:5], s[30:31], exec
	s_and_b64 s[8:9], s[20:21], exec
	s_or_b64 s[30:31], s[4:5], s[8:9]
	s_andn2_b64 s[4:5], s[84:85], exec
	s_and_b64 s[8:9], s[14:15], exec
	s_or_b64 s[84:85], s[4:5], s[8:9]
	;; [unrolled: 3-line block ×4, first 2 shown]
	s_andn2_b64 s[4:5], s[82:83], exec
	s_and_b64 s[8:9], s[34:35], exec
	s_mov_b64 s[6:7], -1
	s_or_b64 s[82:83], s[4:5], s[8:9]
                                        ; implicit-def: $vgpr31
                                        ; implicit-def: $vgpr32
                                        ; implicit-def: $vgpr20_vgpr21
                                        ; implicit-def: $vgpr33
	s_and_saveexec_b64 s[4:5], s[26:27]
	s_xor_b64 s[4:5], exec, s[4:5]
	s_cbranch_execz .LBB126_17
; %bb.470:                              ;   in Loop: Header=BB126_18 Depth=1
	v_cmp_eq_u32_e32 vcc, 0, v6
	s_mov_b64 s[8:9], -1
	s_and_saveexec_b64 s[10:11], vcc
	s_cbranch_execz .LBB126_16
; %bb.471:                              ;   in Loop: Header=BB126_18 Depth=1
	s_xor_b32 s93, s93, 1
	s_add_i32 s12, s77, -2
	s_cmp_eq_u32 s77, 0
	s_cselect_b64 s[6:7], -1, 0
	s_xor_b64 s[8:9], exec, -1
	s_orn2_b64 s[6:7], s[6:7], exec
	s_mov_b32 s77, s12
	s_branch .LBB126_16
.LBB126_472:
	s_or_b64 exec, exec, s[86:87]
	s_xor_b64 s[4:5], s[70:71], -1
	s_xor_b64 s[14:15], s[68:69], -1
	;; [unrolled: 1-line block ×5, first 2 shown]
	s_mov_b64 s[8:9], 0
	s_and_saveexec_b64 s[10:11], s[6:7]
	s_xor_b64 s[6:7], exec, s[10:11]
	s_cbranch_execnz .LBB126_477
; %bb.473:
	s_andn2_saveexec_b64 s[0:1], s[6:7]
	s_cbranch_execnz .LBB126_496
.LBB126_474:
	s_or_b64 exec, exec, s[0:1]
	s_and_saveexec_b64 s[0:1], s[8:9]
.LBB126_475:
	; divergent unreachable
.LBB126_476:
	s_endpgm
.LBB126_477:
	s_mov_b64 s[10:11], 0
	s_and_saveexec_b64 s[8:9], s[12:13]
	s_xor_b64 s[8:9], exec, s[8:9]
	s_cbranch_execz .LBB126_494
; %bb.478:
	s_mov_b64 s[12:13], 0
	s_and_saveexec_b64 s[10:11], s[14:15]
	s_xor_b64 s[10:11], exec, s[10:11]
	s_cbranch_execz .LBB126_492
; %bb.479:
	;; [unrolled: 5-line block ×3, first 2 shown]
	s_and_saveexec_b64 s[4:5], s[2:3]
	s_xor_b64 s[2:3], exec, s[4:5]
; %bb.481:
	v_mov_b32_e32 v22, v8
; %bb.482:
	s_or_b64 exec, exec, s[2:3]
	s_mov_b64 s[2:3], exec
	v_readlane_b32 s4, v43, 32
	v_readlane_b32 s5, v43, 33
	;; [unrolled: 1-line block ×4, first 2 shown]
	s_and_b64 s[4:5], s[2:3], s[4:5]
	v_readlane_b32 s25, v43, 37
	v_readlane_b32 s18, v43, 34
	v_readlane_b32 s41, v43, 39
	v_readlane_b32 s19, v43, 35
	s_mov_b64 exec, s[4:5]
	s_cbranch_execz .LBB126_484
; %bb.483:
	v_mov_b32_e32 v2, 0
	v_mov_b32_e32 v3, v2
	ds_write_b64 v2, v[2:3] offset:5136
.LBB126_484:
	s_or_b64 exec, exec, s[2:3]
	v_mov_b32_e32 v16, 0
	s_waitcnt lgkmcnt(0)
	s_barrier
	s_mov_b64 s[2:3], exec
	v_readlane_b32 s4, v43, 46
	v_readlane_b32 s5, v43, 47
	s_and_b64 s[4:5], s[2:3], s[4:5]
	s_mov_b64 exec, s[4:5]
	s_cbranch_execz .LBB126_486
; %bb.485:
	global_load_ubyte v16, v[12:13], off
.LBB126_486:
	s_or_b64 exec, exec, s[2:3]
	v_readlane_b32 s28, v43, 24
	s_add_u32 s2, s60, 63
	v_readlane_b32 s30, v43, 26
	v_readlane_b32 s31, v43, 27
	;; [unrolled: 1-line block ×3, first 2 shown]
	s_addc_u32 s15, s61, 0
	s_and_b32 s14, s2, 0xffffffc0
	s_mul_i32 s2, s34, s31
	s_mul_hi_u32 s3, s34, s30
	s_add_i32 s3, s3, s2
	s_mul_i32 s2, s34, s30
	v_readlane_b32 s16, v43, 10
	s_sub_u32 s2, s18, s2
	v_readlane_b32 s17, v43, 11
	s_subb_u32 s3, 0, s3
	s_mul_i32 s4, s2, s17
	s_mul_hi_u32 s5, s2, s16
	s_add_i32 s4, s5, s4
	s_mul_i32 s3, s3, s16
	s_add_i32 s3, s4, s3
	v_readlane_b32 s20, v43, 4
	v_readlane_b32 s4, v43, 0
	;; [unrolled: 1-line block ×4, first 2 shown]
	s_mov_b32 s30, s4
	s_mul_i32 s4, s4, s21
	s_mul_hi_u32 s5, s30, s20
	s_add_i32 s5, s5, s4
	s_mul_i32 s4, s30, s20
	v_readlane_b32 s26, v43, 2
	v_readlane_b32 s36, v43, 18
	;; [unrolled: 1-line block ×3, first 2 shown]
	s_sub_u32 s4, s26, s4
	v_readlane_b32 s38, v43, 20
	v_readlane_b32 s39, v43, 21
	s_mul_i32 s2, s2, s16
	s_subb_u32 s5, s27, s5
	s_mul_i32 s16, s4, s39
	s_mul_hi_u32 s17, s4, s38
	v_readlane_b32 s37, v43, 19
	s_add_i32 s16, s17, s16
	s_mul_i32 s5, s5, s38
	v_readlane_b32 s22, v43, 6
	v_readlane_b32 s23, v43, 7
	s_add_i32 s16, s16, s5
	s_mul_i32 s17, s4, s38
	s_mul_i32 s4, s30, s37
	s_mul_hi_u32 s5, s30, s36
	s_add_i32 s20, s5, s4
	s_mul_i32 s4, s26, s23
	s_mul_hi_u32 s5, s26, s22
	s_add_i32 s5, s5, s4
	s_mul_i32 s4, s26, s22
	v_readlane_b32 s26, v43, 16
	s_sub_u32 s4, s18, s4
	v_readlane_b32 s27, v43, 17
	s_subb_u32 s5, 0, s5
	s_mul_i32 s18, s4, s27
	s_mul_hi_u32 s19, s4, s26
	s_add_i32 s18, s19, s18
	s_mul_i32 s5, s5, s26
	s_add_i32 s22, s18, s5
	s_mul_i32 s23, s4, s26
	v_readlane_b32 s4, v43, 8
	v_readlane_b32 s29, v43, 25
	v_readlane_b32 s5, v43, 9
	s_mov_b32 s26, s4
	s_mul_i32 s4, s4, s29
	s_mul_hi_u32 s5, s26, s28
	s_mul_i32 s21, s30, s36
	s_add_i32 s5, s5, s4
	s_mul_i32 s4, s26, s28
	v_readlane_b32 s28, v43, 12
	v_readlane_b32 s35, v43, 23
	s_sub_u32 s4, s34, s4
	v_readlane_b32 s30, v43, 14
	v_readlane_b32 s31, v43, 15
	s_subb_u32 s5, s35, s5
	s_mul_i32 s18, s4, s31
	s_mul_hi_u32 s19, s4, s30
	v_readlane_b32 s29, v43, 13
	s_add_i32 s18, s19, s18
	s_mul_i32 s5, s5, s30
	s_add_i32 s5, s18, s5
	s_mul_i32 s18, s26, s29
	s_mul_hi_u32 s19, s26, s28
	s_add_i32 s19, s19, s18
	s_mul_i32 s18, s26, s28
	v_readlane_b32 s26, v43, 30
	v_readlane_b32 s27, v43, 31
	s_add_u32 s21, s26, s21
	s_addc_u32 s20, s27, s20
	s_add_u32 s17, s21, s17
	s_addc_u32 s20, s20, s16
	;; [unrolled: 2-line block ×3, first 2 shown]
	s_lshl_b64 s[18:19], s[18:19], 3
	v_readlane_b32 s20, v43, 28
	s_mul_i32 s4, s4, s30
	v_readlane_b32 s21, v43, 29
	s_add_u32 s18, s20, s18
	s_addc_u32 s19, s21, s19
	s_lshl_b64 s[4:5], s[4:5], 3
	s_add_u32 s4, s18, s4
	s_addc_u32 s5, s19, s5
	s_load_dwordx2 s[18:19], s[24:25], 0x368
	s_load_dwordx2 s[20:21], s[24:25], 0x510
	s_lshl_b64 s[2:3], s[2:3], 3
	s_add_u32 s48, s4, s2
	s_addc_u32 s49, s5, s3
	v_cmp_gt_u64_e32 vcc, s[14:15], v[0:1]
	s_mov_b64 s[24:25], -1
	s_mov_b64 s[2:3], 0
	s_mov_b64 s[4:5], 0
	s_and_saveexec_b64 s[22:23], vcc
	s_cbranch_execnz .LBB126_497
; %bb.487:
	s_or_b64 exec, exec, s[22:23]
	s_and_saveexec_b64 s[22:23], s[24:25]
	s_cbranch_execnz .LBB126_512
.LBB126_488:
	s_or_b64 exec, exec, s[22:23]
	s_and_saveexec_b64 s[0:1], s[4:5]
	s_xor_b64 s[0:1], exec, s[0:1]
	s_cbranch_execnz .LBB126_534
.LBB126_489:
	s_or_b64 exec, exec, s[0:1]
	s_and_b64 s[14:15], s[2:3], exec
.LBB126_490:
	s_andn2_saveexec_b64 s[0:1], s[12:13]
	s_cbranch_execnz .LBB126_537
.LBB126_491:
	s_or_b64 exec, exec, s[0:1]
	s_and_b64 s[12:13], s[14:15], exec
.LBB126_492:
	s_andn2_saveexec_b64 s[0:1], s[10:11]
	s_cbranch_execnz .LBB126_536
.LBB126_493:
	s_or_b64 exec, exec, s[0:1]
	s_and_b64 s[10:11], s[12:13], exec
.LBB126_494:
	s_andn2_saveexec_b64 s[0:1], s[8:9]
	s_cbranch_execnz .LBB126_535
.LBB126_495:
	s_or_b64 exec, exec, s[0:1]
	s_and_b64 s[8:9], s[10:11], exec
	s_andn2_saveexec_b64 s[0:1], s[6:7]
	s_cbranch_execz .LBB126_474
.LBB126_496:
	s_or_b64 s[8:9], s[8:9], exec
	s_trap 2
	s_or_b64 exec, exec, s[0:1]
	s_and_saveexec_b64 s[0:1], s[8:9]
	s_cbranch_execnz .LBB126_475
	s_branch .LBB126_476
.LBB126_497:
	s_mov_b64 s[24:25], 0
	v_mov_b32_e32 v17, s92
	v_mov_b32_e32 v3, 0
	v_pk_mov_b32 v[8:9], v[0:1], v[0:1] op_sel:[0,1]
                                        ; implicit-def: $sgpr26_sgpr27
                                        ; implicit-def: $vgpr6_vgpr7
	s_branch .LBB126_499
.LBB126_498:                            ;   in Loop: Header=BB126_499 Depth=1
	s_or_b64 exec, exec, s[28:29]
	s_xor_b64 s[28:29], s[34:35], -1
	s_and_b64 s[4:5], exec, s[4:5]
	s_or_b64 s[24:25], s[4:5], s[24:25]
	s_andn2_b64 s[4:5], s[26:27], exec
	s_and_b64 s[26:27], s[28:29], exec
	s_or_b64 s[26:27], s[4:5], s[26:27]
	v_mov_b32_e32 v16, v18
	v_pk_mov_b32 v[8:9], v[4:5], v[4:5] op_sel:[0,1]
	s_andn2_b64 exec, exec, s[24:25]
	s_cbranch_execz .LBB126_511
.LBB126_499:                            ; =>This Inner Loop Header: Depth=1
	v_add_co_u32_e32 v4, vcc, s33, v8
	v_addc_co_u32_e32 v5, vcc, v9, v17, vcc
	v_cmp_gt_u64_e32 vcc, s[60:61], v[4:5]
	v_mov_b32_e32 v18, 0
	s_and_saveexec_b64 s[4:5], vcc
	s_cbranch_execz .LBB126_501
; %bb.500:                              ;   in Loop: Header=BB126_499 Depth=1
	v_pk_mov_b32 v[14:15], s[56:57], s[56:57] op_sel:[0,1]
	v_mad_u64_u32 v[14:15], s[28:29], v4, s58, v[14:15]
	v_mul_lo_u32 v2, v4, s59
	v_mul_lo_u32 v18, v5, s58
	v_add3_u32 v15, v18, v15, v2
	global_load_ubyte v18, v[14:15], off
.LBB126_501:                            ;   in Loop: Header=BB126_499 Depth=1
	s_or_b64 exec, exec, s[4:5]
	s_waitcnt vmcnt(0)
	v_and_b32_e32 v2, 0xff, v16
	v_cmp_gt_u16_sdwa s[4:5], v2, v22 src0_sel:DWORD src1_sel:BYTE_0
	v_cndmask_b32_e64 v14, 0, 1, s[4:5]
	v_cmp_lt_u16_sdwa s[4:5], v2, v22 src0_sel:DWORD src1_sel:BYTE_0
	v_cndmask_b32_e64 v2, 0, 1, s[4:5]
	v_cndmask_b32_e64 v2, v2, v14, s[40:41]
	v_and_b32_e32 v2, 1, v2
	v_cmp_gt_u64_e32 vcc, s[60:61], v[8:9]
	v_cmp_eq_u32_e64 s[4:5], 1, v2
	s_and_b64 s[28:29], vcc, s[4:5]
	v_cndmask_b32_e64 v2, 0, 1, s[28:29]
	v_cmp_ne_u32_e32 vcc, 0, v2
	s_cmp_lg_u64 vcc, 0
	s_cselect_b64 s[4:5], -1, 0
	s_and_b64 s[4:5], s[0:1], s[4:5]
	s_and_saveexec_b64 s[30:31], s[4:5]
	s_cbranch_execz .LBB126_505
; %bb.502:                              ;   in Loop: Header=BB126_499 Depth=1
	s_mov_b64 s[36:37], exec
	v_mbcnt_lo_u32_b32 v2, s36, 0
	v_mbcnt_hi_u32_b32 v14, s37, v2
	s_bcnt1_i32_b64 s38, vcc
	v_cmp_eq_u32_e64 s[4:5], 0, v14
                                        ; implicit-def: $vgpr6_vgpr7
	s_and_saveexec_b64 s[34:35], s[4:5]
	s_cbranch_execz .LBB126_504
; %bb.503:                              ;   in Loop: Header=BB126_499 Depth=1
	s_bcnt1_i32_b64 s4, s[36:37]
	s_mul_i32 s4, s38, s4
	v_mov_b32_e32 v2, s4
	s_waitcnt lgkmcnt(0)
	ds_add_rtn_u64 v[6:7], v3, v[2:3] offset:5136
.LBB126_504:                            ;   in Loop: Header=BB126_499 Depth=1
	s_or_b64 exec, exec, s[34:35]
	s_waitcnt lgkmcnt(0)
	v_readfirstlane_b32 s4, v7
	v_readfirstlane_b32 s5, v6
	v_mov_b32_e32 v6, s5
	v_mov_b32_e32 v7, s4
	v_mad_u64_u32 v[6:7], s[4:5], s38, v14, v[6:7]
.LBB126_505:                            ;   in Loop: Header=BB126_499 Depth=1
	s_or_b64 exec, exec, s[30:31]
	s_waitcnt lgkmcnt(0)
	ds_bpermute_b32 v6, v26, v6
	ds_bpermute_b32 v7, v26, v7
	s_mov_b64 s[4:5], -1
	s_mov_b64 s[36:37], -1
                                        ; implicit-def: $sgpr34_sgpr35
	s_and_saveexec_b64 s[30:31], s[28:29]
	s_cbranch_execz .LBB126_509
; %bb.506:                              ;   in Loop: Header=BB126_499 Depth=1
	v_and_b32_e32 v14, vcc_lo, v10
	v_and_b32_e32 v2, vcc_hi, v11
	v_bcnt_u32_b32 v14, v14, 0
	v_bcnt_u32_b32 v2, v2, v14
	s_waitcnt lgkmcnt(0)
	v_add_co_u32_e32 v14, vcc, v6, v2
	v_addc_co_u32_e32 v15, vcc, 0, v7, vcc
	v_cmp_gt_u64_e32 vcc, s[62:63], v[14:15]
	s_mov_b64 s[28:29], 0
	s_and_saveexec_b64 s[34:35], vcc
	s_cbranch_execz .LBB126_508
; %bb.507:                              ;   in Loop: Header=BB126_499 Depth=1
	v_mul_lo_u32 v2, v15, s20
	v_mul_lo_u32 v19, v14, s21
	v_mad_u64_u32 v[20:21], s[36:37], v14, s20, 0
	v_pk_mov_b32 v[24:25], s[16:17], s[16:17] op_sel:[0,1]
	v_add3_u32 v21, v21, v19, v2
	v_mad_u64_u32 v[24:25], s[36:37], v14, s18, v[24:25]
	v_mul_lo_u32 v2, v14, s19
	v_mul_lo_u32 v14, v15, s18
	v_add3_u32 v25, v14, v25, v2
	v_lshlrev_b64 v[14:15], 3, v[20:21]
	v_mov_b32_e32 v2, s49
	v_add_co_u32_e32 v14, vcc, s48, v14
	s_mov_b64 s[28:29], exec
	v_addc_co_u32_e32 v15, vcc, v2, v15, vcc
	global_store_byte v[24:25], v16, off
	global_store_dwordx2 v[14:15], v[8:9], off
.LBB126_508:                            ;   in Loop: Header=BB126_499 Depth=1
	s_or_b64 exec, exec, s[34:35]
	s_mov_b64 s[34:35], -1
	s_orn2_b64 s[36:37], s[28:29], exec
.LBB126_509:                            ;   in Loop: Header=BB126_499 Depth=1
	s_or_b64 exec, exec, s[30:31]
	s_and_saveexec_b64 s[28:29], s[36:37]
	s_cbranch_execz .LBB126_498
; %bb.510:                              ;   in Loop: Header=BB126_499 Depth=1
	v_cmp_le_u64_e32 vcc, s[14:15], v[4:5]
	s_andn2_b64 s[34:35], s[34:35], exec
	s_orn2_b64 s[4:5], vcc, exec
	s_branch .LBB126_498
.LBB126_511:
	s_or_b64 exec, exec, s[24:25]
	s_mov_b64 s[4:5], exec
	s_orn2_b64 s[24:25], s[26:27], exec
	s_or_b64 exec, exec, s[22:23]
	s_and_saveexec_b64 s[22:23], s[24:25]
	s_cbranch_execz .LBB126_488
.LBB126_512:
	v_mov_b32_e32 v3, 0
	v_mov_b32_e32 v8, 0
	s_waitcnt lgkmcnt(0)
	s_barrier
	s_mov_b64 s[2:3], exec
	v_readlane_b32 s24, v43, 46
	v_readlane_b32 s25, v43, 47
	s_and_b64 s[24:25], s[2:3], s[24:25]
	s_mov_b64 exec, s[24:25]
	s_cbranch_execz .LBB126_514
; %bb.513:
	global_load_ubyte v8, v[12:13], off
.LBB126_514:
	s_or_b64 exec, exec, s[2:3]
	s_mov_b64 s[26:27], 0
                                        ; implicit-def: $sgpr24_sgpr25
                                        ; implicit-def: $sgpr28_sgpr29
                                        ; implicit-def: $sgpr30_sgpr31
                                        ; implicit-def: $vgpr4_vgpr5
	s_branch .LBB126_517
.LBB126_515:                            ;   in Loop: Header=BB126_517 Depth=1
	s_or_b64 exec, exec, s[38:39]
	s_andn2_b64 s[30:31], s[30:31], exec
	s_and_b64 s[36:37], s[42:43], exec
	s_andn2_b64 s[28:29], s[28:29], exec
	s_and_b64 s[2:3], s[2:3], exec
	s_or_b64 s[30:31], s[30:31], s[36:37]
	s_or_b64 s[28:29], s[28:29], s[2:3]
	v_pk_mov_b32 v[0:1], v[6:7], v[6:7] op_sel:[0,1]
.LBB126_516:                            ;   in Loop: Header=BB126_517 Depth=1
	s_or_b64 exec, exec, s[34:35]
	s_xor_b64 s[2:3], s[30:31], -1
	s_and_b64 s[34:35], exec, s[28:29]
	s_or_b64 s[26:27], s[34:35], s[26:27]
	s_andn2_b64 s[24:25], s[24:25], exec
	s_and_b64 s[2:3], s[2:3], exec
	s_or_b64 s[24:25], s[24:25], s[2:3]
	s_andn2_b64 exec, exec, s[26:27]
	s_cbranch_execz .LBB126_532
.LBB126_517:                            ; =>This Inner Loop Header: Depth=1
	v_cmp_gt_u64_e32 vcc, s[14:15], v[0:1]
	s_or_b64 s[30:31], s[30:31], exec
	s_or_b64 s[28:29], s[28:29], exec
	s_and_saveexec_b64 s[34:35], vcc
	s_cbranch_execz .LBB126_516
; %bb.518:                              ;   in Loop: Header=BB126_517 Depth=1
	v_mov_b32_e32 v2, s92
	v_add_co_u32_e32 v6, vcc, s33, v0
	v_addc_co_u32_e32 v7, vcc, v1, v2, vcc
	v_cmp_gt_u64_e32 vcc, s[60:61], v[6:7]
	v_mov_b32_e32 v12, 0
	s_and_saveexec_b64 s[2:3], vcc
	s_cbranch_execz .LBB126_520
; %bb.519:                              ;   in Loop: Header=BB126_517 Depth=1
	v_pk_mov_b32 v[12:13], s[56:57], s[56:57] op_sel:[0,1]
	v_mad_u64_u32 v[12:13], s[36:37], v6, s58, v[12:13]
	v_mul_lo_u32 v2, v6, s59
	v_mul_lo_u32 v9, v7, s58
	v_add3_u32 v13, v9, v13, v2
	global_load_ubyte v12, v[12:13], off
.LBB126_520:                            ;   in Loop: Header=BB126_517 Depth=1
	s_or_b64 exec, exec, s[2:3]
	s_waitcnt vmcnt(0)
	v_and_b32_e32 v2, 0xff, v8
	v_cmp_gt_u64_e32 vcc, s[60:61], v[0:1]
	v_cmp_eq_u16_sdwa s[2:3], v2, v22 src0_sel:DWORD src1_sel:BYTE_0
	s_and_b64 s[38:39], vcc, s[2:3]
	v_cndmask_b32_e64 v2, 0, 1, s[38:39]
	v_cmp_ne_u32_e32 vcc, 0, v2
	s_cmp_lg_u64 vcc, 0
	s_cselect_b64 s[2:3], -1, 0
	s_and_b64 s[2:3], s[0:1], s[2:3]
	s_and_saveexec_b64 s[36:37], s[2:3]
	s_cbranch_execz .LBB126_524
; %bb.521:                              ;   in Loop: Header=BB126_517 Depth=1
	s_mov_b64 s[42:43], exec
	v_mbcnt_lo_u32_b32 v2, s42, 0
	v_mbcnt_hi_u32_b32 v9, s43, v2
	s_bcnt1_i32_b64 s44, vcc
	v_cmp_eq_u32_e64 s[2:3], 0, v9
                                        ; implicit-def: $vgpr4_vgpr5
	s_and_saveexec_b64 s[40:41], s[2:3]
	s_cbranch_execz .LBB126_523
; %bb.522:                              ;   in Loop: Header=BB126_517 Depth=1
	s_bcnt1_i32_b64 s2, s[42:43]
	s_mul_i32 s2, s44, s2
	v_mov_b32_e32 v2, s2
	ds_add_rtn_u64 v[4:5], v3, v[2:3] offset:5136
.LBB126_523:                            ;   in Loop: Header=BB126_517 Depth=1
	s_or_b64 exec, exec, s[40:41]
	s_waitcnt lgkmcnt(0)
	v_readfirstlane_b32 s2, v5
	v_readfirstlane_b32 s3, v4
	v_mov_b32_e32 v4, s3
	v_mov_b32_e32 v5, s2
	v_mad_u64_u32 v[4:5], s[2:3], s44, v9, v[4:5]
.LBB126_524:                            ;   in Loop: Header=BB126_517 Depth=1
	s_or_b64 exec, exec, s[36:37]
	ds_bpermute_b32 v4, v26, v4
	ds_bpermute_b32 v5, v26, v5
	s_cmp_eq_u64 vcc, 0
	s_cselect_b64 s[36:37], -1, 0
	s_mov_b64 s[40:41], -1
	s_mov_b64 s[42:43], -1
	s_waitcnt lgkmcnt(0)
	v_cmp_gt_u64_e64 s[2:3], s[62:63], v[4:5]
	s_or_b64 s[36:37], s[36:37], s[2:3]
	v_cndmask_b32_e64 v8, v8, v12, s[36:37]
	s_and_b64 s[44:45], s[38:39], s[36:37]
	s_mov_b64 s[2:3], -1
	s_and_saveexec_b64 s[38:39], s[44:45]
	s_cbranch_execz .LBB126_530
; %bb.525:                              ;   in Loop: Header=BB126_517 Depth=1
	v_and_b32_e32 v8, vcc_lo, v10
	v_and_b32_e32 v2, vcc_hi, v11
	v_bcnt_u32_b32 v8, v8, 0
	v_bcnt_u32_b32 v2, v2, v8
	v_mov_b32_e32 v9, s63
	v_sub_co_u32_e32 v8, vcc, s62, v4
	v_subb_co_u32_e32 v9, vcc, v9, v5, vcc
	v_cmp_le_u64_e64 s[40:41], v[8:9], v[2:3]
	v_cmp_gt_u64_e32 vcc, v[8:9], v[2:3]
	s_mov_b64 s[44:45], -1
	s_and_saveexec_b64 s[42:43], vcc
	s_cbranch_execz .LBB126_529
; %bb.526:                              ;   in Loop: Header=BB126_517 Depth=1
	v_add_co_u32_e32 v8, vcc, v4, v2
	v_addc_co_u32_e32 v9, vcc, 0, v5, vcc
	v_cmp_gt_u64_e32 vcc, s[62:63], v[8:9]
	s_mov_b64 s[46:47], s[40:41]
	s_and_saveexec_b64 s[44:45], vcc
	s_cbranch_execz .LBB126_528
; %bb.527:                              ;   in Loop: Header=BB126_517 Depth=1
	v_mul_lo_u32 v2, v9, s20
	v_mul_lo_u32 v13, v8, s21
	v_mad_u64_u32 v[14:15], s[46:47], v8, s20, 0
	v_pk_mov_b32 v[16:17], s[16:17], s[16:17] op_sel:[0,1]
	v_add3_u32 v15, v15, v13, v2
	v_mad_u64_u32 v[16:17], s[46:47], v8, s18, v[16:17]
	v_mul_lo_u32 v2, v8, s19
	v_mul_lo_u32 v8, v9, s18
	v_add3_u32 v17, v8, v17, v2
	v_lshlrev_b64 v[8:9], 3, v[14:15]
	v_mov_b32_e32 v2, s49
	v_add_co_u32_e32 v8, vcc, s48, v8
	v_addc_co_u32_e32 v9, vcc, v2, v9, vcc
	s_or_b64 s[46:47], s[40:41], exec
	global_store_byte v[16:17], v22, off
	global_store_dwordx2 v[8:9], v[0:1], off
.LBB126_528:                            ;   in Loop: Header=BB126_517 Depth=1
	s_or_b64 exec, exec, s[44:45]
	s_andn2_b64 s[40:41], s[40:41], exec
	s_and_b64 s[46:47], s[46:47], exec
	s_xor_b64 s[44:45], exec, -1
	s_or_b64 s[40:41], s[40:41], s[46:47]
.LBB126_529:                            ;   in Loop: Header=BB126_517 Depth=1
	s_or_b64 exec, exec, s[42:43]
	s_orn2_b64 s[42:43], s[44:45], exec
	s_or_b64 s[36:37], s[36:37], exec
	s_orn2_b64 s[40:41], s[40:41], exec
	v_mov_b32_e32 v8, v12
.LBB126_530:                            ;   in Loop: Header=BB126_517 Depth=1
	s_or_b64 exec, exec, s[38:39]
	s_and_saveexec_b64 s[38:39], s[40:41]
	s_cbranch_execz .LBB126_515
; %bb.531:                              ;   in Loop: Header=BB126_517 Depth=1
	s_xor_b64 s[2:3], s[36:37], -1
	s_or_b64 s[42:43], s[42:43], exec
	s_orn2_b64 s[2:3], s[2:3], exec
	s_branch .LBB126_515
.LBB126_532:
	s_or_b64 exec, exec, s[26:27]
	s_mov_b64 s[0:1], 0
	s_and_saveexec_b64 s[2:3], s[24:25]
	s_xor_b64 s[2:3], exec, s[2:3]
	s_cbranch_execnz .LBB126_538
.LBB126_533:
	s_or_b64 exec, exec, s[2:3]
	s_and_b64 s[2:3], s[0:1], exec
	s_andn2_b64 s[4:5], s[4:5], exec
	s_or_b64 exec, exec, s[22:23]
	s_and_saveexec_b64 s[0:1], s[4:5]
	s_xor_b64 s[0:1], exec, s[0:1]
	s_cbranch_execz .LBB126_489
.LBB126_534:
	s_or_b64 s[2:3], s[2:3], exec
	s_trap 2
	s_branch .LBB126_489
.LBB126_535:
	s_or_b64 s[10:11], s[10:11], exec
	s_trap 2
	s_branch .LBB126_495
.LBB126_536:
	s_or_b64 s[12:13], s[12:13], exec
	s_trap 2
	s_branch .LBB126_493
.LBB126_537:
	s_trap 2
	s_or_b64 s[14:15], s[14:15], exec
	s_branch .LBB126_491
.LBB126_538:
	s_mov_b64 s[0:1], exec
	s_trap 2
	s_branch .LBB126_533
	.section	.rodata,"a",@progbits
	.p2align	6, 0x0
	.amdhsa_kernel _ZN2at6native6sbtopk10gatherTopKIhmLi3ELb0EEEvNS_4cuda6detail10TensorInfoIKT_T0_EES8_S8_bS8_S8_NS5_IS6_S8_EES8_NS5_IlS8_EES8_PS6_
		.amdhsa_group_segment_fixed_size 5152
		.amdhsa_private_segment_fixed_size 0
		.amdhsa_kernarg_size 1568
		.amdhsa_user_sgpr_count 6
		.amdhsa_user_sgpr_private_segment_buffer 1
		.amdhsa_user_sgpr_dispatch_ptr 0
		.amdhsa_user_sgpr_queue_ptr 0
		.amdhsa_user_sgpr_kernarg_segment_ptr 1
		.amdhsa_user_sgpr_dispatch_id 0
		.amdhsa_user_sgpr_flat_scratch_init 0
		.amdhsa_user_sgpr_kernarg_preload_length 0
		.amdhsa_user_sgpr_kernarg_preload_offset 0
		.amdhsa_user_sgpr_private_segment_size 0
		.amdhsa_uses_dynamic_stack 0
		.amdhsa_system_sgpr_private_segment_wavefront_offset 0
		.amdhsa_system_sgpr_workgroup_id_x 1
		.amdhsa_system_sgpr_workgroup_id_y 1
		.amdhsa_system_sgpr_workgroup_id_z 1
		.amdhsa_system_sgpr_workgroup_info 0
		.amdhsa_system_vgpr_workitem_id 0
		.amdhsa_next_free_vgpr 44
		.amdhsa_next_free_sgpr 96
		.amdhsa_accum_offset 44
		.amdhsa_reserve_vcc 1
		.amdhsa_reserve_flat_scratch 0
		.amdhsa_float_round_mode_32 0
		.amdhsa_float_round_mode_16_64 0
		.amdhsa_float_denorm_mode_32 3
		.amdhsa_float_denorm_mode_16_64 3
		.amdhsa_dx10_clamp 1
		.amdhsa_ieee_mode 1
		.amdhsa_fp16_overflow 0
		.amdhsa_tg_split 0
		.amdhsa_exception_fp_ieee_invalid_op 0
		.amdhsa_exception_fp_denorm_src 0
		.amdhsa_exception_fp_ieee_div_zero 0
		.amdhsa_exception_fp_ieee_overflow 0
		.amdhsa_exception_fp_ieee_underflow 0
		.amdhsa_exception_fp_ieee_inexact 0
		.amdhsa_exception_int_div_zero 0
	.end_amdhsa_kernel
	.section	.text._ZN2at6native6sbtopk10gatherTopKIhmLi3ELb0EEEvNS_4cuda6detail10TensorInfoIKT_T0_EES8_S8_bS8_S8_NS5_IS6_S8_EES8_NS5_IlS8_EES8_PS6_,"axG",@progbits,_ZN2at6native6sbtopk10gatherTopKIhmLi3ELb0EEEvNS_4cuda6detail10TensorInfoIKT_T0_EES8_S8_bS8_S8_NS5_IS6_S8_EES8_NS5_IlS8_EES8_PS6_,comdat
.Lfunc_end126:
	.size	_ZN2at6native6sbtopk10gatherTopKIhmLi3ELb0EEEvNS_4cuda6detail10TensorInfoIKT_T0_EES8_S8_bS8_S8_NS5_IS6_S8_EES8_NS5_IlS8_EES8_PS6_, .Lfunc_end126-_ZN2at6native6sbtopk10gatherTopKIhmLi3ELb0EEEvNS_4cuda6detail10TensorInfoIKT_T0_EES8_S8_bS8_S8_NS5_IS6_S8_EES8_NS5_IlS8_EES8_PS6_
                                        ; -- End function
	.section	.AMDGPU.csdata,"",@progbits
; Kernel info:
; codeLenInByte = 26936
; NumSgprs: 100
; NumVgprs: 44
; NumAgprs: 0
; TotalNumVgprs: 44
; ScratchSize: 0
; MemoryBound: 0
; FloatMode: 240
; IeeeMode: 1
; LDSByteSize: 5152 bytes/workgroup (compile time only)
; SGPRBlocks: 12
; VGPRBlocks: 5
; NumSGPRsForWavesPerEU: 100
; NumVGPRsForWavesPerEU: 44
; AccumOffset: 44
; Occupancy: 8
; WaveLimiterHint : 1
; COMPUTE_PGM_RSRC2:SCRATCH_EN: 0
; COMPUTE_PGM_RSRC2:USER_SGPR: 6
; COMPUTE_PGM_RSRC2:TRAP_HANDLER: 0
; COMPUTE_PGM_RSRC2:TGID_X_EN: 1
; COMPUTE_PGM_RSRC2:TGID_Y_EN: 1
; COMPUTE_PGM_RSRC2:TGID_Z_EN: 1
; COMPUTE_PGM_RSRC2:TIDIG_COMP_CNT: 0
; COMPUTE_PGM_RSRC3_GFX90A:ACCUM_OFFSET: 10
; COMPUTE_PGM_RSRC3_GFX90A:TG_SPLIT: 0
	.section	.text._ZN2at6native6mbtopk23computeBlockDigitCountsIhmjLin1EEEvNS_4cuda6detail10TensorInfoIKT_T0_EEjPjjS8_iijT1_PSB_Ps,"axG",@progbits,_ZN2at6native6mbtopk23computeBlockDigitCountsIhmjLin1EEEvNS_4cuda6detail10TensorInfoIKT_T0_EEjPjjS8_iijT1_PSB_Ps,comdat
	.protected	_ZN2at6native6mbtopk23computeBlockDigitCountsIhmjLin1EEEvNS_4cuda6detail10TensorInfoIKT_T0_EEjPjjS8_iijT1_PSB_Ps ; -- Begin function _ZN2at6native6mbtopk23computeBlockDigitCountsIhmjLin1EEEvNS_4cuda6detail10TensorInfoIKT_T0_EEjPjjS8_iijT1_PSB_Ps
	.globl	_ZN2at6native6mbtopk23computeBlockDigitCountsIhmjLin1EEEvNS_4cuda6detail10TensorInfoIKT_T0_EEjPjjS8_iijT1_PSB_Ps
	.p2align	8
	.type	_ZN2at6native6mbtopk23computeBlockDigitCountsIhmjLin1EEEvNS_4cuda6detail10TensorInfoIKT_T0_EEjPjjS8_iijT1_PSB_Ps,@function
_ZN2at6native6mbtopk23computeBlockDigitCountsIhmjLin1EEEvNS_4cuda6detail10TensorInfoIKT_T0_EEjPjjS8_iijT1_PSB_Ps: ; @_ZN2at6native6mbtopk23computeBlockDigitCountsIhmjLin1EEEvNS_4cuda6detail10TensorInfoIKT_T0_EEjPjjS8_iijT1_PSB_Ps
; %bb.0:
	s_load_dwordx4 s[12:15], s[4:5], 0x1c0
	s_load_dword s2, s[4:5], 0x1b0
	s_load_dwordx2 s[0:1], s[4:5], 0x1e0
	s_mov_b32 s9, 0
	s_waitcnt lgkmcnt(0)
	v_cvt_f32_u32_e32 v1, s14
	s_sub_i32 s3, 0, s14
	s_mul_i32 s1, s1, s8
	s_add_i32 s1, s1, s7
	v_rcp_iflag_f32_e32 v1, v1
	s_mul_i32 s26, s1, s0
	s_add_i32 s26, s26, s6
	v_mul_f32_e32 v1, 0x4f7ffffe, v1
	v_cvt_u32_f32_e32 v1, v1
	v_readfirstlane_b32 s0, v1
	s_mul_i32 s3, s3, s0
	s_mul_hi_u32 s1, s0, s3
	s_add_i32 s0, s0, s1
	s_mul_hi_u32 s0, s26, s0
	s_mul_i32 s1, s0, s14
	s_sub_i32 s1, s26, s1
	s_add_i32 s3, s0, 1
	s_sub_i32 s6, s1, s14
	s_cmp_ge_u32 s1, s14
	s_cselect_b32 s0, s3, s0
	s_cselect_b32 s1, s6, s1
	s_add_i32 s3, s0, 1
	s_cmp_ge_u32 s1, s14
	s_cselect_b32 s8, s3, s0
	s_cmp_ge_u32 s8, s2
	s_cbranch_scc1 .LBB127_38
; %bb.1:
	s_load_dwordx4 s[0:3], s[4:5], 0x1d0
	s_load_dword s16, s[4:5], 0x198
	s_lshl_b64 s[6:7], s[8:9], 2
	s_mov_b64 s[20:21], s[8:9]
	s_waitcnt lgkmcnt(0)
	s_add_u32 s10, s0, s6
	s_addc_u32 s11, s1, s7
	s_cmp_lt_i32 s16, 2
	s_mov_b64 s[6:7], 0
	s_cbranch_scc1 .LBB127_9
; %bb.2:
	s_add_i32 s9, s16, 1
	s_add_i32 s0, s16, -1
	s_mov_b32 s16, 0
	s_mov_b32 s1, s16
	s_lshl_b64 s[0:1], s[0:1], 3
	s_add_u32 s0, s0, s4
	s_addc_u32 s1, s1, s5
	s_add_u32 s18, s0, 8
	s_addc_u32 s19, s1, 0
.LBB127_3:                              ; =>This Inner Loop Header: Depth=1
	s_load_dwordx2 s[22:23], s[18:19], 0x0
	s_waitcnt lgkmcnt(0)
	s_or_b64 s[0:1], s[20:21], s[22:23]
	s_mov_b32 s17, s1
	s_cmp_lg_u64 s[16:17], 0
	s_cbranch_scc0 .LBB127_8
; %bb.4:                                ;   in Loop: Header=BB127_3 Depth=1
	v_cvt_f32_u32_e32 v1, s22
	v_cvt_f32_u32_e32 v2, s23
	s_sub_u32 s0, 0, s22
	s_subb_u32 s1, 0, s23
	v_mac_f32_e32 v1, 0x4f800000, v2
	v_rcp_f32_e32 v1, v1
	v_mul_f32_e32 v1, 0x5f7ffffc, v1
	v_mul_f32_e32 v2, 0x2f800000, v1
	v_trunc_f32_e32 v2, v2
	v_mac_f32_e32 v1, 0xcf800000, v2
	v_cvt_u32_f32_e32 v2, v2
	v_cvt_u32_f32_e32 v1, v1
	v_readfirstlane_b32 s17, v2
	v_readfirstlane_b32 s24, v1
	s_mul_i32 s25, s0, s17
	s_mul_hi_u32 s28, s0, s24
	s_mul_i32 s27, s1, s24
	s_add_i32 s25, s28, s25
	s_mul_i32 s29, s0, s24
	s_add_i32 s25, s25, s27
	s_mul_hi_u32 s27, s24, s25
	s_mul_i32 s28, s24, s25
	s_mul_hi_u32 s24, s24, s29
	s_add_u32 s24, s24, s28
	s_addc_u32 s27, 0, s27
	s_mul_hi_u32 s30, s17, s29
	s_mul_i32 s29, s17, s29
	s_add_u32 s24, s24, s29
	s_mul_hi_u32 s28, s17, s25
	s_addc_u32 s24, s27, s30
	s_addc_u32 s27, s28, 0
	s_mul_i32 s25, s17, s25
	s_add_u32 s24, s24, s25
	s_addc_u32 s25, 0, s27
	v_add_co_u32_e32 v1, vcc, s24, v1
	s_cmp_lg_u64 vcc, 0
	s_addc_u32 s17, s17, s25
	v_readfirstlane_b32 s25, v1
	s_mul_i32 s24, s0, s17
	s_mul_hi_u32 s27, s0, s25
	s_add_i32 s24, s27, s24
	s_mul_i32 s1, s1, s25
	s_add_i32 s24, s24, s1
	s_mul_i32 s0, s0, s25
	s_mul_hi_u32 s27, s17, s0
	s_mul_i32 s28, s17, s0
	s_mul_i32 s30, s25, s24
	s_mul_hi_u32 s0, s25, s0
	s_mul_hi_u32 s29, s25, s24
	s_add_u32 s0, s0, s30
	s_addc_u32 s25, 0, s29
	s_add_u32 s0, s0, s28
	s_mul_hi_u32 s1, s17, s24
	s_addc_u32 s0, s25, s27
	s_addc_u32 s1, s1, 0
	s_mul_i32 s24, s17, s24
	s_add_u32 s0, s0, s24
	s_addc_u32 s1, 0, s1
	v_add_co_u32_e32 v1, vcc, s0, v1
	s_cmp_lg_u64 vcc, 0
	s_addc_u32 s0, s17, s1
	v_readfirstlane_b32 s24, v1
	s_mul_i32 s17, s20, s0
	s_mul_hi_u32 s25, s20, s24
	s_mul_hi_u32 s1, s20, s0
	s_add_u32 s17, s25, s17
	s_addc_u32 s1, 0, s1
	s_mul_hi_u32 s27, s21, s24
	s_mul_i32 s24, s21, s24
	s_add_u32 s17, s17, s24
	s_mul_hi_u32 s25, s21, s0
	s_addc_u32 s1, s1, s27
	s_addc_u32 s17, s25, 0
	s_mul_i32 s0, s21, s0
	s_add_u32 s24, s1, s0
	s_addc_u32 s17, 0, s17
	s_mul_i32 s0, s22, s17
	s_mul_hi_u32 s1, s22, s24
	s_add_i32 s0, s1, s0
	s_mul_i32 s1, s23, s24
	s_add_i32 s25, s0, s1
	s_mul_i32 s1, s22, s24
	v_mov_b32_e32 v1, s1
	s_sub_i32 s0, s21, s25
	v_sub_co_u32_e32 v1, vcc, s20, v1
	s_cmp_lg_u64 vcc, 0
	s_subb_u32 s27, s0, s23
	v_subrev_co_u32_e64 v2, s[0:1], s22, v1
	s_cmp_lg_u64 s[0:1], 0
	s_subb_u32 s0, s27, 0
	s_cmp_ge_u32 s0, s23
	v_readfirstlane_b32 s27, v2
	s_cselect_b32 s1, -1, 0
	s_cmp_ge_u32 s27, s22
	s_cselect_b32 s27, -1, 0
	s_cmp_eq_u32 s0, s23
	s_cselect_b32 s0, s27, s1
	s_add_u32 s1, s24, 1
	s_addc_u32 s27, s17, 0
	s_add_u32 s28, s24, 2
	s_addc_u32 s29, s17, 0
	s_cmp_lg_u32 s0, 0
	s_cselect_b32 s0, s28, s1
	s_cselect_b32 s1, s29, s27
	s_cmp_lg_u64 vcc, 0
	s_subb_u32 s25, s21, s25
	s_cmp_ge_u32 s25, s23
	v_readfirstlane_b32 s28, v1
	s_cselect_b32 s27, -1, 0
	s_cmp_ge_u32 s28, s22
	s_cselect_b32 s28, -1, 0
	s_cmp_eq_u32 s25, s23
	s_cselect_b32 s25, s28, s27
	s_cmp_lg_u32 s25, 0
	s_cselect_b32 s1, s1, s17
	s_cselect_b32 s0, s0, s24
	s_cbranch_execnz .LBB127_6
.LBB127_5:                              ;   in Loop: Header=BB127_3 Depth=1
	v_cvt_f32_u32_e32 v1, s22
	s_sub_i32 s0, 0, s22
	v_rcp_iflag_f32_e32 v1, v1
	v_mul_f32_e32 v1, 0x4f7ffffe, v1
	v_cvt_u32_f32_e32 v1, v1
	v_readfirstlane_b32 s1, v1
	s_mul_i32 s0, s0, s1
	s_mul_hi_u32 s0, s1, s0
	s_add_i32 s1, s1, s0
	s_mul_hi_u32 s0, s20, s1
	s_mul_i32 s17, s0, s22
	s_sub_i32 s17, s20, s17
	s_add_i32 s1, s0, 1
	s_sub_i32 s24, s17, s22
	s_cmp_ge_u32 s17, s22
	s_cselect_b32 s0, s1, s0
	s_cselect_b32 s17, s24, s17
	s_add_i32 s1, s0, 1
	s_cmp_ge_u32 s17, s22
	s_cselect_b32 s0, s1, s0
	s_mov_b32 s1, s16
.LBB127_6:                              ;   in Loop: Header=BB127_3 Depth=1
	s_mul_i32 s17, s0, s23
	s_mul_hi_u32 s23, s0, s22
	s_load_dwordx2 s[24:25], s[18:19], 0xc8
	s_add_i32 s17, s23, s17
	s_mul_i32 s23, s1, s22
	s_add_i32 s17, s17, s23
	s_mul_i32 s22, s0, s22
	s_sub_u32 s20, s20, s22
	s_subb_u32 s17, s21, s17
	s_waitcnt lgkmcnt(0)
	s_mul_i32 s17, s24, s17
	s_mul_hi_u32 s21, s24, s20
	s_add_i32 s17, s21, s17
	s_mul_i32 s21, s25, s20
	s_add_i32 s17, s17, s21
	s_mul_i32 s20, s24, s20
	s_add_u32 s6, s20, s6
	s_addc_u32 s7, s17, s7
	s_add_i32 s9, s9, -1
	s_add_u32 s18, s18, -8
	s_addc_u32 s19, s19, -1
	s_cmp_gt_u32 s9, 2
	s_cbranch_scc0 .LBB127_10
; %bb.7:                                ;   in Loop: Header=BB127_3 Depth=1
	s_mov_b64 s[20:21], s[0:1]
	s_branch .LBB127_3
.LBB127_8:                              ;   in Loop: Header=BB127_3 Depth=1
                                        ; implicit-def: $sgpr0_sgpr1
	s_branch .LBB127_5
.LBB127_9:
	s_mov_b64 s[0:1], s[20:21]
.LBB127_10:
	s_load_dword s16, s[10:11], 0x0
	s_movk_i32 s9, 0x100
	v_cmp_gt_u32_e32 vcc, s9, v0
	v_lshlrev_b32_e32 v1, 2, v0
	s_and_saveexec_b64 s[10:11], vcc
	s_cbranch_execz .LBB127_12
; %bb.11:
	v_mov_b32_e32 v2, 0
	ds_write_b32 v1, v2
.LBB127_12:
	s_or_b64 exec, exec, s[10:11]
	s_load_dword s10, s[4:5], 0x1a0
	s_mul_i32 s8, s8, s14
	s_sub_i32 s8, s26, s8
	s_add_i32 s9, s8, 1
	s_mul_i32 s8, s13, s8
	s_lshl_b32 s17, s8, 8
	s_waitcnt lgkmcnt(0)
	s_sub_i32 s8, s10, s17
	s_add_u32 s8, s8, 0xff
	s_addc_u32 s11, 0, 0
	v_mov_b32_e32 v2, s8
	v_alignbit_b32 v2, s11, v2, 8
	s_cmp_lt_u32 s9, s14
	v_readfirstlane_b32 s8, v2
	s_cselect_b32 s14, s13, s8
	s_cmp_lt_i32 s14, 1
	s_mov_b32 s13, 0
	s_barrier
	s_cbranch_scc1 .LBB127_34
; %bb.13:
	s_load_dwordx2 s[18:19], s[4:5], 0xd0
	s_load_dwordx2 s[8:9], s[4:5], 0x1b8
	;; [unrolled: 1-line block ×3, first 2 shown]
	s_waitcnt lgkmcnt(0)
	s_mul_i32 s1, s18, s1
	s_mul_hi_u32 s4, s18, s0
	s_mul_i32 s5, s19, s0
	s_add_i32 s1, s4, s1
	s_add_i32 s1, s1, s5
	s_mul_i32 s0, s18, s0
	s_add_u32 s0, s20, s0
	s_addc_u32 s1, s21, s1
	s_add_u32 s4, s0, s6
	s_addc_u32 s5, s1, s7
	s_and_b32 s11, s12, 0xff
	s_cmp_lt_u32 s14, 4
	s_cbranch_scc1 .LBB127_28
; %bb.14:
	s_and_b32 s13, s14, 0x7ffffffc
	v_add_u32_e32 v2, s17, v0
	s_mov_b32 s12, 0
	v_mov_b32_e32 v3, 1
	s_branch .LBB127_16
.LBB127_15:                             ;   in Loop: Header=BB127_16 Depth=1
	s_or_b64 exec, exec, s[6:7]
	s_add_i32 s12, s12, 4
	s_cmp_eq_u32 s13, s12
	v_add_u32_e32 v2, 0x400, v2
	s_cbranch_scc1 .LBB127_28
.LBB127_16:                             ; =>This Inner Loop Header: Depth=1
	v_cmp_gt_u32_e64 s[0:1], s10, v2
	s_and_saveexec_b64 s[6:7], s[0:1]
	s_cbranch_execz .LBB127_19
; %bb.17:                               ;   in Loop: Header=BB127_16 Depth=1
	v_pk_mov_b32 v[4:5], s[4:5], s[4:5] op_sel:[0,1]
	v_mad_u64_u32 v[4:5], s[0:1], v2, s8, v[4:5]
	v_mov_b32_e32 v6, v5
	v_mad_u64_u32 v[6:7], s[0:1], v2, s9, v[6:7]
	v_mov_b32_e32 v5, v6
	global_load_ubyte v4, v[4:5], off
	s_waitcnt vmcnt(0)
	v_xor_b32_e32 v5, s16, v4
	v_and_b32_e32 v5, s15, v5
	v_cmp_eq_u32_e64 s[0:1], 0, v5
	s_and_b64 exec, exec, s[0:1]
	s_cbranch_execz .LBB127_19
; %bb.18:                               ;   in Loop: Header=BB127_16 Depth=1
	v_lshrrev_b32_e32 v4, s11, v4
	v_lshlrev_b32_e32 v4, 2, v4
	ds_add_u32 v4, v3
.LBB127_19:                             ;   in Loop: Header=BB127_16 Depth=1
	s_or_b64 exec, exec, s[6:7]
	v_add_u32_e32 v4, 0x100, v2
	v_cmp_gt_u32_e64 s[0:1], s10, v4
	s_and_saveexec_b64 s[6:7], s[0:1]
	s_cbranch_execz .LBB127_22
; %bb.20:                               ;   in Loop: Header=BB127_16 Depth=1
	v_pk_mov_b32 v[6:7], s[4:5], s[4:5] op_sel:[0,1]
	v_mad_u64_u32 v[6:7], s[0:1], v4, s8, v[6:7]
	v_mov_b32_e32 v8, v7
	v_mad_u64_u32 v[4:5], s[0:1], v4, s9, v[8:9]
	v_mov_b32_e32 v7, v4
	global_load_ubyte v4, v[6:7], off
	s_waitcnt vmcnt(0)
	v_xor_b32_e32 v5, s16, v4
	v_and_b32_e32 v5, s15, v5
	v_cmp_eq_u32_e64 s[0:1], 0, v5
	s_and_b64 exec, exec, s[0:1]
	s_cbranch_execz .LBB127_22
; %bb.21:                               ;   in Loop: Header=BB127_16 Depth=1
	v_lshrrev_b32_e32 v4, s11, v4
	v_lshlrev_b32_e32 v4, 2, v4
	ds_add_u32 v4, v3
.LBB127_22:                             ;   in Loop: Header=BB127_16 Depth=1
	s_or_b64 exec, exec, s[6:7]
	v_add_u32_e32 v4, 0x200, v2
	;; [unrolled: 23-line block ×3, first 2 shown]
	v_cmp_gt_u32_e64 s[0:1], s10, v4
	s_and_saveexec_b64 s[6:7], s[0:1]
	s_cbranch_execz .LBB127_15
; %bb.26:                               ;   in Loop: Header=BB127_16 Depth=1
	v_pk_mov_b32 v[6:7], s[4:5], s[4:5] op_sel:[0,1]
	v_mad_u64_u32 v[6:7], s[0:1], v4, s8, v[6:7]
	v_mov_b32_e32 v8, v7
	v_mad_u64_u32 v[4:5], s[0:1], v4, s9, v[8:9]
	v_mov_b32_e32 v7, v4
	global_load_ubyte v4, v[6:7], off
	s_waitcnt vmcnt(0)
	v_xor_b32_e32 v5, s16, v4
	v_and_b32_e32 v5, s15, v5
	v_cmp_eq_u32_e64 s[0:1], 0, v5
	s_and_b64 exec, exec, s[0:1]
	s_cbranch_execz .LBB127_15
; %bb.27:                               ;   in Loop: Header=BB127_16 Depth=1
	v_lshrrev_b32_e32 v4, s11, v4
	v_lshlrev_b32_e32 v4, 2, v4
	ds_add_u32 v4, v3
	s_branch .LBB127_15
.LBB127_28:
	s_and_b32 s12, s14, 3
	s_cmp_eq_u32 s12, 0
	s_cbranch_scc1 .LBB127_34
; %bb.29:
	s_lshl_b32 s0, s13, 8
	s_add_i32 s0, s0, s17
	v_add_u32_e32 v2, s0, v0
	v_mov_b32_e32 v3, 1
	s_branch .LBB127_31
.LBB127_30:                             ;   in Loop: Header=BB127_31 Depth=1
	s_or_b64 exec, exec, s[6:7]
	s_add_i32 s12, s12, -1
	s_cmp_lg_u32 s12, 0
	v_add_u32_e32 v2, 0x100, v2
	s_cbranch_scc0 .LBB127_34
.LBB127_31:                             ; =>This Inner Loop Header: Depth=1
	v_cmp_gt_u32_e64 s[0:1], s10, v2
	s_and_saveexec_b64 s[6:7], s[0:1]
	s_cbranch_execz .LBB127_30
; %bb.32:                               ;   in Loop: Header=BB127_31 Depth=1
	v_pk_mov_b32 v[4:5], s[4:5], s[4:5] op_sel:[0,1]
	v_mad_u64_u32 v[4:5], s[0:1], v2, s8, v[4:5]
	v_mov_b32_e32 v6, v5
	v_mad_u64_u32 v[6:7], s[0:1], v2, s9, v[6:7]
	v_mov_b32_e32 v5, v6
	global_load_ubyte v4, v[4:5], off
	s_waitcnt vmcnt(0)
	v_xor_b32_e32 v5, s16, v4
	v_and_b32_e32 v5, s15, v5
	v_cmp_eq_u32_e64 s[0:1], 0, v5
	s_and_b64 exec, exec, s[0:1]
	s_cbranch_execz .LBB127_30
; %bb.33:                               ;   in Loop: Header=BB127_31 Depth=1
	v_lshrrev_b32_e32 v4, s11, v4
	v_lshlrev_b32_e32 v4, 2, v4
	ds_add_u32 v4, v3
	s_branch .LBB127_30
.LBB127_34:
	v_mov_b32_e32 v2, 0
	s_waitcnt lgkmcnt(0)
	s_barrier
	s_and_saveexec_b64 s[0:1], vcc
	s_cbranch_execz .LBB127_36
; %bb.35:
	ds_read_b32 v2, v1
.LBB127_36:
	s_or_b64 exec, exec, s[0:1]
	s_and_saveexec_b64 s[0:1], vcc
	s_cbranch_execz .LBB127_38
; %bb.37:
	v_lshl_or_b32 v0, s26, 8, v0
	v_mov_b32_e32 v1, 0
	v_lshlrev_b64 v[0:1], 1, v[0:1]
	v_mov_b32_e32 v3, s3
	v_add_co_u32_e32 v0, vcc, s2, v0
	v_addc_co_u32_e32 v1, vcc, v3, v1, vcc
	s_waitcnt lgkmcnt(0)
	global_store_short v[0:1], v2, off
.LBB127_38:
	s_endpgm
	.section	.rodata,"a",@progbits
	.p2align	6, 0x0
	.amdhsa_kernel _ZN2at6native6mbtopk23computeBlockDigitCountsIhmjLin1EEEvNS_4cuda6detail10TensorInfoIKT_T0_EEjPjjS8_iijT1_PSB_Ps
		.amdhsa_group_segment_fixed_size 1024
		.amdhsa_private_segment_fixed_size 0
		.amdhsa_kernarg_size 736
		.amdhsa_user_sgpr_count 6
		.amdhsa_user_sgpr_private_segment_buffer 1
		.amdhsa_user_sgpr_dispatch_ptr 0
		.amdhsa_user_sgpr_queue_ptr 0
		.amdhsa_user_sgpr_kernarg_segment_ptr 1
		.amdhsa_user_sgpr_dispatch_id 0
		.amdhsa_user_sgpr_flat_scratch_init 0
		.amdhsa_user_sgpr_kernarg_preload_length 0
		.amdhsa_user_sgpr_kernarg_preload_offset 0
		.amdhsa_user_sgpr_private_segment_size 0
		.amdhsa_uses_dynamic_stack 0
		.amdhsa_system_sgpr_private_segment_wavefront_offset 0
		.amdhsa_system_sgpr_workgroup_id_x 1
		.amdhsa_system_sgpr_workgroup_id_y 1
		.amdhsa_system_sgpr_workgroup_id_z 1
		.amdhsa_system_sgpr_workgroup_info 0
		.amdhsa_system_vgpr_workitem_id 0
		.amdhsa_next_free_vgpr 10
		.amdhsa_next_free_sgpr 31
		.amdhsa_accum_offset 12
		.amdhsa_reserve_vcc 1
		.amdhsa_reserve_flat_scratch 0
		.amdhsa_float_round_mode_32 0
		.amdhsa_float_round_mode_16_64 0
		.amdhsa_float_denorm_mode_32 3
		.amdhsa_float_denorm_mode_16_64 3
		.amdhsa_dx10_clamp 1
		.amdhsa_ieee_mode 1
		.amdhsa_fp16_overflow 0
		.amdhsa_tg_split 0
		.amdhsa_exception_fp_ieee_invalid_op 0
		.amdhsa_exception_fp_denorm_src 0
		.amdhsa_exception_fp_ieee_div_zero 0
		.amdhsa_exception_fp_ieee_overflow 0
		.amdhsa_exception_fp_ieee_underflow 0
		.amdhsa_exception_fp_ieee_inexact 0
		.amdhsa_exception_int_div_zero 0
	.end_amdhsa_kernel
	.section	.text._ZN2at6native6mbtopk23computeBlockDigitCountsIhmjLin1EEEvNS_4cuda6detail10TensorInfoIKT_T0_EEjPjjS8_iijT1_PSB_Ps,"axG",@progbits,_ZN2at6native6mbtopk23computeBlockDigitCountsIhmjLin1EEEvNS_4cuda6detail10TensorInfoIKT_T0_EEjPjjS8_iijT1_PSB_Ps,comdat
.Lfunc_end127:
	.size	_ZN2at6native6mbtopk23computeBlockDigitCountsIhmjLin1EEEvNS_4cuda6detail10TensorInfoIKT_T0_EEjPjjS8_iijT1_PSB_Ps, .Lfunc_end127-_ZN2at6native6mbtopk23computeBlockDigitCountsIhmjLin1EEEvNS_4cuda6detail10TensorInfoIKT_T0_EEjPjjS8_iijT1_PSB_Ps
                                        ; -- End function
	.section	.AMDGPU.csdata,"",@progbits
; Kernel info:
; codeLenInByte = 1892
; NumSgprs: 35
; NumVgprs: 10
; NumAgprs: 0
; TotalNumVgprs: 10
; ScratchSize: 0
; MemoryBound: 0
; FloatMode: 240
; IeeeMode: 1
; LDSByteSize: 1024 bytes/workgroup (compile time only)
; SGPRBlocks: 4
; VGPRBlocks: 1
; NumSGPRsForWavesPerEU: 35
; NumVGPRsForWavesPerEU: 10
; AccumOffset: 12
; Occupancy: 8
; WaveLimiterHint : 0
; COMPUTE_PGM_RSRC2:SCRATCH_EN: 0
; COMPUTE_PGM_RSRC2:USER_SGPR: 6
; COMPUTE_PGM_RSRC2:TRAP_HANDLER: 0
; COMPUTE_PGM_RSRC2:TGID_X_EN: 1
; COMPUTE_PGM_RSRC2:TGID_Y_EN: 1
; COMPUTE_PGM_RSRC2:TGID_Z_EN: 1
; COMPUTE_PGM_RSRC2:TIDIG_COMP_CNT: 0
; COMPUTE_PGM_RSRC3_GFX90A:ACCUM_OFFSET: 2
; COMPUTE_PGM_RSRC3_GFX90A:TG_SPLIT: 0
	.section	.text._ZN2at6native6mbtopk10gatherTopKIhmLin1EEEvNS_4cuda6detail10TensorInfoIKT_T0_EES8_S8_bjS8_NS5_IS6_S8_EES8_NS5_IlS8_EES8_jjPS6_PjSD_j,"axG",@progbits,_ZN2at6native6mbtopk10gatherTopKIhmLin1EEEvNS_4cuda6detail10TensorInfoIKT_T0_EES8_S8_bjS8_NS5_IS6_S8_EES8_NS5_IlS8_EES8_jjPS6_PjSD_j,comdat
	.protected	_ZN2at6native6mbtopk10gatherTopKIhmLin1EEEvNS_4cuda6detail10TensorInfoIKT_T0_EES8_S8_bjS8_NS5_IS6_S8_EES8_NS5_IlS8_EES8_jjPS6_PjSD_j ; -- Begin function _ZN2at6native6mbtopk10gatherTopKIhmLin1EEEvNS_4cuda6detail10TensorInfoIKT_T0_EES8_S8_bjS8_NS5_IS6_S8_EES8_NS5_IlS8_EES8_jjPS6_PjSD_j
	.globl	_ZN2at6native6mbtopk10gatherTopKIhmLin1EEEvNS_4cuda6detail10TensorInfoIKT_T0_EES8_S8_bjS8_NS5_IS6_S8_EES8_NS5_IlS8_EES8_jjPS6_PjSD_j
	.p2align	8
	.type	_ZN2at6native6mbtopk10gatherTopKIhmLin1EEEvNS_4cuda6detail10TensorInfoIKT_T0_EES8_S8_bjS8_NS5_IS6_S8_EES8_NS5_IlS8_EES8_jjPS6_PjSD_j,@function
_ZN2at6native6mbtopk10gatherTopKIhmLin1EEEvNS_4cuda6detail10TensorInfoIKT_T0_EES8_S8_bjS8_NS5_IS6_S8_EES8_NS5_IlS8_EES8_jjPS6_PjSD_j: ; @_ZN2at6native6mbtopk10gatherTopKIhmLin1EEEvNS_4cuda6detail10TensorInfoIKT_T0_EES8_S8_bjS8_NS5_IS6_S8_EES8_NS5_IlS8_EES8_jjPS6_PjSD_j
; %bb.0:
	s_load_dwordx2 s[0:1], s[4:5], 0x538
	s_load_dword s2, s[4:5], 0x530
	s_waitcnt lgkmcnt(0)
	s_mul_i32 s1, s1, s8
	s_add_i32 s1, s1, s7
	s_mul_i32 s0, s1, s0
	s_add_i32 s0, s0, s6
	s_cmp_ge_u32 s0, s2
	s_cbranch_scc1 .LBB128_67
; %bb.1:
	s_load_dwordx2 s[20:21], s[4:5], 0x510
	s_load_dwordx4 s[8:11], s[4:5], 0x1a0
	s_mov_b32 s3, 0
	s_waitcnt lgkmcnt(0)
	v_cvt_f32_u32_e32 v1, s21
	s_sub_i32 s2, 0, s21
	s_lshl_b32 s1, s20, 8
	v_rcp_iflag_f32_e32 v1, v1
	v_mul_f32_e32 v1, 0x4f7ffffe, v1
	v_cvt_u32_f32_e32 v1, v1
	v_readfirstlane_b32 s6, v1
	s_mul_i32 s2, s2, s6
	s_mul_hi_u32 s2, s6, s2
	s_add_i32 s6, s6, s2
	s_mul_hi_u32 s2, s0, s6
	s_mul_i32 s6, s2, s21
	s_sub_i32 s6, s0, s6
	s_add_i32 s7, s2, 1
	s_sub_i32 s12, s6, s21
	s_cmp_ge_u32 s6, s21
	s_cselect_b32 s2, s7, s2
	s_cselect_b32 s6, s12, s6
	s_add_i32 s7, s2, 1
	s_cmp_ge_u32 s6, s21
	s_cselect_b32 s2, s7, s2
	s_mul_i32 s22, s2, s21
	s_sub_i32 s54, s0, s22
	s_add_i32 s0, s54, 1
	s_cmp_lt_u32 s0, s21
	s_mul_i32 s33, s54, s1
	s_cbranch_scc1 .LBB128_3
; %bb.2:
	s_sub_u32 s0, s8, s33
	s_subb_u32 s1, s9, 0
	s_add_u32 s0, s0, 0xff
	s_addc_u32 s1, s1, 0
	s_ashr_i32 s6, s1, 31
	s_lshr_b32 s6, s6, 24
	s_add_u32 s0, s0, s6
	s_addc_u32 s1, s1, 0
	v_mov_b32_e32 v1, s0
	v_alignbit_b32 v1, s1, v1, 8
	v_readfirstlane_b32 s20, v1
.LBB128_3:
	s_load_dword s0, s[4:5], 0x198
	s_mov_b64 s[6:7], 0
	s_mov_b64 s[24:25], s[2:3]
	s_waitcnt lgkmcnt(0)
	s_cmp_lt_i32 s0, 2
	s_cbranch_scc1 .LBB128_11
; %bb.4:
	s_mov_b32 s12, 0
	s_add_i32 s23, s0, 1
	s_add_i32 s0, s0, -1
	s_mov_b32 s1, s12
	s_lshl_b64 s[0:1], s[0:1], 3
	s_add_u32 s0, s0, s4
	s_addc_u32 s1, s1, s5
	s_add_u32 s14, s0, 8
	s_addc_u32 s15, s1, 0
	s_mov_b64 s[16:17], s[2:3]
.LBB128_5:                              ; =>This Inner Loop Header: Depth=1
	s_load_dwordx2 s[18:19], s[14:15], 0x0
	s_waitcnt lgkmcnt(0)
	s_or_b64 s[0:1], s[16:17], s[18:19]
	s_mov_b32 s13, s1
	s_cmp_lg_u64 s[12:13], 0
	s_cbranch_scc0 .LBB128_10
; %bb.6:                                ;   in Loop: Header=BB128_5 Depth=1
	v_cvt_f32_u32_e32 v1, s18
	v_cvt_f32_u32_e32 v2, s19
	s_sub_u32 s0, 0, s18
	s_subb_u32 s1, 0, s19
	v_mac_f32_e32 v1, 0x4f800000, v2
	v_rcp_f32_e32 v1, v1
	v_mul_f32_e32 v1, 0x5f7ffffc, v1
	v_mul_f32_e32 v2, 0x2f800000, v1
	v_trunc_f32_e32 v2, v2
	v_mac_f32_e32 v1, 0xcf800000, v2
	v_cvt_u32_f32_e32 v2, v2
	v_cvt_u32_f32_e32 v1, v1
	v_readfirstlane_b32 s13, v2
	v_readfirstlane_b32 s24, v1
	s_mul_i32 s25, s0, s13
	s_mul_hi_u32 s27, s0, s24
	s_mul_i32 s26, s1, s24
	s_add_i32 s25, s27, s25
	s_mul_i32 s28, s0, s24
	s_add_i32 s25, s25, s26
	s_mul_hi_u32 s26, s24, s25
	s_mul_i32 s27, s24, s25
	s_mul_hi_u32 s24, s24, s28
	s_add_u32 s24, s24, s27
	s_addc_u32 s26, 0, s26
	s_mul_hi_u32 s29, s13, s28
	s_mul_i32 s28, s13, s28
	s_add_u32 s24, s24, s28
	s_mul_hi_u32 s27, s13, s25
	s_addc_u32 s24, s26, s29
	s_addc_u32 s26, s27, 0
	s_mul_i32 s25, s13, s25
	s_add_u32 s24, s24, s25
	s_addc_u32 s25, 0, s26
	v_add_co_u32_e32 v1, vcc, s24, v1
	s_cmp_lg_u64 vcc, 0
	s_addc_u32 s13, s13, s25
	v_readfirstlane_b32 s25, v1
	s_mul_i32 s24, s0, s13
	s_mul_hi_u32 s26, s0, s25
	s_add_i32 s24, s26, s24
	s_mul_i32 s1, s1, s25
	s_add_i32 s24, s24, s1
	s_mul_i32 s0, s0, s25
	s_mul_hi_u32 s26, s13, s0
	s_mul_i32 s27, s13, s0
	s_mul_i32 s29, s25, s24
	s_mul_hi_u32 s0, s25, s0
	s_mul_hi_u32 s28, s25, s24
	s_add_u32 s0, s0, s29
	s_addc_u32 s25, 0, s28
	s_add_u32 s0, s0, s27
	s_mul_hi_u32 s1, s13, s24
	s_addc_u32 s0, s25, s26
	s_addc_u32 s1, s1, 0
	s_mul_i32 s24, s13, s24
	s_add_u32 s0, s0, s24
	s_addc_u32 s1, 0, s1
	v_add_co_u32_e32 v1, vcc, s0, v1
	s_cmp_lg_u64 vcc, 0
	s_addc_u32 s0, s13, s1
	v_readfirstlane_b32 s24, v1
	s_mul_i32 s13, s16, s0
	s_mul_hi_u32 s25, s16, s24
	s_mul_hi_u32 s1, s16, s0
	s_add_u32 s13, s25, s13
	s_addc_u32 s1, 0, s1
	s_mul_hi_u32 s26, s17, s24
	s_mul_i32 s24, s17, s24
	s_add_u32 s13, s13, s24
	s_mul_hi_u32 s25, s17, s0
	s_addc_u32 s1, s1, s26
	s_addc_u32 s13, s25, 0
	s_mul_i32 s0, s17, s0
	s_add_u32 s24, s1, s0
	s_addc_u32 s13, 0, s13
	s_mul_i32 s0, s18, s13
	s_mul_hi_u32 s1, s18, s24
	s_add_i32 s0, s1, s0
	s_mul_i32 s1, s19, s24
	s_add_i32 s25, s0, s1
	s_mul_i32 s1, s18, s24
	v_mov_b32_e32 v1, s1
	s_sub_i32 s0, s17, s25
	v_sub_co_u32_e32 v1, vcc, s16, v1
	s_cmp_lg_u64 vcc, 0
	s_subb_u32 s26, s0, s19
	v_subrev_co_u32_e64 v2, s[0:1], s18, v1
	s_cmp_lg_u64 s[0:1], 0
	s_subb_u32 s0, s26, 0
	s_cmp_ge_u32 s0, s19
	v_readfirstlane_b32 s26, v2
	s_cselect_b32 s1, -1, 0
	s_cmp_ge_u32 s26, s18
	s_cselect_b32 s26, -1, 0
	s_cmp_eq_u32 s0, s19
	s_cselect_b32 s0, s26, s1
	s_add_u32 s1, s24, 1
	s_addc_u32 s26, s13, 0
	s_add_u32 s27, s24, 2
	s_addc_u32 s28, s13, 0
	s_cmp_lg_u32 s0, 0
	s_cselect_b32 s0, s27, s1
	s_cselect_b32 s1, s28, s26
	s_cmp_lg_u64 vcc, 0
	s_subb_u32 s25, s17, s25
	s_cmp_ge_u32 s25, s19
	v_readfirstlane_b32 s27, v1
	s_cselect_b32 s26, -1, 0
	s_cmp_ge_u32 s27, s18
	s_cselect_b32 s27, -1, 0
	s_cmp_eq_u32 s25, s19
	s_cselect_b32 s25, s27, s26
	s_cmp_lg_u32 s25, 0
	s_cselect_b32 s25, s1, s13
	s_cselect_b32 s24, s0, s24
	s_cbranch_execnz .LBB128_8
.LBB128_7:                              ;   in Loop: Header=BB128_5 Depth=1
	v_cvt_f32_u32_e32 v1, s18
	s_sub_i32 s0, 0, s18
	s_mov_b32 s25, s12
	v_rcp_iflag_f32_e32 v1, v1
	v_mul_f32_e32 v1, 0x4f7ffffe, v1
	v_cvt_u32_f32_e32 v1, v1
	v_readfirstlane_b32 s1, v1
	s_mul_i32 s0, s0, s1
	s_mul_hi_u32 s0, s1, s0
	s_add_i32 s1, s1, s0
	s_mul_hi_u32 s0, s16, s1
	s_mul_i32 s13, s0, s18
	s_sub_i32 s13, s16, s13
	s_add_i32 s1, s0, 1
	s_sub_i32 s24, s13, s18
	s_cmp_ge_u32 s13, s18
	s_cselect_b32 s0, s1, s0
	s_cselect_b32 s13, s24, s13
	s_add_i32 s1, s0, 1
	s_cmp_ge_u32 s13, s18
	s_cselect_b32 s24, s1, s0
.LBB128_8:                              ;   in Loop: Header=BB128_5 Depth=1
	s_mul_i32 s0, s24, s19
	s_mul_hi_u32 s1, s24, s18
	s_add_i32 s13, s1, s0
	s_load_dwordx2 s[0:1], s[14:15], 0xc8
	s_mul_i32 s19, s25, s18
	s_add_i32 s13, s13, s19
	s_mul_i32 s18, s24, s18
	s_sub_u32 s16, s16, s18
	s_subb_u32 s13, s17, s13
	s_waitcnt lgkmcnt(0)
	s_mul_i32 s13, s0, s13
	s_mul_hi_u32 s17, s0, s16
	s_add_i32 s13, s17, s13
	s_mul_i32 s1, s1, s16
	s_add_i32 s13, s13, s1
	s_mul_i32 s0, s0, s16
	s_add_u32 s6, s0, s6
	s_addc_u32 s7, s13, s7
	s_add_i32 s23, s23, -1
	s_add_u32 s14, s14, -8
	s_addc_u32 s15, s15, -1
	s_cmp_gt_u32 s23, 2
	s_cbranch_scc0 .LBB128_11
; %bb.9:                                ;   in Loop: Header=BB128_5 Depth=1
	s_mov_b64 s[16:17], s[24:25]
	s_branch .LBB128_5
.LBB128_10:                             ;   in Loop: Header=BB128_5 Depth=1
                                        ; implicit-def: $sgpr24_sgpr25
	s_branch .LBB128_7
.LBB128_11:
	s_load_dword s0, s[4:5], 0x358
	s_load_dwordx2 s[28:29], s[4:5], 0xd0
	s_add_u32 s12, s4, 0x1c0
	s_addc_u32 s13, s5, 0
	s_mov_b64 s[26:27], 0
	s_waitcnt lgkmcnt(0)
	s_cmp_lt_i32 s0, 2
	s_mov_b64 s[30:31], s[2:3]
	s_cbranch_scc1 .LBB128_19
; %bb.12:
	s_mov_b32 s14, 0
	s_add_i32 s23, s0, 1
	s_add_i32 s0, s0, -1
	s_mov_b32 s1, s14
	s_lshl_b64 s[0:1], s[0:1], 3
	s_add_u32 s0, s0, s12
	s_addc_u32 s1, s1, s13
	s_add_u32 s16, s0, 8
	s_addc_u32 s17, s1, 0
	s_mov_b64 s[18:19], s[2:3]
.LBB128_13:                             ; =>This Inner Loop Header: Depth=1
	s_load_dwordx2 s[34:35], s[16:17], 0x0
	s_waitcnt lgkmcnt(0)
	s_or_b64 s[0:1], s[18:19], s[34:35]
	s_mov_b32 s15, s1
	s_cmp_lg_u64 s[14:15], 0
	s_cbranch_scc0 .LBB128_18
; %bb.14:                               ;   in Loop: Header=BB128_13 Depth=1
	v_cvt_f32_u32_e32 v1, s34
	v_cvt_f32_u32_e32 v2, s35
	s_sub_u32 s0, 0, s34
	s_subb_u32 s1, 0, s35
	v_mac_f32_e32 v1, 0x4f800000, v2
	v_rcp_f32_e32 v1, v1
	v_mul_f32_e32 v1, 0x5f7ffffc, v1
	v_mul_f32_e32 v2, 0x2f800000, v1
	v_trunc_f32_e32 v2, v2
	v_mac_f32_e32 v1, 0xcf800000, v2
	v_cvt_u32_f32_e32 v2, v2
	v_cvt_u32_f32_e32 v1, v1
	v_readfirstlane_b32 s15, v2
	v_readfirstlane_b32 s30, v1
	s_mul_i32 s31, s0, s15
	s_mul_hi_u32 s37, s0, s30
	s_mul_i32 s36, s1, s30
	s_add_i32 s31, s37, s31
	s_mul_i32 s38, s0, s30
	s_add_i32 s31, s31, s36
	s_mul_hi_u32 s36, s30, s31
	s_mul_i32 s37, s30, s31
	s_mul_hi_u32 s30, s30, s38
	s_add_u32 s30, s30, s37
	s_addc_u32 s36, 0, s36
	s_mul_hi_u32 s39, s15, s38
	s_mul_i32 s38, s15, s38
	s_add_u32 s30, s30, s38
	s_mul_hi_u32 s37, s15, s31
	s_addc_u32 s30, s36, s39
	s_addc_u32 s36, s37, 0
	s_mul_i32 s31, s15, s31
	s_add_u32 s30, s30, s31
	s_addc_u32 s31, 0, s36
	v_add_co_u32_e32 v1, vcc, s30, v1
	s_cmp_lg_u64 vcc, 0
	s_addc_u32 s15, s15, s31
	v_readfirstlane_b32 s31, v1
	s_mul_i32 s30, s0, s15
	s_mul_hi_u32 s36, s0, s31
	s_add_i32 s30, s36, s30
	s_mul_i32 s1, s1, s31
	s_add_i32 s30, s30, s1
	s_mul_i32 s0, s0, s31
	s_mul_hi_u32 s36, s15, s0
	s_mul_i32 s37, s15, s0
	s_mul_i32 s39, s31, s30
	s_mul_hi_u32 s0, s31, s0
	s_mul_hi_u32 s38, s31, s30
	s_add_u32 s0, s0, s39
	s_addc_u32 s31, 0, s38
	s_add_u32 s0, s0, s37
	s_mul_hi_u32 s1, s15, s30
	s_addc_u32 s0, s31, s36
	s_addc_u32 s1, s1, 0
	s_mul_i32 s30, s15, s30
	s_add_u32 s0, s0, s30
	s_addc_u32 s1, 0, s1
	v_add_co_u32_e32 v1, vcc, s0, v1
	s_cmp_lg_u64 vcc, 0
	s_addc_u32 s0, s15, s1
	v_readfirstlane_b32 s30, v1
	s_mul_i32 s15, s18, s0
	s_mul_hi_u32 s31, s18, s30
	s_mul_hi_u32 s1, s18, s0
	s_add_u32 s15, s31, s15
	s_addc_u32 s1, 0, s1
	s_mul_hi_u32 s36, s19, s30
	s_mul_i32 s30, s19, s30
	s_add_u32 s15, s15, s30
	s_mul_hi_u32 s31, s19, s0
	s_addc_u32 s1, s1, s36
	s_addc_u32 s15, s31, 0
	s_mul_i32 s0, s19, s0
	s_add_u32 s30, s1, s0
	s_addc_u32 s15, 0, s15
	s_mul_i32 s0, s34, s15
	s_mul_hi_u32 s1, s34, s30
	s_add_i32 s0, s1, s0
	s_mul_i32 s1, s35, s30
	s_add_i32 s31, s0, s1
	s_mul_i32 s1, s34, s30
	v_mov_b32_e32 v1, s1
	s_sub_i32 s0, s19, s31
	v_sub_co_u32_e32 v1, vcc, s18, v1
	s_cmp_lg_u64 vcc, 0
	s_subb_u32 s36, s0, s35
	v_subrev_co_u32_e64 v2, s[0:1], s34, v1
	s_cmp_lg_u64 s[0:1], 0
	s_subb_u32 s0, s36, 0
	s_cmp_ge_u32 s0, s35
	v_readfirstlane_b32 s36, v2
	s_cselect_b32 s1, -1, 0
	s_cmp_ge_u32 s36, s34
	s_cselect_b32 s36, -1, 0
	s_cmp_eq_u32 s0, s35
	s_cselect_b32 s0, s36, s1
	s_add_u32 s1, s30, 1
	s_addc_u32 s36, s15, 0
	s_add_u32 s37, s30, 2
	s_addc_u32 s38, s15, 0
	s_cmp_lg_u32 s0, 0
	s_cselect_b32 s0, s37, s1
	s_cselect_b32 s1, s38, s36
	s_cmp_lg_u64 vcc, 0
	s_subb_u32 s31, s19, s31
	s_cmp_ge_u32 s31, s35
	v_readfirstlane_b32 s37, v1
	s_cselect_b32 s36, -1, 0
	s_cmp_ge_u32 s37, s34
	s_cselect_b32 s37, -1, 0
	s_cmp_eq_u32 s31, s35
	s_cselect_b32 s31, s37, s36
	s_cmp_lg_u32 s31, 0
	s_cselect_b32 s31, s1, s15
	s_cselect_b32 s30, s0, s30
	s_cbranch_execnz .LBB128_16
.LBB128_15:                             ;   in Loop: Header=BB128_13 Depth=1
	v_cvt_f32_u32_e32 v1, s34
	s_sub_i32 s0, 0, s34
	s_mov_b32 s31, s14
	v_rcp_iflag_f32_e32 v1, v1
	v_mul_f32_e32 v1, 0x4f7ffffe, v1
	v_cvt_u32_f32_e32 v1, v1
	v_readfirstlane_b32 s1, v1
	s_mul_i32 s0, s0, s1
	s_mul_hi_u32 s0, s1, s0
	s_add_i32 s1, s1, s0
	s_mul_hi_u32 s0, s18, s1
	s_mul_i32 s15, s0, s34
	s_sub_i32 s15, s18, s15
	s_add_i32 s1, s0, 1
	s_sub_i32 s30, s15, s34
	s_cmp_ge_u32 s15, s34
	s_cselect_b32 s0, s1, s0
	s_cselect_b32 s15, s30, s15
	s_add_i32 s1, s0, 1
	s_cmp_ge_u32 s15, s34
	s_cselect_b32 s30, s1, s0
.LBB128_16:                             ;   in Loop: Header=BB128_13 Depth=1
	s_mul_i32 s0, s30, s35
	s_mul_hi_u32 s1, s30, s34
	s_add_i32 s15, s1, s0
	s_load_dwordx2 s[0:1], s[16:17], 0xc8
	s_mul_i32 s35, s31, s34
	s_add_i32 s15, s15, s35
	s_mul_i32 s34, s30, s34
	s_sub_u32 s18, s18, s34
	s_subb_u32 s15, s19, s15
	s_waitcnt lgkmcnt(0)
	s_mul_i32 s15, s0, s15
	s_mul_hi_u32 s19, s0, s18
	s_add_i32 s15, s19, s15
	s_mul_i32 s1, s1, s18
	s_add_i32 s15, s15, s1
	s_mul_i32 s0, s0, s18
	s_add_u32 s26, s0, s26
	s_addc_u32 s27, s15, s27
	s_add_i32 s23, s23, -1
	s_add_u32 s16, s16, -8
	s_addc_u32 s17, s17, -1
	s_cmp_gt_u32 s23, 2
	s_cbranch_scc0 .LBB128_19
; %bb.17:                               ;   in Loop: Header=BB128_13 Depth=1
	s_mov_b64 s[18:19], s[30:31]
	s_branch .LBB128_13
.LBB128_18:                             ;   in Loop: Header=BB128_13 Depth=1
                                        ; implicit-def: $sgpr30_sgpr31
	s_branch .LBB128_15
.LBB128_19:
	s_load_dword s14, s[4:5], 0x500
	s_load_dwordx2 s[36:37], s[12:13], 0xd0
	s_add_u32 s0, s4, 0x368
	s_addc_u32 s1, s5, 0
	s_mov_b64 s[34:35], 0
	s_waitcnt lgkmcnt(0)
	s_cmp_lt_i32 s14, 2
	s_cbranch_scc1 .LBB128_27
; %bb.20:
	s_mov_b32 s12, 0
	s_add_i32 s23, s14, 1
	s_add_i32 s14, s14, -1
	s_mov_b32 s15, s12
	s_lshl_b64 s[14:15], s[14:15], 3
	s_add_u32 s0, s14, s0
	s_addc_u32 s1, s15, s1
	s_add_u32 s14, s0, 8
	s_addc_u32 s15, s1, 0
	s_mov_b64 s[16:17], s[2:3]
.LBB128_21:                             ; =>This Inner Loop Header: Depth=1
	s_load_dwordx2 s[18:19], s[14:15], 0x0
	s_waitcnt lgkmcnt(0)
	s_or_b64 s[0:1], s[16:17], s[18:19]
	s_mov_b32 s13, s1
	s_cmp_lg_u64 s[12:13], 0
	s_cbranch_scc0 .LBB128_26
; %bb.22:                               ;   in Loop: Header=BB128_21 Depth=1
	v_cvt_f32_u32_e32 v1, s18
	v_cvt_f32_u32_e32 v2, s19
	s_sub_u32 s0, 0, s18
	s_subb_u32 s1, 0, s19
	v_mac_f32_e32 v1, 0x4f800000, v2
	v_rcp_f32_e32 v1, v1
	v_mul_f32_e32 v1, 0x5f7ffffc, v1
	v_mul_f32_e32 v2, 0x2f800000, v1
	v_trunc_f32_e32 v2, v2
	v_mac_f32_e32 v1, 0xcf800000, v2
	v_cvt_u32_f32_e32 v2, v2
	v_cvt_u32_f32_e32 v1, v1
	v_readfirstlane_b32 s3, v2
	v_readfirstlane_b32 s13, v1
	s_mul_i32 s38, s0, s3
	s_mul_hi_u32 s40, s0, s13
	s_mul_i32 s39, s1, s13
	s_add_i32 s38, s40, s38
	s_mul_i32 s41, s0, s13
	s_add_i32 s38, s38, s39
	s_mul_hi_u32 s39, s13, s38
	s_mul_i32 s40, s13, s38
	s_mul_hi_u32 s13, s13, s41
	s_add_u32 s13, s13, s40
	s_addc_u32 s39, 0, s39
	s_mul_hi_u32 s42, s3, s41
	s_mul_i32 s41, s3, s41
	s_add_u32 s13, s13, s41
	s_mul_hi_u32 s40, s3, s38
	s_addc_u32 s13, s39, s42
	s_addc_u32 s39, s40, 0
	s_mul_i32 s38, s3, s38
	s_add_u32 s13, s13, s38
	s_addc_u32 s38, 0, s39
	v_add_co_u32_e32 v1, vcc, s13, v1
	s_cmp_lg_u64 vcc, 0
	s_addc_u32 s3, s3, s38
	v_readfirstlane_b32 s38, v1
	s_mul_i32 s13, s0, s3
	s_mul_hi_u32 s39, s0, s38
	s_add_i32 s13, s39, s13
	s_mul_i32 s1, s1, s38
	s_add_i32 s13, s13, s1
	s_mul_i32 s0, s0, s38
	s_mul_hi_u32 s39, s3, s0
	s_mul_i32 s40, s3, s0
	s_mul_i32 s42, s38, s13
	s_mul_hi_u32 s0, s38, s0
	s_mul_hi_u32 s41, s38, s13
	s_add_u32 s0, s0, s42
	s_addc_u32 s38, 0, s41
	s_add_u32 s0, s0, s40
	s_mul_hi_u32 s1, s3, s13
	s_addc_u32 s0, s38, s39
	s_addc_u32 s1, s1, 0
	s_mul_i32 s13, s3, s13
	s_add_u32 s0, s0, s13
	s_addc_u32 s1, 0, s1
	v_add_co_u32_e32 v1, vcc, s0, v1
	s_cmp_lg_u64 vcc, 0
	s_addc_u32 s0, s3, s1
	v_readfirstlane_b32 s13, v1
	s_mul_i32 s3, s16, s0
	s_mul_hi_u32 s38, s16, s13
	s_mul_hi_u32 s1, s16, s0
	s_add_u32 s3, s38, s3
	s_addc_u32 s1, 0, s1
	s_mul_hi_u32 s39, s17, s13
	s_mul_i32 s13, s17, s13
	s_add_u32 s3, s3, s13
	s_mul_hi_u32 s38, s17, s0
	s_addc_u32 s1, s1, s39
	s_addc_u32 s3, s38, 0
	s_mul_i32 s0, s17, s0
	s_add_u32 s13, s1, s0
	s_addc_u32 s3, 0, s3
	s_mul_i32 s0, s18, s3
	s_mul_hi_u32 s1, s18, s13
	s_add_i32 s0, s1, s0
	s_mul_i32 s1, s19, s13
	s_add_i32 s38, s0, s1
	s_mul_i32 s1, s18, s13
	v_mov_b32_e32 v1, s1
	s_sub_i32 s0, s17, s38
	v_sub_co_u32_e32 v1, vcc, s16, v1
	s_cmp_lg_u64 vcc, 0
	s_subb_u32 s39, s0, s19
	v_subrev_co_u32_e64 v2, s[0:1], s18, v1
	s_cmp_lg_u64 s[0:1], 0
	s_subb_u32 s0, s39, 0
	s_cmp_ge_u32 s0, s19
	v_readfirstlane_b32 s39, v2
	s_cselect_b32 s1, -1, 0
	s_cmp_ge_u32 s39, s18
	s_cselect_b32 s39, -1, 0
	s_cmp_eq_u32 s0, s19
	s_cselect_b32 s0, s39, s1
	s_add_u32 s1, s13, 1
	s_addc_u32 s39, s3, 0
	s_add_u32 s40, s13, 2
	s_addc_u32 s41, s3, 0
	s_cmp_lg_u32 s0, 0
	s_cselect_b32 s0, s40, s1
	s_cselect_b32 s1, s41, s39
	s_cmp_lg_u64 vcc, 0
	s_subb_u32 s38, s17, s38
	s_cmp_ge_u32 s38, s19
	v_readfirstlane_b32 s40, v1
	s_cselect_b32 s39, -1, 0
	s_cmp_ge_u32 s40, s18
	s_cselect_b32 s40, -1, 0
	s_cmp_eq_u32 s38, s19
	s_cselect_b32 s38, s40, s39
	s_cmp_lg_u32 s38, 0
	s_cselect_b32 s39, s1, s3
	s_cselect_b32 s38, s0, s13
	s_cbranch_execnz .LBB128_24
.LBB128_23:                             ;   in Loop: Header=BB128_21 Depth=1
	v_cvt_f32_u32_e32 v1, s18
	s_sub_i32 s0, 0, s18
	s_mov_b32 s39, s12
	v_rcp_iflag_f32_e32 v1, v1
	v_mul_f32_e32 v1, 0x4f7ffffe, v1
	v_cvt_u32_f32_e32 v1, v1
	v_readfirstlane_b32 s1, v1
	s_mul_i32 s0, s0, s1
	s_mul_hi_u32 s0, s1, s0
	s_add_i32 s1, s1, s0
	s_mul_hi_u32 s0, s16, s1
	s_mul_i32 s3, s0, s18
	s_sub_i32 s3, s16, s3
	s_add_i32 s1, s0, 1
	s_sub_i32 s13, s3, s18
	s_cmp_ge_u32 s3, s18
	s_cselect_b32 s0, s1, s0
	s_cselect_b32 s3, s13, s3
	s_add_i32 s1, s0, 1
	s_cmp_ge_u32 s3, s18
	s_cselect_b32 s38, s1, s0
.LBB128_24:                             ;   in Loop: Header=BB128_21 Depth=1
	s_mul_i32 s0, s38, s19
	s_mul_hi_u32 s1, s38, s18
	s_add_i32 s3, s1, s0
	s_load_dwordx2 s[0:1], s[14:15], 0xc8
	s_mul_i32 s13, s39, s18
	s_add_i32 s3, s3, s13
	s_mul_i32 s13, s38, s18
	s_sub_u32 s13, s16, s13
	s_subb_u32 s3, s17, s3
	s_waitcnt lgkmcnt(0)
	s_mul_i32 s3, s0, s3
	s_mul_hi_u32 s16, s0, s13
	s_add_i32 s3, s16, s3
	s_mul_i32 s1, s1, s13
	s_add_i32 s3, s3, s1
	s_mul_i32 s0, s0, s13
	s_add_u32 s34, s0, s34
	s_addc_u32 s35, s3, s35
	s_add_i32 s23, s23, -1
	s_add_u32 s14, s14, -8
	s_addc_u32 s15, s15, -1
	s_cmp_gt_u32 s23, 2
	s_cbranch_scc0 .LBB128_28
; %bb.25:                               ;   in Loop: Header=BB128_21 Depth=1
	s_mov_b64 s[16:17], s[38:39]
	s_branch .LBB128_21
.LBB128_26:                             ;   in Loop: Header=BB128_21 Depth=1
                                        ; implicit-def: $sgpr38_sgpr39
	s_branch .LBB128_23
.LBB128_27:
	s_mov_b64 s[38:39], s[2:3]
.LBB128_28:
	s_load_dwordx4 s[12:15], s[4:5], 0x518
	v_mov_b32_e32 v1, 0
	s_mov_b32 s23, 0
	s_waitcnt lgkmcnt(0)
	s_add_u32 s0, s12, s2
	s_addc_u32 s1, s13, 0
	global_load_ubyte v5, v1, s[0:1]
	s_load_dwordx2 s[12:13], s[4:5], 0x0
	s_load_dwordx2 s[42:43], s[4:5], 0x1c0
	;; [unrolled: 1-line block ×4, first 2 shown]
	v_cmp_ne_u32_e64 s[0:1], 0, v0
	v_cmp_eq_u32_e64 s[2:3], 0, v0
	s_and_saveexec_b64 s[46:47], s[2:3]
	s_cbranch_execz .LBB128_44
; %bb.29:
	s_load_dwordx2 s[48:49], s[4:5], 0x528
	s_lshl_b64 s[50:51], s[22:23], 2
	s_add_u32 s16, s14, s50
	s_addc_u32 s17, s15, s51
	s_mov_b32 s22, 0
	s_waitcnt lgkmcnt(0)
	s_add_u32 s18, s48, s50
	s_addc_u32 s19, s49, s51
	s_mov_b32 s55, 0
	s_cmp_lt_u32 s21, 4
	s_cbranch_scc1 .LBB128_41
; %bb.30:
	s_mov_b32 s56, 0
.LBB128_31:                             ; =>This Inner Loop Header: Depth=1
	s_add_u32 s16, s14, s50
	s_addc_u32 s17, s15, s51
	s_load_dwordx4 s[16:19], s[16:17], 0x0
	s_add_u32 s52, s48, s50
	s_addc_u32 s53, s49, s51
	s_cmp_ge_u32 s56, s54
	s_cbranch_scc0 .LBB128_38
; %bb.32:                               ;   in Loop: Header=BB128_31 Depth=1
	s_add_i32 s57, s56, 1
	s_cmp_ge_u32 s57, s54
	s_cbranch_scc0 .LBB128_39
.LBB128_33:                             ;   in Loop: Header=BB128_31 Depth=1
	s_add_i32 s57, s57, 1
	s_cmp_ge_u32 s57, s54
	s_cbranch_scc0 .LBB128_40
.LBB128_34:                             ;   in Loop: Header=BB128_31 Depth=1
	s_add_i32 s57, s57, 1
	s_cmp_ge_u32 s57, s54
	s_cbranch_scc1 .LBB128_36
.LBB128_35:                             ;   in Loop: Header=BB128_31 Depth=1
	s_load_dword s52, s[52:53], 0xc
	s_waitcnt lgkmcnt(0)
	s_add_i32 s23, s23, s19
	s_add_i32 s22, s52, s22
.LBB128_36:                             ;   in Loop: Header=BB128_31 Depth=1
	s_waitcnt lgkmcnt(0)
	s_add_i32 s16, s16, s55
	s_add_i32 s16, s16, s17
	s_add_i32 s16, s16, s18
	s_add_i32 s55, s16, s19
	s_add_u32 s14, s14, 16
	s_addc_u32 s15, s15, 0
	s_add_u32 s48, s48, 16
	s_addc_u32 s49, s49, 0
	s_add_i32 s53, s57, 4
	s_add_u32 s18, s48, s50
	s_addc_u32 s19, s49, s51
	s_add_u32 s16, s14, s50
	s_addc_u32 s17, s15, s51
	s_add_i32 s52, s57, 1
	s_cmp_ge_u32 s53, s21
	s_cbranch_scc1 .LBB128_42
; %bb.37:                               ;   in Loop: Header=BB128_31 Depth=1
	s_mov_b32 s56, s52
	s_branch .LBB128_31
.LBB128_38:                             ;   in Loop: Header=BB128_31 Depth=1
	s_load_dword s57, s[52:53], 0x0
	s_waitcnt lgkmcnt(0)
	s_add_i32 s23, s16, s23
	s_add_i32 s22, s57, s22
	;; [unrolled: 1-line block ×3, first 2 shown]
	s_cmp_ge_u32 s57, s54
	s_cbranch_scc1 .LBB128_33
.LBB128_39:                             ;   in Loop: Header=BB128_31 Depth=1
	s_load_dword s58, s[52:53], 0x4
	s_waitcnt lgkmcnt(0)
	s_add_i32 s23, s23, s17
	s_add_i32 s22, s58, s22
	s_add_i32 s57, s57, 1
	s_cmp_ge_u32 s57, s54
	s_cbranch_scc1 .LBB128_34
.LBB128_40:                             ;   in Loop: Header=BB128_31 Depth=1
	s_load_dword s58, s[52:53], 0x8
	s_waitcnt lgkmcnt(0)
	s_add_i32 s23, s23, s18
	s_add_i32 s22, s58, s22
	;; [unrolled: 1-line block ×3, first 2 shown]
	s_cmp_ge_u32 s57, s54
	s_cbranch_scc0 .LBB128_35
	s_branch .LBB128_36
.LBB128_41:
	s_mov_b32 s14, 0
	s_cmp_ge_u32 s14, s21
	s_cbranch_scc0 .LBB128_65
	s_branch .LBB128_43
.LBB128_42:
	s_add_i32 s14, s56, 4
	s_cmp_ge_u32 s14, s21
	s_cbranch_scc0 .LBB128_65
.LBB128_43:
	v_mov_b32_e32 v2, s22
	v_mov_b32_e32 v3, s55
	;; [unrolled: 1-line block ×4, first 2 shown]
	ds_write_b96 v1, v[2:4] offset:1056
.LBB128_44:
	s_or_b64 exec, exec, s[46:47]
	s_cmp_eq_u32 s20, 0
	s_waitcnt lgkmcnt(0)
	s_barrier
	s_cbranch_scc1 .LBB128_67
; %bb.45:
	s_mul_i32 s16, s28, s25
	s_mul_hi_u32 s17, s28, s24
	s_add_i32 s16, s17, s16
	s_mul_i32 s17, s29, s24
	s_mul_i32 s14, s36, s31
	s_mul_hi_u32 s15, s36, s30
	s_add_i32 s18, s16, s17
	s_mul_i32 s16, s44, s39
	s_mul_hi_u32 s17, s44, s38
	s_add_i32 s14, s15, s14
	s_mul_i32 s15, s37, s30
	s_add_i32 s16, s17, s16
	s_mul_i32 s17, s45, s38
	;; [unrolled: 2-line block ×3, first 2 shown]
	s_add_i32 s17, s16, s17
	s_add_u32 s12, s12, s19
	s_addc_u32 s13, s13, s18
	s_add_u32 s12, s12, s6
	s_mul_i32 s15, s36, s30
	s_addc_u32 s13, s13, s7
	s_add_u32 s6, s42, s15
	v_mov_b32_e32 v1, 0
	s_addc_u32 s7, s43, s14
	ds_read_b96 v[2:4], v1 offset:1056
	s_mul_i32 s16, s44, s38
	s_add_u32 s14, s6, s26
	s_addc_u32 s15, s7, s27
	s_lshl_b64 s[6:7], s[16:17], 3
	s_add_u32 s16, s40, s6
	s_addc_u32 s17, s41, s7
	s_lshl_b64 s[6:7], s[34:35], 3
	s_add_u32 s21, s16, s6
	s_load_dword s6, s[4:5], 0x1b0
	s_waitcnt lgkmcnt(0)
	v_add_u32_e32 v2, v2, v3
	v_lshrrev_b32_e32 v3, 5, v0
	s_addc_u32 s26, s17, s7
	s_load_dwordx2 s[16:17], s[4:5], 0x1b8
	s_load_dwordx2 s[18:19], s[4:5], 0x360
	;; [unrolled: 1-line block ×3, first 2 shown]
	v_add_lshl_u32 v8, v3, v0, 2
	v_lshlrev_b32_e32 v3, 2, v0
	v_lshrrev_b32_e32 v6, 3, v0
	v_add_lshl_u32 v9, v6, v3, 2
	v_add_u32_e32 v3, -1, v0
	v_lshrrev_b32_e32 v6, 5, v3
	v_add_lshl_u32 v10, v6, v3, 2
	v_mbcnt_lo_u32_b32 v3, -1, 0
	s_bitcmp1_b32 s6, 0
	v_mbcnt_hi_u32_b32 v11, -1, v3
	s_cselect_b64 s[4:5], -1, 0
	v_cmp_gt_u32_e64 s[6:7], 64, v0
	v_add_u32_e32 v0, s33, v0
	v_and_b32_e32 v12, 15, v11
	v_bfe_i32 v13, v11, 4, 1
	v_add_u32_e32 v14, -1, v11
	v_and_b32_e32 v15, 64, v11
                                        ; implicit-def: $vgpr16
	s_branch .LBB128_48
.LBB128_46:                             ;   in Loop: Header=BB128_48 Depth=1
	s_or_b64 exec, exec, s[24:25]
	v_add_u32_e32 v2, v3, v2
.LBB128_47:                             ;   in Loop: Header=BB128_48 Depth=1
	s_add_i32 s20, s20, -1
	v_add_u32_e32 v4, v17, v4
	s_cmp_lg_u32 s20, 0
	v_add_u32_e32 v0, 0x100, v0
	s_cbranch_scc0 .LBB128_67
.LBB128_48:                             ; =>This Inner Loop Header: Depth=1
	v_cmp_gt_u64_e32 vcc, s[8:9], v[0:1]
	v_mov_b32_e32 v3, v1
	v_mov_b32_e32 v6, v1
	s_and_saveexec_b64 s[24:25], vcc
	s_cbranch_execz .LBB128_50
; %bb.49:                               ;   in Loop: Header=BB128_48 Depth=1
	v_pk_mov_b32 v[6:7], s[12:13], s[12:13] op_sel:[0,1]
	s_waitcnt lgkmcnt(0)
	v_mad_u64_u32 v[6:7], s[28:29], v0, s16, v[6:7]
	v_mov_b32_e32 v16, v7
	v_mad_u64_u32 v[16:17], s[28:29], v0, s17, v[16:17]
	v_mov_b32_e32 v7, v16
	global_load_ubyte v16, v[6:7], off
	s_waitcnt vmcnt(0)
	v_cmp_gt_u16_sdwa s[28:29], v16, v5 src0_sel:DWORD src1_sel:BYTE_0
	v_cndmask_b32_e64 v3, 0, 1, s[28:29]
	v_cmp_lt_u16_sdwa s[28:29], v16, v5 src0_sel:DWORD src1_sel:BYTE_0
	v_cndmask_b32_e64 v6, 0, 1, s[28:29]
	v_cndmask_b32_e64 v3, v6, v3, s[4:5]
	v_cmp_eq_u16_sdwa s[28:29], v16, v5 src0_sel:DWORD src1_sel:BYTE_0
	v_and_b32_e32 v3, 1, v3
	v_cndmask_b32_e64 v6, 0, 1, s[28:29]
.LBB128_50:                             ;   in Loop: Header=BB128_48 Depth=1
	s_or_b64 exec, exec, s[24:25]
	ds_write_b32 v8, v3
	s_waitcnt lgkmcnt(0)
	s_barrier
	s_and_saveexec_b64 s[24:25], s[6:7]
	s_cbranch_execz .LBB128_52
; %bb.51:                               ;   in Loop: Header=BB128_48 Depth=1
	ds_read2_b32 v[18:19], v9 offset1:1
	ds_read2_b32 v[20:21], v9 offset0:2 offset1:3
	v_cmp_ne_u32_e32 vcc, 0, v12
	; wave barrier
	s_waitcnt lgkmcnt(1)
	v_add_u32_e32 v7, v19, v18
	s_waitcnt lgkmcnt(0)
	v_add3_u32 v7, v7, v20, v21
	s_nop 1
	v_mov_b32_dpp v17, v7 row_shr:1 row_mask:0xf bank_mask:0xf
	v_cndmask_b32_e32 v17, 0, v17, vcc
	v_add_u32_e32 v7, v17, v7
	v_cmp_lt_u32_e32 vcc, 1, v12
	s_nop 0
	v_mov_b32_dpp v17, v7 row_shr:2 row_mask:0xf bank_mask:0xf
	v_cndmask_b32_e32 v17, 0, v17, vcc
	v_add_u32_e32 v7, v7, v17
	v_cmp_lt_u32_e32 vcc, 3, v12
	;; [unrolled: 5-line block ×4, first 2 shown]
	s_nop 0
	v_mov_b32_dpp v17, v7 row_bcast:15 row_mask:0xf bank_mask:0xf
	v_and_b32_e32 v17, v13, v17
	v_add_u32_e32 v7, v7, v17
	s_nop 1
	v_mov_b32_dpp v17, v7 row_bcast:31 row_mask:0xf bank_mask:0xf
	v_cndmask_b32_e32 v17, 0, v17, vcc
	v_cmp_lt_i32_e32 vcc, v14, v15
	v_add_u32_e32 v7, v7, v17
	v_cndmask_b32_e32 v17, v14, v11, vcc
	v_lshlrev_b32_e32 v17, 2, v17
	ds_bpermute_b32 v7, v17, v7
	s_waitcnt lgkmcnt(0)
	v_add_u32_e32 v7, v7, v18
	v_cndmask_b32_e64 v7, v7, v3, s[2:3]
	ds_write_b32 v9, v7
	; wave barrier
	ds_read2_b32 v[18:19], v9 offset0:1 offset1:2
	ds_read_b32 v17, v9 offset:12
	s_waitcnt lgkmcnt(1)
	v_add_u32_e32 v7, v18, v7
	v_add_u32_e32 v18, v19, v7
	ds_write2_b32 v9, v7, v18 offset0:1 offset1:2
	s_waitcnt lgkmcnt(1)
	v_add_u32_e32 v7, v17, v18
	ds_write_b32 v9, v7 offset:12
.LBB128_52:                             ;   in Loop: Header=BB128_48 Depth=1
	s_or_b64 exec, exec, s[24:25]
	v_mov_b32_e32 v7, 0
	s_waitcnt lgkmcnt(0)
	s_barrier
	s_and_saveexec_b64 s[24:25], s[0:1]
	s_cbranch_execz .LBB128_54
; %bb.53:                               ;   in Loop: Header=BB128_48 Depth=1
	ds_read_b32 v7, v10
.LBB128_54:                             ;   in Loop: Header=BB128_48 Depth=1
	s_or_b64 exec, exec, s[24:25]
	ds_read_b32 v17, v1 offset:1048
	v_cmp_ne_u32_e32 vcc, 0, v3
	s_waitcnt lgkmcnt(0)
	s_barrier
	s_and_saveexec_b64 s[24:25], vcc
	s_cbranch_execz .LBB128_56
; %bb.55:                               ;   in Loop: Header=BB128_48 Depth=1
	v_add_u32_e32 v3, v7, v4
	v_pk_mov_b32 v[18:19], s[14:15], s[14:15] op_sel:[0,1]
	v_mad_u64_u32 v[18:19], s[28:29], v3, s18, v[18:19]
	v_mov_b32_e32 v20, v19
	v_mad_u64_u32 v[20:21], s[28:29], v3, s19, v[20:21]
	v_mov_b32_e32 v19, v20
	global_store_byte v[18:19], v16, off
	v_mad_u64_u32 v[18:19], s[28:29], v3, s22, 0
	v_mov_b32_e32 v20, v19
	v_mad_u64_u32 v[20:21], s[28:29], v3, s23, v[20:21]
	v_mov_b32_e32 v19, v20
	v_lshlrev_b64 v[18:19], 3, v[18:19]
	v_mov_b32_e32 v3, s26
	v_add_co_u32_e32 v18, vcc, s21, v18
	v_addc_co_u32_e32 v19, vcc, v3, v19, vcc
	global_store_dwordx2 v[18:19], v[0:1], off
.LBB128_56:                             ;   in Loop: Header=BB128_48 Depth=1
	s_or_b64 exec, exec, s[24:25]
	v_mov_b32_e32 v3, v1
	v_cmp_le_u64_e32 vcc, s[10:11], v[2:3]
	s_cbranch_vccnz .LBB128_47
; %bb.57:                               ;   in Loop: Header=BB128_48 Depth=1
	ds_write_b32 v8, v6
	s_waitcnt lgkmcnt(0)
	s_barrier
	s_and_saveexec_b64 s[24:25], s[6:7]
	s_cbranch_execz .LBB128_59
; %bb.58:                               ;   in Loop: Header=BB128_48 Depth=1
	ds_read2_b32 v[18:19], v9 offset1:1
	ds_read2_b32 v[20:21], v9 offset0:2 offset1:3
	v_cmp_ne_u32_e32 vcc, 0, v12
	; wave barrier
	s_waitcnt lgkmcnt(1)
	v_add_u32_e32 v3, v19, v18
	s_waitcnt lgkmcnt(0)
	v_add3_u32 v3, v3, v20, v21
	s_nop 1
	v_mov_b32_dpp v7, v3 row_shr:1 row_mask:0xf bank_mask:0xf
	v_cndmask_b32_e32 v7, 0, v7, vcc
	v_add_u32_e32 v3, v7, v3
	v_cmp_lt_u32_e32 vcc, 1, v12
	s_nop 0
	v_mov_b32_dpp v7, v3 row_shr:2 row_mask:0xf bank_mask:0xf
	v_cndmask_b32_e32 v7, 0, v7, vcc
	v_add_u32_e32 v3, v3, v7
	v_cmp_lt_u32_e32 vcc, 3, v12
	;; [unrolled: 5-line block ×4, first 2 shown]
	s_nop 0
	v_mov_b32_dpp v7, v3 row_bcast:15 row_mask:0xf bank_mask:0xf
	v_and_b32_e32 v7, v13, v7
	v_add_u32_e32 v3, v3, v7
	s_nop 1
	v_mov_b32_dpp v7, v3 row_bcast:31 row_mask:0xf bank_mask:0xf
	v_cndmask_b32_e32 v7, 0, v7, vcc
	v_cmp_lt_i32_e32 vcc, v14, v15
	v_add_u32_e32 v3, v3, v7
	v_cndmask_b32_e32 v7, v14, v11, vcc
	v_lshlrev_b32_e32 v7, 2, v7
	ds_bpermute_b32 v3, v7, v3
	s_waitcnt lgkmcnt(0)
	v_add_u32_e32 v3, v3, v18
	v_cndmask_b32_e64 v3, v3, v6, s[2:3]
	ds_write_b32 v9, v3
	; wave barrier
	ds_read2_b32 v[18:19], v9 offset0:1 offset1:2
	ds_read_b32 v7, v9 offset:12
	s_waitcnt lgkmcnt(1)
	v_add_u32_e32 v3, v18, v3
	v_add_u32_e32 v18, v19, v3
	ds_write2_b32 v9, v3, v18 offset0:1 offset1:2
	s_waitcnt lgkmcnt(1)
	v_add_u32_e32 v3, v7, v18
	ds_write_b32 v9, v3 offset:12
.LBB128_59:                             ;   in Loop: Header=BB128_48 Depth=1
	s_or_b64 exec, exec, s[24:25]
	v_mov_b32_e32 v7, 0
	s_waitcnt lgkmcnt(0)
	s_barrier
	s_and_saveexec_b64 s[24:25], s[0:1]
	s_cbranch_execz .LBB128_61
; %bb.60:                               ;   in Loop: Header=BB128_48 Depth=1
	ds_read_b32 v7, v10
.LBB128_61:                             ;   in Loop: Header=BB128_48 Depth=1
	s_or_b64 exec, exec, s[24:25]
	ds_read_b32 v3, v1 offset:1048
	v_cmp_ne_u32_e32 vcc, 0, v6
	s_waitcnt lgkmcnt(0)
	s_barrier
	s_and_saveexec_b64 s[24:25], vcc
	s_cbranch_execz .LBB128_46
; %bb.62:                               ;   in Loop: Header=BB128_48 Depth=1
	v_add_u32_e32 v6, v7, v2
	v_mov_b32_e32 v7, v1
	v_cmp_gt_u64_e32 vcc, s[10:11], v[6:7]
	s_and_b64 exec, exec, vcc
	s_cbranch_execz .LBB128_46
; %bb.63:                               ;   in Loop: Header=BB128_48 Depth=1
	v_pk_mov_b32 v[18:19], s[14:15], s[14:15] op_sel:[0,1]
	v_mad_u64_u32 v[18:19], s[28:29], v6, s18, v[18:19]
	v_mov_b32_e32 v20, v19
	v_mad_u64_u32 v[20:21], s[28:29], v6, s19, v[20:21]
	v_mov_b32_e32 v19, v20
	global_store_byte v[18:19], v16, off
	v_mad_u64_u32 v[18:19], s[28:29], v6, s22, 0
	v_mov_b32_e32 v20, v19
	v_mad_u64_u32 v[6:7], s[28:29], v6, s23, v[20:21]
	v_mov_b32_e32 v19, v6
	v_lshlrev_b64 v[6:7], 3, v[18:19]
	v_mov_b32_e32 v18, s26
	v_add_co_u32_e32 v6, vcc, s21, v6
	v_addc_co_u32_e32 v7, vcc, v18, v7, vcc
	global_store_dwordx2 v[6:7], v[0:1], off
	s_branch .LBB128_46
.LBB128_64:                             ;   in Loop: Header=BB128_65 Depth=1
	s_add_u32 s16, s16, 4
	s_addc_u32 s17, s17, 0
	s_waitcnt lgkmcnt(0)
	s_add_i32 s55, s15, s55
	s_add_u32 s18, s18, 4
	s_addc_u32 s19, s19, 0
	s_add_i32 s14, s14, 1
	s_cmp_lt_u32 s14, s21
	s_cbranch_scc0 .LBB128_43
.LBB128_65:                             ; =>This Inner Loop Header: Depth=1
	s_load_dword s15, s[16:17], 0x0
	s_cmp_ge_u32 s14, s54
	s_cbranch_scc1 .LBB128_64
; %bb.66:                               ;   in Loop: Header=BB128_65 Depth=1
	s_load_dword s48, s[18:19], 0x0
	s_waitcnt lgkmcnt(0)
	s_add_i32 s23, s15, s23
	s_add_i32 s22, s48, s22
	s_branch .LBB128_64
.LBB128_67:
	s_endpgm
	.section	.rodata,"a",@progbits
	.p2align	6, 0x0
	.amdhsa_kernel _ZN2at6native6mbtopk10gatherTopKIhmLin1EEEvNS_4cuda6detail10TensorInfoIKT_T0_EES8_S8_bjS8_NS5_IS6_S8_EES8_NS5_IlS8_EES8_jjPS6_PjSD_j
		.amdhsa_group_segment_fixed_size 1068
		.amdhsa_private_segment_fixed_size 0
		.amdhsa_kernarg_size 1592
		.amdhsa_user_sgpr_count 6
		.amdhsa_user_sgpr_private_segment_buffer 1
		.amdhsa_user_sgpr_dispatch_ptr 0
		.amdhsa_user_sgpr_queue_ptr 0
		.amdhsa_user_sgpr_kernarg_segment_ptr 1
		.amdhsa_user_sgpr_dispatch_id 0
		.amdhsa_user_sgpr_flat_scratch_init 0
		.amdhsa_user_sgpr_kernarg_preload_length 0
		.amdhsa_user_sgpr_kernarg_preload_offset 0
		.amdhsa_user_sgpr_private_segment_size 0
		.amdhsa_uses_dynamic_stack 0
		.amdhsa_system_sgpr_private_segment_wavefront_offset 0
		.amdhsa_system_sgpr_workgroup_id_x 1
		.amdhsa_system_sgpr_workgroup_id_y 1
		.amdhsa_system_sgpr_workgroup_id_z 1
		.amdhsa_system_sgpr_workgroup_info 0
		.amdhsa_system_vgpr_workitem_id 0
		.amdhsa_next_free_vgpr 22
		.amdhsa_next_free_sgpr 59
		.amdhsa_accum_offset 24
		.amdhsa_reserve_vcc 1
		.amdhsa_reserve_flat_scratch 0
		.amdhsa_float_round_mode_32 0
		.amdhsa_float_round_mode_16_64 0
		.amdhsa_float_denorm_mode_32 3
		.amdhsa_float_denorm_mode_16_64 3
		.amdhsa_dx10_clamp 1
		.amdhsa_ieee_mode 1
		.amdhsa_fp16_overflow 0
		.amdhsa_tg_split 0
		.amdhsa_exception_fp_ieee_invalid_op 0
		.amdhsa_exception_fp_denorm_src 0
		.amdhsa_exception_fp_ieee_div_zero 0
		.amdhsa_exception_fp_ieee_overflow 0
		.amdhsa_exception_fp_ieee_underflow 0
		.amdhsa_exception_fp_ieee_inexact 0
		.amdhsa_exception_int_div_zero 0
	.end_amdhsa_kernel
	.section	.text._ZN2at6native6mbtopk10gatherTopKIhmLin1EEEvNS_4cuda6detail10TensorInfoIKT_T0_EES8_S8_bjS8_NS5_IS6_S8_EES8_NS5_IlS8_EES8_jjPS6_PjSD_j,"axG",@progbits,_ZN2at6native6mbtopk10gatherTopKIhmLin1EEEvNS_4cuda6detail10TensorInfoIKT_T0_EES8_S8_bjS8_NS5_IS6_S8_EES8_NS5_IlS8_EES8_jjPS6_PjSD_j,comdat
.Lfunc_end128:
	.size	_ZN2at6native6mbtopk10gatherTopKIhmLin1EEEvNS_4cuda6detail10TensorInfoIKT_T0_EES8_S8_bjS8_NS5_IS6_S8_EES8_NS5_IlS8_EES8_jjPS6_PjSD_j, .Lfunc_end128-_ZN2at6native6mbtopk10gatherTopKIhmLin1EEEvNS_4cuda6detail10TensorInfoIKT_T0_EES8_S8_bjS8_NS5_IS6_S8_EES8_NS5_IlS8_EES8_jjPS6_PjSD_j
                                        ; -- End function
	.section	.AMDGPU.csdata,"",@progbits
; Kernel info:
; codeLenInByte = 4568
; NumSgprs: 63
; NumVgprs: 22
; NumAgprs: 0
; TotalNumVgprs: 22
; ScratchSize: 0
; MemoryBound: 0
; FloatMode: 240
; IeeeMode: 1
; LDSByteSize: 1068 bytes/workgroup (compile time only)
; SGPRBlocks: 7
; VGPRBlocks: 2
; NumSGPRsForWavesPerEU: 63
; NumVGPRsForWavesPerEU: 22
; AccumOffset: 24
; Occupancy: 8
; WaveLimiterHint : 1
; COMPUTE_PGM_RSRC2:SCRATCH_EN: 0
; COMPUTE_PGM_RSRC2:USER_SGPR: 6
; COMPUTE_PGM_RSRC2:TRAP_HANDLER: 0
; COMPUTE_PGM_RSRC2:TGID_X_EN: 1
; COMPUTE_PGM_RSRC2:TGID_Y_EN: 1
; COMPUTE_PGM_RSRC2:TGID_Z_EN: 1
; COMPUTE_PGM_RSRC2:TIDIG_COMP_CNT: 0
; COMPUTE_PGM_RSRC3_GFX90A:ACCUM_OFFSET: 5
; COMPUTE_PGM_RSRC3_GFX90A:TG_SPLIT: 0
	.section	.text._ZN2at6native6sbtopk10gatherTopKIhmLin1ELb0EEEvNS_4cuda6detail10TensorInfoIKT_T0_EES8_S8_bS8_S8_NS5_IS6_S8_EES8_NS5_IlS8_EES8_PS6_,"axG",@progbits,_ZN2at6native6sbtopk10gatherTopKIhmLin1ELb0EEEvNS_4cuda6detail10TensorInfoIKT_T0_EES8_S8_bS8_S8_NS5_IS6_S8_EES8_NS5_IlS8_EES8_PS6_,comdat
	.protected	_ZN2at6native6sbtopk10gatherTopKIhmLin1ELb0EEEvNS_4cuda6detail10TensorInfoIKT_T0_EES8_S8_bS8_S8_NS5_IS6_S8_EES8_NS5_IlS8_EES8_PS6_ ; -- Begin function _ZN2at6native6sbtopk10gatherTopKIhmLin1ELb0EEEvNS_4cuda6detail10TensorInfoIKT_T0_EES8_S8_bS8_S8_NS5_IS6_S8_EES8_NS5_IlS8_EES8_PS6_
	.globl	_ZN2at6native6sbtopk10gatherTopKIhmLin1ELb0EEEvNS_4cuda6detail10TensorInfoIKT_T0_EES8_S8_bS8_S8_NS5_IS6_S8_EES8_NS5_IlS8_EES8_PS6_
	.p2align	8
	.type	_ZN2at6native6sbtopk10gatherTopKIhmLin1ELb0EEEvNS_4cuda6detail10TensorInfoIKT_T0_EES8_S8_bS8_S8_NS5_IS6_S8_EES8_NS5_IlS8_EES8_PS6_,@function
_ZN2at6native6sbtopk10gatherTopKIhmLin1ELb0EEEvNS_4cuda6detail10TensorInfoIKT_T0_EES8_S8_bS8_S8_NS5_IS6_S8_EES8_NS5_IlS8_EES8_PS6_: ; @_ZN2at6native6sbtopk10gatherTopKIhmLin1ELb0EEEvNS_4cuda6detail10TensorInfoIKT_T0_EES8_S8_bS8_S8_NS5_IS6_S8_EES8_NS5_IlS8_EES8_PS6_
; %bb.0:
	s_load_dwordx4 s[56:59], s[4:5], 0x1b8
	s_load_dwordx2 s[34:35], s[4:5], 0x520
	s_add_u32 s2, s4, 0x520
	s_addc_u32 s3, s5, 0
	s_mov_b32 s11, 0
	s_waitcnt lgkmcnt(0)
	v_mov_b32_e32 v2, s56
	s_mul_i32 s0, s35, s8
	s_add_i32 s0, s0, s7
	s_mul_i32 s0, s0, s34
	v_mov_b32_e32 v3, s57
	s_add_i32 s10, s0, s6
	v_cmp_ge_u64_e32 vcc, s[10:11], v[2:3]
	s_cbranch_vccnz .LBB129_489
; %bb.1:
	s_load_dword s0, s[4:5], 0x198
	s_mov_b64 s[8:9], 0
	s_mov_b64 s[12:13], s[10:11]
	s_waitcnt lgkmcnt(0)
	s_cmp_lt_i32 s0, 2
	s_cbranch_scc1 .LBB129_9
; %bb.2:
	s_mov_b32 s14, 0
	s_add_i32 s25, s0, 1
	s_add_i32 s0, s0, -1
	s_mov_b32 s1, s14
	s_lshl_b64 s[0:1], s[0:1], 3
	s_add_u32 s0, s0, s4
	s_addc_u32 s1, s1, s5
	s_add_u32 s16, s0, 8
	s_addc_u32 s17, s1, 0
	s_mov_b64 s[18:19], s[10:11]
.LBB129_3:                              ; =>This Inner Loop Header: Depth=1
	s_load_dwordx2 s[20:21], s[16:17], 0x0
	s_waitcnt lgkmcnt(0)
	s_or_b64 s[0:1], s[18:19], s[20:21]
	s_mov_b32 s15, s1
	s_cmp_lg_u64 s[14:15], 0
	s_cbranch_scc0 .LBB129_8
; %bb.4:                                ;   in Loop: Header=BB129_3 Depth=1
	v_cvt_f32_u32_e32 v1, s20
	v_cvt_f32_u32_e32 v2, s21
	s_sub_u32 s0, 0, s20
	s_subb_u32 s1, 0, s21
	v_mac_f32_e32 v1, 0x4f800000, v2
	v_rcp_f32_e32 v1, v1
	v_mul_f32_e32 v1, 0x5f7ffffc, v1
	v_mul_f32_e32 v2, 0x2f800000, v1
	v_trunc_f32_e32 v2, v2
	v_mac_f32_e32 v1, 0xcf800000, v2
	v_cvt_u32_f32_e32 v2, v2
	v_cvt_u32_f32_e32 v1, v1
	v_readfirstlane_b32 s7, v2
	v_readfirstlane_b32 s12, v1
	s_mul_i32 s13, s0, s7
	s_mul_hi_u32 s22, s0, s12
	s_mul_i32 s15, s1, s12
	s_add_i32 s13, s22, s13
	s_mul_i32 s23, s0, s12
	s_add_i32 s13, s13, s15
	s_mul_hi_u32 s15, s12, s13
	s_mul_i32 s22, s12, s13
	s_mul_hi_u32 s12, s12, s23
	s_add_u32 s12, s12, s22
	s_addc_u32 s15, 0, s15
	s_mul_hi_u32 s24, s7, s23
	s_mul_i32 s23, s7, s23
	s_add_u32 s12, s12, s23
	s_mul_hi_u32 s22, s7, s13
	s_addc_u32 s12, s15, s24
	s_addc_u32 s15, s22, 0
	s_mul_i32 s13, s7, s13
	s_add_u32 s12, s12, s13
	s_addc_u32 s13, 0, s15
	v_add_co_u32_e32 v1, vcc, s12, v1
	s_cmp_lg_u64 vcc, 0
	s_addc_u32 s7, s7, s13
	v_readfirstlane_b32 s13, v1
	s_mul_i32 s12, s0, s7
	s_mul_hi_u32 s15, s0, s13
	s_add_i32 s12, s15, s12
	s_mul_i32 s1, s1, s13
	s_add_i32 s12, s12, s1
	s_mul_i32 s0, s0, s13
	s_mul_hi_u32 s15, s7, s0
	s_mul_i32 s22, s7, s0
	s_mul_i32 s24, s13, s12
	s_mul_hi_u32 s0, s13, s0
	s_mul_hi_u32 s23, s13, s12
	s_add_u32 s0, s0, s24
	s_addc_u32 s13, 0, s23
	s_add_u32 s0, s0, s22
	s_mul_hi_u32 s1, s7, s12
	s_addc_u32 s0, s13, s15
	s_addc_u32 s1, s1, 0
	s_mul_i32 s12, s7, s12
	s_add_u32 s0, s0, s12
	s_addc_u32 s1, 0, s1
	v_add_co_u32_e32 v1, vcc, s0, v1
	s_cmp_lg_u64 vcc, 0
	s_addc_u32 s0, s7, s1
	v_readfirstlane_b32 s12, v1
	s_mul_i32 s7, s18, s0
	s_mul_hi_u32 s13, s18, s12
	s_mul_hi_u32 s1, s18, s0
	s_add_u32 s7, s13, s7
	s_addc_u32 s1, 0, s1
	s_mul_hi_u32 s15, s19, s12
	s_mul_i32 s12, s19, s12
	s_add_u32 s7, s7, s12
	s_mul_hi_u32 s13, s19, s0
	s_addc_u32 s1, s1, s15
	s_addc_u32 s7, s13, 0
	s_mul_i32 s0, s19, s0
	s_add_u32 s12, s1, s0
	s_addc_u32 s7, 0, s7
	s_mul_i32 s0, s20, s7
	s_mul_hi_u32 s1, s20, s12
	s_add_i32 s0, s1, s0
	s_mul_i32 s1, s21, s12
	s_add_i32 s13, s0, s1
	s_mul_i32 s1, s20, s12
	v_mov_b32_e32 v1, s1
	s_sub_i32 s0, s19, s13
	v_sub_co_u32_e32 v1, vcc, s18, v1
	s_cmp_lg_u64 vcc, 0
	s_subb_u32 s15, s0, s21
	v_subrev_co_u32_e64 v2, s[0:1], s20, v1
	s_cmp_lg_u64 s[0:1], 0
	s_subb_u32 s0, s15, 0
	s_cmp_ge_u32 s0, s21
	v_readfirstlane_b32 s15, v2
	s_cselect_b32 s1, -1, 0
	s_cmp_ge_u32 s15, s20
	s_cselect_b32 s15, -1, 0
	s_cmp_eq_u32 s0, s21
	s_cselect_b32 s0, s15, s1
	s_add_u32 s1, s12, 1
	s_addc_u32 s15, s7, 0
	s_add_u32 s22, s12, 2
	s_addc_u32 s23, s7, 0
	s_cmp_lg_u32 s0, 0
	s_cselect_b32 s0, s22, s1
	s_cselect_b32 s1, s23, s15
	s_cmp_lg_u64 vcc, 0
	s_subb_u32 s13, s19, s13
	s_cmp_ge_u32 s13, s21
	v_readfirstlane_b32 s22, v1
	s_cselect_b32 s15, -1, 0
	s_cmp_ge_u32 s22, s20
	s_cselect_b32 s22, -1, 0
	s_cmp_eq_u32 s13, s21
	s_cselect_b32 s13, s22, s15
	s_cmp_lg_u32 s13, 0
	s_cselect_b32 s13, s1, s7
	s_cselect_b32 s12, s0, s12
	s_cbranch_execnz .LBB129_6
.LBB129_5:                              ;   in Loop: Header=BB129_3 Depth=1
	v_cvt_f32_u32_e32 v1, s20
	s_sub_i32 s0, 0, s20
	s_mov_b32 s13, s14
	v_rcp_iflag_f32_e32 v1, v1
	v_mul_f32_e32 v1, 0x4f7ffffe, v1
	v_cvt_u32_f32_e32 v1, v1
	v_readfirstlane_b32 s1, v1
	s_mul_i32 s0, s0, s1
	s_mul_hi_u32 s0, s1, s0
	s_add_i32 s1, s1, s0
	s_mul_hi_u32 s0, s18, s1
	s_mul_i32 s7, s0, s20
	s_sub_i32 s7, s18, s7
	s_add_i32 s1, s0, 1
	s_sub_i32 s12, s7, s20
	s_cmp_ge_u32 s7, s20
	s_cselect_b32 s0, s1, s0
	s_cselect_b32 s7, s12, s7
	s_add_i32 s1, s0, 1
	s_cmp_ge_u32 s7, s20
	s_cselect_b32 s12, s1, s0
.LBB129_6:                              ;   in Loop: Header=BB129_3 Depth=1
	s_mul_i32 s0, s12, s21
	s_mul_hi_u32 s1, s12, s20
	s_add_i32 s7, s1, s0
	s_load_dwordx2 s[0:1], s[16:17], 0xc8
	s_mul_i32 s15, s13, s20
	s_add_i32 s7, s7, s15
	s_mul_i32 s15, s12, s20
	s_sub_u32 s15, s18, s15
	s_subb_u32 s7, s19, s7
	s_waitcnt lgkmcnt(0)
	s_mul_i32 s7, s0, s7
	s_mul_hi_u32 s18, s0, s15
	s_add_i32 s7, s18, s7
	s_mul_i32 s1, s1, s15
	s_add_i32 s7, s7, s1
	s_mul_i32 s0, s0, s15
	s_add_u32 s8, s0, s8
	s_addc_u32 s9, s7, s9
	s_add_i32 s25, s25, -1
	s_add_u32 s16, s16, -8
	s_addc_u32 s17, s17, -1
	s_cmp_gt_u32 s25, 2
	s_cbranch_scc0 .LBB129_9
; %bb.7:                                ;   in Loop: Header=BB129_3 Depth=1
	s_mov_b64 s[18:19], s[12:13]
	s_branch .LBB129_3
.LBB129_8:                              ;   in Loop: Header=BB129_3 Depth=1
                                        ; implicit-def: $sgpr12_sgpr13
	s_branch .LBB129_5
.LBB129_9:
	s_load_dword s0, s[4:5], 0x360
	s_load_dwordx2 s[14:15], s[4:5], 0xd0
	s_add_u32 s16, s4, 0x1c8
	s_addc_u32 s17, s5, 0
	s_mov_b64 s[56:57], 0
	s_waitcnt lgkmcnt(0)
	s_cmp_lt_i32 s0, 2
	s_mov_b64 s[28:29], s[10:11]
	s_cbranch_scc1 .LBB129_17
; %bb.10:
	s_mov_b32 s18, 0
	s_add_i32 s31, s0, 1
	s_add_i32 s0, s0, -1
	s_mov_b32 s1, s18
	s_lshl_b64 s[0:1], s[0:1], 3
	s_add_u32 s0, s0, s16
	s_addc_u32 s1, s1, s17
	s_add_u32 s20, s0, 8
	s_addc_u32 s21, s1, 0
	s_mov_b64 s[22:23], s[10:11]
.LBB129_11:                             ; =>This Inner Loop Header: Depth=1
	s_load_dwordx2 s[24:25], s[20:21], 0x0
	s_waitcnt lgkmcnt(0)
	s_or_b64 s[0:1], s[22:23], s[24:25]
	s_mov_b32 s19, s1
	s_cmp_lg_u64 s[18:19], 0
	s_cbranch_scc0 .LBB129_16
; %bb.12:                               ;   in Loop: Header=BB129_11 Depth=1
	v_cvt_f32_u32_e32 v1, s24
	v_cvt_f32_u32_e32 v2, s25
	s_sub_u32 s0, 0, s24
	s_subb_u32 s1, 0, s25
	v_mac_f32_e32 v1, 0x4f800000, v2
	v_rcp_f32_e32 v1, v1
	v_mul_f32_e32 v1, 0x5f7ffffc, v1
	v_mul_f32_e32 v2, 0x2f800000, v1
	v_trunc_f32_e32 v2, v2
	v_mac_f32_e32 v1, 0xcf800000, v2
	v_cvt_u32_f32_e32 v2, v2
	v_cvt_u32_f32_e32 v1, v1
	v_readfirstlane_b32 s7, v2
	v_readfirstlane_b32 s19, v1
	s_mul_i32 s26, s0, s7
	s_mul_hi_u32 s28, s0, s19
	s_mul_i32 s27, s1, s19
	s_add_i32 s26, s28, s26
	s_mul_i32 s29, s0, s19
	s_add_i32 s26, s26, s27
	s_mul_hi_u32 s27, s19, s26
	s_mul_i32 s28, s19, s26
	s_mul_hi_u32 s19, s19, s29
	s_add_u32 s19, s19, s28
	s_addc_u32 s27, 0, s27
	s_mul_hi_u32 s30, s7, s29
	s_mul_i32 s29, s7, s29
	s_add_u32 s19, s19, s29
	s_mul_hi_u32 s28, s7, s26
	s_addc_u32 s19, s27, s30
	s_addc_u32 s27, s28, 0
	s_mul_i32 s26, s7, s26
	s_add_u32 s19, s19, s26
	s_addc_u32 s26, 0, s27
	v_add_co_u32_e32 v1, vcc, s19, v1
	s_cmp_lg_u64 vcc, 0
	s_addc_u32 s7, s7, s26
	v_readfirstlane_b32 s26, v1
	s_mul_i32 s19, s0, s7
	s_mul_hi_u32 s27, s0, s26
	s_add_i32 s19, s27, s19
	s_mul_i32 s1, s1, s26
	s_add_i32 s19, s19, s1
	s_mul_i32 s0, s0, s26
	s_mul_hi_u32 s27, s7, s0
	s_mul_i32 s28, s7, s0
	s_mul_i32 s30, s26, s19
	s_mul_hi_u32 s0, s26, s0
	s_mul_hi_u32 s29, s26, s19
	s_add_u32 s0, s0, s30
	s_addc_u32 s26, 0, s29
	s_add_u32 s0, s0, s28
	s_mul_hi_u32 s1, s7, s19
	s_addc_u32 s0, s26, s27
	s_addc_u32 s1, s1, 0
	s_mul_i32 s19, s7, s19
	s_add_u32 s0, s0, s19
	s_addc_u32 s1, 0, s1
	v_add_co_u32_e32 v1, vcc, s0, v1
	s_cmp_lg_u64 vcc, 0
	s_addc_u32 s0, s7, s1
	v_readfirstlane_b32 s19, v1
	s_mul_i32 s7, s22, s0
	s_mul_hi_u32 s26, s22, s19
	s_mul_hi_u32 s1, s22, s0
	s_add_u32 s7, s26, s7
	s_addc_u32 s1, 0, s1
	s_mul_hi_u32 s27, s23, s19
	s_mul_i32 s19, s23, s19
	s_add_u32 s7, s7, s19
	s_mul_hi_u32 s26, s23, s0
	s_addc_u32 s1, s1, s27
	s_addc_u32 s7, s26, 0
	s_mul_i32 s0, s23, s0
	s_add_u32 s19, s1, s0
	s_addc_u32 s7, 0, s7
	s_mul_i32 s0, s24, s7
	s_mul_hi_u32 s1, s24, s19
	s_add_i32 s0, s1, s0
	s_mul_i32 s1, s25, s19
	s_add_i32 s26, s0, s1
	s_mul_i32 s1, s24, s19
	v_mov_b32_e32 v1, s1
	s_sub_i32 s0, s23, s26
	v_sub_co_u32_e32 v1, vcc, s22, v1
	s_cmp_lg_u64 vcc, 0
	s_subb_u32 s27, s0, s25
	v_subrev_co_u32_e64 v2, s[0:1], s24, v1
	s_cmp_lg_u64 s[0:1], 0
	s_subb_u32 s0, s27, 0
	s_cmp_ge_u32 s0, s25
	v_readfirstlane_b32 s27, v2
	s_cselect_b32 s1, -1, 0
	s_cmp_ge_u32 s27, s24
	s_cselect_b32 s27, -1, 0
	s_cmp_eq_u32 s0, s25
	s_cselect_b32 s0, s27, s1
	s_add_u32 s1, s19, 1
	s_addc_u32 s27, s7, 0
	s_add_u32 s28, s19, 2
	s_addc_u32 s29, s7, 0
	s_cmp_lg_u32 s0, 0
	s_cselect_b32 s0, s28, s1
	s_cselect_b32 s1, s29, s27
	s_cmp_lg_u64 vcc, 0
	s_subb_u32 s26, s23, s26
	s_cmp_ge_u32 s26, s25
	v_readfirstlane_b32 s28, v1
	s_cselect_b32 s27, -1, 0
	s_cmp_ge_u32 s28, s24
	s_cselect_b32 s28, -1, 0
	s_cmp_eq_u32 s26, s25
	s_cselect_b32 s26, s28, s27
	s_cmp_lg_u32 s26, 0
	s_cselect_b32 s29, s1, s7
	s_cselect_b32 s28, s0, s19
	s_cbranch_execnz .LBB129_14
.LBB129_13:                             ;   in Loop: Header=BB129_11 Depth=1
	v_cvt_f32_u32_e32 v1, s24
	s_sub_i32 s0, 0, s24
	s_mov_b32 s29, s18
	v_rcp_iflag_f32_e32 v1, v1
	v_mul_f32_e32 v1, 0x4f7ffffe, v1
	v_cvt_u32_f32_e32 v1, v1
	v_readfirstlane_b32 s1, v1
	s_mul_i32 s0, s0, s1
	s_mul_hi_u32 s0, s1, s0
	s_add_i32 s1, s1, s0
	s_mul_hi_u32 s0, s22, s1
	s_mul_i32 s7, s0, s24
	s_sub_i32 s7, s22, s7
	s_add_i32 s1, s0, 1
	s_sub_i32 s19, s7, s24
	s_cmp_ge_u32 s7, s24
	s_cselect_b32 s0, s1, s0
	s_cselect_b32 s7, s19, s7
	s_add_i32 s1, s0, 1
	s_cmp_ge_u32 s7, s24
	s_cselect_b32 s28, s1, s0
.LBB129_14:                             ;   in Loop: Header=BB129_11 Depth=1
	s_mul_i32 s0, s28, s25
	s_mul_hi_u32 s1, s28, s24
	s_add_i32 s7, s1, s0
	s_load_dwordx2 s[0:1], s[20:21], 0xc8
	s_mul_i32 s19, s29, s24
	s_add_i32 s7, s7, s19
	s_mul_i32 s19, s28, s24
	s_sub_u32 s19, s22, s19
	s_subb_u32 s7, s23, s7
	s_waitcnt lgkmcnt(0)
	s_mul_i32 s7, s0, s7
	s_mul_hi_u32 s22, s0, s19
	s_add_i32 s7, s22, s7
	s_mul_i32 s1, s1, s19
	s_add_i32 s7, s7, s1
	s_mul_i32 s0, s0, s19
	s_add_u32 s56, s0, s56
	s_addc_u32 s57, s7, s57
	s_add_i32 s31, s31, -1
	s_add_u32 s20, s20, -8
	s_addc_u32 s21, s21, -1
	s_cmp_gt_u32 s31, 2
	s_cbranch_scc0 .LBB129_17
; %bb.15:                               ;   in Loop: Header=BB129_11 Depth=1
	s_mov_b64 s[22:23], s[28:29]
	s_branch .LBB129_11
.LBB129_16:                             ;   in Loop: Header=BB129_11 Depth=1
                                        ; implicit-def: $sgpr28_sgpr29
	s_branch .LBB129_13
.LBB129_17:
	s_load_dword s7, s[4:5], 0x508
	s_load_dwordx2 s[0:1], s[16:17], 0xd0
                                        ; implicit-def: $vgpr53 : SGPR spill to VGPR lane
	s_mov_b64 s[70:71], 0
                                        ; kill: killed $sgpr16 killed $sgpr17
	s_waitcnt lgkmcnt(0)
	v_writelane_b32 v53, s0, 0
	v_writelane_b32 v53, s1, 1
	s_add_u32 s0, s4, 0x370
	s_addc_u32 s1, s5, 0
	s_cmp_lt_i32 s7, 2
	s_cbranch_scc1 .LBB129_25
; %bb.18:
	s_mov_b32 s16, 0
	s_add_i32 s18, s7, -1
	s_mov_b32 s19, s16
	s_add_i32 s27, s7, 1
	s_lshl_b64 s[18:19], s[18:19], 3
	s_add_u32 s0, s18, s0
	s_addc_u32 s1, s19, s1
	s_add_u32 s18, s0, 8
	s_addc_u32 s19, s1, 0
.LBB129_19:                             ; =>This Inner Loop Header: Depth=1
	s_load_dwordx2 s[20:21], s[18:19], 0x0
	s_waitcnt lgkmcnt(0)
	s_or_b64 s[0:1], s[10:11], s[20:21]
	s_mov_b32 s17, s1
	s_cmp_lg_u64 s[16:17], 0
	s_cbranch_scc0 .LBB129_24
; %bb.20:                               ;   in Loop: Header=BB129_19 Depth=1
	v_cvt_f32_u32_e32 v1, s20
	v_cvt_f32_u32_e32 v2, s21
	s_sub_u32 s0, 0, s20
	s_subb_u32 s1, 0, s21
	v_mac_f32_e32 v1, 0x4f800000, v2
	v_rcp_f32_e32 v1, v1
	v_mul_f32_e32 v1, 0x5f7ffffc, v1
	v_mul_f32_e32 v2, 0x2f800000, v1
	v_trunc_f32_e32 v2, v2
	v_mac_f32_e32 v1, 0xcf800000, v2
	v_cvt_u32_f32_e32 v2, v2
	v_cvt_u32_f32_e32 v1, v1
	v_readfirstlane_b32 s7, v2
	v_readfirstlane_b32 s17, v1
	s_mul_i32 s22, s0, s7
	s_mul_hi_u32 s24, s0, s17
	s_mul_i32 s23, s1, s17
	s_add_i32 s22, s24, s22
	s_mul_i32 s25, s0, s17
	s_add_i32 s22, s22, s23
	s_mul_hi_u32 s23, s17, s22
	s_mul_i32 s24, s17, s22
	s_mul_hi_u32 s17, s17, s25
	s_add_u32 s17, s17, s24
	s_addc_u32 s23, 0, s23
	s_mul_hi_u32 s26, s7, s25
	s_mul_i32 s25, s7, s25
	s_add_u32 s17, s17, s25
	s_mul_hi_u32 s24, s7, s22
	s_addc_u32 s17, s23, s26
	s_addc_u32 s23, s24, 0
	s_mul_i32 s22, s7, s22
	s_add_u32 s17, s17, s22
	s_addc_u32 s22, 0, s23
	v_add_co_u32_e32 v1, vcc, s17, v1
	s_cmp_lg_u64 vcc, 0
	s_addc_u32 s7, s7, s22
	v_readfirstlane_b32 s22, v1
	s_mul_i32 s17, s0, s7
	s_mul_hi_u32 s23, s0, s22
	s_add_i32 s17, s23, s17
	s_mul_i32 s1, s1, s22
	s_add_i32 s17, s17, s1
	s_mul_i32 s0, s0, s22
	s_mul_hi_u32 s23, s7, s0
	s_mul_i32 s24, s7, s0
	s_mul_i32 s26, s22, s17
	s_mul_hi_u32 s0, s22, s0
	s_mul_hi_u32 s25, s22, s17
	s_add_u32 s0, s0, s26
	s_addc_u32 s22, 0, s25
	s_add_u32 s0, s0, s24
	s_mul_hi_u32 s1, s7, s17
	s_addc_u32 s0, s22, s23
	s_addc_u32 s1, s1, 0
	s_mul_i32 s17, s7, s17
	s_add_u32 s0, s0, s17
	s_addc_u32 s1, 0, s1
	v_add_co_u32_e32 v1, vcc, s0, v1
	s_cmp_lg_u64 vcc, 0
	s_addc_u32 s0, s7, s1
	v_readfirstlane_b32 s17, v1
	s_mul_i32 s7, s10, s0
	s_mul_hi_u32 s22, s10, s17
	s_mul_hi_u32 s1, s10, s0
	s_add_u32 s7, s22, s7
	s_addc_u32 s1, 0, s1
	s_mul_hi_u32 s23, s11, s17
	s_mul_i32 s17, s11, s17
	s_add_u32 s7, s7, s17
	s_mul_hi_u32 s22, s11, s0
	s_addc_u32 s1, s1, s23
	s_addc_u32 s7, s22, 0
	s_mul_i32 s0, s11, s0
	s_add_u32 s17, s1, s0
	s_addc_u32 s7, 0, s7
	s_mul_i32 s0, s20, s7
	s_mul_hi_u32 s1, s20, s17
	s_add_i32 s0, s1, s0
	s_mul_i32 s1, s21, s17
	s_add_i32 s22, s0, s1
	s_mul_i32 s1, s20, s17
	v_mov_b32_e32 v1, s1
	s_sub_i32 s0, s11, s22
	v_sub_co_u32_e32 v1, vcc, s10, v1
	s_cmp_lg_u64 vcc, 0
	s_subb_u32 s23, s0, s21
	v_subrev_co_u32_e64 v2, s[0:1], s20, v1
	s_cmp_lg_u64 s[0:1], 0
	s_subb_u32 s0, s23, 0
	s_cmp_ge_u32 s0, s21
	v_readfirstlane_b32 s23, v2
	s_cselect_b32 s1, -1, 0
	s_cmp_ge_u32 s23, s20
	s_cselect_b32 s23, -1, 0
	s_cmp_eq_u32 s0, s21
	s_cselect_b32 s0, s23, s1
	s_add_u32 s1, s17, 1
	s_addc_u32 s23, s7, 0
	s_add_u32 s24, s17, 2
	s_addc_u32 s25, s7, 0
	s_cmp_lg_u32 s0, 0
	s_cselect_b32 s0, s24, s1
	s_cselect_b32 s1, s25, s23
	s_cmp_lg_u64 vcc, 0
	s_subb_u32 s22, s11, s22
	s_cmp_ge_u32 s22, s21
	v_readfirstlane_b32 s24, v1
	s_cselect_b32 s23, -1, 0
	s_cmp_ge_u32 s24, s20
	s_cselect_b32 s24, -1, 0
	s_cmp_eq_u32 s22, s21
	s_cselect_b32 s22, s24, s23
	s_cmp_lg_u32 s22, 0
	s_cselect_b32 s73, s1, s7
	s_cselect_b32 s72, s0, s17
	s_cbranch_execnz .LBB129_22
.LBB129_21:                             ;   in Loop: Header=BB129_19 Depth=1
	v_cvt_f32_u32_e32 v1, s20
	s_sub_i32 s0, 0, s20
	s_mov_b32 s73, s16
	v_rcp_iflag_f32_e32 v1, v1
	v_mul_f32_e32 v1, 0x4f7ffffe, v1
	v_cvt_u32_f32_e32 v1, v1
	v_readfirstlane_b32 s1, v1
	s_mul_i32 s0, s0, s1
	s_mul_hi_u32 s0, s1, s0
	s_add_i32 s1, s1, s0
	s_mul_hi_u32 s0, s10, s1
	s_mul_i32 s7, s0, s20
	s_sub_i32 s7, s10, s7
	s_add_i32 s1, s0, 1
	s_sub_i32 s17, s7, s20
	s_cmp_ge_u32 s7, s20
	s_cselect_b32 s0, s1, s0
	s_cselect_b32 s7, s17, s7
	s_add_i32 s1, s0, 1
	s_cmp_ge_u32 s7, s20
	s_cselect_b32 s72, s1, s0
.LBB129_22:                             ;   in Loop: Header=BB129_19 Depth=1
	s_mul_i32 s0, s72, s21
	s_mul_hi_u32 s1, s72, s20
	s_add_i32 s7, s1, s0
	s_load_dwordx2 s[0:1], s[18:19], 0xc8
	s_mul_i32 s17, s73, s20
	s_add_i32 s7, s7, s17
	s_mul_i32 s17, s72, s20
	s_sub_u32 s10, s10, s17
	s_subb_u32 s7, s11, s7
	s_waitcnt lgkmcnt(0)
	s_mul_i32 s7, s0, s7
	s_mul_hi_u32 s11, s0, s10
	s_add_i32 s7, s11, s7
	s_mul_i32 s1, s1, s10
	s_add_i32 s7, s7, s1
	s_mul_i32 s0, s0, s10
	s_add_u32 s70, s0, s70
	s_addc_u32 s71, s7, s71
	s_add_i32 s27, s27, -1
	s_add_u32 s18, s18, -8
	s_addc_u32 s19, s19, -1
	s_cmp_gt_u32 s27, 2
	s_cbranch_scc0 .LBB129_26
; %bb.23:                               ;   in Loop: Header=BB129_19 Depth=1
	s_mov_b64 s[10:11], s[72:73]
	s_branch .LBB129_19
.LBB129_24:                             ;   in Loop: Header=BB129_19 Depth=1
                                        ; implicit-def: $sgpr72_sgpr73
	s_branch .LBB129_21
.LBB129_25:
	s_mov_b64 s[72:73], s[10:11]
.LBB129_26:
	s_load_dwordx4 s[60:63], s[4:5], 0x1a0
	s_load_dwordx2 s[16:17], s[4:5], 0x0
	s_load_dwordx2 s[0:1], s[4:5], 0x1c8
	v_writelane_b32 v53, s28, 2
	v_writelane_b32 v53, s29, 3
	s_mov_b32 s81, 0
	v_cmp_eq_u32_e64 s[10:11], 0, v0
	s_waitcnt lgkmcnt(0)
	v_writelane_b32 v53, s0, 4
	v_writelane_b32 v53, s1, 5
	s_load_dwordx2 s[0:1], s[4:5], 0x440
	s_waitcnt lgkmcnt(0)
	v_writelane_b32 v53, s0, 6
	v_writelane_b32 v53, s1, 7
	s_load_dwordx2 s[0:1], s[4:5], 0x370
	s_waitcnt lgkmcnt(0)
	v_writelane_b32 v53, s0, 8
	v_writelane_b32 v53, s1, 9
	s_mov_b64 s[0:1], exec
	v_writelane_b32 v53, s10, 10
	v_writelane_b32 v53, s11, 11
	s_and_b64 s[10:11], s[0:1], s[10:11]
	s_mov_b64 exec, s[10:11]
	s_cbranch_execz .LBB129_28
; %bb.27:
	v_mov_b32_e32 v2, 0
	v_mov_b32_e32 v4, s60
	;; [unrolled: 1-line block ×4, first 2 shown]
	ds_write_b32 v2, v2 offset:5144
	ds_write_b128 v2, v[2:5] offset:5120
.LBB129_28:
	s_or_b64 exec, exec, s[0:1]
	s_mul_i32 s0, s14, s13
	s_mul_hi_u32 s1, s14, s12
	s_add_i32 s0, s1, s0
	s_mul_i32 s1, s15, s12
	s_add_i32 s13, s0, s1
	s_mul_i32 s7, s14, s12
	v_writelane_b32 v53, s4, 12
	s_load_dword s0, s[4:5], 0x1b0
	s_add_u32 s1, s16, s7
	s_addc_u32 s10, s17, s13
	s_add_u32 s82, s1, s8
	s_addc_u32 s83, s10, s9
	s_waitcnt lgkmcnt(0)
	s_bitcmp1_b32 s0, 0
	v_writelane_b32 v53, s5, 13
	s_cselect_b64 s[0:1], -1, 0
	v_writelane_b32 v53, s0, 14
	v_writelane_b32 v53, s1, 15
	s_xor_b64 s[0:1], s[0:1], -1
	v_mbcnt_lo_u32_b32 v1, -1, 0
	v_writelane_b32 v53, s0, 16
	v_mbcnt_hi_u32_b32 v37, -1, v1
	v_writelane_b32 v53, s1, 17
	v_cmp_eq_u32_e64 s[0:1], 0, v37
	v_writelane_b32 v53, s0, 18
	v_cmp_gt_u32_e32 vcc, 64, v0
	v_cmp_gt_i32_e64 s[10:11], 4, v37
	v_writelane_b32 v53, s1, 19
	s_and_b64 s[0:1], vcc, s[10:11]
	v_mov_b32_e32 v2, 0xc00
	v_writelane_b32 v53, s0, 20
	v_mov_b32_e32 v3, 0
	v_writelane_b32 v53, s1, 21
	v_cmp_gt_u64_e64 s[0:1], s[60:61], v[2:3]
	v_mov_b32_e32 v15, 0
	v_writelane_b32 v53, s0, 22
	v_pk_mov_b32 v[4:5], s[82:83], s[82:83] op_sel:[0,1]
	v_writelane_b32 v53, s1, 23
	v_mov_b32_e32 v1, v15
	v_mad_u64_u32 v[2:3], s[0:1], v0, s58, 0
	v_mad_u64_u32 v[12:13], s[0:1], v0, s58, v[4:5]
	v_cmp_gt_u64_e64 s[0:1], s[60:61], v[0:1]
	v_writelane_b32 v53, s0, 24
	v_writelane_b32 v53, s1, 25
	v_cmp_gt_u32_e64 s[0:1], 2, v0
	v_writelane_b32 v53, s0, 26
	s_barrier
	v_writelane_b32 v53, s1, 27
	s_load_dword s0, s[2:3], 0xc
	v_lshrrev_b32_e32 v4, 4, v0
	v_and_b32_e32 v38, 60, v4
	v_lshlrev_b32_e32 v4, 2, v37
	v_lshlrev_b32_e32 v16, 2, v0
	s_waitcnt lgkmcnt(0)
	s_and_b32 s33, s0, 0xffff
	s_bfe_u32 s1, s0, 0xa0006
	v_cmp_gt_u16_e64 s[4:5], s0, 63
	v_writelane_b32 v53, s4, 28
	s_add_u32 s0, s33, -1
	v_writelane_b32 v53, s5, 29
	s_addc_u32 s4, 0, -1
	v_writelane_b32 v53, s0, 30
	s_add_u32 s0, s0, s60
	s_addc_u32 s5, s4, s61
	v_writelane_b32 v53, s0, 31
	s_cmp_lt_u32 s6, s34
	v_writelane_b32 v53, s4, 32
	s_cselect_b32 s0, 12, 18
	v_writelane_b32 v53, s4, 33
	s_add_u32 s2, s2, s0
	v_writelane_b32 v53, s5, 34
	s_addc_u32 s3, s3, 0
	v_writelane_b32 v53, s2, 35
	v_writelane_b32 v53, s3, 36
	s_add_i32 s0, s1, -1
	s_bfe_u32 s2, s33, 0x30006
	s_mov_b32 s3, 6
	s_cmp_gt_u32 s0, 6
	v_writelane_b32 v53, s3, 37
	s_cselect_b64 s[4:5], -1, 0
	v_writelane_b32 v53, s4, 38
	s_and_b32 s30, s1, 0x3f8
	v_writelane_b32 v53, s5, 39
	s_cmp_lg_u32 s2, 0
	v_writelane_b32 v53, s2, 40
	s_cselect_b64 s[0:1], -1, 0
	v_writelane_b32 v53, s0, 41
	v_writelane_b32 v53, s1, 42
	s_add_u32 s0, s8, s7
	s_addc_u32 s1, s9, s13
	v_writelane_b32 v53, s0, 43
	v_and_b32_e32 v36, 0x100, v4
	v_lshlrev_b64 v[4:5], v37, -1
	s_add_u32 s2, s16, s0
	v_writelane_b32 v53, s16, 44
	v_not_b32_e32 v11, v5
	v_writelane_b32 v53, s17, 45
	v_or_b32_e32 v5, 3, v16
	v_writelane_b32 v53, s1, 46
	s_addc_u32 s3, s17, s1
	v_mad_u64_u32 v[18:19], s[0:1], s58, v5, 0
	v_not_b32_e32 v10, v4
	v_mov_b32_e32 v4, v19
	v_mad_u64_u32 v[4:5], s[0:1], s59, v5, v[4:5]
	s_lshl_b64 s[0:1], s[58:59], 2
	v_writelane_b32 v53, s0, 47
	v_or_b32_e32 v5, 2, v16
	v_writelane_b32 v53, s1, 48
	v_mad_u64_u32 v[20:21], s[0:1], s58, v5, 0
	v_mov_b32_e32 v19, v4
	v_mov_b32_e32 v4, v21
	v_mul_lo_u32 v6, v0, s59
	v_mad_u64_u32 v[4:5], s[0:1], s59, v5, v[4:5]
	v_add_u32_e32 v3, v3, v6
	v_mov_b32_e32 v21, v4
	v_pk_mov_b32 v[4:5], s[58:59], s[58:59] op_sel:[0,1]
	v_mad_u64_u32 v[22:23], s[0:1], s58, v16, v[4:5]
	v_lshlrev_b64 v[24:25], 2, v[2:3]
	v_mov_b32_e32 v2, 0xc00
	v_mov_b32_e32 v4, v23
	v_lshl_or_b32 v39, v37, 3, v2
	v_writelane_b32 v53, s2, 49
	v_pk_mov_b32 v[2:3], s[2:3], s[2:3] op_sel:[0,1]
	v_mad_u64_u32 v[4:5], s[0:1], s59, v16, v[4:5]
	v_mad_u64_u32 v[26:27], s[0:1], v0, s58, v[2:3]
	s_mul_i32 s0, s59, s33
	s_mul_hi_u32 s1, s58, s33
	v_writelane_b32 v53, s3, 50
	s_add_i32 s65, s1, s0
	s_mul_i32 s0, s58, s33
	v_add_u32_e32 v13, v6, v13
	v_mov_b32_e32 v17, v15
	s_mov_b32 s64, s81
	v_mov_b32_e32 v23, v4
	v_add_u32_e32 v27, v6, v27
	v_writelane_b32 v53, s0, 51
	s_mov_b64 s[78:79], 0
	v_pk_mov_b32 v[28:29], s[62:63], s[62:63] op_sel:[0,1]
	v_mov_b32_e32 v40, 0x4f800000
	v_mov_b32_e32 v43, 0
	;; [unrolled: 1-line block ×4, first 2 shown]
	s_mov_b32 s0, 0
                                        ; implicit-def: $sgpr66_sgpr67
                                        ; implicit-def: $sgpr2_sgpr3
                                        ; implicit-def: $sgpr74_sgpr75
                                        ; implicit-def: $sgpr76_sgpr77
                                        ; implicit-def: $sgpr94_sgpr95
                                        ; implicit-def: $sgpr24_sgpr25
                                        ; implicit-def: $sgpr8_sgpr9
                                        ; implicit-def: $sgpr10_sgpr11
	v_writelane_b32 v53, s0, 52
                                        ; implicit-def: $sgpr88_sgpr89
                                        ; implicit-def: $sgpr12_sgpr13
	s_branch .LBB129_31
.LBB129_29:                             ;   in Loop: Header=BB129_31 Depth=1
	s_or_b64 exec, exec, s[14:15]
	s_andn2_b64 s[12:13], s[12:13], exec
	s_and_b64 s[6:7], s[6:7], exec
	s_or_b64 s[12:13], s[12:13], s[6:7]
	s_andn2_b64 s[88:89], s[88:89], exec
	s_andn2_b64 s[10:11], s[10:11], exec
	;; [unrolled: 1-line block ×4, first 2 shown]
	s_orn2_b64 s[4:5], s[4:5], exec
	v_mov_b32_e32 v41, v31
	v_mov_b32_e32 v42, v30
	v_pk_mov_b32 v[28:29], v[2:3], v[2:3] op_sel:[0,1]
	v_mov_b32_e32 v43, v32
.LBB129_30:                             ;   in Loop: Header=BB129_31 Depth=1
	s_or_b64 exec, exec, s[0:1]
	s_and_b64 s[0:1], exec, s[4:5]
	s_or_b64 s[78:79], s[0:1], s[78:79]
	s_andn2_b64 s[0:1], s[94:95], exec
	s_and_b64 s[4:5], s[12:13], exec
	s_or_b64 s[94:95], s[0:1], s[4:5]
	s_andn2_b64 s[0:1], s[76:77], exec
	s_and_b64 s[4:5], s[88:89], exec
	;; [unrolled: 3-line block ×5, first 2 shown]
	s_or_b64 s[66:67], s[0:1], s[4:5]
	s_andn2_b64 exec, exec, s[78:79]
	s_cbranch_execz .LBB129_485
.LBB129_31:                             ; =>This Loop Header: Depth=1
                                        ;     Child Loop BB129_36 Depth 2
                                        ;     Child Loop BB129_51 Depth 2
	;; [unrolled: 1-line block ×24, first 2 shown]
	ds_read_b128 v[2:5], v15 offset:5120
	s_waitcnt lgkmcnt(0)
	v_readfirstlane_b32 s69, v3
	v_readfirstlane_b32 s68, v2
	s_cmp_lg_u64 s[68:69], 0
	s_cbranch_scc1 .LBB129_58
; %bb.32:                               ;   in Loop: Header=BB129_31 Depth=1
	v_readlane_b32 s0, v53, 22
	v_readlane_b32 s1, v53, 23
	s_and_b64 vcc, exec, s[0:1]
	s_cbranch_vccz .LBB129_44
; %bb.33:                               ;   in Loop: Header=BB129_31 Depth=1
	s_mov_b64 s[0:1], 0xc01
	v_cmp_gt_u64_e32 vcc, s[0:1], v[4:5]
	s_mov_b64 s[68:69], 0
	s_mov_b64 s[0:1], 0
	s_cbranch_vccz .LBB129_45
; %bb.34:                               ;   in Loop: Header=BB129_31 Depth=1
	v_readlane_b32 s0, v53, 35
	v_readlane_b32 s1, v53, 36
	s_nop 4
	global_load_ushort v6, v15, s[0:1]
	global_load_ubyte v7, v[12:13], off
	v_readlane_b32 s0, v53, 49
	v_readlane_b32 s1, v53, 50
	v_pk_mov_b32 v[2:3], s[0:1], s[0:1] op_sel:[0,1]
	s_mov_b64 s[0:1], 0
	s_waitcnt vmcnt(1)
	v_readfirstlane_b32 s4, v6
	s_and_b32 s4, 0xffff, s4
	v_add_u32_e32 v5, s4, v0
	s_mul_i32 s6, s59, s4
	s_mul_hi_u32 s7, s58, s4
	s_mul_i32 s20, s58, s4
	v_mad_u64_u32 v[2:3], s[4:5], s58, v5, v[2:3]
	v_mov_b32_e32 v4, v3
	v_mad_u64_u32 v[4:5], s[4:5], s59, v5, v[4:5]
	s_add_i32 s21, s7, s6
	v_mov_b32_e32 v3, v4
	v_pk_mov_b32 v[4:5], v[0:1], v[0:1] op_sel:[0,1]
	s_branch .LBB129_36
.LBB129_35:                             ;   in Loop: Header=BB129_36 Depth=2
	s_or_b64 exec, exec, s[6:7]
	v_mov_b32_e32 v7, s21
	v_add_co_u32_e32 v2, vcc, s20, v2
	v_addc_co_u32_e32 v3, vcc, v3, v7, vcc
	v_mov_b32_e32 v7, v8
	s_andn2_b64 exec, exec, s[0:1]
	s_cbranch_execz .LBB129_116
.LBB129_36:                             ;   Parent Loop BB129_31 Depth=1
                                        ; =>  This Inner Loop Header: Depth=2
	v_add_co_u32_sdwa v4, vcc, v4, v6 dst_sel:DWORD dst_unused:UNUSED_PAD src0_sel:DWORD src1_sel:WORD_0
	v_addc_co_u32_e32 v5, vcc, 0, v5, vcc
	v_cmp_gt_u64_e64 s[6:7], s[60:61], v[4:5]
	v_cmp_le_u64_e32 vcc, s[60:61], v[4:5]
	s_waitcnt lgkmcnt(0)
	v_mov_b32_e32 v9, 0
	v_mov_b32_e32 v8, 0
	s_and_saveexec_b64 s[4:5], s[6:7]
	s_cbranch_execz .LBB129_38
; %bb.37:                               ;   in Loop: Header=BB129_36 Depth=2
	global_load_ubyte v8, v[2:3], off
.LBB129_38:                             ;   in Loop: Header=BB129_36 Depth=2
	s_or_b64 exec, exec, s[4:5]
	s_waitcnt vmcnt(0)
	v_and_b32_e32 v14, v7, v41
	v_cmp_eq_u32_sdwa s[4:5], v14, v42 src0_sel:BYTE_0 src1_sel:DWORD
	s_cmp_lg_u64 s[4:5], 0
	v_readlane_b32 s14, v53, 18
	s_cselect_b64 s[6:7], -1, 0
	v_readlane_b32 s15, v53, 19
	s_and_b64 s[6:7], s[14:15], s[6:7]
	s_and_saveexec_b64 s[14:15], s[6:7]
	s_cbranch_execz .LBB129_42
; %bb.39:                               ;   in Loop: Header=BB129_36 Depth=2
	s_mov_b64 s[18:19], exec
	v_mbcnt_lo_u32_b32 v9, s18, 0
	v_mbcnt_hi_u32_b32 v9, s19, v9
	s_bcnt1_i32_b64 s22, s[4:5]
	v_cmp_eq_u32_e64 s[6:7], 0, v9
                                        ; implicit-def: $vgpr14
	s_and_saveexec_b64 s[16:17], s[6:7]
	s_cbranch_execz .LBB129_41
; %bb.40:                               ;   in Loop: Header=BB129_36 Depth=2
	s_bcnt1_i32_b64 s6, s[18:19]
	s_mul_i32 s6, s22, s6
	v_mov_b32_e32 v14, s6
	ds_add_rtn_u32 v14, v15, v14 offset:5144
.LBB129_41:                             ;   in Loop: Header=BB129_36 Depth=2
	s_or_b64 exec, exec, s[16:17]
	s_waitcnt lgkmcnt(0)
	v_readfirstlane_b32 s6, v14
	v_mov_b32_e32 v14, s6
	v_mad_u32_u24 v9, s22, v9, v14
.LBB129_42:                             ;   in Loop: Header=BB129_36 Depth=2
	s_or_b64 exec, exec, s[14:15]
	ds_bpermute_b32 v9, v36, v9
	s_and_b64 s[6:7], exec, vcc
	s_or_b64 s[0:1], s[6:7], s[0:1]
	s_and_saveexec_b64 s[6:7], s[4:5]
	s_cbranch_execz .LBB129_35
; %bb.43:                               ;   in Loop: Header=BB129_36 Depth=2
	v_and_b32_e32 v30, s4, v10
	v_and_b32_e32 v14, s5, v11
	v_bcnt_u32_b32 v30, v30, 0
	v_bcnt_u32_b32 v14, v14, v30
	s_waitcnt lgkmcnt(0)
	v_add_u32_e32 v9, v9, v14
	ds_write_b8 v9, v7
	s_branch .LBB129_35
.LBB129_44:                             ;   in Loop: Header=BB129_31 Depth=1
	s_mov_b64 s[68:69], -1
	s_mov_b64 s[0:1], 0
.LBB129_45:                             ;   in Loop: Header=BB129_31 Depth=1
	s_and_b64 vcc, exec, s[68:69]
	s_cbranch_vccz .LBB129_56
.LBB129_46:                             ;   in Loop: Header=BB129_31 Depth=1
	v_mov_b32_e32 v6, 0
	s_mov_b64 s[0:1], exec
	v_readlane_b32 s4, v53, 24
	v_readlane_b32 s5, v53, 25
	s_and_b64 s[4:5], s[0:1], s[4:5]
	s_mov_b64 exec, s[4:5]
	s_cbranch_execz .LBB129_48
; %bb.47:                               ;   in Loop: Header=BB129_31 Depth=1
	global_load_ubyte v6, v[12:13], off
.LBB129_48:                             ;   in Loop: Header=BB129_31 Depth=1
	s_or_b64 exec, exec, s[0:1]
	s_mov_b64 s[0:1], exec
	v_readlane_b32 s4, v53, 24
	v_readlane_b32 s5, v53, 25
	s_and_b64 s[4:5], s[0:1], s[4:5]
	s_mov_b64 exec, s[4:5]
	s_cbranch_execz .LBB129_53
; %bb.49:                               ;   in Loop: Header=BB129_31 Depth=1
	v_readlane_b32 s4, v53, 35
	v_readlane_b32 s5, v53, 36
	v_mov_b32_e32 v8, v0
	s_nop 3
	global_load_ushort v7, v15, s[4:5]
	v_readlane_b32 s4, v53, 49
	v_readlane_b32 s5, v53, 50
	v_pk_mov_b32 v[2:3], s[4:5], s[4:5] op_sel:[0,1]
	s_mov_b64 s[4:5], 0
	s_waitcnt vmcnt(0)
	v_readfirstlane_b32 s6, v7
	s_and_b32 s16, 0xffff, s6
	v_add_u32_e32 v5, s16, v0
	v_mad_u64_u32 v[2:3], s[6:7], s58, v5, v[2:3]
	v_mov_b32_e32 v4, v3
	s_mul_i32 s14, s59, s16
	s_mul_hi_u32 s15, s58, s16
	v_mad_u64_u32 v[4:5], s[6:7], s59, v5, v[4:5]
	s_mul_i32 s17, s58, s16
	s_add_i32 s18, s15, s14
	v_mov_b32_e32 v3, v4
	v_pk_mov_b32 v[4:5], v[0:1], v[0:1] op_sel:[0,1]
	s_branch .LBB129_51
.LBB129_50:                             ;   in Loop: Header=BB129_51 Depth=2
	s_or_b64 exec, exec, s[14:15]
	s_and_b64 s[6:7], exec, vcc
	ds_write_b8 v8, v6
	v_mov_b32_e32 v6, s18
	v_add_co_u32_e32 v2, vcc, s17, v2
	s_or_b64 s[4:5], s[6:7], s[4:5]
	v_add_u32_e32 v8, s16, v8
	v_addc_co_u32_e32 v3, vcc, v3, v6, vcc
	s_waitcnt vmcnt(0)
	v_mov_b32_e32 v6, v9
	s_andn2_b64 exec, exec, s[4:5]
	s_cbranch_execz .LBB129_53
.LBB129_51:                             ;   Parent Loop BB129_31 Depth=1
                                        ; =>  This Inner Loop Header: Depth=2
	v_add_co_u32_sdwa v4, vcc, v4, v7 dst_sel:DWORD dst_unused:UNUSED_PAD src0_sel:DWORD src1_sel:WORD_0
	v_addc_co_u32_e32 v5, vcc, 0, v5, vcc
	v_cmp_gt_u64_e64 s[6:7], s[60:61], v[4:5]
	v_cmp_le_u64_e32 vcc, s[60:61], v[4:5]
	v_mov_b32_e32 v9, 0
	s_and_saveexec_b64 s[14:15], s[6:7]
	s_cbranch_execz .LBB129_50
; %bb.52:                               ;   in Loop: Header=BB129_51 Depth=2
	global_load_ubyte v9, v[2:3], off
	s_branch .LBB129_50
.LBB129_53:                             ;   in Loop: Header=BB129_31 Depth=1
	s_or_b64 exec, exec, s[0:1]
	s_waitcnt lgkmcnt(0)
	s_barrier
	s_mov_b64 s[0:1], exec
	v_readlane_b32 s4, v53, 10
	v_readlane_b32 s5, v53, 11
	s_and_b64 s[4:5], s[0:1], s[4:5]
	s_mov_b64 exec, s[4:5]
	s_cbranch_execz .LBB129_55
; %bb.54:                               ;   in Loop: Header=BB129_31 Depth=1
	v_pk_mov_b32 v[2:3], s[60:61], s[60:61] op_sel:[0,1]
	ds_write_b64 v15, v[2:3] offset:5120
.LBB129_55:                             ;   in Loop: Header=BB129_31 Depth=1
	s_or_b64 exec, exec, s[0:1]
	s_mov_b64 s[0:1], -1
	s_waitcnt lgkmcnt(0)
	s_barrier
                                        ; implicit-def: $sgpr68_sgpr69
.LBB129_56:                             ;   in Loop: Header=BB129_31 Depth=1
	s_and_b64 vcc, exec, s[0:1]
	s_cbranch_vccz .LBB129_58
; %bb.57:                               ;   in Loop: Header=BB129_31 Depth=1
	ds_read_b64 v[2:3], v15 offset:5120
	s_waitcnt lgkmcnt(0)
	v_readfirstlane_b32 s68, v2
.LBB129_58:                             ;   in Loop: Header=BB129_31 Depth=1
	s_cmp_lt_i32 s68, 1
	v_writelane_b32 v53, s24, 53
	v_writelane_b32 v53, s25, 54
	s_cbranch_scc0 .LBB129_73
; %bb.59:                               ;   in Loop: Header=BB129_31 Depth=1
	v_readlane_b32 s0, v53, 35
	v_readlane_b32 s1, v53, 36
	s_nop 4
	global_load_ushort v4, v15, s[0:1]
	s_mov_b32 s0, s81
	s_waitcnt vmcnt(0)
	v_readfirstlane_b32 s1, v4
	s_and_b32 s1, 0xffff, s1
	s_lshl_b32 s31, s1, 2
	s_mov_b32 s1, s61
	s_cmp_lg_u64 s[0:1], 0
	s_cbranch_scc0 .LBB129_93
; %bb.60:                               ;   in Loop: Header=BB129_31 Depth=1
	v_cvt_f32_u32_e32 v2, s31
	s_sub_u32 s0, 0, s31
	s_subb_u32 s1, 0, 0
	v_mac_f32_e32 v2, 0, v40
	v_rcp_f32_e32 v2, v2
	v_mul_f32_e32 v2, 0x5f7ffffc, v2
	v_mul_f32_e32 v3, 0x2f800000, v2
	v_trunc_f32_e32 v3, v3
	v_mac_f32_e32 v2, 0xcf800000, v3
	v_cvt_u32_f32_e32 v3, v3
	v_cvt_u32_f32_e32 v2, v2
	v_readfirstlane_b32 s4, v3
	v_readfirstlane_b32 s5, v2
	s_mul_i32 s6, s0, s4
	s_mul_hi_u32 s14, s0, s5
	s_mul_i32 s7, s1, s5
	s_add_i32 s6, s14, s6
	s_mul_i32 s15, s0, s5
	s_add_i32 s6, s6, s7
	s_mul_hi_u32 s14, s5, s15
	s_mul_hi_u32 s7, s5, s6
	s_mul_i32 s5, s5, s6
	s_add_u32 s5, s14, s5
	s_addc_u32 s7, 0, s7
	s_mul_hi_u32 s16, s4, s15
	s_mul_i32 s15, s4, s15
	s_add_u32 s5, s5, s15
	s_mul_hi_u32 s14, s4, s6
	s_addc_u32 s5, s7, s16
	s_addc_u32 s7, s14, 0
	s_mul_i32 s6, s4, s6
	s_add_u32 s5, s5, s6
	s_addc_u32 s6, 0, s7
	v_add_co_u32_e32 v2, vcc, s5, v2
	s_cmp_lg_u64 vcc, 0
	s_addc_u32 s4, s4, s6
	v_readfirstlane_b32 s6, v2
	s_mul_i32 s5, s0, s4
	s_mul_hi_u32 s7, s0, s6
	s_add_i32 s5, s7, s5
	s_mul_i32 s1, s1, s6
	s_add_i32 s5, s5, s1
	s_mul_i32 s0, s0, s6
	s_mul_hi_u32 s7, s4, s0
	s_mul_i32 s14, s4, s0
	s_mul_i32 s16, s6, s5
	s_mul_hi_u32 s0, s6, s0
	s_mul_hi_u32 s15, s6, s5
	s_add_u32 s0, s0, s16
	s_addc_u32 s6, 0, s15
	s_add_u32 s0, s0, s14
	s_mul_hi_u32 s1, s4, s5
	s_addc_u32 s0, s6, s7
	s_addc_u32 s1, s1, 0
	s_mul_i32 s5, s4, s5
	s_add_u32 s0, s0, s5
	s_addc_u32 s1, 0, s1
	v_add_co_u32_e32 v2, vcc, s0, v2
	s_cmp_lg_u64 vcc, 0
	s_addc_u32 s0, s4, s1
	v_readfirstlane_b32 s5, v2
	s_mul_i32 s4, s60, s0
	s_mul_hi_u32 s6, s60, s5
	s_mul_hi_u32 s1, s60, s0
	s_add_u32 s4, s6, s4
	s_addc_u32 s1, 0, s1
	s_mul_hi_u32 s7, s61, s5
	s_mul_i32 s5, s61, s5
	s_add_u32 s4, s4, s5
	s_mul_hi_u32 s6, s61, s0
	s_addc_u32 s1, s1, s7
	s_addc_u32 s4, s6, 0
	s_mul_i32 s0, s61, s0
	s_add_u32 s0, s1, s0
	s_addc_u32 s1, 0, s4
	s_mul_hi_u32 s4, s31, s0
	s_mul_i32 s0, s31, s0
	s_mul_i32 s1, s31, s1
	v_mov_b32_e32 v2, s0
	s_add_i32 s4, s4, s1
	v_sub_co_u32_e32 v2, vcc, s60, v2
	s_cmp_lg_u64 vcc, 0
	s_subb_u32 s0, s61, s4
	v_subrev_co_u32_e32 v3, vcc, s31, v2
	s_cmp_lg_u64 vcc, 0
	s_subb_u32 s1, s0, 0
	v_subrev_co_u32_e32 v5, vcc, s31, v3
	s_cmp_lg_u64 vcc, 0
	s_subb_u32 s4, s1, 0
	v_cmp_le_u32_e32 vcc, s31, v3
	s_cmp_eq_u32 s1, 0
	v_cndmask_b32_e64 v6, 0, -1, vcc
	s_cselect_b64 vcc, -1, 0
	v_cndmask_b32_e32 v6, -1, v6, vcc
	v_mov_b32_e32 v7, s1
	v_mov_b32_e32 v8, s4
	v_cmp_ne_u32_e32 vcc, 0, v6
	v_cndmask_b32_e32 v6, v7, v8, vcc
	v_cndmask_b32_e32 v5, v3, v5, vcc
	v_cmp_le_u32_e32 vcc, s31, v2
	s_cmp_eq_u32 s0, 0
	v_cndmask_b32_e64 v3, 0, -1, vcc
	s_cselect_b64 vcc, -1, 0
	v_cndmask_b32_e32 v3, -1, v3, vcc
	v_mov_b32_e32 v7, s0
	v_cmp_ne_u32_e32 vcc, 0, v3
	v_cndmask_b32_e32 v3, v7, v6, vcc
	v_cndmask_b32_e32 v2, v2, v5, vcc
	s_cbranch_execnz .LBB129_62
.LBB129_61:                             ;   in Loop: Header=BB129_31 Depth=1
	v_cvt_f32_u32_e32 v2, s31
	s_sub_i32 s0, 0, s31
	v_rcp_iflag_f32_e32 v2, v2
	v_mul_f32_e32 v2, 0x4f7ffffe, v2
	v_cvt_u32_f32_e32 v2, v2
	v_mul_lo_u32 v3, s0, v2
	v_mul_hi_u32 v3, v2, v3
	v_add_u32_e32 v2, v2, v3
	v_mul_hi_u32 v2, s60, v2
	v_mul_lo_u32 v2, v2, s31
	v_sub_u32_e32 v2, s60, v2
	v_subrev_u32_e32 v3, s31, v2
	v_cmp_le_u32_e32 vcc, s31, v2
	v_cndmask_b32_e32 v2, v2, v3, vcc
	v_subrev_u32_e32 v3, s31, v2
	v_cmp_le_u32_e32 vcc, s31, v2
	v_cndmask_b32_e32 v14, v2, v3, vcc
	v_pk_mov_b32 v[2:3], v[14:15], v[14:15] op_sel:[0,1]
.LBB129_62:                             ;   in Loop: Header=BB129_31 Depth=1
	v_and_b32_e32 v14, 0xffff, v4
	v_mov_b32_e32 v4, s61
	v_sub_co_u32_e32 v30, vcc, s60, v2
	v_subb_co_u32_e32 v31, vcc, v4, v3, vcc
	v_pk_mov_b32 v[2:3], 0, 0
	v_cmp_gt_u64_e32 vcc, v[30:31], v[16:17]
	s_mov_b64 s[84:85], 0
	v_pk_mov_b32 v[4:5], v[2:3], v[2:3] op_sel:[0,1]
	v_pk_mov_b32 v[6:7], v[2:3], v[2:3] op_sel:[0,1]
	;; [unrolled: 1-line block ×3, first 2 shown]
	s_and_saveexec_b64 s[4:5], vcc
	s_cbranch_execz .LBB129_66
; %bb.63:                               ;   in Loop: Header=BB129_31 Depth=1
	v_readlane_b32 s0, v53, 37
	s_and_b32 s69, s0, 0xfe
	v_readlane_b32 s0, v53, 47
	v_readlane_b32 s1, v53, 48
	v_mul_lo_u32 v2, s1, v14
	v_mul_hi_u32 v3, s0, v14
	v_add_u32_e32 v44, v3, v2
	v_mul_lo_u32 v45, s0, v14
	v_pk_mov_b32 v[32:33], s[82:83], s[82:83] op_sel:[0,1]
	s_mov_b64 s[86:87], 0
	s_mov_b64 s[92:93], 0
	;; [unrolled: 1-line block ×4, first 2 shown]
	v_pk_mov_b32 v[34:35], v[16:17], v[16:17] op_sel:[0,1]
.LBB129_64:                             ;   Parent Loop BB129_31 Depth=1
                                        ; =>  This Inner Loop Header: Depth=2
	v_add_co_u32_e32 v2, vcc, v32, v24
	v_addc_co_u32_e32 v3, vcc, v33, v25, vcc
	v_add_co_u32_e32 v4, vcc, v32, v22
	v_addc_co_u32_e32 v5, vcc, v33, v23, vcc
	;; [unrolled: 2-line block ×4, first 2 shown]
	global_load_ubyte v2, v[2:3], off
	s_nop 0
	global_load_ubyte v3, v[4:5], off
	s_nop 0
	global_load_ubyte v4, v[6:7], off
	global_load_ubyte v5, v[8:9], off
	v_add_co_u32_e32 v34, vcc, s31, v34
	v_addc_co_u32_e32 v35, vcc, 0, v35, vcc
	v_add_co_u32_e32 v32, vcc, v32, v45
	v_addc_co_u32_e32 v33, vcc, v33, v44, vcc
	v_cmp_ge_u64_e32 vcc, v[34:35], v[30:31]
	s_waitcnt vmcnt(3)
	v_and_b32_e32 v6, v41, v2
	v_bfe_u32 v2, v2, s69, 2
	s_waitcnt vmcnt(2)
	v_and_b32_e32 v7, v41, v3
	v_bfe_u32 v3, v3, s69, 2
	v_cmp_eq_u32_e64 s[20:21], v6, v42
	v_cmp_eq_u32_e64 s[6:7], 0, v2
	s_waitcnt vmcnt(1)
	v_and_b32_e32 v8, v41, v4
	v_bfe_u32 v4, v4, s69, 2
	v_cmp_eq_u32_e64 s[18:19], v7, v42
	v_cmp_eq_u32_e64 s[34:35], 0, v3
	s_and_b64 s[6:7], s[20:21], s[6:7]
	s_waitcnt vmcnt(0)
	v_and_b32_e32 v9, v41, v5
	v_bfe_u32 v5, v5, s69, 2
	v_cmp_eq_u32_e64 s[16:17], v8, v42
	v_cmp_eq_u32_e64 s[36:37], 0, v4
	;; [unrolled: 1-line block ×5, first 2 shown]
	v_cndmask_b32_e64 v2, 0, 1, s[6:7]
	s_and_b64 s[6:7], s[18:19], s[34:35]
	v_cmp_eq_u32_e64 s[14:15], v9, v42
	v_cmp_eq_u32_e64 s[38:39], 0, v5
	v_cmp_eq_u32_e64 s[42:43], 1, v3
	v_cmp_eq_u32_e64 s[50:51], 2, v3
	v_cmp_eq_u32_e64 s[26:27], 3, v3
	v_cndmask_b32_e64 v3, 0, 1, s[6:7]
	s_and_b64 s[6:7], s[16:17], s[36:37]
	v_cmp_eq_u32_e64 s[44:45], 1, v4
	v_cmp_eq_u32_e64 s[52:53], 2, v4
	;; [unrolled: 1-line block ×3, first 2 shown]
	v_cndmask_b32_e64 v4, 0, 1, s[6:7]
	s_and_b64 s[6:7], s[14:15], s[38:39]
	v_cmp_eq_u32_e64 s[46:47], 1, v5
	v_cmp_eq_u32_e64 s[54:55], 2, v5
	;; [unrolled: 1-line block ×3, first 2 shown]
	v_cndmask_b32_e64 v5, 0, 1, s[6:7]
	v_cmp_ne_u32_e64 s[6:7], 0, v2
	v_cmp_ne_u32_e64 s[34:35], 0, v3
	v_cmp_ne_u32_e64 s[36:37], 0, v4
	v_cmp_ne_u32_e64 s[38:39], 0, v5
	s_bcnt1_i32_b64 s6, s[6:7]
	s_bcnt1_i32_b64 s7, s[34:35]
	s_bcnt1_i32_b64 s34, s[36:37]
	s_bcnt1_i32_b64 s35, s[38:39]
	s_add_u32 s0, s6, s0
	s_addc_u32 s1, 0, s1
	s_add_u32 s0, s0, s7
	s_addc_u32 s1, s1, 0
	s_add_u32 s0, s0, s34
	s_addc_u32 s1, s1, 0
	s_add_u32 s0, s0, s35
	s_addc_u32 s1, s1, 0
	s_and_b64 s[6:7], s[20:21], s[40:41]
	v_cndmask_b32_e64 v4, 0, 1, s[6:7]
	s_and_b64 s[6:7], s[18:19], s[42:43]
	v_cndmask_b32_e64 v5, 0, 1, s[6:7]
	s_and_b64 s[6:7], s[16:17], s[44:45]
	v_cndmask_b32_e64 v6, 0, 1, s[6:7]
	s_and_b64 s[6:7], s[14:15], s[46:47]
	v_cndmask_b32_e64 v7, 0, 1, s[6:7]
	v_cmp_ne_u32_e64 s[6:7], 0, v4
	v_cmp_ne_u32_e64 s[34:35], 0, v5
	v_cmp_ne_u32_e64 s[36:37], 0, v6
	v_cmp_ne_u32_e64 s[38:39], 0, v7
	s_bcnt1_i32_b64 s6, s[6:7]
	s_bcnt1_i32_b64 s7, s[34:35]
	s_bcnt1_i32_b64 s34, s[36:37]
	s_bcnt1_i32_b64 s35, s[38:39]
	s_add_u32 s6, s6, s90
	s_addc_u32 s36, 0, s91
	s_add_u32 s6, s6, s7
	s_addc_u32 s7, s36, 0
	s_add_u32 s6, s6, s34
	s_addc_u32 s7, s7, 0
	s_add_u32 s90, s6, s35
	s_addc_u32 s91, s7, 0
	s_and_b64 s[6:7], s[20:21], s[48:49]
	v_cndmask_b32_e64 v6, 0, 1, s[6:7]
	s_and_b64 s[6:7], s[18:19], s[50:51]
	v_cndmask_b32_e64 v7, 0, 1, s[6:7]
	s_and_b64 s[6:7], s[16:17], s[52:53]
	v_cndmask_b32_e64 v8, 0, 1, s[6:7]
	s_and_b64 s[6:7], s[14:15], s[54:55]
	;; [unrolled: 24-line block ×3, first 2 shown]
	v_cndmask_b32_e64 v47, 0, 1, s[6:7]
	v_cmp_ne_u32_e64 s[6:7], 0, v8
	v_cmp_ne_u32_e64 s[14:15], 0, v9
	;; [unrolled: 1-line block ×4, first 2 shown]
	s_bcnt1_i32_b64 s6, s[6:7]
	s_bcnt1_i32_b64 s7, s[14:15]
	;; [unrolled: 1-line block ×4, first 2 shown]
	s_add_u32 s6, s6, s86
	s_addc_u32 s16, 0, s87
	s_add_u32 s6, s6, s7
	s_addc_u32 s7, s16, 0
	;; [unrolled: 2-line block ×4, first 2 shown]
	v_pk_mov_b32 v[2:3], s[0:1], s[0:1] op_sel:[0,1]
	v_pk_mov_b32 v[4:5], s[90:91], s[90:91] op_sel:[0,1]
	;; [unrolled: 1-line block ×3, first 2 shown]
	s_or_b64 s[84:85], vcc, s[84:85]
	v_pk_mov_b32 v[8:9], s[86:87], s[86:87] op_sel:[0,1]
	s_andn2_b64 exec, exec, s[84:85]
	s_cbranch_execnz .LBB129_64
; %bb.65:                               ;   in Loop: Header=BB129_31 Depth=1
	s_or_b64 exec, exec, s[84:85]
.LBB129_66:                             ;   in Loop: Header=BB129_31 Depth=1
	s_or_b64 exec, exec, s[4:5]
	v_add_co_u32_e32 v30, vcc, v30, v0
	v_addc_co_u32_e32 v31, vcc, 0, v31, vcc
	v_cmp_gt_u64_e32 vcc, s[60:61], v[30:31]
	v_mov_b32_e32 v32, 0
	s_and_saveexec_b64 s[0:1], vcc
	s_cbranch_execz .LBB129_68
; %bb.67:                               ;   in Loop: Header=BB129_31 Depth=1
	v_pk_mov_b32 v[32:33], s[82:83], s[82:83] op_sel:[0,1]
	v_mad_u64_u32 v[32:33], s[4:5], v30, s58, v[32:33]
	v_mul_lo_u32 v34, v30, s59
	v_mul_lo_u32 v35, v31, s58
	v_add3_u32 v33, v35, v33, v34
	global_load_ubyte v32, v[32:33], off
.LBB129_68:                             ;   in Loop: Header=BB129_31 Depth=1
	s_or_b64 exec, exec, s[0:1]
	s_and_saveexec_b64 s[0:1], vcc
	s_cbranch_execz .LBB129_75
; %bb.69:                               ;   in Loop: Header=BB129_31 Depth=1
	v_readlane_b32 s4, v53, 37
	s_and_b32 s16, s4, 0xfe
	s_mov_b64 s[4:5], 0
	s_branch .LBB129_71
.LBB129_70:                             ;   in Loop: Header=BB129_71 Depth=2
	s_or_b64 exec, exec, s[14:15]
	s_waitcnt vmcnt(0)
	v_and_b32_e32 v32, 0xff, v32
	s_and_b64 s[6:7], exec, vcc
	v_and_b32_e32 v34, v41, v32
	v_bfe_u32 v32, v32, s16, 2
	s_or_b64 s[4:5], s[6:7], s[4:5]
	v_cmp_eq_u32_e32 vcc, v34, v42
	v_cmp_eq_u32_e64 s[6:7], 0, v32
	s_and_b64 s[6:7], vcc, s[6:7]
	v_cndmask_b32_e64 v34, 0, 1, s[6:7]
	v_cmp_ne_u32_e64 s[6:7], 0, v34
	s_bcnt1_i32_b64 s6, s[6:7]
	v_add_co_u32_e64 v2, s[6:7], s6, v2
	v_addc_co_u32_e64 v3, s[6:7], 0, v3, s[6:7]
	v_cmp_eq_u32_e64 s[6:7], 1, v32
	s_and_b64 s[6:7], vcc, s[6:7]
	v_cndmask_b32_e64 v34, 0, 1, s[6:7]
	v_cmp_ne_u32_e64 s[6:7], 0, v34
	s_bcnt1_i32_b64 s6, s[6:7]
	v_add_co_u32_e64 v4, s[6:7], s6, v4
	v_addc_co_u32_e64 v5, s[6:7], 0, v5, s[6:7]
	;; [unrolled: 7-line block ×3, first 2 shown]
	v_cmp_eq_u32_e64 s[6:7], 3, v32
	s_and_b64 s[6:7], vcc, s[6:7]
	v_cndmask_b32_e64 v32, 0, 1, s[6:7]
	v_cmp_ne_u32_e32 vcc, 0, v32
	s_bcnt1_i32_b64 s6, vcc
	v_add_co_u32_e32 v8, vcc, s6, v8
	v_addc_co_u32_e32 v9, vcc, 0, v9, vcc
	v_mov_b32_e32 v32, v33
	s_andn2_b64 exec, exec, s[4:5]
	s_cbranch_execz .LBB129_74
.LBB129_71:                             ;   Parent Loop BB129_31 Depth=1
                                        ; =>  This Inner Loop Header: Depth=2
	v_add_co_u32_e32 v30, vcc, v30, v14
	v_addc_co_u32_e32 v31, vcc, 0, v31, vcc
	v_cmp_gt_u64_e64 s[6:7], s[60:61], v[30:31]
	v_cmp_le_u64_e32 vcc, s[60:61], v[30:31]
	v_mov_b32_e32 v33, 0
	s_and_saveexec_b64 s[14:15], s[6:7]
	s_cbranch_execz .LBB129_70
; %bb.72:                               ;   in Loop: Header=BB129_71 Depth=2
	v_pk_mov_b32 v[34:35], s[82:83], s[82:83] op_sel:[0,1]
	v_mad_u64_u32 v[34:35], s[6:7], v30, s58, v[34:35]
	v_mul_lo_u32 v33, v30, s59
	v_mul_lo_u32 v44, v31, s58
	v_add3_u32 v35, v44, v35, v33
	global_load_ubyte v33, v[34:35], off
	s_branch .LBB129_70
.LBB129_73:                             ;   in Loop: Header=BB129_31 Depth=1
                                        ; implicit-def: $vgpr8_vgpr9
                                        ; implicit-def: $vgpr4_vgpr5
	s_cbranch_execnz .LBB129_76
	s_branch .LBB129_85
.LBB129_74:                             ;   in Loop: Header=BB129_31 Depth=1
	s_or_b64 exec, exec, s[4:5]
.LBB129_75:                             ;   in Loop: Header=BB129_31 Depth=1
	s_or_b64 exec, exec, s[0:1]
	s_branch .LBB129_85
.LBB129_76:                             ;   in Loop: Header=BB129_31 Depth=1
	v_readlane_b32 s0, v53, 35
	v_readlane_b32 s1, v53, 36
	s_mov_b64 s[4:5], 0
	s_nop 3
	global_load_ushort v14, v15, s[0:1]
	s_waitcnt vmcnt(0)
	v_readfirstlane_b32 s0, v14
	s_and_b32 s0, 0xffff, s0
	s_lshl_b32 s31, s0, 2
	v_cvt_f32_u32_e32 v2, s31
	s_sub_i32 s0, 0, s31
	v_rcp_iflag_f32_e32 v4, v2
	v_pk_mov_b32 v[2:3], 0, 0
	v_pk_mov_b32 v[6:7], v[2:3], v[2:3] op_sel:[0,1]
	v_mul_f32_e32 v4, 0x4f7ffffe, v4
	v_cvt_u32_f32_e32 v8, v4
	v_pk_mov_b32 v[4:5], v[2:3], v[2:3] op_sel:[0,1]
	v_readfirstlane_b32 s1, v8
	s_mul_i32 s0, s0, s1
	s_mul_hi_u32 s0, s1, s0
	s_add_i32 s1, s1, s0
	s_mul_hi_u32 s0, s68, s1
	s_mul_i32 s0, s0, s31
	s_sub_i32 s0, s68, s0
	s_sub_i32 s1, s0, s31
	s_cmp_ge_u32 s0, s31
	s_cselect_b32 s0, s1, s0
	s_sub_i32 s1, s0, s31
	s_cmp_ge_u32 s0, s31
	s_cselect_b32 s0, s1, s0
	s_sub_i32 s80, s68, s0
	v_cmp_gt_u32_e32 vcc, s80, v16
	v_pk_mov_b32 v[8:9], v[2:3], v[2:3] op_sel:[0,1]
	s_and_saveexec_b64 s[0:1], vcc
	s_cbranch_execz .LBB129_80
; %bb.77:                               ;   in Loop: Header=BB129_31 Depth=1
	v_readlane_b32 s6, v53, 37
	s_and_b32 s69, s6, 0xfe
	v_mov_b32_e32 v32, v16
	s_mov_b64 s[84:85], 0
	s_mov_b64 s[86:87], 0
	;; [unrolled: 1-line block ×4, first 2 shown]
	v_pk_mov_b32 v[30:31], v[16:17], v[16:17] op_sel:[0,1]
.LBB129_78:                             ;   Parent Loop BB129_31 Depth=1
                                        ; =>  This Inner Loop Header: Depth=2
	ds_read_b32 v2, v32
	v_add_co_u32_e32 v30, vcc, s31, v30
	v_addc_co_u32_e32 v31, vcc, 0, v31, vcc
	s_waitcnt lgkmcnt(0)
	v_and_b32_e32 v4, 0xff, v2
	v_bfe_u32 v5, v2, 8, 8
	v_and_b32_e32 v6, v41, v4
	v_bfe_u32 v4, v4, s69, 2
	v_lshrrev_b32_e32 v3, 24, v2
	v_bfe_u32 v2, v2, 16, 8
	v_and_b32_e32 v7, v41, v5
	v_bfe_u32 v5, v5, s69, 2
	v_cmp_eq_u32_e64 s[20:21], v6, v42
	v_cmp_eq_u32_e64 s[6:7], 0, v4
	v_and_b32_e32 v8, v41, v2
	v_bfe_u32 v2, v2, s69, 2
	v_cmp_eq_u32_e64 s[18:19], v7, v42
	v_cmp_eq_u32_e64 s[34:35], 0, v5
	s_and_b64 s[6:7], s[20:21], s[6:7]
	v_and_b32_e32 v9, v41, v3
	v_bfe_u32 v3, v3, s69, 2
	v_cmp_eq_u32_e64 s[16:17], v8, v42
	v_cmp_eq_u32_e64 s[36:37], 0, v2
	;; [unrolled: 1-line block ×5, first 2 shown]
	v_cndmask_b32_e64 v2, 0, 1, s[6:7]
	s_and_b64 s[6:7], s[18:19], s[34:35]
	v_cmp_eq_u32_e64 s[14:15], v9, v42
	v_cmp_eq_u32_e64 s[38:39], 0, v3
	;; [unrolled: 1-line block ×5, first 2 shown]
	v_cndmask_b32_e64 v3, 0, 1, s[6:7]
	s_and_b64 s[6:7], s[16:17], s[36:37]
	v_cmp_eq_u32_e64 s[40:41], 1, v4
	v_cmp_eq_u32_e64 s[48:49], 2, v4
	;; [unrolled: 1-line block ×3, first 2 shown]
	v_cndmask_b32_e64 v4, 0, 1, s[6:7]
	s_and_b64 s[6:7], s[14:15], s[38:39]
	v_cmp_eq_u32_e64 s[42:43], 1, v5
	v_cmp_eq_u32_e64 s[50:51], 2, v5
	;; [unrolled: 1-line block ×3, first 2 shown]
	v_cndmask_b32_e64 v5, 0, 1, s[6:7]
	v_cmp_ne_u32_e64 s[6:7], 0, v2
	v_cmp_ne_u32_e64 s[34:35], 0, v3
	v_cmp_ne_u32_e64 s[36:37], 0, v4
	v_cmp_ne_u32_e64 s[38:39], 0, v5
	s_bcnt1_i32_b64 s6, s[6:7]
	s_bcnt1_i32_b64 s7, s[34:35]
	s_bcnt1_i32_b64 s34, s[36:37]
	s_bcnt1_i32_b64 s35, s[38:39]
	s_add_u32 s6, s6, s92
	s_addc_u32 s36, 0, s93
	s_add_u32 s6, s6, s7
	s_addc_u32 s7, s36, 0
	s_add_u32 s6, s6, s34
	s_addc_u32 s7, s7, 0
	s_add_u32 s92, s6, s35
	s_addc_u32 s93, s7, 0
	s_and_b64 s[6:7], s[20:21], s[40:41]
	v_cndmask_b32_e64 v4, 0, 1, s[6:7]
	s_and_b64 s[6:7], s[18:19], s[42:43]
	v_cndmask_b32_e64 v5, 0, 1, s[6:7]
	s_and_b64 s[6:7], s[16:17], s[44:45]
	v_cndmask_b32_e64 v6, 0, 1, s[6:7]
	s_and_b64 s[6:7], s[14:15], s[46:47]
	v_cndmask_b32_e64 v7, 0, 1, s[6:7]
	v_cmp_ne_u32_e64 s[6:7], 0, v4
	v_cmp_ne_u32_e64 s[34:35], 0, v5
	v_cmp_ne_u32_e64 s[36:37], 0, v6
	v_cmp_ne_u32_e64 s[38:39], 0, v7
	s_bcnt1_i32_b64 s6, s[6:7]
	s_bcnt1_i32_b64 s7, s[34:35]
	s_bcnt1_i32_b64 s34, s[36:37]
	s_bcnt1_i32_b64 s35, s[38:39]
	s_add_u32 s6, s6, s90
	s_addc_u32 s36, 0, s91
	s_add_u32 s6, s6, s7
	s_addc_u32 s7, s36, 0
	s_add_u32 s6, s6, s34
	s_addc_u32 s7, s7, 0
	s_add_u32 s90, s6, s35
	s_addc_u32 s91, s7, 0
	s_and_b64 s[6:7], s[20:21], s[48:49]
	v_cndmask_b32_e64 v6, 0, 1, s[6:7]
	s_and_b64 s[6:7], s[18:19], s[50:51]
	v_cndmask_b32_e64 v7, 0, 1, s[6:7]
	s_and_b64 s[6:7], s[16:17], s[52:53]
	v_cndmask_b32_e64 v8, 0, 1, s[6:7]
	s_and_b64 s[6:7], s[14:15], s[54:55]
	;; [unrolled: 24-line block ×3, first 2 shown]
	v_cndmask_b32_e64 v34, 0, 1, s[6:7]
	v_cmp_ne_u32_e64 s[6:7], 0, v8
	v_cmp_ne_u32_e64 s[14:15], 0, v9
	;; [unrolled: 1-line block ×4, first 2 shown]
	s_bcnt1_i32_b64 s6, s[6:7]
	s_bcnt1_i32_b64 s7, s[14:15]
	;; [unrolled: 1-line block ×4, first 2 shown]
	s_add_u32 s6, s6, s84
	s_addc_u32 s16, 0, s85
	s_add_u32 s6, s6, s7
	s_addc_u32 s7, s16, 0
	;; [unrolled: 2-line block ×3, first 2 shown]
	s_add_u32 s84, s6, s15
	v_cmp_le_u64_e32 vcc, s[80:81], v[30:31]
	s_addc_u32 s85, s7, 0
	v_add_u32_e32 v32, s31, v32
	v_pk_mov_b32 v[2:3], s[92:93], s[92:93] op_sel:[0,1]
	v_pk_mov_b32 v[4:5], s[90:91], s[90:91] op_sel:[0,1]
	;; [unrolled: 1-line block ×3, first 2 shown]
	s_or_b64 s[4:5], vcc, s[4:5]
	v_pk_mov_b32 v[8:9], s[84:85], s[84:85] op_sel:[0,1]
	s_andn2_b64 exec, exec, s[4:5]
	s_cbranch_execnz .LBB129_78
; %bb.79:                               ;   in Loop: Header=BB129_31 Depth=1
	s_or_b64 exec, exec, s[4:5]
.LBB129_80:                             ;   in Loop: Header=BB129_31 Depth=1
	s_or_b64 exec, exec, s[0:1]
	v_and_b32_e32 v32, 0xffff, v14
	v_add_u32_e32 v14, s80, v0
	v_cmp_gt_u32_e32 vcc, s68, v14
	s_and_saveexec_b64 s[0:1], vcc
	s_cbranch_execz .LBB129_84
; %bb.81:                               ;   in Loop: Header=BB129_31 Depth=1
	v_readlane_b32 s4, v53, 37
	s_and_b32 s80, s68, 0x7fffffff
	s_and_b32 s22, s4, 0xfe
	s_mov_b64 s[4:5], 0
	v_pk_mov_b32 v[30:31], v[14:15], v[14:15] op_sel:[0,1]
.LBB129_82:                             ;   Parent Loop BB129_31 Depth=1
                                        ; =>  This Inner Loop Header: Depth=2
	ds_read_u8 v33, v14
	v_add_co_u32_e32 v30, vcc, v30, v32
	v_addc_co_u32_e32 v31, vcc, 0, v31, vcc
	s_waitcnt lgkmcnt(0)
	v_and_b32_e32 v34, v41, v33
	v_bfe_u32 v33, v33, s22, 2
	v_cmp_eq_u32_e64 s[6:7], v34, v42
	v_cmp_eq_u32_e64 s[14:15], 0, v33
	;; [unrolled: 1-line block ×3, first 2 shown]
	s_and_b64 s[14:15], s[6:7], s[14:15]
	v_cmp_eq_u32_e64 s[18:19], 2, v33
	v_cmp_eq_u32_e64 s[20:21], 3, v33
	v_cndmask_b32_e64 v33, 0, 1, s[14:15]
	s_and_b64 s[14:15], s[6:7], s[16:17]
	v_cndmask_b32_e64 v34, 0, 1, s[14:15]
	s_and_b64 s[14:15], s[6:7], s[18:19]
	s_and_b64 s[6:7], s[6:7], s[20:21]
	v_cndmask_b32_e64 v35, 0, 1, s[14:15]
	v_cndmask_b32_e64 v44, 0, 1, s[6:7]
	v_cmp_ne_u32_e64 s[6:7], 0, v33
	v_cmp_ne_u32_e64 s[14:15], 0, v34
	;; [unrolled: 1-line block ×4, first 2 shown]
	v_cmp_le_u64_e32 vcc, s[80:81], v[30:31]
	s_bcnt1_i32_b64 s6, s[6:7]
	s_bcnt1_i32_b64 s7, s[14:15]
	;; [unrolled: 1-line block ×4, first 2 shown]
	s_or_b64 s[4:5], vcc, s[4:5]
	v_add_co_u32_e32 v2, vcc, s6, v2
	v_addc_co_u32_e32 v3, vcc, 0, v3, vcc
	v_add_co_u32_e32 v4, vcc, s7, v4
	v_addc_co_u32_e32 v5, vcc, 0, v5, vcc
	;; [unrolled: 2-line block ×3, first 2 shown]
	v_add_co_u32_e32 v8, vcc, s15, v8
	v_add_u32_e32 v14, v14, v32
	v_addc_co_u32_e32 v9, vcc, 0, v9, vcc
	s_andn2_b64 exec, exec, s[4:5]
	s_cbranch_execnz .LBB129_82
; %bb.83:                               ;   in Loop: Header=BB129_31 Depth=1
	s_or_b64 exec, exec, s[4:5]
.LBB129_84:                             ;   in Loop: Header=BB129_31 Depth=1
	s_or_b64 exec, exec, s[0:1]
.LBB129_85:                             ;   in Loop: Header=BB129_31 Depth=1
	v_readlane_b32 s0, v53, 52
	s_lshl_b32 s4, s0, 6
	s_mov_b64 s[0:1], exec
	v_readlane_b32 s6, v53, 18
	v_readlane_b32 s7, v53, 19
	s_and_b64 s[6:7], s[0:1], s[6:7]
	s_mov_b64 exec, s[6:7]
	s_cbranch_execz .LBB129_87
; %bb.86:                               ;   in Loop: Header=BB129_31 Depth=1
	v_or_b32_e32 v14, s4, v38
	v_lshlrev_b32_e32 v14, 3, v14
	ds_write_b128 v14, v[2:5] offset:3072
	s_waitcnt vmcnt(0)
	ds_write_b128 v14, v[6:9] offset:3088
.LBB129_87:                             ;   in Loop: Header=BB129_31 Depth=1
	s_or_b64 exec, exec, s[0:1]
	s_waitcnt lgkmcnt(0)
	s_barrier
	s_mov_b64 s[0:1], exec
	v_readlane_b32 s6, v53, 20
	v_readlane_b32 s7, v53, 21
	s_and_b64 s[6:7], s[0:1], s[6:7]
	s_mov_b64 exec, s[6:7]
	s_cbranch_execz .LBB129_99
; %bb.88:                               ;   in Loop: Header=BB129_31 Depth=1
	v_readlane_b32 s6, v53, 28
	v_readlane_b32 s7, v53, 29
	s_andn2_b64 vcc, exec, s[6:7]
	v_pk_mov_b32 v[2:3], 0, 0
	s_cbranch_vccnz .LBB129_98
; %bb.89:                               ;   in Loop: Header=BB129_31 Depth=1
	v_readlane_b32 s6, v53, 38
	v_readlane_b32 s7, v53, 39
	s_andn2_b64 vcc, exec, s[6:7]
	s_cbranch_vccnz .LBB129_94
; %bb.90:                               ;   in Loop: Header=BB129_31 Depth=1
	v_readlane_b32 s5, v53, 52
	v_lshl_add_u32 v4, s5, 9, v39
	s_mov_b32 s5, 0
	v_pk_mov_b32 v[2:3], 0, 0
.LBB129_91:                             ;   Parent Loop BB129_31 Depth=1
                                        ; =>  This Inner Loop Header: Depth=2
	s_waitcnt vmcnt(0)
	ds_read2_b64 v[6:9], v4 offset1:4
	ds_read2_b64 v[30:33], v4 offset0:8 offset1:12
	ds_read2_b64 v[44:47], v4 offset0:16 offset1:20
	;; [unrolled: 1-line block ×3, first 2 shown]
	s_add_i32 s5, s5, 8
	s_waitcnt lgkmcnt(3)
	v_add_co_u32_e32 v2, vcc, v6, v2
	v_addc_co_u32_e32 v3, vcc, v7, v3, vcc
	v_add_co_u32_e32 v2, vcc, v8, v2
	v_addc_co_u32_e32 v3, vcc, v9, v3, vcc
	s_waitcnt lgkmcnt(2)
	v_add_co_u32_e32 v2, vcc, v30, v2
	v_addc_co_u32_e32 v3, vcc, v31, v3, vcc
	v_add_co_u32_e32 v2, vcc, v32, v2
	v_addc_co_u32_e32 v3, vcc, v33, v3, vcc
	;; [unrolled: 5-line block ×3, first 2 shown]
	s_waitcnt lgkmcnt(0)
	v_add_co_u32_e32 v2, vcc, v48, v2
	v_addc_co_u32_e32 v3, vcc, v49, v3, vcc
	v_add_co_u32_e32 v2, vcc, v50, v2
	v_add_u32_e32 v4, 0x100, v4
	s_cmp_eq_u32 s30, s5
	v_addc_co_u32_e32 v3, vcc, v51, v3, vcc
	s_cbranch_scc0 .LBB129_91
; %bb.92:                               ;   in Loop: Header=BB129_31 Depth=1
	s_mov_b32 s5, s30
	s_branch .LBB129_95
.LBB129_93:                             ;   in Loop: Header=BB129_31 Depth=1
                                        ; implicit-def: $vgpr2_vgpr3
	s_branch .LBB129_61
.LBB129_94:                             ;   in Loop: Header=BB129_31 Depth=1
	s_mov_b32 s5, 0
	v_pk_mov_b32 v[2:3], 0, 0
.LBB129_95:                             ;   in Loop: Header=BB129_31 Depth=1
	v_readlane_b32 s6, v53, 41
	v_readlane_b32 s7, v53, 42
	s_andn2_b64 vcc, exec, s[6:7]
	s_cbranch_vccnz .LBB129_98
; %bb.96:                               ;   in Loop: Header=BB129_31 Depth=1
	v_readlane_b32 s6, v53, 52
	s_lshl_b32 s6, s6, 9
	s_lshl_b32 s5, s5, 5
	s_add_i32 s6, s6, s5
	v_add_u32_e32 v4, s6, v39
	v_readlane_b32 s5, v53, 40
.LBB129_97:                             ;   Parent Loop BB129_31 Depth=1
                                        ; =>  This Inner Loop Header: Depth=2
	s_waitcnt vmcnt(0)
	ds_read_b64 v[6:7], v4
	s_add_i32 s5, s5, -1
	v_add_u32_e32 v4, 32, v4
	s_cmp_lg_u32 s5, 0
	s_waitcnt lgkmcnt(0)
	v_add_co_u32_e32 v2, vcc, v6, v2
	v_addc_co_u32_e32 v3, vcc, v7, v3, vcc
	s_cbranch_scc1 .LBB129_97
.LBB129_98:                             ;   in Loop: Header=BB129_31 Depth=1
	v_add_lshl_u32 v4, s4, v37, 3
	ds_write_b64 v4, v[2:3] offset:3072
.LBB129_99:                             ;   in Loop: Header=BB129_31 Depth=1
	s_or_b64 exec, exec, s[0:1]
	s_lshl_b32 s0, s4, 3
	s_waitcnt vmcnt(0)
	v_mov_b32_e32 v6, s0
	v_readlane_b32 s0, v53, 37
	s_and_b32 s31, s0, 0xfe
	s_waitcnt lgkmcnt(0)
	s_barrier
	ds_read_b128 v[2:5], v6 offset:3072
	ds_read_b128 v[6:9], v6 offset:3088
	s_lshl_b32 s80, 3, s31
	s_not_b32 s0, s80
	v_writelane_b32 v53, s0, 55
	v_readlane_b32 s0, v53, 16
	v_readlane_b32 s1, v53, 17
	s_waitcnt lgkmcnt(1)
	v_readfirstlane_b32 s17, v3
	v_readfirstlane_b32 s16, v2
	;; [unrolled: 1-line block ×4, first 2 shown]
	s_waitcnt lgkmcnt(0)
	v_readfirstlane_b32 s23, v7
	v_readfirstlane_b32 s22, v6
	;; [unrolled: 1-line block ×4, first 2 shown]
	s_andn2_b64 vcc, exec, s[0:1]
	v_cmp_eq_u64_e64 s[14:15], 1, v[28:29]
	s_cbranch_vccnz .LBB129_114
; %bb.100:                              ;   in Loop: Header=BB129_31 Depth=1
	s_cmp_eq_u64 s[16:17], 1
	s_cselect_b64 s[0:1], -1, 0
	s_and_b64 s[6:7], s[0:1], s[14:15]
	s_mov_b64 s[0:1], -1
	v_mov_b32_e32 v30, v42
	v_mov_b32_e32 v31, v41
	;; [unrolled: 1-line block ×3, first 2 shown]
                                        ; implicit-def: $sgpr20_sgpr21
                                        ; implicit-def: $sgpr36_sgpr37
                                        ; implicit-def: $sgpr34_sgpr35
	s_and_saveexec_b64 s[26:27], s[6:7]
	s_cbranch_execz .LBB129_135
; %bb.101:                              ;   in Loop: Header=BB129_31 Depth=1
	ds_read_b64 v[2:3], v15 offset:5120
	s_waitcnt lgkmcnt(0)
	s_barrier
	v_readfirstlane_b32 s0, v2
	v_readfirstlane_b32 s1, v3
	s_mov_b64 s[4:5], exec
	v_readlane_b32 s20, v53, 26
	v_readlane_b32 s21, v53, 27
	s_and_b64 s[20:21], s[4:5], s[20:21]
	s_mov_b64 exec, s[20:21]
	s_cbranch_execz .LBB129_103
; %bb.102:                              ;   in Loop: Header=BB129_31 Depth=1
	ds_write_b8 v0, v15 offset:3072
.LBB129_103:                            ;   in Loop: Header=BB129_31 Depth=1
	s_or_b64 exec, exec, s[4:5]
	v_readlane_b32 s4, v53, 55
	v_and_b32_e32 v30, s4, v42
	v_or_b32_e32 v31, s80, v41
	s_cmp_eq_u64 s[0:1], 0
	s_waitcnt lgkmcnt(0)
	s_barrier
	s_cbranch_scc1 .LBB129_119
; %bb.104:                              ;   in Loop: Header=BB129_31 Depth=1
	v_readlane_b32 s4, v53, 30
	s_add_u32 s28, s4, s0
	v_readlane_b32 s4, v53, 32
	s_addc_u32 s5, s4, s1
	s_mov_b32 s4, s81
	s_cmp_lg_u64 s[4:5], 0
	s_cbranch_scc0 .LBB129_161
; %bb.105:                              ;   in Loop: Header=BB129_31 Depth=1
	v_cvt_f32_u32_e32 v2, s33
	s_sub_u32 s4, 0, s33
	s_subb_u32 s20, 0, 0
	v_mac_f32_e32 v2, 0, v40
	v_rcp_f32_e32 v2, v2
	v_mul_f32_e32 v2, 0x5f7ffffc, v2
	v_mul_f32_e32 v3, 0x2f800000, v2
	v_trunc_f32_e32 v3, v3
	v_mac_f32_e32 v2, 0xcf800000, v3
	v_cvt_u32_f32_e32 v3, v3
	v_cvt_u32_f32_e32 v2, v2
	v_readfirstlane_b32 s21, v3
	v_readfirstlane_b32 s29, v2
	s_mul_i32 s34, s4, s21
	s_mul_hi_u32 s36, s4, s29
	s_mul_i32 s35, s20, s29
	s_add_i32 s34, s36, s34
	s_mul_i32 s37, s4, s29
	s_add_i32 s34, s34, s35
	s_mul_hi_u32 s36, s29, s37
	s_mul_hi_u32 s35, s29, s34
	s_mul_i32 s29, s29, s34
	s_add_u32 s29, s36, s29
	s_addc_u32 s35, 0, s35
	s_mul_hi_u32 s38, s21, s37
	s_mul_i32 s37, s21, s37
	s_add_u32 s29, s29, s37
	s_mul_hi_u32 s36, s21, s34
	s_addc_u32 s29, s35, s38
	s_addc_u32 s35, s36, 0
	s_mul_i32 s34, s21, s34
	s_add_u32 s29, s29, s34
	s_addc_u32 s34, 0, s35
	v_add_co_u32_e32 v2, vcc, s29, v2
	s_cmp_lg_u64 vcc, 0
	s_addc_u32 s21, s21, s34
	v_readfirstlane_b32 s34, v2
	s_mul_i32 s29, s4, s21
	s_mul_hi_u32 s35, s4, s34
	s_add_i32 s29, s35, s29
	s_mul_i32 s20, s20, s34
	s_add_i32 s29, s29, s20
	s_mul_i32 s4, s4, s34
	s_mul_hi_u32 s35, s21, s4
	s_mul_i32 s36, s21, s4
	s_mul_i32 s38, s34, s29
	s_mul_hi_u32 s4, s34, s4
	s_mul_hi_u32 s37, s34, s29
	s_add_u32 s4, s4, s38
	s_addc_u32 s34, 0, s37
	s_add_u32 s4, s4, s36
	s_mul_hi_u32 s20, s21, s29
	s_addc_u32 s4, s34, s35
	s_addc_u32 s20, s20, 0
	s_mul_i32 s29, s21, s29
	s_add_u32 s4, s4, s29
	s_addc_u32 s20, 0, s20
	v_add_co_u32_e32 v2, vcc, s4, v2
	s_cmp_lg_u64 vcc, 0
	s_addc_u32 s4, s21, s20
	v_readfirstlane_b32 s29, v2
	s_mul_i32 s21, s28, s4
	s_mul_hi_u32 s34, s28, s29
	s_mul_hi_u32 s20, s28, s4
	s_add_u32 s21, s34, s21
	s_addc_u32 s20, 0, s20
	s_mul_hi_u32 s35, s5, s29
	s_mul_i32 s29, s5, s29
	s_add_u32 s21, s21, s29
	s_mul_hi_u32 s34, s5, s4
	s_addc_u32 s20, s20, s35
	s_addc_u32 s21, s34, 0
	s_mul_i32 s4, s5, s4
	s_add_u32 s4, s20, s4
	s_addc_u32 s20, 0, s21
	s_mul_hi_u32 s21, s33, s4
	s_mul_i32 s4, s33, s4
	s_mul_i32 s20, s33, s20
	v_mov_b32_e32 v2, s4
	s_add_i32 s21, s21, s20
	v_sub_co_u32_e32 v2, vcc, s28, v2
	s_cmp_lg_u64 vcc, 0
	s_subb_u32 s4, s5, s21
	v_subrev_co_u32_e32 v3, vcc, s33, v2
	s_cmp_lg_u64 vcc, 0
	s_subb_u32 s20, s4, 0
	v_subrev_co_u32_e32 v4, vcc, s33, v3
	s_cmp_lg_u64 vcc, 0
	s_subb_u32 s21, s20, 0
	v_cmp_le_u32_e32 vcc, s33, v3
	s_cmp_eq_u32 s20, 0
	v_cndmask_b32_e64 v5, 0, -1, vcc
	s_cselect_b64 vcc, -1, 0
	v_cndmask_b32_e32 v5, -1, v5, vcc
	v_mov_b32_e32 v6, s20
	v_mov_b32_e32 v7, s21
	v_cmp_ne_u32_e32 vcc, 0, v5
	v_cndmask_b32_e32 v5, v6, v7, vcc
	v_cndmask_b32_e32 v4, v3, v4, vcc
	v_cmp_le_u32_e32 vcc, s33, v2
	s_cmp_eq_u32 s4, 0
	v_cndmask_b32_e64 v3, 0, -1, vcc
	s_cselect_b64 vcc, -1, 0
	v_cndmask_b32_e32 v3, -1, v3, vcc
	v_mov_b32_e32 v6, s4
	v_cmp_ne_u32_e32 vcc, 0, v3
	v_cndmask_b32_e32 v3, v6, v5, vcc
	v_cndmask_b32_e32 v2, v2, v4, vcc
	s_cbranch_execnz .LBB129_107
.LBB129_106:                            ;   in Loop: Header=BB129_31 Depth=1
	v_cvt_f32_u32_e32 v2, s33
	s_sub_i32 s4, 0, s33
	v_rcp_iflag_f32_e32 v2, v2
	v_mul_f32_e32 v2, 0x4f7ffffe, v2
	v_cvt_u32_f32_e32 v2, v2
	v_mul_lo_u32 v3, s4, v2
	v_mul_hi_u32 v3, v2, v3
	v_add_u32_e32 v2, v2, v3
	v_mul_hi_u32 v2, s28, v2
	v_mul_lo_u32 v2, v2, s33
	v_sub_u32_e32 v2, s28, v2
	v_subrev_u32_e32 v3, s33, v2
	v_cmp_le_u32_e32 vcc, s33, v2
	v_cndmask_b32_e32 v2, v2, v3, vcc
	v_subrev_u32_e32 v3, s33, v2
	v_cmp_le_u32_e32 vcc, s33, v2
	v_cndmask_b32_e32 v14, v2, v3, vcc
	v_pk_mov_b32 v[2:3], v[14:15], v[14:15] op_sel:[0,1]
.LBB129_107:                            ;   in Loop: Header=BB129_31 Depth=1
	v_mov_b32_e32 v4, s5
	v_sub_co_u32_e32 v2, vcc, s28, v2
	v_subb_co_u32_e32 v3, vcc, v4, v3, vcc
	v_cmp_gt_u64_e32 vcc, v[2:3], v[0:1]
	s_mov_b64 s[4:5], 0
                                        ; implicit-def: $vgpr32
	s_and_saveexec_b64 s[20:21], vcc
	s_cbranch_execz .LBB129_121
; %bb.108:                              ;   in Loop: Header=BB129_31 Depth=1
	v_mov_b32_e32 v6, v0
	v_pk_mov_b32 v[4:5], v[0:1], v[0:1] op_sel:[0,1]
                                        ; implicit-def: $sgpr28_sgpr29
	s_branch .LBB129_110
.LBB129_109:                            ;   in Loop: Header=BB129_110 Depth=2
	s_or_b64 exec, exec, s[34:35]
	s_waitcnt lgkmcnt(0)
	s_barrier
	ds_read_u16 v7, v15 offset:3072
	v_mov_b32_e32 v8, s64
	v_add_co_u32_e32 v4, vcc, s33, v4
	v_addc_co_u32_e32 v5, vcc, v5, v8, vcc
	s_waitcnt lgkmcnt(0)
	v_cmp_ne_u16_sdwa s[34:35], v7, v15 src0_sel:BYTE_0 src1_sel:DWORD
	v_cmp_ge_u64_e32 vcc, v[4:5], v[2:3]
	s_or_b64 s[36:37], vcc, s[34:35]
	s_and_b64 s[36:37], exec, s[36:37]
	s_or_b64 s[4:5], s[36:37], s[4:5]
	s_andn2_b64 s[28:29], s[28:29], exec
	s_and_b64 s[34:35], s[34:35], exec
	v_add_u32_e32 v6, s33, v6
	s_or_b64 s[28:29], s[28:29], s[34:35]
	s_barrier
	s_andn2_b64 exec, exec, s[4:5]
	s_cbranch_execz .LBB129_120
.LBB129_110:                            ;   Parent Loop BB129_31 Depth=1
                                        ; =>  This Inner Loop Header: Depth=2
	v_cmp_gt_u64_e32 vcc, s[0:1], v[4:5]
	v_mov_b32_e32 v7, 0
	s_and_saveexec_b64 s[34:35], vcc
	s_cbranch_execz .LBB129_112
; %bb.111:                              ;   in Loop: Header=BB129_110 Depth=2
	ds_read_u8 v7, v6
.LBB129_112:                            ;   in Loop: Header=BB129_110 Depth=2
	s_or_b64 exec, exec, s[34:35]
	s_waitcnt lgkmcnt(0)
	v_and_b32_e32 v8, v7, v31
	v_cmp_eq_u32_sdwa s[34:35], v8, v30 src0_sel:BYTE_0 src1_sel:DWORD
	s_and_b64 s[36:37], vcc, s[34:35]
	s_and_saveexec_b64 s[34:35], s[36:37]
	s_cbranch_execz .LBB129_109
; %bb.113:                              ;   in Loop: Header=BB129_110 Depth=2
	v_lshlrev_b16_e32 v7, 8, v7
	v_or_b32_e32 v7, 1, v7
	ds_write_b16 v15, v7 offset:3072
	s_branch .LBB129_109
.LBB129_114:                            ;   in Loop: Header=BB129_31 Depth=1
	s_mov_b64 s[28:29], 0
	s_mov_b64 s[26:27], 0
                                        ; implicit-def: $sgpr34_sgpr35
                                        ; implicit-def: $sgpr36_sgpr37
                                        ; implicit-def: $sgpr20_sgpr21
                                        ; implicit-def: $vgpr6
                                        ; implicit-def: $vgpr2_vgpr3
                                        ; implicit-def: $vgpr30
                                        ; implicit-def: $vgpr31
                                        ; implicit-def: $vgpr32
	s_cbranch_execnz .LBB129_293
.LBB129_115:                            ;   in Loop: Header=BB129_31 Depth=1
	s_mov_b64 s[14:15], s[20:21]
	s_mov_b64 s[38:39], s[20:21]
	s_and_saveexec_b64 s[0:1], s[28:29]
	s_cbranch_execnz .LBB129_481
	s_branch .LBB129_482
.LBB129_116:                            ;   in Loop: Header=BB129_31 Depth=1
	s_or_b64 exec, exec, s[0:1]
	s_waitcnt lgkmcnt(0)
	s_barrier
	s_mov_b64 s[0:1], exec
	v_readlane_b32 s4, v53, 10
	v_readlane_b32 s5, v53, 11
	s_and_b64 s[4:5], s[0:1], s[4:5]
	s_mov_b64 exec, s[4:5]
	s_cbranch_execz .LBB129_118
; %bb.117:                              ;   in Loop: Header=BB129_31 Depth=1
	ds_read_b32 v2, v15 offset:5144
	s_waitcnt lgkmcnt(0)
	v_ashrrev_i32_e32 v3, 31, v2
	ds_write_b64 v15, v[2:3] offset:5120
.LBB129_118:                            ;   in Loop: Header=BB129_31 Depth=1
	s_or_b64 exec, exec, s[0:1]
	s_waitcnt lgkmcnt(0)
	s_barrier
	s_mov_b64 s[0:1], -1
	s_and_b64 vcc, exec, s[68:69]
	s_cbranch_vccnz .LBB129_46
	s_branch .LBB129_56
.LBB129_119:                            ;   in Loop: Header=BB129_31 Depth=1
	s_mov_b64 s[20:21], -1
	s_mov_b64 s[4:5], 0
                                        ; implicit-def: $sgpr34_sgpr35
                                        ; implicit-def: $vgpr32
	s_mov_b64 s[36:37], s[20:21]
	s_cbranch_execnz .LBB129_122
	s_branch .LBB129_134
.LBB129_120:                            ;   in Loop: Header=BB129_31 Depth=1
	s_or_b64 exec, exec, s[4:5]
	v_lshrrev_b16_e32 v32, 8, v7
	s_and_b64 s[4:5], s[28:29], exec
.LBB129_121:                            ;   in Loop: Header=BB129_31 Depth=1
	s_or_b64 exec, exec, s[20:21]
	s_mov_b64 s[34:35], -1
	s_mov_b64 s[20:21], 0
	s_mov_b64 s[36:37], s[20:21]
	s_branch .LBB129_134
.LBB129_122:                            ;   in Loop: Header=BB129_31 Depth=1
	v_readlane_b32 s34, v53, 33
	v_readlane_b32 s35, v53, 34
	s_mov_b32 s34, s81
	s_cmp_lg_u64 s[34:35], 0
	v_writelane_b32 v53, s34, 33
	v_writelane_b32 v53, s35, 34
	s_cbranch_scc0 .LBB129_162
; %bb.123:                              ;   in Loop: Header=BB129_31 Depth=1
	v_cvt_f32_u32_e32 v2, s33
	s_sub_u32 s0, 0, s33
	s_subb_u32 s1, 0, 0
	v_mac_f32_e32 v2, 0, v40
	v_rcp_f32_e32 v2, v2
	v_mul_f32_e32 v2, 0x5f7ffffc, v2
	v_mul_f32_e32 v3, 0x2f800000, v2
	v_trunc_f32_e32 v3, v3
	v_mac_f32_e32 v2, 0xcf800000, v3
	v_cvt_u32_f32_e32 v3, v3
	v_cvt_u32_f32_e32 v2, v2
	v_readfirstlane_b32 s4, v3
	v_readfirstlane_b32 s5, v2
	s_mul_i32 s20, s0, s4
	s_mul_hi_u32 s28, s0, s5
	s_mul_i32 s21, s1, s5
	s_add_i32 s20, s28, s20
	s_mul_i32 s29, s0, s5
	s_add_i32 s20, s20, s21
	s_mul_hi_u32 s28, s5, s29
	s_mul_hi_u32 s21, s5, s20
	s_mul_i32 s5, s5, s20
	s_add_u32 s5, s28, s5
	s_addc_u32 s21, 0, s21
	s_mul_hi_u32 s34, s4, s29
	s_mul_i32 s29, s4, s29
	s_add_u32 s5, s5, s29
	s_mul_hi_u32 s28, s4, s20
	s_addc_u32 s5, s21, s34
	s_addc_u32 s21, s28, 0
	s_mul_i32 s20, s4, s20
	s_add_u32 s5, s5, s20
	s_addc_u32 s20, 0, s21
	v_add_co_u32_e32 v2, vcc, s5, v2
	s_cmp_lg_u64 vcc, 0
	s_addc_u32 s4, s4, s20
	v_readfirstlane_b32 s20, v2
	s_mul_i32 s5, s0, s4
	s_mul_hi_u32 s21, s0, s20
	s_add_i32 s5, s21, s5
	s_mul_i32 s1, s1, s20
	s_add_i32 s5, s5, s1
	s_mul_i32 s0, s0, s20
	s_mul_hi_u32 s21, s4, s0
	s_mul_i32 s28, s4, s0
	s_mul_i32 s34, s20, s5
	s_mul_hi_u32 s0, s20, s0
	s_mul_hi_u32 s29, s20, s5
	s_add_u32 s0, s0, s34
	s_addc_u32 s20, 0, s29
	s_add_u32 s0, s0, s28
	s_mul_hi_u32 s1, s4, s5
	s_addc_u32 s0, s20, s21
	s_addc_u32 s1, s1, 0
	s_mul_i32 s5, s4, s5
	s_add_u32 s0, s0, s5
	s_addc_u32 s1, 0, s1
	v_add_co_u32_e32 v2, vcc, s0, v2
	s_cmp_lg_u64 vcc, 0
	s_addc_u32 s0, s4, s1
	v_readlane_b32 s28, v53, 31
	v_readfirstlane_b32 s5, v2
	s_mul_i32 s4, s28, s0
	s_mul_hi_u32 s20, s28, s5
	s_mul_hi_u32 s1, s28, s0
	s_add_u32 s4, s20, s4
	s_addc_u32 s1, 0, s1
	s_mul_hi_u32 s21, s35, s5
	s_mul_i32 s5, s35, s5
	s_add_u32 s4, s4, s5
	s_mul_hi_u32 s20, s35, s0
	s_addc_u32 s1, s1, s21
	s_addc_u32 s4, s20, 0
	s_mul_i32 s0, s35, s0
	s_add_u32 s0, s1, s0
	s_addc_u32 s1, 0, s4
	s_mul_hi_u32 s4, s33, s0
	s_mul_i32 s0, s33, s0
	s_mul_i32 s1, s33, s1
	v_mov_b32_e32 v2, s0
	s_add_i32 s4, s4, s1
	v_sub_co_u32_e32 v2, vcc, s28, v2
	s_cmp_lg_u64 vcc, 0
	s_subb_u32 s0, s35, s4
	v_subrev_co_u32_e32 v3, vcc, s33, v2
	s_cmp_lg_u64 vcc, 0
	s_subb_u32 s1, s0, 0
	v_subrev_co_u32_e32 v4, vcc, s33, v3
	s_cmp_lg_u64 vcc, 0
	s_subb_u32 s4, s1, 0
	v_cmp_le_u32_e32 vcc, s33, v3
	s_cmp_eq_u32 s1, 0
	v_cndmask_b32_e64 v5, 0, -1, vcc
	s_cselect_b64 vcc, -1, 0
	v_cndmask_b32_e32 v5, -1, v5, vcc
	v_mov_b32_e32 v6, s1
	v_mov_b32_e32 v7, s4
	v_cmp_ne_u32_e32 vcc, 0, v5
	v_cndmask_b32_e32 v5, v6, v7, vcc
	v_cndmask_b32_e32 v4, v3, v4, vcc
	v_cmp_le_u32_e32 vcc, s33, v2
	s_cmp_eq_u32 s0, 0
	v_cndmask_b32_e64 v3, 0, -1, vcc
	s_cselect_b64 vcc, -1, 0
	v_cndmask_b32_e32 v3, -1, v3, vcc
	v_mov_b32_e32 v6, s0
	v_cmp_ne_u32_e32 vcc, 0, v3
	v_cndmask_b32_e32 v3, v6, v5, vcc
	v_cndmask_b32_e32 v2, v2, v4, vcc
	s_cbranch_execnz .LBB129_125
.LBB129_124:                            ;   in Loop: Header=BB129_31 Depth=1
	v_cvt_f32_u32_e32 v2, s33
	s_sub_i32 s0, 0, s33
	v_rcp_iflag_f32_e32 v2, v2
	v_mul_f32_e32 v2, 0x4f7ffffe, v2
	v_cvt_u32_f32_e32 v2, v2
	v_mul_lo_u32 v3, s0, v2
	v_mul_hi_u32 v3, v2, v3
	v_add_u32_e32 v2, v2, v3
	v_readlane_b32 s0, v53, 31
	v_mul_hi_u32 v2, s0, v2
	v_mul_lo_u32 v2, v2, s33
	v_sub_u32_e32 v2, s0, v2
	v_subrev_u32_e32 v3, s33, v2
	v_cmp_le_u32_e32 vcc, s33, v2
	v_cndmask_b32_e32 v2, v2, v3, vcc
	v_subrev_u32_e32 v3, s33, v2
	v_cmp_le_u32_e32 vcc, s33, v2
	v_cndmask_b32_e32 v14, v2, v3, vcc
	v_pk_mov_b32 v[2:3], v[14:15], v[14:15] op_sel:[0,1]
.LBB129_125:                            ;   in Loop: Header=BB129_31 Depth=1
	v_readlane_b32 s0, v53, 33
	v_readlane_b32 s1, v53, 34
	;; [unrolled: 1-line block ×3, first 2 shown]
	v_mov_b32_e32 v4, s1
	v_sub_co_u32_e32 v2, vcc, s0, v2
	v_subb_co_u32_e32 v3, vcc, v4, v3, vcc
	v_cmp_gt_u64_e32 vcc, v[2:3], v[0:1]
	s_mov_b64 s[4:5], 0
                                        ; implicit-def: $vgpr32
	s_and_saveexec_b64 s[0:1], vcc
	s_cbranch_execz .LBB129_133
; %bb.126:                              ;   in Loop: Header=BB129_31 Depth=1
	v_pk_mov_b32 v[4:5], v[26:27], v[26:27] op_sel:[0,1]
	v_pk_mov_b32 v[6:7], v[0:1], v[0:1] op_sel:[0,1]
                                        ; implicit-def: $sgpr20_sgpr21
	s_branch .LBB129_128
.LBB129_127:                            ;   in Loop: Header=BB129_128 Depth=2
	s_or_b64 exec, exec, s[28:29]
	s_waitcnt lgkmcnt(0)
	s_barrier
	ds_read_u16 v8, v15 offset:3072
	v_mov_b32_e32 v9, s64
	v_add_co_u32_e32 v6, vcc, s33, v6
	v_addc_co_u32_e32 v7, vcc, v7, v9, vcc
	s_waitcnt lgkmcnt(0)
	v_cmp_ne_u16_sdwa s[28:29], v8, v15 src0_sel:BYTE_0 src1_sel:DWORD
	v_cmp_ge_u64_e32 vcc, v[6:7], v[2:3]
	s_or_b64 s[34:35], vcc, s[28:29]
	s_and_b64 s[34:35], exec, s[34:35]
	s_mul_i32 s36, s58, s33
	s_or_b64 s[4:5], s[34:35], s[4:5]
	v_mov_b32_e32 v9, s65
	v_add_co_u32_e32 v4, vcc, s36, v4
	s_andn2_b64 s[20:21], s[20:21], exec
	s_and_b64 s[28:29], s[28:29], exec
	v_addc_co_u32_e32 v5, vcc, v5, v9, vcc
	s_or_b64 s[20:21], s[20:21], s[28:29]
	s_barrier
	s_andn2_b64 exec, exec, s[4:5]
	s_cbranch_execz .LBB129_132
.LBB129_128:                            ;   Parent Loop BB129_31 Depth=1
                                        ; =>  This Inner Loop Header: Depth=2
	v_cmp_gt_u64_e32 vcc, s[60:61], v[6:7]
	v_mov_b32_e32 v8, 0
	s_and_saveexec_b64 s[28:29], vcc
	s_cbranch_execz .LBB129_130
; %bb.129:                              ;   in Loop: Header=BB129_128 Depth=2
	global_load_ubyte v8, v[4:5], off
.LBB129_130:                            ;   in Loop: Header=BB129_128 Depth=2
	s_or_b64 exec, exec, s[28:29]
	s_waitcnt vmcnt(0)
	v_and_b32_e32 v9, v8, v31
	v_cmp_eq_u32_sdwa s[28:29], v9, v30 src0_sel:BYTE_0 src1_sel:DWORD
	s_and_b64 s[34:35], vcc, s[28:29]
	s_and_saveexec_b64 s[28:29], s[34:35]
	s_cbranch_execz .LBB129_127
; %bb.131:                              ;   in Loop: Header=BB129_128 Depth=2
	v_lshlrev_b16_e32 v8, 8, v8
	v_or_b32_e32 v8, 1, v8
	ds_write_b16 v15, v8 offset:3072
	s_branch .LBB129_127
.LBB129_132:                            ;   in Loop: Header=BB129_31 Depth=1
	s_or_b64 exec, exec, s[4:5]
	v_lshrrev_b16_e32 v32, 8, v8
	s_and_b64 s[4:5], s[20:21], exec
.LBB129_133:                            ;   in Loop: Header=BB129_31 Depth=1
	s_or_b64 exec, exec, s[0:1]
	s_mov_b64 s[36:37], -1
	s_mov_b64 s[20:21], 0
	s_mov_b64 s[34:35], 0
.LBB129_134:                            ;   in Loop: Header=BB129_31 Depth=1
	s_orn2_b64 s[0:1], s[4:5], exec
.LBB129_135:                            ;   in Loop: Header=BB129_31 Depth=1
	s_or_b64 exec, exec, s[26:27]
	s_mov_b64 s[38:39], 0
	s_mov_b64 s[28:29], 0
	;; [unrolled: 1-line block ×3, first 2 shown]
                                        ; implicit-def: $vgpr6
                                        ; implicit-def: $vgpr2_vgpr3
	s_and_saveexec_b64 s[40:41], s[0:1]
	s_cbranch_execz .LBB129_292
; %bb.136:                              ;   in Loop: Header=BB129_31 Depth=1
	v_mov_b32_e32 v2, 1
	s_xor_b64 s[4:5], s[6:7], -1
	s_mov_b64 s[6:7], 0
	v_mov_b32_e32 v3, 0
	v_mov_b32_e32 v6, 1
	s_and_saveexec_b64 s[0:1], s[4:5]
	s_cbranch_execz .LBB129_146
; %bb.137:                              ;   in Loop: Header=BB129_31 Depth=1
	v_cmp_ge_u64_e32 vcc, s[16:17], v[28:29]
                                        ; implicit-def: $sgpr26
                                        ; implicit-def: $sgpr4_sgpr5
	s_and_saveexec_b64 s[6:7], vcc
	s_xor_b64 s[6:7], exec, s[6:7]
	s_cbranch_execz .LBB129_143
; %bb.138:                              ;   in Loop: Header=BB129_31 Depth=1
	ds_read_b64 v[2:3], v15 offset:5120
	s_waitcnt lgkmcnt(0)
	v_cmp_ne_u64_e32 vcc, 0, v[2:3]
	s_cbranch_vccnz .LBB129_142
; %bb.139:                              ;   in Loop: Header=BB129_31 Depth=1
	s_mov_b64 s[4:5], exec
	v_readlane_b32 s26, v53, 10
	v_readlane_b32 s27, v53, 11
	s_and_b64 s[26:27], s[4:5], s[26:27]
	s_mov_b64 exec, s[26:27]
	s_cbranch_execz .LBB129_141
; %bb.140:                              ;   in Loop: Header=BB129_31 Depth=1
	v_pk_mov_b32 v[2:3], s[16:17], s[16:17] op_sel:[0,1]
	ds_write_b64 v15, v[2:3] offset:5128
.LBB129_141:                            ;   in Loop: Header=BB129_31 Depth=1
	s_or_b64 exec, exec, s[4:5]
	s_waitcnt lgkmcnt(0)
	s_barrier
.LBB129_142:                            ;   in Loop: Header=BB129_31 Depth=1
	v_readlane_b32 s4, v53, 55
	v_and_b32_e32 v30, s4, v30
	v_or_b32_e32 v31, s80, v31
	s_mov_b64 s[4:5], 0
	s_mov_b32 s26, 8
.LBB129_143:                            ;   in Loop: Header=BB129_31 Depth=1
	s_or_saveexec_b64 s[6:7], s[6:7]
	v_mov_b32_e32 v6, s26
	v_pk_mov_b32 v[2:3], v[28:29], v[28:29] op_sel:[0,1]
	s_xor_b64 exec, exec, s[6:7]
; %bb.144:                              ;   in Loop: Header=BB129_31 Depth=1
	v_mov_b32_e32 v3, s17
	v_subrev_co_u32_e32 v2, vcc, s16, v28
	v_subb_co_u32_e32 v3, vcc, v29, v3, vcc
	v_mov_b32_e32 v6, 0
	s_or_b64 s[4:5], s[4:5], exec
; %bb.145:                              ;   in Loop: Header=BB129_31 Depth=1
	s_or_b64 exec, exec, s[6:7]
	s_and_b64 s[6:7], s[4:5], exec
.LBB129_146:                            ;   in Loop: Header=BB129_31 Depth=1
	s_or_b64 exec, exec, s[0:1]
	s_mov_b64 s[42:43], -1
                                        ; implicit-def: $sgpr0_sgpr1
                                        ; implicit-def: $sgpr4_sgpr5
                                        ; implicit-def: $sgpr26_sgpr27
	s_and_saveexec_b64 s[28:29], s[6:7]
	s_xor_b64 s[6:7], exec, s[28:29]
	s_cbranch_execz .LBB129_289
; %bb.147:                              ;   in Loop: Header=BB129_31 Depth=1
	s_cmp_eq_u64 s[18:19], 1
	s_cselect_b64 s[0:1], -1, 0
	v_cmp_eq_u64_e32 vcc, 1, v[2:3]
	s_and_b64 s[46:47], s[0:1], vcc
	s_mov_b64 s[0:1], -1
                                        ; implicit-def: $sgpr26_sgpr27
                                        ; implicit-def: $sgpr42_sgpr43
                                        ; implicit-def: $sgpr28_sgpr29
	s_and_saveexec_b64 s[44:45], s[46:47]
	s_cbranch_execz .LBB129_179
; %bb.148:                              ;   in Loop: Header=BB129_31 Depth=1
	ds_read_b64 v[4:5], v15 offset:5120
	s_waitcnt lgkmcnt(0)
	s_barrier
	v_readfirstlane_b32 s0, v4
	v_readfirstlane_b32 s1, v5
	s_mov_b64 s[4:5], exec
	v_readlane_b32 s26, v53, 26
	v_readlane_b32 s27, v53, 27
	s_and_b64 s[26:27], s[4:5], s[26:27]
	s_mov_b64 exec, s[26:27]
	s_cbranch_execz .LBB129_150
; %bb.149:                              ;   in Loop: Header=BB129_31 Depth=1
	ds_write_b8 v0, v15 offset:3072
.LBB129_150:                            ;   in Loop: Header=BB129_31 Depth=1
	s_or_b64 exec, exec, s[4:5]
	v_readlane_b32 s4, v53, 55
	v_and_b32_e32 v4, s4, v30
	v_lshl_or_b32 v30, 1, s31, v4
	v_or_b32_e32 v31, s80, v31
	s_cmp_eq_u64 s[0:1], 0
	s_waitcnt lgkmcnt(0)
	s_barrier
	s_cbranch_scc1 .LBB129_163
; %bb.151:                              ;   in Loop: Header=BB129_31 Depth=1
	v_readlane_b32 s4, v53, 30
	s_add_u32 s28, s4, s0
	v_readlane_b32 s4, v53, 32
	s_addc_u32 s5, s4, s1
	s_mov_b32 s4, s81
	s_cmp_lg_u64 s[4:5], 0
	s_cbranch_scc0 .LBB129_205
; %bb.152:                              ;   in Loop: Header=BB129_31 Depth=1
	v_cvt_f32_u32_e32 v4, s33
	s_sub_u32 s4, 0, s33
	s_subb_u32 s26, 0, 0
	v_mac_f32_e32 v4, 0, v40
	v_rcp_f32_e32 v4, v4
	v_mul_f32_e32 v4, 0x5f7ffffc, v4
	v_mul_f32_e32 v5, 0x2f800000, v4
	v_trunc_f32_e32 v5, v5
	v_mac_f32_e32 v4, 0xcf800000, v5
	v_cvt_u32_f32_e32 v5, v5
	v_cvt_u32_f32_e32 v4, v4
	v_readfirstlane_b32 s27, v5
	v_readfirstlane_b32 s29, v4
	s_mul_i32 s42, s4, s27
	s_mul_hi_u32 s48, s4, s29
	s_mul_i32 s43, s26, s29
	s_add_i32 s42, s48, s42
	s_mul_i32 s49, s4, s29
	s_add_i32 s42, s42, s43
	s_mul_hi_u32 s48, s29, s49
	s_mul_hi_u32 s43, s29, s42
	s_mul_i32 s29, s29, s42
	s_add_u32 s29, s48, s29
	s_addc_u32 s43, 0, s43
	s_mul_hi_u32 s50, s27, s49
	s_mul_i32 s49, s27, s49
	s_add_u32 s29, s29, s49
	s_mul_hi_u32 s48, s27, s42
	s_addc_u32 s29, s43, s50
	s_addc_u32 s43, s48, 0
	s_mul_i32 s42, s27, s42
	s_add_u32 s29, s29, s42
	s_addc_u32 s42, 0, s43
	v_add_co_u32_e32 v4, vcc, s29, v4
	s_cmp_lg_u64 vcc, 0
	s_addc_u32 s27, s27, s42
	v_readfirstlane_b32 s42, v4
	s_mul_i32 s29, s4, s27
	s_mul_hi_u32 s43, s4, s42
	s_add_i32 s29, s43, s29
	s_mul_i32 s26, s26, s42
	s_add_i32 s29, s29, s26
	s_mul_i32 s4, s4, s42
	s_mul_hi_u32 s43, s27, s4
	s_mul_i32 s48, s27, s4
	s_mul_i32 s50, s42, s29
	s_mul_hi_u32 s4, s42, s4
	s_mul_hi_u32 s49, s42, s29
	s_add_u32 s4, s4, s50
	s_addc_u32 s42, 0, s49
	s_add_u32 s4, s4, s48
	s_mul_hi_u32 s26, s27, s29
	s_addc_u32 s4, s42, s43
	s_addc_u32 s26, s26, 0
	s_mul_i32 s29, s27, s29
	s_add_u32 s4, s4, s29
	s_addc_u32 s26, 0, s26
	v_add_co_u32_e32 v4, vcc, s4, v4
	s_cmp_lg_u64 vcc, 0
	s_addc_u32 s4, s27, s26
	v_readfirstlane_b32 s29, v4
	s_mul_i32 s27, s28, s4
	s_mul_hi_u32 s42, s28, s29
	s_mul_hi_u32 s26, s28, s4
	s_add_u32 s27, s42, s27
	s_addc_u32 s26, 0, s26
	s_mul_hi_u32 s43, s5, s29
	s_mul_i32 s29, s5, s29
	s_add_u32 s27, s27, s29
	s_mul_hi_u32 s42, s5, s4
	s_addc_u32 s26, s26, s43
	s_addc_u32 s27, s42, 0
	s_mul_i32 s4, s5, s4
	s_add_u32 s4, s26, s4
	s_addc_u32 s26, 0, s27
	s_mul_hi_u32 s27, s33, s4
	s_mul_i32 s4, s33, s4
	s_mul_i32 s26, s33, s26
	v_mov_b32_e32 v4, s4
	s_add_i32 s27, s27, s26
	v_sub_co_u32_e32 v4, vcc, s28, v4
	s_cmp_lg_u64 vcc, 0
	s_subb_u32 s4, s5, s27
	v_subrev_co_u32_e32 v5, vcc, s33, v4
	s_cmp_lg_u64 vcc, 0
	s_subb_u32 s26, s4, 0
	v_subrev_co_u32_e32 v6, vcc, s33, v5
	s_cmp_lg_u64 vcc, 0
	s_subb_u32 s27, s26, 0
	v_cmp_le_u32_e32 vcc, s33, v5
	s_cmp_eq_u32 s26, 0
	v_cndmask_b32_e64 v7, 0, -1, vcc
	s_cselect_b64 vcc, -1, 0
	v_cndmask_b32_e32 v7, -1, v7, vcc
	v_mov_b32_e32 v8, s26
	v_mov_b32_e32 v9, s27
	v_cmp_ne_u32_e32 vcc, 0, v7
	v_cndmask_b32_e32 v7, v8, v9, vcc
	v_cndmask_b32_e32 v6, v5, v6, vcc
	v_cmp_le_u32_e32 vcc, s33, v4
	s_cmp_eq_u32 s4, 0
	v_cndmask_b32_e64 v5, 0, -1, vcc
	s_cselect_b64 vcc, -1, 0
	v_cndmask_b32_e32 v5, -1, v5, vcc
	v_mov_b32_e32 v8, s4
	v_cmp_ne_u32_e32 vcc, 0, v5
	v_cndmask_b32_e32 v5, v8, v7, vcc
	v_cndmask_b32_e32 v4, v4, v6, vcc
	s_cbranch_execnz .LBB129_154
.LBB129_153:                            ;   in Loop: Header=BB129_31 Depth=1
	v_cvt_f32_u32_e32 v4, s33
	s_sub_i32 s4, 0, s33
	v_rcp_iflag_f32_e32 v4, v4
	v_mul_f32_e32 v4, 0x4f7ffffe, v4
	v_cvt_u32_f32_e32 v4, v4
	v_mul_lo_u32 v5, s4, v4
	v_mul_hi_u32 v5, v4, v5
	v_add_u32_e32 v4, v4, v5
	v_mul_hi_u32 v4, s28, v4
	v_mul_lo_u32 v4, v4, s33
	v_sub_u32_e32 v4, s28, v4
	v_subrev_u32_e32 v5, s33, v4
	v_cmp_le_u32_e32 vcc, s33, v4
	v_cndmask_b32_e32 v4, v4, v5, vcc
	v_subrev_u32_e32 v5, s33, v4
	v_cmp_le_u32_e32 vcc, s33, v4
	v_cndmask_b32_e32 v14, v4, v5, vcc
	v_pk_mov_b32 v[4:5], v[14:15], v[14:15] op_sel:[0,1]
.LBB129_154:                            ;   in Loop: Header=BB129_31 Depth=1
	v_mov_b32_e32 v6, s5
	v_sub_co_u32_e32 v4, vcc, s28, v4
	v_subb_co_u32_e32 v5, vcc, v6, v5, vcc
	v_cmp_gt_u64_e32 vcc, v[4:5], v[0:1]
	s_mov_b64 s[4:5], 0
                                        ; implicit-def: $vgpr32
	s_and_saveexec_b64 s[26:27], vcc
	s_cbranch_execz .LBB129_165
; %bb.155:                              ;   in Loop: Header=BB129_31 Depth=1
	v_mov_b32_e32 v8, v0
	v_pk_mov_b32 v[6:7], v[0:1], v[0:1] op_sel:[0,1]
                                        ; implicit-def: $sgpr28_sgpr29
	s_branch .LBB129_157
.LBB129_156:                            ;   in Loop: Header=BB129_157 Depth=2
	s_or_b64 exec, exec, s[42:43]
	s_waitcnt lgkmcnt(0)
	s_barrier
	ds_read_u16 v9, v15 offset:3072
	v_mov_b32_e32 v14, s64
	v_add_co_u32_e32 v6, vcc, s33, v6
	v_addc_co_u32_e32 v7, vcc, v7, v14, vcc
	s_waitcnt lgkmcnt(0)
	v_cmp_ne_u16_sdwa s[42:43], v9, v15 src0_sel:BYTE_0 src1_sel:DWORD
	v_cmp_ge_u64_e32 vcc, v[6:7], v[4:5]
	s_or_b64 s[48:49], vcc, s[42:43]
	s_and_b64 s[48:49], exec, s[48:49]
	s_or_b64 s[4:5], s[48:49], s[4:5]
	s_andn2_b64 s[28:29], s[28:29], exec
	s_and_b64 s[42:43], s[42:43], exec
	v_add_u32_e32 v8, s33, v8
	s_or_b64 s[28:29], s[28:29], s[42:43]
	s_barrier
	s_andn2_b64 exec, exec, s[4:5]
	s_cbranch_execz .LBB129_164
.LBB129_157:                            ;   Parent Loop BB129_31 Depth=1
                                        ; =>  This Inner Loop Header: Depth=2
	v_cmp_gt_u64_e32 vcc, s[0:1], v[6:7]
	v_mov_b32_e32 v9, 0
	s_and_saveexec_b64 s[42:43], vcc
	s_cbranch_execz .LBB129_159
; %bb.158:                              ;   in Loop: Header=BB129_157 Depth=2
	ds_read_u8 v9, v8
.LBB129_159:                            ;   in Loop: Header=BB129_157 Depth=2
	s_or_b64 exec, exec, s[42:43]
	s_waitcnt lgkmcnt(0)
	v_and_b32_e32 v14, v9, v31
	v_cmp_eq_u32_sdwa s[42:43], v14, v30 src0_sel:BYTE_0 src1_sel:DWORD
	s_and_b64 s[48:49], vcc, s[42:43]
	s_and_saveexec_b64 s[42:43], s[48:49]
	s_cbranch_execz .LBB129_156
; %bb.160:                              ;   in Loop: Header=BB129_157 Depth=2
	v_lshlrev_b16_e32 v9, 8, v9
	v_or_b32_e32 v9, 1, v9
	ds_write_b16 v15, v9 offset:3072
	s_branch .LBB129_156
.LBB129_161:                            ;   in Loop: Header=BB129_31 Depth=1
                                        ; implicit-def: $vgpr2_vgpr3
	s_branch .LBB129_106
.LBB129_162:                            ;   in Loop: Header=BB129_31 Depth=1
                                        ; implicit-def: $vgpr2_vgpr3
	s_branch .LBB129_124
.LBB129_163:                            ;   in Loop: Header=BB129_31 Depth=1
	s_mov_b64 s[26:27], -1
	s_mov_b64 s[4:5], 0
                                        ; implicit-def: $sgpr28_sgpr29
                                        ; implicit-def: $vgpr32
	s_mov_b64 s[42:43], s[26:27]
	s_cbranch_execnz .LBB129_166
	s_branch .LBB129_178
.LBB129_164:                            ;   in Loop: Header=BB129_31 Depth=1
	s_or_b64 exec, exec, s[4:5]
	v_lshrrev_b16_e32 v32, 8, v9
	s_and_b64 s[4:5], s[28:29], exec
.LBB129_165:                            ;   in Loop: Header=BB129_31 Depth=1
	s_or_b64 exec, exec, s[26:27]
	s_mov_b64 s[28:29], -1
	s_mov_b64 s[26:27], 0
	s_mov_b64 s[42:43], s[26:27]
	s_branch .LBB129_178
.LBB129_166:                            ;   in Loop: Header=BB129_31 Depth=1
	v_readlane_b32 s42, v53, 33
	v_readlane_b32 s43, v53, 34
	s_mov_b32 s42, s81
	s_cmp_lg_u64 s[42:43], 0
	v_writelane_b32 v53, s42, 33
	v_writelane_b32 v53, s43, 34
	s_cbranch_scc0 .LBB129_206
; %bb.167:                              ;   in Loop: Header=BB129_31 Depth=1
	v_cvt_f32_u32_e32 v4, s33
	s_sub_u32 s0, 0, s33
	s_subb_u32 s1, 0, 0
	v_mac_f32_e32 v4, 0, v40
	v_rcp_f32_e32 v4, v4
	v_mul_f32_e32 v4, 0x5f7ffffc, v4
	v_mul_f32_e32 v5, 0x2f800000, v4
	v_trunc_f32_e32 v5, v5
	v_mac_f32_e32 v4, 0xcf800000, v5
	v_cvt_u32_f32_e32 v5, v5
	v_cvt_u32_f32_e32 v4, v4
	v_readfirstlane_b32 s4, v5
	v_readfirstlane_b32 s5, v4
	s_mul_i32 s26, s0, s4
	s_mul_hi_u32 s28, s0, s5
	s_mul_i32 s27, s1, s5
	s_add_i32 s26, s28, s26
	s_mul_i32 s29, s0, s5
	s_add_i32 s26, s26, s27
	s_mul_hi_u32 s28, s5, s29
	s_mul_hi_u32 s27, s5, s26
	s_mul_i32 s5, s5, s26
	s_add_u32 s5, s28, s5
	s_addc_u32 s27, 0, s27
	s_mul_hi_u32 s42, s4, s29
	s_mul_i32 s29, s4, s29
	s_add_u32 s5, s5, s29
	s_mul_hi_u32 s28, s4, s26
	s_addc_u32 s5, s27, s42
	s_addc_u32 s27, s28, 0
	s_mul_i32 s26, s4, s26
	s_add_u32 s5, s5, s26
	s_addc_u32 s26, 0, s27
	v_add_co_u32_e32 v4, vcc, s5, v4
	s_cmp_lg_u64 vcc, 0
	s_addc_u32 s4, s4, s26
	v_readfirstlane_b32 s26, v4
	s_mul_i32 s5, s0, s4
	s_mul_hi_u32 s27, s0, s26
	s_add_i32 s5, s27, s5
	s_mul_i32 s1, s1, s26
	s_add_i32 s5, s5, s1
	s_mul_i32 s0, s0, s26
	s_mul_hi_u32 s27, s4, s0
	s_mul_i32 s28, s4, s0
	s_mul_i32 s42, s26, s5
	s_mul_hi_u32 s0, s26, s0
	s_mul_hi_u32 s29, s26, s5
	s_add_u32 s0, s0, s42
	s_addc_u32 s26, 0, s29
	s_add_u32 s0, s0, s28
	s_mul_hi_u32 s1, s4, s5
	s_addc_u32 s0, s26, s27
	s_addc_u32 s1, s1, 0
	s_mul_i32 s5, s4, s5
	s_add_u32 s0, s0, s5
	s_addc_u32 s1, 0, s1
	v_add_co_u32_e32 v4, vcc, s0, v4
	s_cmp_lg_u64 vcc, 0
	s_addc_u32 s0, s4, s1
	v_readlane_b32 s28, v53, 31
	v_readfirstlane_b32 s5, v4
	s_mul_i32 s4, s28, s0
	s_mul_hi_u32 s26, s28, s5
	s_mul_hi_u32 s1, s28, s0
	s_add_u32 s4, s26, s4
	s_addc_u32 s1, 0, s1
	s_mul_hi_u32 s27, s43, s5
	s_mul_i32 s5, s43, s5
	s_add_u32 s4, s4, s5
	s_mul_hi_u32 s26, s43, s0
	s_addc_u32 s1, s1, s27
	s_addc_u32 s4, s26, 0
	s_mul_i32 s0, s43, s0
	s_add_u32 s0, s1, s0
	s_addc_u32 s1, 0, s4
	s_mul_hi_u32 s4, s33, s0
	s_mul_i32 s0, s33, s0
	s_mul_i32 s1, s33, s1
	v_mov_b32_e32 v4, s0
	s_add_i32 s4, s4, s1
	v_sub_co_u32_e32 v4, vcc, s28, v4
	s_cmp_lg_u64 vcc, 0
	s_subb_u32 s0, s43, s4
	v_subrev_co_u32_e32 v5, vcc, s33, v4
	s_cmp_lg_u64 vcc, 0
	s_subb_u32 s1, s0, 0
	v_subrev_co_u32_e32 v6, vcc, s33, v5
	s_cmp_lg_u64 vcc, 0
	s_subb_u32 s4, s1, 0
	v_cmp_le_u32_e32 vcc, s33, v5
	s_cmp_eq_u32 s1, 0
	v_cndmask_b32_e64 v7, 0, -1, vcc
	s_cselect_b64 vcc, -1, 0
	v_cndmask_b32_e32 v7, -1, v7, vcc
	v_mov_b32_e32 v8, s1
	v_mov_b32_e32 v9, s4
	v_cmp_ne_u32_e32 vcc, 0, v7
	v_cndmask_b32_e32 v7, v8, v9, vcc
	v_cndmask_b32_e32 v6, v5, v6, vcc
	v_cmp_le_u32_e32 vcc, s33, v4
	s_cmp_eq_u32 s0, 0
	v_cndmask_b32_e64 v5, 0, -1, vcc
	s_cselect_b64 vcc, -1, 0
	v_cndmask_b32_e32 v5, -1, v5, vcc
	v_mov_b32_e32 v8, s0
	v_cmp_ne_u32_e32 vcc, 0, v5
	v_cndmask_b32_e32 v5, v8, v7, vcc
	v_cndmask_b32_e32 v4, v4, v6, vcc
	s_cbranch_execnz .LBB129_169
.LBB129_168:                            ;   in Loop: Header=BB129_31 Depth=1
	v_cvt_f32_u32_e32 v4, s33
	s_sub_i32 s0, 0, s33
	v_rcp_iflag_f32_e32 v4, v4
	v_mul_f32_e32 v4, 0x4f7ffffe, v4
	v_cvt_u32_f32_e32 v4, v4
	v_mul_lo_u32 v5, s0, v4
	v_mul_hi_u32 v5, v4, v5
	v_add_u32_e32 v4, v4, v5
	v_readlane_b32 s0, v53, 31
	v_mul_hi_u32 v4, s0, v4
	v_mul_lo_u32 v4, v4, s33
	v_sub_u32_e32 v4, s0, v4
	v_subrev_u32_e32 v5, s33, v4
	v_cmp_le_u32_e32 vcc, s33, v4
	v_cndmask_b32_e32 v4, v4, v5, vcc
	v_subrev_u32_e32 v5, s33, v4
	v_cmp_le_u32_e32 vcc, s33, v4
	v_cndmask_b32_e32 v14, v4, v5, vcc
	v_pk_mov_b32 v[4:5], v[14:15], v[14:15] op_sel:[0,1]
.LBB129_169:                            ;   in Loop: Header=BB129_31 Depth=1
	v_readlane_b32 s0, v53, 33
	v_readlane_b32 s1, v53, 34
	;; [unrolled: 1-line block ×3, first 2 shown]
	v_mov_b32_e32 v6, s1
	v_sub_co_u32_e32 v4, vcc, s0, v4
	v_subb_co_u32_e32 v5, vcc, v6, v5, vcc
	v_cmp_gt_u64_e32 vcc, v[4:5], v[0:1]
	s_mov_b64 s[4:5], 0
                                        ; implicit-def: $vgpr32
	s_and_saveexec_b64 s[0:1], vcc
	s_cbranch_execz .LBB129_177
; %bb.170:                              ;   in Loop: Header=BB129_31 Depth=1
	v_pk_mov_b32 v[6:7], v[26:27], v[26:27] op_sel:[0,1]
	v_pk_mov_b32 v[8:9], v[0:1], v[0:1] op_sel:[0,1]
                                        ; implicit-def: $sgpr26_sgpr27
	s_branch .LBB129_172
.LBB129_171:                            ;   in Loop: Header=BB129_172 Depth=2
	s_or_b64 exec, exec, s[28:29]
	s_waitcnt lgkmcnt(0)
	s_barrier
	ds_read_u16 v14, v15 offset:3072
	v_mov_b32_e32 v32, s64
	v_add_co_u32_e32 v8, vcc, s33, v8
	v_addc_co_u32_e32 v9, vcc, v9, v32, vcc
	s_waitcnt lgkmcnt(0)
	v_cmp_ne_u16_sdwa s[28:29], v14, v15 src0_sel:BYTE_0 src1_sel:DWORD
	v_cmp_ge_u64_e32 vcc, v[8:9], v[4:5]
	s_or_b64 s[42:43], vcc, s[28:29]
	s_and_b64 s[42:43], exec, s[42:43]
	s_mul_i32 s48, s58, s33
	s_or_b64 s[4:5], s[42:43], s[4:5]
	v_mov_b32_e32 v32, s65
	v_add_co_u32_e32 v6, vcc, s48, v6
	s_andn2_b64 s[26:27], s[26:27], exec
	s_and_b64 s[28:29], s[28:29], exec
	v_addc_co_u32_e32 v7, vcc, v7, v32, vcc
	s_or_b64 s[26:27], s[26:27], s[28:29]
	s_barrier
	s_andn2_b64 exec, exec, s[4:5]
	s_cbranch_execz .LBB129_176
.LBB129_172:                            ;   Parent Loop BB129_31 Depth=1
                                        ; =>  This Inner Loop Header: Depth=2
	v_cmp_gt_u64_e32 vcc, s[60:61], v[8:9]
	v_mov_b32_e32 v14, 0
	s_and_saveexec_b64 s[28:29], vcc
	s_cbranch_execz .LBB129_174
; %bb.173:                              ;   in Loop: Header=BB129_172 Depth=2
	global_load_ubyte v14, v[6:7], off
.LBB129_174:                            ;   in Loop: Header=BB129_172 Depth=2
	s_or_b64 exec, exec, s[28:29]
	s_waitcnt vmcnt(0)
	v_and_b32_e32 v32, v14, v31
	v_cmp_eq_u32_sdwa s[28:29], v32, v30 src0_sel:BYTE_0 src1_sel:DWORD
	s_and_b64 s[42:43], vcc, s[28:29]
	s_and_saveexec_b64 s[28:29], s[42:43]
	s_cbranch_execz .LBB129_171
; %bb.175:                              ;   in Loop: Header=BB129_172 Depth=2
	v_lshlrev_b16_e32 v14, 8, v14
	v_or_b32_e32 v14, 1, v14
	ds_write_b16 v15, v14 offset:3072
	s_branch .LBB129_171
.LBB129_176:                            ;   in Loop: Header=BB129_31 Depth=1
	s_or_b64 exec, exec, s[4:5]
	v_lshrrev_b16_e32 v32, 8, v14
	s_and_b64 s[4:5], s[26:27], exec
.LBB129_177:                            ;   in Loop: Header=BB129_31 Depth=1
	s_or_b64 exec, exec, s[0:1]
	s_mov_b64 s[42:43], -1
	s_mov_b64 s[26:27], 0
	s_mov_b64 s[28:29], 0
.LBB129_178:                            ;   in Loop: Header=BB129_31 Depth=1
	s_orn2_b64 s[0:1], s[4:5], exec
.LBB129_179:                            ;   in Loop: Header=BB129_31 Depth=1
	s_or_b64 exec, exec, s[44:45]
	s_mov_b64 s[48:49], 0
                                        ; implicit-def: $vgpr6
	s_and_saveexec_b64 s[44:45], s[0:1]
	s_cbranch_execz .LBB129_288
; %bb.180:                              ;   in Loop: Header=BB129_31 Depth=1
	v_mov_b32_e32 v4, 1
	s_xor_b64 s[4:5], s[46:47], -1
	s_mov_b64 s[50:51], 0
	v_mov_b32_e32 v5, 0
	v_mov_b32_e32 v6, 1
	s_and_saveexec_b64 s[0:1], s[4:5]
	s_cbranch_execz .LBB129_190
; %bb.181:                              ;   in Loop: Header=BB129_31 Depth=1
	v_cmp_ge_u64_e32 vcc, s[18:19], v[2:3]
                                        ; implicit-def: $sgpr48
                                        ; implicit-def: $sgpr4_sgpr5
	s_and_saveexec_b64 s[46:47], vcc
	s_xor_b64 s[46:47], exec, s[46:47]
	s_cbranch_execz .LBB129_187
; %bb.182:                              ;   in Loop: Header=BB129_31 Depth=1
	ds_read_b64 v[4:5], v15 offset:5120
	s_waitcnt lgkmcnt(0)
	v_cmp_ne_u64_e32 vcc, 0, v[4:5]
	s_cbranch_vccnz .LBB129_186
; %bb.183:                              ;   in Loop: Header=BB129_31 Depth=1
	s_mov_b64 s[4:5], exec
	v_readlane_b32 s48, v53, 10
	v_readlane_b32 s49, v53, 11
	s_and_b64 s[48:49], s[4:5], s[48:49]
	s_mov_b64 exec, s[48:49]
	s_cbranch_execz .LBB129_185
; %bb.184:                              ;   in Loop: Header=BB129_31 Depth=1
	v_pk_mov_b32 v[4:5], s[18:19], s[18:19] op_sel:[0,1]
	ds_write_b64 v15, v[4:5] offset:5128
.LBB129_185:                            ;   in Loop: Header=BB129_31 Depth=1
	s_or_b64 exec, exec, s[4:5]
	s_waitcnt lgkmcnt(0)
	s_barrier
.LBB129_186:                            ;   in Loop: Header=BB129_31 Depth=1
	v_readlane_b32 s4, v53, 55
	v_and_b32_e32 v4, s4, v30
	v_lshl_or_b32 v30, 1, s31, v4
	v_or_b32_e32 v31, s80, v31
	s_mov_b64 s[4:5], 0
	s_mov_b32 s48, 8
.LBB129_187:                            ;   in Loop: Header=BB129_31 Depth=1
	s_or_saveexec_b64 s[46:47], s[46:47]
	v_mov_b32_e32 v6, s48
	s_xor_b64 exec, exec, s[46:47]
; %bb.188:                              ;   in Loop: Header=BB129_31 Depth=1
	v_mov_b32_e32 v4, s19
	v_subrev_co_u32_e32 v2, vcc, s18, v2
	v_subb_co_u32_e32 v3, vcc, v3, v4, vcc
	v_mov_b32_e32 v6, 0
	s_or_b64 s[4:5], s[4:5], exec
; %bb.189:                              ;   in Loop: Header=BB129_31 Depth=1
	s_or_b64 exec, exec, s[46:47]
	s_and_b64 s[50:51], s[4:5], exec
	v_pk_mov_b32 v[4:5], v[2:3], v[2:3] op_sel:[0,1]
.LBB129_190:                            ;   in Loop: Header=BB129_31 Depth=1
	s_or_b64 exec, exec, s[0:1]
	s_mov_b64 s[0:1], -1
                                        ; implicit-def: $sgpr4_sgpr5
                                        ; implicit-def: $sgpr48_sgpr49
                                        ; implicit-def: $sgpr54_sgpr55
	s_and_saveexec_b64 s[46:47], s[50:51]
	s_cbranch_execz .LBB129_287
; %bb.191:                              ;   in Loop: Header=BB129_31 Depth=1
	s_cmp_eq_u64 s[22:23], 1
	s_cselect_b64 s[0:1], -1, 0
	v_cmp_eq_u64_e32 vcc, 1, v[4:5]
	s_and_b64 s[68:69], s[0:1], vcc
	s_mov_b64 s[4:5], -1
                                        ; implicit-def: $sgpr48_sgpr49
                                        ; implicit-def: $sgpr52_sgpr53
                                        ; implicit-def: $sgpr50_sgpr51
	s_and_saveexec_b64 s[54:55], s[68:69]
	s_cbranch_execz .LBB129_223
; %bb.192:                              ;   in Loop: Header=BB129_31 Depth=1
	ds_read_b64 v[2:3], v15 offset:5120
	s_waitcnt lgkmcnt(0)
	s_barrier
	v_readfirstlane_b32 s0, v2
	v_readfirstlane_b32 s1, v3
	s_mov_b64 s[4:5], exec
	v_readlane_b32 s48, v53, 26
	v_readlane_b32 s49, v53, 27
	s_and_b64 s[48:49], s[4:5], s[48:49]
	s_mov_b64 exec, s[48:49]
	s_cbranch_execz .LBB129_194
; %bb.193:                              ;   in Loop: Header=BB129_31 Depth=1
	ds_write_b8 v0, v15 offset:3072
.LBB129_194:                            ;   in Loop: Header=BB129_31 Depth=1
	s_or_b64 exec, exec, s[4:5]
	v_readlane_b32 s4, v53, 55
	v_and_b32_e32 v2, s4, v30
	v_lshl_or_b32 v30, 2, s31, v2
	v_or_b32_e32 v31, s80, v31
	s_cmp_eq_u64 s[0:1], 0
	s_waitcnt lgkmcnt(0)
	s_barrier
	s_cbranch_scc1 .LBB129_207
; %bb.195:                              ;   in Loop: Header=BB129_31 Depth=1
	v_readlane_b32 s4, v53, 30
	s_add_u32 s50, s4, s0
	v_readlane_b32 s4, v53, 32
	s_addc_u32 s5, s4, s1
	s_mov_b32 s4, s81
	s_cmp_lg_u64 s[4:5], 0
	s_cbranch_scc0 .LBB129_241
; %bb.196:                              ;   in Loop: Header=BB129_31 Depth=1
	v_cvt_f32_u32_e32 v2, s33
	s_sub_u32 s4, 0, s33
	s_subb_u32 s48, 0, 0
	v_mac_f32_e32 v2, 0, v40
	v_rcp_f32_e32 v2, v2
	v_mul_f32_e32 v2, 0x5f7ffffc, v2
	v_mul_f32_e32 v3, 0x2f800000, v2
	v_trunc_f32_e32 v3, v3
	v_mac_f32_e32 v2, 0xcf800000, v3
	v_cvt_u32_f32_e32 v3, v3
	v_cvt_u32_f32_e32 v2, v2
	v_readfirstlane_b32 s49, v3
	v_readfirstlane_b32 s51, v2
	s_mul_i32 s52, s4, s49
	s_mul_hi_u32 s84, s4, s51
	s_mul_i32 s53, s48, s51
	s_add_i32 s52, s84, s52
	s_mul_i32 s85, s4, s51
	s_add_i32 s52, s52, s53
	s_mul_hi_u32 s84, s51, s85
	s_mul_hi_u32 s53, s51, s52
	s_mul_i32 s51, s51, s52
	s_add_u32 s51, s84, s51
	s_addc_u32 s53, 0, s53
	s_mul_hi_u32 s86, s49, s85
	s_mul_i32 s85, s49, s85
	s_add_u32 s51, s51, s85
	s_mul_hi_u32 s84, s49, s52
	s_addc_u32 s51, s53, s86
	s_addc_u32 s53, s84, 0
	s_mul_i32 s52, s49, s52
	s_add_u32 s51, s51, s52
	s_addc_u32 s52, 0, s53
	v_add_co_u32_e32 v2, vcc, s51, v2
	s_cmp_lg_u64 vcc, 0
	s_addc_u32 s49, s49, s52
	v_readfirstlane_b32 s52, v2
	s_mul_i32 s51, s4, s49
	s_mul_hi_u32 s53, s4, s52
	s_add_i32 s51, s53, s51
	s_mul_i32 s48, s48, s52
	s_add_i32 s51, s51, s48
	s_mul_i32 s4, s4, s52
	s_mul_hi_u32 s53, s49, s4
	s_mul_i32 s84, s49, s4
	s_mul_i32 s86, s52, s51
	s_mul_hi_u32 s4, s52, s4
	s_mul_hi_u32 s85, s52, s51
	s_add_u32 s4, s4, s86
	s_addc_u32 s52, 0, s85
	s_add_u32 s4, s4, s84
	s_mul_hi_u32 s48, s49, s51
	s_addc_u32 s4, s52, s53
	s_addc_u32 s48, s48, 0
	s_mul_i32 s51, s49, s51
	s_add_u32 s4, s4, s51
	s_addc_u32 s48, 0, s48
	v_add_co_u32_e32 v2, vcc, s4, v2
	s_cmp_lg_u64 vcc, 0
	s_addc_u32 s4, s49, s48
	v_readfirstlane_b32 s51, v2
	s_mul_i32 s49, s50, s4
	s_mul_hi_u32 s52, s50, s51
	s_mul_hi_u32 s48, s50, s4
	s_add_u32 s49, s52, s49
	s_addc_u32 s48, 0, s48
	s_mul_hi_u32 s53, s5, s51
	s_mul_i32 s51, s5, s51
	s_add_u32 s49, s49, s51
	s_mul_hi_u32 s52, s5, s4
	s_addc_u32 s48, s48, s53
	s_addc_u32 s49, s52, 0
	s_mul_i32 s4, s5, s4
	s_add_u32 s4, s48, s4
	s_addc_u32 s48, 0, s49
	s_mul_hi_u32 s49, s33, s4
	s_mul_i32 s4, s33, s4
	s_mul_i32 s48, s33, s48
	v_mov_b32_e32 v2, s4
	s_add_i32 s49, s49, s48
	v_sub_co_u32_e32 v2, vcc, s50, v2
	s_cmp_lg_u64 vcc, 0
	s_subb_u32 s4, s5, s49
	v_subrev_co_u32_e32 v3, vcc, s33, v2
	s_cmp_lg_u64 vcc, 0
	s_subb_u32 s48, s4, 0
	v_subrev_co_u32_e32 v6, vcc, s33, v3
	s_cmp_lg_u64 vcc, 0
	s_subb_u32 s49, s48, 0
	v_cmp_le_u32_e32 vcc, s33, v3
	s_cmp_eq_u32 s48, 0
	v_cndmask_b32_e64 v7, 0, -1, vcc
	s_cselect_b64 vcc, -1, 0
	v_cndmask_b32_e32 v7, -1, v7, vcc
	v_mov_b32_e32 v8, s48
	v_mov_b32_e32 v9, s49
	v_cmp_ne_u32_e32 vcc, 0, v7
	v_cndmask_b32_e32 v7, v8, v9, vcc
	v_cndmask_b32_e32 v6, v3, v6, vcc
	v_cmp_le_u32_e32 vcc, s33, v2
	s_cmp_eq_u32 s4, 0
	v_cndmask_b32_e64 v3, 0, -1, vcc
	s_cselect_b64 vcc, -1, 0
	v_cndmask_b32_e32 v3, -1, v3, vcc
	v_mov_b32_e32 v8, s4
	v_cmp_ne_u32_e32 vcc, 0, v3
	v_cndmask_b32_e32 v3, v8, v7, vcc
	v_cndmask_b32_e32 v2, v2, v6, vcc
	s_cbranch_execnz .LBB129_198
.LBB129_197:                            ;   in Loop: Header=BB129_31 Depth=1
	v_cvt_f32_u32_e32 v2, s33
	s_sub_i32 s4, 0, s33
	v_rcp_iflag_f32_e32 v2, v2
	v_mul_f32_e32 v2, 0x4f7ffffe, v2
	v_cvt_u32_f32_e32 v2, v2
	v_mul_lo_u32 v3, s4, v2
	v_mul_hi_u32 v3, v2, v3
	v_add_u32_e32 v2, v2, v3
	v_mul_hi_u32 v2, s50, v2
	v_mul_lo_u32 v2, v2, s33
	v_sub_u32_e32 v2, s50, v2
	v_subrev_u32_e32 v3, s33, v2
	v_cmp_le_u32_e32 vcc, s33, v2
	v_cndmask_b32_e32 v2, v2, v3, vcc
	v_subrev_u32_e32 v3, s33, v2
	v_cmp_le_u32_e32 vcc, s33, v2
	v_cndmask_b32_e32 v14, v2, v3, vcc
	v_pk_mov_b32 v[2:3], v[14:15], v[14:15] op_sel:[0,1]
.LBB129_198:                            ;   in Loop: Header=BB129_31 Depth=1
	v_mov_b32_e32 v6, s5
	v_sub_co_u32_e32 v2, vcc, s50, v2
	v_subb_co_u32_e32 v3, vcc, v6, v3, vcc
	v_cmp_gt_u64_e32 vcc, v[2:3], v[0:1]
	s_mov_b64 s[4:5], 0
                                        ; implicit-def: $vgpr32
	s_and_saveexec_b64 s[48:49], vcc
	s_cbranch_execz .LBB129_209
; %bb.199:                              ;   in Loop: Header=BB129_31 Depth=1
	v_mov_b32_e32 v8, v0
	v_pk_mov_b32 v[6:7], v[0:1], v[0:1] op_sel:[0,1]
                                        ; implicit-def: $sgpr50_sgpr51
	s_branch .LBB129_201
.LBB129_200:                            ;   in Loop: Header=BB129_201 Depth=2
	s_or_b64 exec, exec, s[52:53]
	s_waitcnt lgkmcnt(0)
	s_barrier
	ds_read_u16 v9, v15 offset:3072
	v_mov_b32_e32 v14, s64
	v_add_co_u32_e32 v6, vcc, s33, v6
	v_addc_co_u32_e32 v7, vcc, v7, v14, vcc
	s_waitcnt lgkmcnt(0)
	v_cmp_ne_u16_sdwa s[52:53], v9, v15 src0_sel:BYTE_0 src1_sel:DWORD
	v_cmp_ge_u64_e32 vcc, v[6:7], v[2:3]
	s_or_b64 s[84:85], vcc, s[52:53]
	s_and_b64 s[84:85], exec, s[84:85]
	s_or_b64 s[4:5], s[84:85], s[4:5]
	s_andn2_b64 s[50:51], s[50:51], exec
	s_and_b64 s[52:53], s[52:53], exec
	v_add_u32_e32 v8, s33, v8
	s_or_b64 s[50:51], s[50:51], s[52:53]
	s_barrier
	s_andn2_b64 exec, exec, s[4:5]
	s_cbranch_execz .LBB129_208
.LBB129_201:                            ;   Parent Loop BB129_31 Depth=1
                                        ; =>  This Inner Loop Header: Depth=2
	v_cmp_gt_u64_e32 vcc, s[0:1], v[6:7]
	v_mov_b32_e32 v9, 0
	s_and_saveexec_b64 s[52:53], vcc
	s_cbranch_execz .LBB129_203
; %bb.202:                              ;   in Loop: Header=BB129_201 Depth=2
	ds_read_u8 v9, v8
.LBB129_203:                            ;   in Loop: Header=BB129_201 Depth=2
	s_or_b64 exec, exec, s[52:53]
	s_waitcnt lgkmcnt(0)
	v_and_b32_e32 v14, v9, v31
	v_cmp_eq_u32_sdwa s[52:53], v14, v30 src0_sel:BYTE_0 src1_sel:DWORD
	s_and_b64 s[84:85], vcc, s[52:53]
	s_and_saveexec_b64 s[52:53], s[84:85]
	s_cbranch_execz .LBB129_200
; %bb.204:                              ;   in Loop: Header=BB129_201 Depth=2
	v_lshlrev_b16_e32 v9, 8, v9
	v_or_b32_e32 v9, 1, v9
	ds_write_b16 v15, v9 offset:3072
	s_branch .LBB129_200
.LBB129_205:                            ;   in Loop: Header=BB129_31 Depth=1
                                        ; implicit-def: $vgpr4_vgpr5
	s_branch .LBB129_153
.LBB129_206:                            ;   in Loop: Header=BB129_31 Depth=1
                                        ; implicit-def: $vgpr4_vgpr5
	s_branch .LBB129_168
.LBB129_207:                            ;   in Loop: Header=BB129_31 Depth=1
	s_mov_b64 s[48:49], -1
	s_mov_b64 s[4:5], 0
                                        ; implicit-def: $sgpr50_sgpr51
                                        ; implicit-def: $vgpr32
	s_mov_b64 s[52:53], s[48:49]
	s_cbranch_execnz .LBB129_210
	s_branch .LBB129_222
.LBB129_208:                            ;   in Loop: Header=BB129_31 Depth=1
	s_or_b64 exec, exec, s[4:5]
	v_lshrrev_b16_e32 v32, 8, v9
	s_and_b64 s[4:5], s[50:51], exec
.LBB129_209:                            ;   in Loop: Header=BB129_31 Depth=1
	s_or_b64 exec, exec, s[48:49]
	s_mov_b64 s[50:51], -1
	s_mov_b64 s[48:49], 0
	s_mov_b64 s[52:53], s[48:49]
	s_branch .LBB129_222
.LBB129_210:                            ;   in Loop: Header=BB129_31 Depth=1
	v_readlane_b32 s52, v53, 33
	v_readlane_b32 s53, v53, 34
	s_mov_b32 s52, s81
	s_cmp_lg_u64 s[52:53], 0
	v_writelane_b32 v53, s52, 33
	v_writelane_b32 v53, s53, 34
	s_cbranch_scc0 .LBB129_242
; %bb.211:                              ;   in Loop: Header=BB129_31 Depth=1
	v_cvt_f32_u32_e32 v2, s33
	s_sub_u32 s0, 0, s33
	s_subb_u32 s1, 0, 0
	v_mac_f32_e32 v2, 0, v40
	v_rcp_f32_e32 v2, v2
	v_mul_f32_e32 v2, 0x5f7ffffc, v2
	v_mul_f32_e32 v3, 0x2f800000, v2
	v_trunc_f32_e32 v3, v3
	v_mac_f32_e32 v2, 0xcf800000, v3
	v_cvt_u32_f32_e32 v3, v3
	v_cvt_u32_f32_e32 v2, v2
	v_readfirstlane_b32 s4, v3
	v_readfirstlane_b32 s5, v2
	s_mul_i32 s48, s0, s4
	s_mul_hi_u32 s50, s0, s5
	s_mul_i32 s49, s1, s5
	s_add_i32 s48, s50, s48
	s_mul_i32 s51, s0, s5
	s_add_i32 s48, s48, s49
	s_mul_hi_u32 s50, s5, s51
	s_mul_hi_u32 s49, s5, s48
	s_mul_i32 s5, s5, s48
	s_add_u32 s5, s50, s5
	s_addc_u32 s49, 0, s49
	s_mul_hi_u32 s52, s4, s51
	s_mul_i32 s51, s4, s51
	s_add_u32 s5, s5, s51
	s_mul_hi_u32 s50, s4, s48
	s_addc_u32 s5, s49, s52
	s_addc_u32 s49, s50, 0
	s_mul_i32 s48, s4, s48
	s_add_u32 s5, s5, s48
	s_addc_u32 s48, 0, s49
	v_add_co_u32_e32 v2, vcc, s5, v2
	s_cmp_lg_u64 vcc, 0
	s_addc_u32 s4, s4, s48
	v_readfirstlane_b32 s48, v2
	s_mul_i32 s5, s0, s4
	s_mul_hi_u32 s49, s0, s48
	s_add_i32 s5, s49, s5
	s_mul_i32 s1, s1, s48
	s_add_i32 s5, s5, s1
	s_mul_i32 s0, s0, s48
	s_mul_hi_u32 s49, s4, s0
	s_mul_i32 s50, s4, s0
	s_mul_i32 s52, s48, s5
	s_mul_hi_u32 s0, s48, s0
	s_mul_hi_u32 s51, s48, s5
	s_add_u32 s0, s0, s52
	s_addc_u32 s48, 0, s51
	s_add_u32 s0, s0, s50
	s_mul_hi_u32 s1, s4, s5
	s_addc_u32 s0, s48, s49
	s_addc_u32 s1, s1, 0
	s_mul_i32 s5, s4, s5
	s_add_u32 s0, s0, s5
	s_addc_u32 s1, 0, s1
	v_add_co_u32_e32 v2, vcc, s0, v2
	s_cmp_lg_u64 vcc, 0
	s_addc_u32 s0, s4, s1
	v_readlane_b32 s50, v53, 31
	v_readfirstlane_b32 s5, v2
	s_mul_i32 s4, s50, s0
	s_mul_hi_u32 s48, s50, s5
	s_mul_hi_u32 s1, s50, s0
	s_add_u32 s4, s48, s4
	s_addc_u32 s1, 0, s1
	s_mul_hi_u32 s49, s53, s5
	s_mul_i32 s5, s53, s5
	s_add_u32 s4, s4, s5
	s_mul_hi_u32 s48, s53, s0
	s_addc_u32 s1, s1, s49
	s_addc_u32 s4, s48, 0
	s_mul_i32 s0, s53, s0
	s_add_u32 s0, s1, s0
	s_addc_u32 s1, 0, s4
	s_mul_hi_u32 s4, s33, s0
	s_mul_i32 s0, s33, s0
	s_mul_i32 s1, s33, s1
	v_mov_b32_e32 v2, s0
	s_add_i32 s4, s4, s1
	v_sub_co_u32_e32 v2, vcc, s50, v2
	s_cmp_lg_u64 vcc, 0
	s_subb_u32 s0, s53, s4
	v_subrev_co_u32_e32 v3, vcc, s33, v2
	s_cmp_lg_u64 vcc, 0
	s_subb_u32 s1, s0, 0
	v_subrev_co_u32_e32 v6, vcc, s33, v3
	s_cmp_lg_u64 vcc, 0
	s_subb_u32 s4, s1, 0
	v_cmp_le_u32_e32 vcc, s33, v3
	s_cmp_eq_u32 s1, 0
	v_cndmask_b32_e64 v7, 0, -1, vcc
	s_cselect_b64 vcc, -1, 0
	v_cndmask_b32_e32 v7, -1, v7, vcc
	v_mov_b32_e32 v8, s1
	v_mov_b32_e32 v9, s4
	v_cmp_ne_u32_e32 vcc, 0, v7
	v_cndmask_b32_e32 v7, v8, v9, vcc
	v_cndmask_b32_e32 v6, v3, v6, vcc
	v_cmp_le_u32_e32 vcc, s33, v2
	s_cmp_eq_u32 s0, 0
	v_cndmask_b32_e64 v3, 0, -1, vcc
	s_cselect_b64 vcc, -1, 0
	v_cndmask_b32_e32 v3, -1, v3, vcc
	v_mov_b32_e32 v8, s0
	v_cmp_ne_u32_e32 vcc, 0, v3
	v_cndmask_b32_e32 v3, v8, v7, vcc
	v_cndmask_b32_e32 v2, v2, v6, vcc
	s_cbranch_execnz .LBB129_213
.LBB129_212:                            ;   in Loop: Header=BB129_31 Depth=1
	v_cvt_f32_u32_e32 v2, s33
	s_sub_i32 s0, 0, s33
	v_rcp_iflag_f32_e32 v2, v2
	v_mul_f32_e32 v2, 0x4f7ffffe, v2
	v_cvt_u32_f32_e32 v2, v2
	v_mul_lo_u32 v3, s0, v2
	v_mul_hi_u32 v3, v2, v3
	v_add_u32_e32 v2, v2, v3
	v_readlane_b32 s0, v53, 31
	v_mul_hi_u32 v2, s0, v2
	v_mul_lo_u32 v2, v2, s33
	v_sub_u32_e32 v2, s0, v2
	v_subrev_u32_e32 v3, s33, v2
	v_cmp_le_u32_e32 vcc, s33, v2
	v_cndmask_b32_e32 v2, v2, v3, vcc
	v_subrev_u32_e32 v3, s33, v2
	v_cmp_le_u32_e32 vcc, s33, v2
	v_cndmask_b32_e32 v14, v2, v3, vcc
	v_pk_mov_b32 v[2:3], v[14:15], v[14:15] op_sel:[0,1]
.LBB129_213:                            ;   in Loop: Header=BB129_31 Depth=1
	v_readlane_b32 s0, v53, 33
	v_readlane_b32 s1, v53, 34
	;; [unrolled: 1-line block ×3, first 2 shown]
	v_mov_b32_e32 v6, s1
	v_sub_co_u32_e32 v2, vcc, s0, v2
	v_subb_co_u32_e32 v3, vcc, v6, v3, vcc
	v_cmp_gt_u64_e32 vcc, v[2:3], v[0:1]
	s_mov_b64 s[4:5], 0
                                        ; implicit-def: $vgpr32
	s_and_saveexec_b64 s[0:1], vcc
	s_cbranch_execz .LBB129_221
; %bb.214:                              ;   in Loop: Header=BB129_31 Depth=1
	v_pk_mov_b32 v[6:7], v[26:27], v[26:27] op_sel:[0,1]
	v_pk_mov_b32 v[8:9], v[0:1], v[0:1] op_sel:[0,1]
                                        ; implicit-def: $sgpr48_sgpr49
	s_branch .LBB129_216
.LBB129_215:                            ;   in Loop: Header=BB129_216 Depth=2
	s_or_b64 exec, exec, s[50:51]
	s_waitcnt lgkmcnt(0)
	s_barrier
	ds_read_u16 v14, v15 offset:3072
	v_mov_b32_e32 v32, s64
	v_add_co_u32_e32 v8, vcc, s33, v8
	v_addc_co_u32_e32 v9, vcc, v9, v32, vcc
	s_waitcnt lgkmcnt(0)
	v_cmp_ne_u16_sdwa s[50:51], v14, v15 src0_sel:BYTE_0 src1_sel:DWORD
	v_cmp_ge_u64_e32 vcc, v[8:9], v[2:3]
	s_or_b64 s[52:53], vcc, s[50:51]
	s_and_b64 s[52:53], exec, s[52:53]
	s_mul_i32 s84, s58, s33
	s_or_b64 s[4:5], s[52:53], s[4:5]
	v_mov_b32_e32 v32, s65
	v_add_co_u32_e32 v6, vcc, s84, v6
	s_andn2_b64 s[48:49], s[48:49], exec
	s_and_b64 s[50:51], s[50:51], exec
	v_addc_co_u32_e32 v7, vcc, v7, v32, vcc
	s_or_b64 s[48:49], s[48:49], s[50:51]
	s_barrier
	s_andn2_b64 exec, exec, s[4:5]
	s_cbranch_execz .LBB129_220
.LBB129_216:                            ;   Parent Loop BB129_31 Depth=1
                                        ; =>  This Inner Loop Header: Depth=2
	v_cmp_gt_u64_e32 vcc, s[60:61], v[8:9]
	v_mov_b32_e32 v14, 0
	s_and_saveexec_b64 s[50:51], vcc
	s_cbranch_execz .LBB129_218
; %bb.217:                              ;   in Loop: Header=BB129_216 Depth=2
	global_load_ubyte v14, v[6:7], off
.LBB129_218:                            ;   in Loop: Header=BB129_216 Depth=2
	s_or_b64 exec, exec, s[50:51]
	s_waitcnt vmcnt(0)
	v_and_b32_e32 v32, v14, v31
	v_cmp_eq_u32_sdwa s[50:51], v32, v30 src0_sel:BYTE_0 src1_sel:DWORD
	s_and_b64 s[52:53], vcc, s[50:51]
	s_and_saveexec_b64 s[50:51], s[52:53]
	s_cbranch_execz .LBB129_215
; %bb.219:                              ;   in Loop: Header=BB129_216 Depth=2
	v_lshlrev_b16_e32 v14, 8, v14
	v_or_b32_e32 v14, 1, v14
	ds_write_b16 v15, v14 offset:3072
	s_branch .LBB129_215
.LBB129_220:                            ;   in Loop: Header=BB129_31 Depth=1
	s_or_b64 exec, exec, s[4:5]
	v_lshrrev_b16_e32 v32, 8, v14
	s_and_b64 s[4:5], s[48:49], exec
.LBB129_221:                            ;   in Loop: Header=BB129_31 Depth=1
	s_or_b64 exec, exec, s[0:1]
	s_mov_b64 s[52:53], -1
	s_mov_b64 s[48:49], 0
	s_mov_b64 s[50:51], 0
.LBB129_222:                            ;   in Loop: Header=BB129_31 Depth=1
	s_orn2_b64 s[4:5], s[4:5], exec
.LBB129_223:                            ;   in Loop: Header=BB129_31 Depth=1
	s_or_b64 exec, exec, s[54:55]
	s_mov_b64 s[0:1], 0
                                        ; implicit-def: $vgpr6
	s_and_saveexec_b64 s[54:55], s[4:5]
	s_cbranch_execz .LBB129_286
; %bb.224:                              ;   in Loop: Header=BB129_31 Depth=1
	v_mov_b32_e32 v2, 1
	s_xor_b64 s[4:5], s[68:69], -1
	s_mov_b64 s[90:91], 0
	v_mov_b32_e32 v3, 0
	v_mov_b32_e32 v6, 1
	s_and_saveexec_b64 s[0:1], s[4:5]
	s_cbranch_execz .LBB129_234
; %bb.225:                              ;   in Loop: Header=BB129_31 Depth=1
	v_cmp_ge_u64_e32 vcc, s[22:23], v[4:5]
                                        ; implicit-def: $sgpr84
                                        ; implicit-def: $sgpr4_sgpr5
	s_and_saveexec_b64 s[68:69], vcc
	s_xor_b64 s[68:69], exec, s[68:69]
	s_cbranch_execz .LBB129_231
; %bb.226:                              ;   in Loop: Header=BB129_31 Depth=1
	ds_read_b64 v[2:3], v15 offset:5120
	s_waitcnt lgkmcnt(0)
	v_cmp_ne_u64_e32 vcc, 0, v[2:3]
	s_cbranch_vccnz .LBB129_230
; %bb.227:                              ;   in Loop: Header=BB129_31 Depth=1
	s_mov_b64 s[4:5], exec
	v_readlane_b32 s84, v53, 10
	v_readlane_b32 s85, v53, 11
	s_and_b64 s[84:85], s[4:5], s[84:85]
	s_mov_b64 exec, s[84:85]
	s_cbranch_execz .LBB129_229
; %bb.228:                              ;   in Loop: Header=BB129_31 Depth=1
	v_pk_mov_b32 v[2:3], s[22:23], s[22:23] op_sel:[0,1]
	ds_write_b64 v15, v[2:3] offset:5128
.LBB129_229:                            ;   in Loop: Header=BB129_31 Depth=1
	s_or_b64 exec, exec, s[4:5]
	s_waitcnt lgkmcnt(0)
	s_barrier
.LBB129_230:                            ;   in Loop: Header=BB129_31 Depth=1
	v_readlane_b32 s4, v53, 55
	v_and_b32_e32 v2, s4, v30
	v_lshl_or_b32 v30, 2, s31, v2
	v_or_b32_e32 v31, s80, v31
	s_mov_b64 s[4:5], 0
	s_mov_b32 s84, 8
.LBB129_231:                            ;   in Loop: Header=BB129_31 Depth=1
	s_or_saveexec_b64 s[68:69], s[68:69]
	v_mov_b32_e32 v6, s84
	s_xor_b64 exec, exec, s[68:69]
; %bb.232:                              ;   in Loop: Header=BB129_31 Depth=1
	v_mov_b32_e32 v2, s23
	v_subrev_co_u32_e32 v4, vcc, s22, v4
	v_subb_co_u32_e32 v5, vcc, v5, v2, vcc
	v_mov_b32_e32 v6, 0
	s_or_b64 s[4:5], s[4:5], exec
; %bb.233:                              ;   in Loop: Header=BB129_31 Depth=1
	s_or_b64 exec, exec, s[68:69]
	s_and_b64 s[90:91], s[4:5], exec
	v_pk_mov_b32 v[2:3], v[4:5], v[4:5] op_sel:[0,1]
.LBB129_234:                            ;   in Loop: Header=BB129_31 Depth=1
	s_or_b64 exec, exec, s[0:1]
	s_mov_b64 s[86:87], -1
                                        ; implicit-def: $sgpr0_sgpr1
                                        ; implicit-def: $sgpr84_sgpr85
                                        ; implicit-def: $sgpr4_sgpr5
	s_and_saveexec_b64 s[68:69], s[90:91]
	s_cbranch_execz .LBB129_285
; %bb.235:                              ;   in Loop: Header=BB129_31 Depth=1
	s_cmp_eq_u64 s[24:25], 1
	s_cselect_b64 s[0:1], -1, 0
	v_cmp_eq_u64_e32 vcc, 1, v[2:3]
	s_and_b64 vcc, s[0:1], vcc
	s_mov_b64 s[90:91], -1
                                        ; implicit-def: $sgpr0_sgpr1
                                        ; implicit-def: $sgpr84_sgpr85
                                        ; implicit-def: $sgpr4_sgpr5
	s_mov_b64 s[86:87], exec
	v_writelane_b32 v53, s86, 56
	v_writelane_b32 v53, s87, 57
	s_and_b64 s[86:87], s[86:87], vcc
	s_mov_b64 exec, s[86:87]
	s_cbranch_execz .LBB129_272
; %bb.236:                              ;   in Loop: Header=BB129_31 Depth=1
	ds_read_b64 v[4:5], v15 offset:5120
	s_waitcnt lgkmcnt(0)
	s_barrier
	v_readfirstlane_b32 s0, v4
	v_readfirstlane_b32 s1, v5
	s_mov_b64 s[4:5], exec
	v_readlane_b32 s84, v53, 26
	v_readlane_b32 s85, v53, 27
	s_and_b64 s[84:85], s[4:5], s[84:85]
	s_mov_b64 exec, s[84:85]
	s_cbranch_execz .LBB129_238
; %bb.237:                              ;   in Loop: Header=BB129_31 Depth=1
	ds_write_b8 v0, v15 offset:3072
.LBB129_238:                            ;   in Loop: Header=BB129_31 Depth=1
	s_or_b64 exec, exec, s[4:5]
	v_or_b32_e32 v30, s80, v30
	v_or_b32_e32 v31, s80, v31
	s_cmp_eq_u64 s[0:1], 0
	v_writelane_b32 v53, vcc_lo, 58
	s_waitcnt lgkmcnt(0)
	s_barrier
	v_writelane_b32 v53, vcc_hi, 59
	s_cbranch_scc1 .LBB129_243
; %bb.239:                              ;   in Loop: Header=BB129_31 Depth=1
	v_readlane_b32 s4, v53, 30
	s_add_u32 s86, s4, s0
	v_readlane_b32 s4, v53, 32
	s_addc_u32 s5, s4, s1
	s_mov_b32 s4, s81
	s_cmp_lg_u64 s[4:5], 0
	s_cbranch_scc0 .LBB129_244
; %bb.240:                              ;   in Loop: Header=BB129_31 Depth=1
	v_cvt_f32_u32_e32 v4, s33
	s_sub_u32 s4, 0, s33
	s_subb_u32 s84, 0, 0
	v_mac_f32_e32 v4, 0, v40
	v_rcp_f32_e32 v4, v4
	v_mul_f32_e32 v4, 0x5f7ffffc, v4
	v_mul_f32_e32 v5, 0x2f800000, v4
	v_trunc_f32_e32 v5, v5
	v_mac_f32_e32 v4, 0xcf800000, v5
	v_cvt_u32_f32_e32 v5, v5
	v_cvt_u32_f32_e32 v4, v4
	v_readfirstlane_b32 s85, v5
	v_readfirstlane_b32 s87, v4
	s_mul_i32 s90, s4, s85
	s_mul_hi_u32 s92, s4, s87
	s_mul_i32 s91, s84, s87
	s_add_i32 s90, s92, s90
	s_mul_i32 s93, s4, s87
	s_add_i32 s90, s90, s91
	s_mul_hi_u32 s92, s87, s93
	s_mul_hi_u32 s91, s87, s90
	s_mul_i32 s87, s87, s90
	s_add_u32 s87, s92, s87
	s_addc_u32 s91, 0, s91
	s_mul_hi_u32 vcc_lo, s85, s93
	s_mul_i32 s93, s85, s93
	s_add_u32 s87, s87, s93
	s_mul_hi_u32 s92, s85, s90
	s_addc_u32 s87, s91, vcc_lo
	s_addc_u32 s91, s92, 0
	s_mul_i32 s90, s85, s90
	s_add_u32 s87, s87, s90
	s_addc_u32 s90, 0, s91
	v_add_co_u32_e32 v4, vcc, s87, v4
	s_cmp_lg_u64 vcc, 0
	s_addc_u32 s85, s85, s90
	v_readfirstlane_b32 s90, v4
	s_mul_i32 s87, s4, s85
	s_mul_hi_u32 s91, s4, s90
	s_add_i32 s87, s91, s87
	s_mul_i32 s84, s84, s90
	s_add_i32 s87, s87, s84
	s_mul_i32 s4, s4, s90
	s_mul_hi_u32 s91, s85, s4
	s_mul_i32 s92, s85, s4
	s_mul_i32 vcc_lo, s90, s87
	s_mul_hi_u32 s4, s90, s4
	s_mul_hi_u32 s93, s90, s87
	s_add_u32 s4, s4, vcc_lo
	s_addc_u32 s90, 0, s93
	s_add_u32 s4, s4, s92
	s_mul_hi_u32 s84, s85, s87
	s_addc_u32 s4, s90, s91
	s_addc_u32 s84, s84, 0
	s_mul_i32 s87, s85, s87
	s_add_u32 s4, s4, s87
	s_addc_u32 s84, 0, s84
	v_add_co_u32_e32 v4, vcc, s4, v4
	s_cmp_lg_u64 vcc, 0
	s_addc_u32 s4, s85, s84
	v_readfirstlane_b32 s87, v4
	s_mul_i32 s85, s86, s4
	s_mul_hi_u32 s90, s86, s87
	s_mul_hi_u32 s84, s86, s4
	s_add_u32 s85, s90, s85
	s_addc_u32 s84, 0, s84
	s_mul_hi_u32 s91, s5, s87
	s_mul_i32 s87, s5, s87
	s_add_u32 s85, s85, s87
	s_mul_hi_u32 s90, s5, s4
	s_addc_u32 s84, s84, s91
	s_addc_u32 s85, s90, 0
	s_mul_i32 s4, s5, s4
	s_add_u32 s4, s84, s4
	s_addc_u32 s84, 0, s85
	s_mul_hi_u32 s85, s33, s4
	s_mul_i32 s4, s33, s4
	s_mul_i32 s84, s33, s84
	v_mov_b32_e32 v4, s4
	s_add_i32 s85, s85, s84
	v_sub_co_u32_e32 v4, vcc, s86, v4
	s_cmp_lg_u64 vcc, 0
	s_subb_u32 s4, s5, s85
	v_subrev_co_u32_e32 v5, vcc, s33, v4
	s_cmp_lg_u64 vcc, 0
	s_subb_u32 s84, s4, 0
	v_subrev_co_u32_e32 v6, vcc, s33, v5
	s_cmp_lg_u64 vcc, 0
	s_subb_u32 s85, s84, 0
	v_cmp_le_u32_e32 vcc, s33, v5
	s_cmp_eq_u32 s84, 0
	v_cndmask_b32_e64 v7, 0, -1, vcc
	s_cselect_b64 vcc, -1, 0
	v_cndmask_b32_e32 v7, -1, v7, vcc
	v_mov_b32_e32 v8, s84
	v_mov_b32_e32 v9, s85
	v_cmp_ne_u32_e32 vcc, 0, v7
	v_cndmask_b32_e32 v7, v8, v9, vcc
	v_cndmask_b32_e32 v6, v5, v6, vcc
	v_cmp_le_u32_e32 vcc, s33, v4
	s_cmp_eq_u32 s4, 0
	v_cndmask_b32_e64 v5, 0, -1, vcc
	s_cselect_b64 vcc, -1, 0
	v_cndmask_b32_e32 v5, -1, v5, vcc
	v_mov_b32_e32 v8, s4
	v_cmp_ne_u32_e32 vcc, 0, v5
	v_cndmask_b32_e32 v5, v8, v7, vcc
	v_cndmask_b32_e32 v4, v4, v6, vcc
	s_mov_b64 s[84:85], 0
	s_branch .LBB129_245
.LBB129_241:                            ;   in Loop: Header=BB129_31 Depth=1
                                        ; implicit-def: $vgpr2_vgpr3
	s_branch .LBB129_197
.LBB129_242:                            ;   in Loop: Header=BB129_31 Depth=1
                                        ; implicit-def: $vgpr2_vgpr3
	s_branch .LBB129_212
.LBB129_243:                            ;   in Loop: Header=BB129_31 Depth=1
	s_mov_b64 s[0:1], -1
	s_mov_b64 s[86:87], 0
                                        ; implicit-def: $sgpr4_sgpr5
                                        ; implicit-def: $vgpr32
	s_branch .LBB129_256
.LBB129_244:                            ;   in Loop: Header=BB129_31 Depth=1
	s_mov_b64 s[84:85], -1
                                        ; implicit-def: $vgpr4_vgpr5
.LBB129_245:                            ;   in Loop: Header=BB129_31 Depth=1
	s_andn2_b64 vcc, exec, s[84:85]
	s_cbranch_vccnz .LBB129_247
; %bb.246:                              ;   in Loop: Header=BB129_31 Depth=1
	v_cvt_f32_u32_e32 v4, s33
	s_sub_i32 s4, 0, s33
	v_rcp_iflag_f32_e32 v4, v4
	v_mul_f32_e32 v4, 0x4f7ffffe, v4
	v_cvt_u32_f32_e32 v4, v4
	v_mul_lo_u32 v5, s4, v4
	v_mul_hi_u32 v5, v4, v5
	v_add_u32_e32 v4, v4, v5
	v_mul_hi_u32 v4, s86, v4
	v_mul_lo_u32 v4, v4, s33
	v_sub_u32_e32 v4, s86, v4
	v_subrev_u32_e32 v5, s33, v4
	v_cmp_le_u32_e32 vcc, s33, v4
	v_cndmask_b32_e32 v4, v4, v5, vcc
	v_subrev_u32_e32 v5, s33, v4
	v_cmp_le_u32_e32 vcc, s33, v4
	v_cndmask_b32_e32 v14, v4, v5, vcc
	v_pk_mov_b32 v[4:5], v[14:15], v[14:15] op_sel:[0,1]
.LBB129_247:                            ;   in Loop: Header=BB129_31 Depth=1
	v_mov_b32_e32 v6, s5
	v_sub_co_u32_e32 v4, vcc, s86, v4
	v_subb_co_u32_e32 v5, vcc, v6, v5, vcc
	v_cmp_gt_u64_e32 vcc, v[4:5], v[0:1]
	s_mov_b64 s[86:87], 0
                                        ; implicit-def: $vgpr32
	s_and_saveexec_b64 s[4:5], vcc
	s_cbranch_execz .LBB129_255
; %bb.248:                              ;   in Loop: Header=BB129_31 Depth=1
	s_mov_b64 s[84:85], 0
	v_mov_b32_e32 v8, v0
	v_pk_mov_b32 v[6:7], v[0:1], v[0:1] op_sel:[0,1]
                                        ; implicit-def: $sgpr86_sgpr87
	s_branch .LBB129_250
.LBB129_249:                            ;   in Loop: Header=BB129_250 Depth=2
	s_or_b64 exec, exec, s[90:91]
	s_waitcnt lgkmcnt(0)
	s_barrier
	ds_read_u16 v9, v15 offset:3072
	v_mov_b32_e32 v14, s64
	v_add_co_u32_e32 v6, vcc, s33, v6
	v_addc_co_u32_e32 v7, vcc, v7, v14, vcc
	s_waitcnt lgkmcnt(0)
	v_cmp_ne_u16_sdwa s[90:91], v9, v15 src0_sel:BYTE_0 src1_sel:DWORD
	v_cmp_ge_u64_e32 vcc, v[6:7], v[4:5]
	s_or_b64 s[92:93], vcc, s[90:91]
	s_and_b64 s[92:93], exec, s[92:93]
	s_or_b64 s[84:85], s[92:93], s[84:85]
	s_andn2_b64 s[86:87], s[86:87], exec
	s_and_b64 s[90:91], s[90:91], exec
	v_add_u32_e32 v8, s33, v8
	s_or_b64 s[86:87], s[86:87], s[90:91]
	s_barrier
	s_andn2_b64 exec, exec, s[84:85]
	s_cbranch_execz .LBB129_254
.LBB129_250:                            ;   Parent Loop BB129_31 Depth=1
                                        ; =>  This Inner Loop Header: Depth=2
	v_cmp_gt_u64_e32 vcc, s[0:1], v[6:7]
	v_mov_b32_e32 v9, 0
	s_and_saveexec_b64 s[90:91], vcc
	s_cbranch_execz .LBB129_252
; %bb.251:                              ;   in Loop: Header=BB129_250 Depth=2
	ds_read_u8 v9, v8
.LBB129_252:                            ;   in Loop: Header=BB129_250 Depth=2
	s_or_b64 exec, exec, s[90:91]
	s_waitcnt lgkmcnt(0)
	v_and_b32_e32 v14, v9, v31
	v_cmp_eq_u32_sdwa s[90:91], v14, v30 src0_sel:BYTE_0 src1_sel:DWORD
	s_and_b64 s[92:93], vcc, s[90:91]
	s_and_saveexec_b64 s[90:91], s[92:93]
	s_cbranch_execz .LBB129_249
; %bb.253:                              ;   in Loop: Header=BB129_250 Depth=2
	v_lshlrev_b16_e32 v9, 8, v9
	v_or_b32_e32 v9, 1, v9
	ds_write_b16 v15, v9 offset:3072
	s_branch .LBB129_249
.LBB129_254:                            ;   in Loop: Header=BB129_31 Depth=1
	s_or_b64 exec, exec, s[84:85]
	v_lshrrev_b16_e32 v32, 8, v9
	s_and_b64 s[86:87], s[86:87], exec
.LBB129_255:                            ;   in Loop: Header=BB129_31 Depth=1
	s_or_b64 exec, exec, s[4:5]
	s_mov_b64 s[4:5], -1
	s_mov_b64 s[0:1], 0
.LBB129_256:                            ;   in Loop: Header=BB129_31 Depth=1
	s_and_b64 vcc, exec, s[0:1]
	s_mov_b64 s[84:85], s[0:1]
	s_cbranch_vccz .LBB129_271
; %bb.257:                              ;   in Loop: Header=BB129_31 Depth=1
	v_readlane_b32 s90, v53, 33
	v_readlane_b32 s91, v53, 34
	s_mov_b32 s90, s81
	s_cmp_lg_u64 s[90:91], 0
	v_writelane_b32 v53, s90, 33
	v_writelane_b32 v53, s91, 34
	s_cbranch_scc0 .LBB129_259
; %bb.258:                              ;   in Loop: Header=BB129_31 Depth=1
	v_cvt_f32_u32_e32 v4, s33
	s_sub_u32 s0, 0, s33
	s_subb_u32 s1, 0, 0
	v_mac_f32_e32 v4, 0, v40
	v_rcp_f32_e32 v4, v4
	v_mul_f32_e32 v4, 0x5f7ffffc, v4
	v_mul_f32_e32 v5, 0x2f800000, v4
	v_trunc_f32_e32 v5, v5
	v_mac_f32_e32 v4, 0xcf800000, v5
	v_cvt_u32_f32_e32 v5, v5
	v_cvt_u32_f32_e32 v4, v4
	v_readfirstlane_b32 s4, v5
	v_readfirstlane_b32 s5, v4
	s_mul_i32 s84, s0, s4
	s_mul_hi_u32 s86, s0, s5
	s_mul_i32 s85, s1, s5
	s_add_i32 s84, s86, s84
	s_mul_i32 s87, s0, s5
	s_add_i32 s84, s84, s85
	s_mul_hi_u32 s86, s5, s87
	s_mul_hi_u32 s85, s5, s84
	s_mul_i32 s5, s5, s84
	s_add_u32 s5, s86, s5
	s_addc_u32 s85, 0, s85
	s_mul_hi_u32 s90, s4, s87
	s_mul_i32 s87, s4, s87
	s_add_u32 s5, s5, s87
	s_mul_hi_u32 s86, s4, s84
	s_addc_u32 s5, s85, s90
	s_addc_u32 s85, s86, 0
	s_mul_i32 s84, s4, s84
	s_add_u32 s5, s5, s84
	s_addc_u32 s84, 0, s85
	v_add_co_u32_e32 v4, vcc, s5, v4
	s_cmp_lg_u64 vcc, 0
	s_addc_u32 s4, s4, s84
	v_readfirstlane_b32 s84, v4
	s_mul_i32 s5, s0, s4
	s_mul_hi_u32 s85, s0, s84
	s_add_i32 s5, s85, s5
	s_mul_i32 s1, s1, s84
	s_add_i32 s5, s5, s1
	s_mul_i32 s0, s0, s84
	s_mul_hi_u32 s85, s4, s0
	s_mul_i32 s86, s4, s0
	s_mul_i32 s90, s84, s5
	s_mul_hi_u32 s0, s84, s0
	s_mul_hi_u32 s87, s84, s5
	s_add_u32 s0, s0, s90
	s_addc_u32 s84, 0, s87
	s_add_u32 s0, s0, s86
	s_mul_hi_u32 s1, s4, s5
	s_addc_u32 s0, s84, s85
	s_addc_u32 s1, s1, 0
	s_mul_i32 s5, s4, s5
	s_add_u32 s0, s0, s5
	s_addc_u32 s1, 0, s1
	v_add_co_u32_e32 v4, vcc, s0, v4
	s_cmp_lg_u64 vcc, 0
	s_addc_u32 s0, s4, s1
	v_readlane_b32 s86, v53, 31
	v_readfirstlane_b32 s5, v4
	s_mul_i32 s4, s86, s0
	s_mul_hi_u32 s84, s86, s5
	s_mul_hi_u32 s1, s86, s0
	s_add_u32 s4, s84, s4
	s_addc_u32 s1, 0, s1
	s_mul_hi_u32 s85, s91, s5
	s_mul_i32 s5, s91, s5
	s_add_u32 s4, s4, s5
	s_mul_hi_u32 s84, s91, s0
	s_addc_u32 s1, s1, s85
	s_addc_u32 s4, s84, 0
	s_mul_i32 s0, s91, s0
	s_add_u32 s0, s1, s0
	s_addc_u32 s1, 0, s4
	s_mul_hi_u32 s4, s33, s0
	s_mul_i32 s0, s33, s0
	s_mul_i32 s1, s33, s1
	v_mov_b32_e32 v4, s0
	s_add_i32 s4, s4, s1
	v_sub_co_u32_e32 v4, vcc, s86, v4
	s_cmp_lg_u64 vcc, 0
	s_subb_u32 s0, s91, s4
	v_subrev_co_u32_e32 v5, vcc, s33, v4
	s_cmp_lg_u64 vcc, 0
	s_subb_u32 s1, s0, 0
	v_subrev_co_u32_e32 v6, vcc, s33, v5
	s_cmp_lg_u64 vcc, 0
	s_subb_u32 s4, s1, 0
	v_cmp_le_u32_e32 vcc, s33, v5
	s_cmp_eq_u32 s1, 0
	v_cndmask_b32_e64 v7, 0, -1, vcc
	s_cselect_b64 vcc, -1, 0
	v_cndmask_b32_e32 v7, -1, v7, vcc
	v_mov_b32_e32 v8, s1
	v_mov_b32_e32 v9, s4
	v_cmp_ne_u32_e32 vcc, 0, v7
	v_cndmask_b32_e32 v7, v8, v9, vcc
	v_cndmask_b32_e32 v6, v5, v6, vcc
	v_cmp_le_u32_e32 vcc, s33, v4
	s_cmp_eq_u32 s0, 0
	v_cndmask_b32_e64 v5, 0, -1, vcc
	s_cselect_b64 vcc, -1, 0
	v_cndmask_b32_e32 v5, -1, v5, vcc
	v_mov_b32_e32 v8, s0
	v_cmp_ne_u32_e32 vcc, 0, v5
	v_cndmask_b32_e32 v5, v8, v7, vcc
	v_cndmask_b32_e32 v4, v4, v6, vcc
	s_mov_b64 s[0:1], 0
	s_branch .LBB129_260
.LBB129_259:                            ;   in Loop: Header=BB129_31 Depth=1
	s_mov_b64 s[0:1], -1
                                        ; implicit-def: $vgpr4_vgpr5
.LBB129_260:                            ;   in Loop: Header=BB129_31 Depth=1
	s_andn2_b64 vcc, exec, s[0:1]
	s_cbranch_vccnz .LBB129_262
; %bb.261:                              ;   in Loop: Header=BB129_31 Depth=1
	v_cvt_f32_u32_e32 v4, s33
	s_sub_i32 s0, 0, s33
	v_rcp_iflag_f32_e32 v4, v4
	v_mul_f32_e32 v4, 0x4f7ffffe, v4
	v_cvt_u32_f32_e32 v4, v4
	v_mul_lo_u32 v5, s0, v4
	v_mul_hi_u32 v5, v4, v5
	v_add_u32_e32 v4, v4, v5
	v_readlane_b32 s0, v53, 31
	v_mul_hi_u32 v4, s0, v4
	v_mul_lo_u32 v4, v4, s33
	v_sub_u32_e32 v4, s0, v4
	v_subrev_u32_e32 v5, s33, v4
	v_cmp_le_u32_e32 vcc, s33, v4
	v_cndmask_b32_e32 v4, v4, v5, vcc
	v_subrev_u32_e32 v5, s33, v4
	v_cmp_le_u32_e32 vcc, s33, v4
	v_cndmask_b32_e32 v14, v4, v5, vcc
	v_pk_mov_b32 v[4:5], v[14:15], v[14:15] op_sel:[0,1]
.LBB129_262:                            ;   in Loop: Header=BB129_31 Depth=1
	v_readlane_b32 s0, v53, 33
	v_readlane_b32 s1, v53, 34
	;; [unrolled: 1-line block ×3, first 2 shown]
	v_mov_b32_e32 v6, s1
	v_sub_co_u32_e32 v4, vcc, s0, v4
	v_subb_co_u32_e32 v5, vcc, v6, v5, vcc
	v_cmp_gt_u64_e32 vcc, v[4:5], v[0:1]
	s_mov_b64 s[86:87], 0
                                        ; implicit-def: $vgpr32
	s_and_saveexec_b64 s[0:1], vcc
	s_cbranch_execz .LBB129_270
; %bb.263:                              ;   in Loop: Header=BB129_31 Depth=1
	s_mov_b64 s[4:5], 0
	v_pk_mov_b32 v[6:7], v[26:27], v[26:27] op_sel:[0,1]
	v_pk_mov_b32 v[8:9], v[0:1], v[0:1] op_sel:[0,1]
                                        ; implicit-def: $sgpr84_sgpr85
	s_branch .LBB129_265
.LBB129_264:                            ;   in Loop: Header=BB129_265 Depth=2
	s_or_b64 exec, exec, s[86:87]
	s_waitcnt lgkmcnt(0)
	s_barrier
	ds_read_u16 v14, v15 offset:3072
	v_mov_b32_e32 v32, s64
	v_add_co_u32_e32 v8, vcc, s33, v8
	v_addc_co_u32_e32 v9, vcc, v9, v32, vcc
	s_waitcnt lgkmcnt(0)
	v_cmp_ne_u16_sdwa s[86:87], v14, v15 src0_sel:BYTE_0 src1_sel:DWORD
	v_cmp_ge_u64_e32 vcc, v[8:9], v[4:5]
	s_or_b64 s[90:91], vcc, s[86:87]
	s_and_b64 s[90:91], exec, s[90:91]
	s_mul_i32 s92, s58, s33
	s_or_b64 s[4:5], s[90:91], s[4:5]
	v_mov_b32_e32 v32, s65
	v_add_co_u32_e32 v6, vcc, s92, v6
	s_andn2_b64 s[84:85], s[84:85], exec
	s_and_b64 s[86:87], s[86:87], exec
	v_addc_co_u32_e32 v7, vcc, v7, v32, vcc
	s_or_b64 s[84:85], s[84:85], s[86:87]
	s_barrier
	s_andn2_b64 exec, exec, s[4:5]
	s_cbranch_execz .LBB129_269
.LBB129_265:                            ;   Parent Loop BB129_31 Depth=1
                                        ; =>  This Inner Loop Header: Depth=2
	v_cmp_gt_u64_e32 vcc, s[60:61], v[8:9]
	v_mov_b32_e32 v14, 0
	s_and_saveexec_b64 s[86:87], vcc
	s_cbranch_execz .LBB129_267
; %bb.266:                              ;   in Loop: Header=BB129_265 Depth=2
	global_load_ubyte v14, v[6:7], off
.LBB129_267:                            ;   in Loop: Header=BB129_265 Depth=2
	s_or_b64 exec, exec, s[86:87]
	s_waitcnt vmcnt(0)
	v_and_b32_e32 v32, v14, v31
	v_cmp_eq_u32_sdwa s[86:87], v32, v30 src0_sel:BYTE_0 src1_sel:DWORD
	s_and_b64 s[90:91], vcc, s[86:87]
	s_and_saveexec_b64 s[86:87], s[90:91]
	s_cbranch_execz .LBB129_264
; %bb.268:                              ;   in Loop: Header=BB129_265 Depth=2
	v_lshlrev_b16_e32 v14, 8, v14
	v_or_b32_e32 v14, 1, v14
	ds_write_b16 v15, v14 offset:3072
	s_branch .LBB129_264
.LBB129_269:                            ;   in Loop: Header=BB129_31 Depth=1
	s_or_b64 exec, exec, s[4:5]
	v_lshrrev_b16_e32 v32, 8, v14
	s_and_b64 s[86:87], s[84:85], exec
.LBB129_270:                            ;   in Loop: Header=BB129_31 Depth=1
	s_or_b64 exec, exec, s[0:1]
	s_mov_b64 s[84:85], -1
	s_mov_b64 s[0:1], 0
	s_mov_b64 s[4:5], 0
.LBB129_271:                            ;   in Loop: Header=BB129_31 Depth=1
	v_readlane_b32 vcc_lo, v53, 58
	s_orn2_b64 s[90:91], s[86:87], exec
	v_readlane_b32 vcc_hi, v53, 59
.LBB129_272:                            ;   in Loop: Header=BB129_31 Depth=1
	v_readlane_b32 s86, v53, 56
	v_readlane_b32 s87, v53, 57
	s_or_b64 exec, exec, s[86:87]
	s_mov_b64 s[92:93], 0
                                        ; implicit-def: $vgpr6
                                        ; implicit-def: $vgpr4_vgpr5
	s_and_saveexec_b64 s[86:87], s[90:91]
	s_cbranch_execz .LBB129_284
; %bb.273:                              ;   in Loop: Header=BB129_31 Depth=1
	v_mov_b32_e32 v4, 1
	s_xor_b64 s[92:93], vcc, -1
	v_mov_b32_e32 v6, 1
	v_mov_b32_e32 v5, 0
	s_and_saveexec_b64 s[90:91], s[92:93]
	s_cbranch_execz .LBB129_283
; %bb.274:                              ;   in Loop: Header=BB129_31 Depth=1
	v_cmp_ge_u64_e32 vcc, s[24:25], v[2:3]
                                        ; implicit-def: $sgpr92
                                        ; kill: killed $sgpr92
	s_and_saveexec_b64 s[92:93], vcc
	s_xor_b64 s[92:93], exec, s[92:93]
                                        ; implicit-def: $vgpr52 : SGPR spill to VGPR lane
	s_cbranch_execz .LBB129_280
; %bb.275:                              ;   in Loop: Header=BB129_31 Depth=1
	ds_read_b64 v[4:5], v15 offset:5120
	s_waitcnt lgkmcnt(0)
	v_cmp_ne_u64_e32 vcc, 0, v[4:5]
	s_cbranch_vccnz .LBB129_279
; %bb.276:                              ;   in Loop: Header=BB129_31 Depth=1
	v_writelane_b32 v53, s68, 60
	v_writelane_b32 v53, s69, 61
	s_mov_b64 s[68:69], exec
	v_writelane_b32 v53, s68, 62
	v_writelane_b32 v53, s69, 63
	v_readlane_b32 vcc_lo, v53, 10
	v_readlane_b32 s68, v53, 62
	v_readlane_b32 vcc_hi, v53, 11
	v_readlane_b32 s69, v53, 63
	s_and_b64 vcc, s[68:69], vcc
	s_mov_b64 exec, vcc
	s_cbranch_execz .LBB129_278
; %bb.277:                              ;   in Loop: Header=BB129_31 Depth=1
	v_pk_mov_b32 v[4:5], s[24:25], s[24:25] op_sel:[0,1]
	ds_write_b64 v15, v[4:5] offset:5128
.LBB129_278:                            ;   in Loop: Header=BB129_31 Depth=1
	v_readlane_b32 vcc_lo, v53, 62
	v_readlane_b32 vcc_hi, v53, 63
	s_or_b64 exec, exec, vcc
	v_readlane_b32 s68, v53, 60
	v_readlane_b32 s69, v53, 61
	s_waitcnt lgkmcnt(0)
	s_barrier
.LBB129_279:                            ;   in Loop: Header=BB129_31 Depth=1
	v_or_b32_e32 v30, s80, v30
	v_or_b32_e32 v31, s80, v31
	s_mov_b32 vcc_lo, 8
	v_writelane_b32 v52, vcc_lo, 0
.LBB129_280:                            ;   in Loop: Header=BB129_31 Depth=1
	s_or_saveexec_b64 s[92:93], s[92:93]
	v_readlane_b32 vcc_lo, v52, 0
	v_mov_b32_e32 v6, vcc_lo
	s_xor_b64 exec, exec, s[92:93]
; %bb.281:                              ;   in Loop: Header=BB129_31 Depth=1
	v_mov_b32_e32 v4, s25
	v_subrev_co_u32_e32 v2, vcc, s24, v2
	v_subb_co_u32_e32 v3, vcc, v3, v4, vcc
	v_mov_b32_e32 v6, 8
; %bb.282:                              ;   in Loop: Header=BB129_31 Depth=1
	s_or_b64 exec, exec, s[92:93]
	v_pk_mov_b32 v[4:5], v[2:3], v[2:3] op_sel:[0,1]
.LBB129_283:                            ;   in Loop: Header=BB129_31 Depth=1
	s_or_b64 exec, exec, s[90:91]
	s_mov_b64 s[92:93], exec
.LBB129_284:                            ;   in Loop: Header=BB129_31 Depth=1
	s_or_b64 exec, exec, s[86:87]
	s_orn2_b64 s[86:87], s[92:93], exec
	v_pk_mov_b32 v[2:3], v[4:5], v[4:5] op_sel:[0,1]
.LBB129_285:                            ;   in Loop: Header=BB129_31 Depth=1
	s_or_b64 exec, exec, s[68:69]
	s_andn2_b64 s[48:49], s[48:49], exec
	s_and_b64 s[0:1], s[0:1], exec
	s_or_b64 s[48:49], s[48:49], s[0:1]
	s_andn2_b64 s[0:1], s[52:53], exec
	s_and_b64 s[52:53], s[84:85], exec
	s_or_b64 s[52:53], s[0:1], s[52:53]
	;; [unrolled: 3-line block ×3, first 2 shown]
	s_and_b64 s[0:1], s[86:87], exec
	v_pk_mov_b32 v[4:5], v[2:3], v[2:3] op_sel:[0,1]
.LBB129_286:                            ;   in Loop: Header=BB129_31 Depth=1
	s_or_b64 exec, exec, s[54:55]
	s_and_b64 s[54:55], s[48:49], exec
	s_and_b64 s[48:49], s[52:53], exec
	;; [unrolled: 1-line block ×3, first 2 shown]
	s_orn2_b64 s[0:1], s[0:1], exec
.LBB129_287:                            ;   in Loop: Header=BB129_31 Depth=1
	s_or_b64 exec, exec, s[46:47]
	s_andn2_b64 s[26:27], s[26:27], exec
	s_and_b64 s[46:47], s[54:55], exec
	s_or_b64 s[26:27], s[26:27], s[46:47]
	s_andn2_b64 s[42:43], s[42:43], exec
	s_and_b64 s[46:47], s[48:49], exec
	s_andn2_b64 s[28:29], s[28:29], exec
	s_and_b64 s[4:5], s[4:5], exec
	s_or_b64 s[42:43], s[42:43], s[46:47]
	s_or_b64 s[28:29], s[28:29], s[4:5]
	s_and_b64 s[48:49], s[0:1], exec
	v_pk_mov_b32 v[2:3], v[4:5], v[4:5] op_sel:[0,1]
.LBB129_288:                            ;   in Loop: Header=BB129_31 Depth=1
	s_or_b64 exec, exec, s[44:45]
	s_and_b64 s[26:27], s[26:27], exec
	s_and_b64 s[4:5], s[42:43], exec
	;; [unrolled: 1-line block ×3, first 2 shown]
	s_orn2_b64 s[42:43], s[48:49], exec
.LBB129_289:                            ;   in Loop: Header=BB129_31 Depth=1
	s_or_b64 exec, exec, s[6:7]
	s_mov_b64 s[6:7], 0
	s_mov_b64 s[28:29], 0
	s_and_saveexec_b64 s[44:45], s[42:43]
	s_xor_b64 s[42:43], exec, s[44:45]
; %bb.290:                              ;   in Loop: Header=BB129_31 Depth=1
	v_cmp_eq_u32_e32 vcc, 8, v6
	v_cmp_ne_u32_e64 s[6:7], 8, v6
	s_andn2_b64 s[26:27], s[26:27], exec
	s_andn2_b64 s[4:5], s[4:5], exec
	;; [unrolled: 1-line block ×3, first 2 shown]
	s_and_b64 s[28:29], s[6:7], exec
	s_and_b64 s[6:7], vcc, exec
; %bb.291:                              ;   in Loop: Header=BB129_31 Depth=1
	s_or_b64 exec, exec, s[42:43]
	s_andn2_b64 s[20:21], s[20:21], exec
	s_and_b64 s[26:27], s[26:27], exec
	s_or_b64 s[20:21], s[20:21], s[26:27]
	s_andn2_b64 s[26:27], s[36:37], exec
	s_and_b64 s[4:5], s[4:5], exec
	s_or_b64 s[36:37], s[26:27], s[4:5]
	;; [unrolled: 3-line block ×3, first 2 shown]
	s_and_b64 s[26:27], s[28:29], exec
	s_and_b64 s[28:29], s[6:7], exec
.LBB129_292:                            ;   in Loop: Header=BB129_31 Depth=1
	s_or_b64 exec, exec, s[40:41]
	s_and_b64 vcc, exec, s[38:39]
	s_cbranch_vccz .LBB129_115
.LBB129_293:                            ;   in Loop: Header=BB129_31 Depth=1
	s_cmp_eq_u64 s[24:25], 1
	s_cselect_b64 s[0:1], -1, 0
	s_and_b64 s[6:7], s[0:1], s[14:15]
	s_mov_b64 s[0:1], -1
                                        ; implicit-def: $sgpr14_sgpr15
                                        ; implicit-def: $sgpr38_sgpr39
                                        ; implicit-def: $sgpr20_sgpr21
	s_and_saveexec_b64 s[34:35], s[6:7]
	s_cbranch_execz .LBB129_323
; %bb.294:                              ;   in Loop: Header=BB129_31 Depth=1
	ds_read_b64 v[2:3], v15 offset:5120
	s_waitcnt lgkmcnt(0)
	s_barrier
	v_readfirstlane_b32 s0, v2
	v_readfirstlane_b32 s1, v3
	s_mov_b64 s[4:5], exec
	v_readlane_b32 s14, v53, 26
	v_readlane_b32 s15, v53, 27
	s_and_b64 s[14:15], s[4:5], s[14:15]
	s_mov_b64 exec, s[14:15]
	s_cbranch_execz .LBB129_296
; %bb.295:                              ;   in Loop: Header=BB129_31 Depth=1
	ds_write_b8 v0, v15 offset:3072
.LBB129_296:                            ;   in Loop: Header=BB129_31 Depth=1
	s_or_b64 exec, exec, s[4:5]
	v_or_b32_e32 v42, s80, v42
	v_or_b32_e32 v41, s80, v41
	s_cmp_eq_u64 s[0:1], 0
	s_waitcnt lgkmcnt(0)
	s_barrier
	s_cbranch_scc1 .LBB129_307
; %bb.297:                              ;   in Loop: Header=BB129_31 Depth=1
	v_readlane_b32 s4, v53, 30
	s_add_u32 s20, s4, s0
	v_readlane_b32 s4, v53, 32
	s_addc_u32 s5, s4, s1
	s_mov_b32 s4, s81
	s_cmp_lg_u64 s[4:5], 0
	s_cbranch_scc0 .LBB129_349
; %bb.298:                              ;   in Loop: Header=BB129_31 Depth=1
	v_cvt_f32_u32_e32 v2, s33
	s_sub_u32 s4, 0, s33
	s_subb_u32 s14, 0, 0
	v_mac_f32_e32 v2, 0, v40
	v_rcp_f32_e32 v2, v2
	v_mul_f32_e32 v2, 0x5f7ffffc, v2
	v_mul_f32_e32 v3, 0x2f800000, v2
	v_trunc_f32_e32 v3, v3
	v_mac_f32_e32 v2, 0xcf800000, v3
	v_cvt_u32_f32_e32 v3, v3
	v_cvt_u32_f32_e32 v2, v2
	v_readfirstlane_b32 s15, v3
	v_readfirstlane_b32 s21, v2
	s_mul_i32 s36, s4, s15
	s_mul_hi_u32 s38, s4, s21
	s_mul_i32 s37, s14, s21
	s_add_i32 s36, s38, s36
	s_mul_i32 s39, s4, s21
	s_add_i32 s36, s36, s37
	s_mul_hi_u32 s38, s21, s39
	s_mul_hi_u32 s37, s21, s36
	s_mul_i32 s21, s21, s36
	s_add_u32 s21, s38, s21
	s_addc_u32 s37, 0, s37
	s_mul_hi_u32 s40, s15, s39
	s_mul_i32 s39, s15, s39
	s_add_u32 s21, s21, s39
	s_mul_hi_u32 s38, s15, s36
	s_addc_u32 s21, s37, s40
	s_addc_u32 s37, s38, 0
	s_mul_i32 s36, s15, s36
	s_add_u32 s21, s21, s36
	s_addc_u32 s36, 0, s37
	v_add_co_u32_e32 v2, vcc, s21, v2
	s_cmp_lg_u64 vcc, 0
	s_addc_u32 s15, s15, s36
	v_readfirstlane_b32 s36, v2
	s_mul_i32 s21, s4, s15
	s_mul_hi_u32 s37, s4, s36
	s_add_i32 s21, s37, s21
	s_mul_i32 s14, s14, s36
	s_add_i32 s21, s21, s14
	s_mul_i32 s4, s4, s36
	s_mul_hi_u32 s37, s15, s4
	s_mul_i32 s38, s15, s4
	s_mul_i32 s40, s36, s21
	s_mul_hi_u32 s4, s36, s4
	s_mul_hi_u32 s39, s36, s21
	s_add_u32 s4, s4, s40
	s_addc_u32 s36, 0, s39
	s_add_u32 s4, s4, s38
	s_mul_hi_u32 s14, s15, s21
	s_addc_u32 s4, s36, s37
	s_addc_u32 s14, s14, 0
	s_mul_i32 s21, s15, s21
	s_add_u32 s4, s4, s21
	s_addc_u32 s14, 0, s14
	v_add_co_u32_e32 v2, vcc, s4, v2
	s_cmp_lg_u64 vcc, 0
	s_addc_u32 s4, s15, s14
	v_readfirstlane_b32 s21, v2
	s_mul_i32 s15, s20, s4
	s_mul_hi_u32 s36, s20, s21
	s_mul_hi_u32 s14, s20, s4
	s_add_u32 s15, s36, s15
	s_addc_u32 s14, 0, s14
	s_mul_hi_u32 s37, s5, s21
	s_mul_i32 s21, s5, s21
	s_add_u32 s15, s15, s21
	s_mul_hi_u32 s36, s5, s4
	s_addc_u32 s14, s14, s37
	s_addc_u32 s15, s36, 0
	s_mul_i32 s4, s5, s4
	s_add_u32 s4, s14, s4
	s_addc_u32 s14, 0, s15
	s_mul_hi_u32 s15, s33, s4
	s_mul_i32 s4, s33, s4
	s_mul_i32 s14, s33, s14
	v_mov_b32_e32 v2, s4
	s_add_i32 s15, s15, s14
	v_sub_co_u32_e32 v2, vcc, s20, v2
	s_cmp_lg_u64 vcc, 0
	s_subb_u32 s4, s5, s15
	v_subrev_co_u32_e32 v3, vcc, s33, v2
	s_cmp_lg_u64 vcc, 0
	s_subb_u32 s14, s4, 0
	v_subrev_co_u32_e32 v4, vcc, s33, v3
	s_cmp_lg_u64 vcc, 0
	s_subb_u32 s15, s14, 0
	v_cmp_le_u32_e32 vcc, s33, v3
	s_cmp_eq_u32 s14, 0
	v_cndmask_b32_e64 v5, 0, -1, vcc
	s_cselect_b64 vcc, -1, 0
	v_cndmask_b32_e32 v5, -1, v5, vcc
	v_mov_b32_e32 v6, s14
	v_mov_b32_e32 v7, s15
	v_cmp_ne_u32_e32 vcc, 0, v5
	v_cndmask_b32_e32 v5, v6, v7, vcc
	v_cndmask_b32_e32 v4, v3, v4, vcc
	v_cmp_le_u32_e32 vcc, s33, v2
	s_cmp_eq_u32 s4, 0
	v_cndmask_b32_e64 v3, 0, -1, vcc
	s_cselect_b64 vcc, -1, 0
	v_cndmask_b32_e32 v3, -1, v3, vcc
	v_mov_b32_e32 v6, s4
	v_cmp_ne_u32_e32 vcc, 0, v3
	v_cndmask_b32_e32 v3, v6, v5, vcc
	v_cndmask_b32_e32 v2, v2, v4, vcc
	s_cbranch_execnz .LBB129_300
.LBB129_299:                            ;   in Loop: Header=BB129_31 Depth=1
	v_cvt_f32_u32_e32 v2, s33
	s_sub_i32 s4, 0, s33
	v_rcp_iflag_f32_e32 v2, v2
	v_mul_f32_e32 v2, 0x4f7ffffe, v2
	v_cvt_u32_f32_e32 v2, v2
	v_mul_lo_u32 v3, s4, v2
	v_mul_hi_u32 v3, v2, v3
	v_add_u32_e32 v2, v2, v3
	v_mul_hi_u32 v2, s20, v2
	v_mul_lo_u32 v2, v2, s33
	v_sub_u32_e32 v2, s20, v2
	v_subrev_u32_e32 v3, s33, v2
	v_cmp_le_u32_e32 vcc, s33, v2
	v_cndmask_b32_e32 v2, v2, v3, vcc
	v_subrev_u32_e32 v3, s33, v2
	v_cmp_le_u32_e32 vcc, s33, v2
	v_cndmask_b32_e32 v14, v2, v3, vcc
	v_pk_mov_b32 v[2:3], v[14:15], v[14:15] op_sel:[0,1]
.LBB129_300:                            ;   in Loop: Header=BB129_31 Depth=1
	v_mov_b32_e32 v4, s5
	v_sub_co_u32_e32 v2, vcc, s20, v2
	v_subb_co_u32_e32 v3, vcc, v4, v3, vcc
	v_cmp_gt_u64_e32 vcc, v[2:3], v[0:1]
	s_mov_b64 s[4:5], 0
                                        ; implicit-def: $vgpr43
	s_and_saveexec_b64 s[14:15], vcc
	s_cbranch_execz .LBB129_309
; %bb.301:                              ;   in Loop: Header=BB129_31 Depth=1
	v_mov_b32_e32 v6, v0
	v_pk_mov_b32 v[4:5], v[0:1], v[0:1] op_sel:[0,1]
                                        ; implicit-def: $sgpr20_sgpr21
	s_branch .LBB129_303
.LBB129_302:                            ;   in Loop: Header=BB129_303 Depth=2
	s_or_b64 exec, exec, s[36:37]
	s_waitcnt lgkmcnt(0)
	s_barrier
	ds_read_u16 v7, v15 offset:3072
	v_mov_b32_e32 v8, s64
	v_add_co_u32_e32 v4, vcc, s33, v4
	v_addc_co_u32_e32 v5, vcc, v5, v8, vcc
	s_waitcnt lgkmcnt(0)
	v_cmp_ne_u16_sdwa s[36:37], v7, v15 src0_sel:BYTE_0 src1_sel:DWORD
	v_cmp_ge_u64_e32 vcc, v[4:5], v[2:3]
	s_or_b64 s[38:39], vcc, s[36:37]
	s_and_b64 s[38:39], exec, s[38:39]
	s_or_b64 s[4:5], s[38:39], s[4:5]
	s_andn2_b64 s[20:21], s[20:21], exec
	s_and_b64 s[36:37], s[36:37], exec
	v_add_u32_e32 v6, s33, v6
	s_or_b64 s[20:21], s[20:21], s[36:37]
	s_barrier
	s_andn2_b64 exec, exec, s[4:5]
	s_cbranch_execz .LBB129_308
.LBB129_303:                            ;   Parent Loop BB129_31 Depth=1
                                        ; =>  This Inner Loop Header: Depth=2
	v_cmp_gt_u64_e32 vcc, s[0:1], v[4:5]
	v_mov_b32_e32 v7, 0
	s_and_saveexec_b64 s[36:37], vcc
	s_cbranch_execz .LBB129_305
; %bb.304:                              ;   in Loop: Header=BB129_303 Depth=2
	ds_read_u8 v7, v6
.LBB129_305:                            ;   in Loop: Header=BB129_303 Depth=2
	s_or_b64 exec, exec, s[36:37]
	s_waitcnt lgkmcnt(0)
	v_and_b32_e32 v8, v7, v41
	v_cmp_eq_u32_sdwa s[36:37], v8, v42 src0_sel:BYTE_0 src1_sel:DWORD
	s_and_b64 s[38:39], vcc, s[36:37]
	s_and_saveexec_b64 s[36:37], s[38:39]
	s_cbranch_execz .LBB129_302
; %bb.306:                              ;   in Loop: Header=BB129_303 Depth=2
	v_lshlrev_b16_e32 v7, 8, v7
	v_or_b32_e32 v7, 1, v7
	ds_write_b16 v15, v7 offset:3072
	s_branch .LBB129_302
.LBB129_307:                            ;   in Loop: Header=BB129_31 Depth=1
	s_mov_b64 s[14:15], -1
	s_mov_b64 s[4:5], 0
                                        ; implicit-def: $sgpr38_sgpr39
                                        ; implicit-def: $vgpr43
	s_mov_b64 s[20:21], s[14:15]
	s_cbranch_execnz .LBB129_310
	s_branch .LBB129_322
.LBB129_308:                            ;   in Loop: Header=BB129_31 Depth=1
	s_or_b64 exec, exec, s[4:5]
	v_lshrrev_b16_e32 v43, 8, v7
	s_and_b64 s[4:5], s[20:21], exec
.LBB129_309:                            ;   in Loop: Header=BB129_31 Depth=1
	s_or_b64 exec, exec, s[14:15]
	s_mov_b64 s[14:15], 0
	s_mov_b64 s[38:39], -1
	s_mov_b64 s[20:21], s[14:15]
	s_branch .LBB129_322
.LBB129_310:                            ;   in Loop: Header=BB129_31 Depth=1
	v_readlane_b32 s36, v53, 33
	v_readlane_b32 s37, v53, 34
	s_mov_b32 s36, s81
	s_cmp_lg_u64 s[36:37], 0
	v_writelane_b32 v53, s36, 33
	v_writelane_b32 v53, s37, 34
	s_cbranch_scc0 .LBB129_350
; %bb.311:                              ;   in Loop: Header=BB129_31 Depth=1
	v_cvt_f32_u32_e32 v2, s33
	s_sub_u32 s0, 0, s33
	s_subb_u32 s1, 0, 0
	v_mac_f32_e32 v2, 0, v40
	v_rcp_f32_e32 v2, v2
	v_mul_f32_e32 v2, 0x5f7ffffc, v2
	v_mul_f32_e32 v3, 0x2f800000, v2
	v_trunc_f32_e32 v3, v3
	v_mac_f32_e32 v2, 0xcf800000, v3
	v_cvt_u32_f32_e32 v3, v3
	v_cvt_u32_f32_e32 v2, v2
	v_readfirstlane_b32 s4, v3
	v_readfirstlane_b32 s5, v2
	s_mul_i32 s14, s0, s4
	s_mul_hi_u32 s20, s0, s5
	s_mul_i32 s15, s1, s5
	s_add_i32 s14, s20, s14
	s_mul_i32 s21, s0, s5
	s_add_i32 s14, s14, s15
	s_mul_hi_u32 s20, s5, s21
	s_mul_hi_u32 s15, s5, s14
	s_mul_i32 s5, s5, s14
	s_add_u32 s5, s20, s5
	s_addc_u32 s15, 0, s15
	s_mul_hi_u32 s36, s4, s21
	s_mul_i32 s21, s4, s21
	s_add_u32 s5, s5, s21
	s_mul_hi_u32 s20, s4, s14
	s_addc_u32 s5, s15, s36
	s_addc_u32 s15, s20, 0
	s_mul_i32 s14, s4, s14
	s_add_u32 s5, s5, s14
	s_addc_u32 s14, 0, s15
	v_add_co_u32_e32 v2, vcc, s5, v2
	s_cmp_lg_u64 vcc, 0
	s_addc_u32 s4, s4, s14
	v_readfirstlane_b32 s14, v2
	s_mul_i32 s5, s0, s4
	s_mul_hi_u32 s15, s0, s14
	s_add_i32 s5, s15, s5
	s_mul_i32 s1, s1, s14
	s_add_i32 s5, s5, s1
	s_mul_i32 s0, s0, s14
	s_mul_hi_u32 s15, s4, s0
	s_mul_i32 s20, s4, s0
	s_mul_i32 s36, s14, s5
	s_mul_hi_u32 s0, s14, s0
	s_mul_hi_u32 s21, s14, s5
	s_add_u32 s0, s0, s36
	s_addc_u32 s14, 0, s21
	s_add_u32 s0, s0, s20
	s_mul_hi_u32 s1, s4, s5
	s_addc_u32 s0, s14, s15
	s_addc_u32 s1, s1, 0
	s_mul_i32 s5, s4, s5
	s_add_u32 s0, s0, s5
	s_addc_u32 s1, 0, s1
	v_add_co_u32_e32 v2, vcc, s0, v2
	s_cmp_lg_u64 vcc, 0
	s_addc_u32 s0, s4, s1
	v_readlane_b32 s20, v53, 31
	v_readfirstlane_b32 s5, v2
	s_mul_i32 s4, s20, s0
	s_mul_hi_u32 s14, s20, s5
	s_mul_hi_u32 s1, s20, s0
	s_add_u32 s4, s14, s4
	s_addc_u32 s1, 0, s1
	s_mul_hi_u32 s15, s37, s5
	s_mul_i32 s5, s37, s5
	s_add_u32 s4, s4, s5
	s_mul_hi_u32 s14, s37, s0
	s_addc_u32 s1, s1, s15
	s_addc_u32 s4, s14, 0
	s_mul_i32 s0, s37, s0
	s_add_u32 s0, s1, s0
	s_addc_u32 s1, 0, s4
	s_mul_hi_u32 s4, s33, s0
	s_mul_i32 s0, s33, s0
	s_mul_i32 s1, s33, s1
	v_mov_b32_e32 v2, s0
	s_add_i32 s4, s4, s1
	v_sub_co_u32_e32 v2, vcc, s20, v2
	s_cmp_lg_u64 vcc, 0
	s_subb_u32 s0, s37, s4
	v_subrev_co_u32_e32 v3, vcc, s33, v2
	s_cmp_lg_u64 vcc, 0
	s_subb_u32 s1, s0, 0
	v_subrev_co_u32_e32 v4, vcc, s33, v3
	s_cmp_lg_u64 vcc, 0
	s_subb_u32 s4, s1, 0
	v_cmp_le_u32_e32 vcc, s33, v3
	s_cmp_eq_u32 s1, 0
	v_cndmask_b32_e64 v5, 0, -1, vcc
	s_cselect_b64 vcc, -1, 0
	v_cndmask_b32_e32 v5, -1, v5, vcc
	v_mov_b32_e32 v6, s1
	v_mov_b32_e32 v7, s4
	v_cmp_ne_u32_e32 vcc, 0, v5
	v_cndmask_b32_e32 v5, v6, v7, vcc
	v_cndmask_b32_e32 v4, v3, v4, vcc
	v_cmp_le_u32_e32 vcc, s33, v2
	s_cmp_eq_u32 s0, 0
	v_cndmask_b32_e64 v3, 0, -1, vcc
	s_cselect_b64 vcc, -1, 0
	v_cndmask_b32_e32 v3, -1, v3, vcc
	v_mov_b32_e32 v6, s0
	v_cmp_ne_u32_e32 vcc, 0, v3
	v_cndmask_b32_e32 v3, v6, v5, vcc
	v_cndmask_b32_e32 v2, v2, v4, vcc
	s_cbranch_execnz .LBB129_313
.LBB129_312:                            ;   in Loop: Header=BB129_31 Depth=1
	v_cvt_f32_u32_e32 v2, s33
	s_sub_i32 s0, 0, s33
	v_rcp_iflag_f32_e32 v2, v2
	v_mul_f32_e32 v2, 0x4f7ffffe, v2
	v_cvt_u32_f32_e32 v2, v2
	v_mul_lo_u32 v3, s0, v2
	v_mul_hi_u32 v3, v2, v3
	v_add_u32_e32 v2, v2, v3
	v_readlane_b32 s0, v53, 31
	v_mul_hi_u32 v2, s0, v2
	v_mul_lo_u32 v2, v2, s33
	v_sub_u32_e32 v2, s0, v2
	v_subrev_u32_e32 v3, s33, v2
	v_cmp_le_u32_e32 vcc, s33, v2
	v_cndmask_b32_e32 v2, v2, v3, vcc
	v_subrev_u32_e32 v3, s33, v2
	v_cmp_le_u32_e32 vcc, s33, v2
	v_cndmask_b32_e32 v14, v2, v3, vcc
	v_pk_mov_b32 v[2:3], v[14:15], v[14:15] op_sel:[0,1]
.LBB129_313:                            ;   in Loop: Header=BB129_31 Depth=1
	v_readlane_b32 s0, v53, 33
	v_readlane_b32 s1, v53, 34
	;; [unrolled: 1-line block ×3, first 2 shown]
	v_mov_b32_e32 v4, s1
	v_sub_co_u32_e32 v2, vcc, s0, v2
	v_subb_co_u32_e32 v3, vcc, v4, v3, vcc
	v_cmp_gt_u64_e32 vcc, v[2:3], v[0:1]
	s_mov_b64 s[4:5], 0
                                        ; implicit-def: $vgpr43
	s_and_saveexec_b64 s[0:1], vcc
	s_cbranch_execz .LBB129_321
; %bb.314:                              ;   in Loop: Header=BB129_31 Depth=1
	v_pk_mov_b32 v[4:5], v[26:27], v[26:27] op_sel:[0,1]
	v_pk_mov_b32 v[6:7], v[0:1], v[0:1] op_sel:[0,1]
                                        ; implicit-def: $sgpr14_sgpr15
	s_branch .LBB129_316
.LBB129_315:                            ;   in Loop: Header=BB129_316 Depth=2
	s_or_b64 exec, exec, s[20:21]
	s_waitcnt lgkmcnt(0)
	s_barrier
	ds_read_u16 v8, v15 offset:3072
	v_mov_b32_e32 v9, s64
	v_add_co_u32_e32 v6, vcc, s33, v6
	v_addc_co_u32_e32 v7, vcc, v7, v9, vcc
	s_waitcnt lgkmcnt(0)
	v_cmp_ne_u16_sdwa s[20:21], v8, v15 src0_sel:BYTE_0 src1_sel:DWORD
	v_cmp_ge_u64_e32 vcc, v[6:7], v[2:3]
	s_or_b64 s[36:37], vcc, s[20:21]
	s_and_b64 s[36:37], exec, s[36:37]
	s_mul_i32 s38, s58, s33
	s_or_b64 s[4:5], s[36:37], s[4:5]
	v_mov_b32_e32 v9, s65
	v_add_co_u32_e32 v4, vcc, s38, v4
	s_andn2_b64 s[14:15], s[14:15], exec
	s_and_b64 s[20:21], s[20:21], exec
	v_addc_co_u32_e32 v5, vcc, v5, v9, vcc
	s_or_b64 s[14:15], s[14:15], s[20:21]
	s_barrier
	s_andn2_b64 exec, exec, s[4:5]
	s_cbranch_execz .LBB129_320
.LBB129_316:                            ;   Parent Loop BB129_31 Depth=1
                                        ; =>  This Inner Loop Header: Depth=2
	v_cmp_gt_u64_e32 vcc, s[60:61], v[6:7]
	v_mov_b32_e32 v8, 0
	s_and_saveexec_b64 s[20:21], vcc
	s_cbranch_execz .LBB129_318
; %bb.317:                              ;   in Loop: Header=BB129_316 Depth=2
	global_load_ubyte v8, v[4:5], off
.LBB129_318:                            ;   in Loop: Header=BB129_316 Depth=2
	s_or_b64 exec, exec, s[20:21]
	s_waitcnt vmcnt(0)
	v_and_b32_e32 v9, v8, v41
	v_cmp_eq_u32_sdwa s[20:21], v9, v42 src0_sel:BYTE_0 src1_sel:DWORD
	s_and_b64 s[36:37], vcc, s[20:21]
	s_and_saveexec_b64 s[20:21], s[36:37]
	s_cbranch_execz .LBB129_315
; %bb.319:                              ;   in Loop: Header=BB129_316 Depth=2
	v_lshlrev_b16_e32 v8, 8, v8
	v_or_b32_e32 v8, 1, v8
	ds_write_b16 v15, v8 offset:3072
	s_branch .LBB129_315
.LBB129_320:                            ;   in Loop: Header=BB129_31 Depth=1
	s_or_b64 exec, exec, s[4:5]
	v_lshrrev_b16_e32 v43, 8, v8
	s_and_b64 s[4:5], s[14:15], exec
.LBB129_321:                            ;   in Loop: Header=BB129_31 Depth=1
	s_or_b64 exec, exec, s[0:1]
	s_mov_b64 s[38:39], 0
	s_mov_b64 s[14:15], -1
	s_mov_b64 s[20:21], 0
.LBB129_322:                            ;   in Loop: Header=BB129_31 Depth=1
	s_orn2_b64 s[0:1], s[4:5], exec
.LBB129_323:                            ;   in Loop: Header=BB129_31 Depth=1
	s_or_b64 exec, exec, s[34:35]
                                        ; implicit-def: $vgpr6
                                        ; implicit-def: $vgpr2_vgpr3
                                        ; implicit-def: $vgpr30
                                        ; implicit-def: $vgpr31
                                        ; implicit-def: $vgpr32
	s_and_saveexec_b64 s[34:35], s[0:1]
	s_cbranch_execz .LBB129_480
; %bb.324:                              ;   in Loop: Header=BB129_31 Depth=1
	v_mov_b32_e32 v2, 1
	s_xor_b64 s[4:5], s[6:7], -1
	s_mov_b64 s[6:7], 0
	v_mov_b32_e32 v3, 0
	v_mov_b32_e32 v6, 1
	s_and_saveexec_b64 s[0:1], s[4:5]
	s_cbranch_execz .LBB129_334
; %bb.325:                              ;   in Loop: Header=BB129_31 Depth=1
	v_cmp_ge_u64_e32 vcc, s[24:25], v[28:29]
                                        ; implicit-def: $sgpr36
                                        ; implicit-def: $sgpr4_sgpr5
	s_and_saveexec_b64 s[6:7], vcc
	s_xor_b64 s[6:7], exec, s[6:7]
	s_cbranch_execz .LBB129_331
; %bb.326:                              ;   in Loop: Header=BB129_31 Depth=1
	ds_read_b64 v[2:3], v15 offset:5120
	s_waitcnt lgkmcnt(0)
	v_cmp_ne_u64_e32 vcc, 0, v[2:3]
	s_cbranch_vccnz .LBB129_330
; %bb.327:                              ;   in Loop: Header=BB129_31 Depth=1
	s_mov_b64 s[4:5], exec
	v_readlane_b32 s36, v53, 10
	v_readlane_b32 s37, v53, 11
	s_and_b64 s[36:37], s[4:5], s[36:37]
	s_mov_b64 exec, s[36:37]
	s_cbranch_execz .LBB129_329
; %bb.328:                              ;   in Loop: Header=BB129_31 Depth=1
	v_pk_mov_b32 v[2:3], s[24:25], s[24:25] op_sel:[0,1]
	ds_write_b64 v15, v[2:3] offset:5128
.LBB129_329:                            ;   in Loop: Header=BB129_31 Depth=1
	s_or_b64 exec, exec, s[4:5]
	s_waitcnt lgkmcnt(0)
	s_barrier
.LBB129_330:                            ;   in Loop: Header=BB129_31 Depth=1
	v_or_b32_e32 v42, s80, v42
	v_or_b32_e32 v41, s80, v41
	s_mov_b64 s[4:5], 0
	s_mov_b32 s36, 5
.LBB129_331:                            ;   in Loop: Header=BB129_31 Depth=1
	s_or_saveexec_b64 s[6:7], s[6:7]
	v_mov_b32_e32 v6, s36
	s_xor_b64 exec, exec, s[6:7]
; %bb.332:                              ;   in Loop: Header=BB129_31 Depth=1
	v_mov_b32_e32 v2, s25
	v_subrev_co_u32_e32 v28, vcc, s24, v28
	v_subb_co_u32_e32 v29, vcc, v29, v2, vcc
	v_mov_b32_e32 v6, 0
	s_or_b64 s[4:5], s[4:5], exec
; %bb.333:                              ;   in Loop: Header=BB129_31 Depth=1
	s_or_b64 exec, exec, s[6:7]
	s_and_b64 s[6:7], s[4:5], exec
	v_pk_mov_b32 v[2:3], v[28:29], v[28:29] op_sel:[0,1]
.LBB129_334:                            ;   in Loop: Header=BB129_31 Depth=1
	s_or_b64 exec, exec, s[0:1]
	s_mov_b64 s[36:37], -1
                                        ; implicit-def: $sgpr0_sgpr1
                                        ; implicit-def: $sgpr4_sgpr5
                                        ; implicit-def: $sgpr24_sgpr25
	s_and_saveexec_b64 s[40:41], s[6:7]
	s_xor_b64 s[6:7], exec, s[40:41]
	s_cbranch_execz .LBB129_477
; %bb.335:                              ;   in Loop: Header=BB129_31 Depth=1
	s_cmp_eq_u64 s[22:23], 1
	s_cselect_b64 s[0:1], -1, 0
	v_cmp_eq_u64_e32 vcc, 1, v[2:3]
	s_and_b64 s[44:45], s[0:1], vcc
	s_mov_b64 s[0:1], -1
                                        ; implicit-def: $sgpr24_sgpr25
                                        ; implicit-def: $sgpr36_sgpr37
                                        ; implicit-def: $sgpr40_sgpr41
	s_and_saveexec_b64 s[42:43], s[44:45]
	s_cbranch_execz .LBB129_367
; %bb.336:                              ;   in Loop: Header=BB129_31 Depth=1
	ds_read_b64 v[4:5], v15 offset:5120
	s_waitcnt lgkmcnt(0)
	s_barrier
	v_readfirstlane_b32 s0, v4
	v_readfirstlane_b32 s1, v5
	s_mov_b64 s[4:5], exec
	v_readlane_b32 s24, v53, 26
	v_readlane_b32 s25, v53, 27
	s_and_b64 s[24:25], s[4:5], s[24:25]
	s_mov_b64 exec, s[24:25]
	s_cbranch_execz .LBB129_338
; %bb.337:                              ;   in Loop: Header=BB129_31 Depth=1
	ds_write_b8 v0, v15 offset:3072
.LBB129_338:                            ;   in Loop: Header=BB129_31 Depth=1
	s_or_b64 exec, exec, s[4:5]
	v_readlane_b32 s4, v53, 55
	v_and_b32_e32 v4, s4, v42
	v_lshl_or_b32 v42, 2, s31, v4
	v_or_b32_e32 v41, s80, v41
	s_cmp_eq_u64 s[0:1], 0
	s_waitcnt lgkmcnt(0)
	s_barrier
	s_cbranch_scc1 .LBB129_351
; %bb.339:                              ;   in Loop: Header=BB129_31 Depth=1
	v_readlane_b32 s4, v53, 30
	s_add_u32 s36, s4, s0
	v_readlane_b32 s4, v53, 32
	s_addc_u32 s5, s4, s1
	s_mov_b32 s4, s81
	s_cmp_lg_u64 s[4:5], 0
	s_cbranch_scc0 .LBB129_393
; %bb.340:                              ;   in Loop: Header=BB129_31 Depth=1
	v_cvt_f32_u32_e32 v4, s33
	s_sub_u32 s4, 0, s33
	s_subb_u32 s24, 0, 0
	v_mac_f32_e32 v4, 0, v40
	v_rcp_f32_e32 v4, v4
	v_mul_f32_e32 v4, 0x5f7ffffc, v4
	v_mul_f32_e32 v5, 0x2f800000, v4
	v_trunc_f32_e32 v5, v5
	v_mac_f32_e32 v4, 0xcf800000, v5
	v_cvt_u32_f32_e32 v5, v5
	v_cvt_u32_f32_e32 v4, v4
	v_readfirstlane_b32 s25, v5
	v_readfirstlane_b32 s37, v4
	s_mul_i32 s40, s4, s25
	s_mul_hi_u32 s46, s4, s37
	s_mul_i32 s41, s24, s37
	s_add_i32 s40, s46, s40
	s_mul_i32 s47, s4, s37
	s_add_i32 s40, s40, s41
	s_mul_hi_u32 s46, s37, s47
	s_mul_hi_u32 s41, s37, s40
	s_mul_i32 s37, s37, s40
	s_add_u32 s37, s46, s37
	s_addc_u32 s41, 0, s41
	s_mul_hi_u32 s48, s25, s47
	s_mul_i32 s47, s25, s47
	s_add_u32 s37, s37, s47
	s_mul_hi_u32 s46, s25, s40
	s_addc_u32 s37, s41, s48
	s_addc_u32 s41, s46, 0
	s_mul_i32 s40, s25, s40
	s_add_u32 s37, s37, s40
	s_addc_u32 s40, 0, s41
	v_add_co_u32_e32 v4, vcc, s37, v4
	s_cmp_lg_u64 vcc, 0
	s_addc_u32 s25, s25, s40
	v_readfirstlane_b32 s40, v4
	s_mul_i32 s37, s4, s25
	s_mul_hi_u32 s41, s4, s40
	s_add_i32 s37, s41, s37
	s_mul_i32 s24, s24, s40
	s_add_i32 s37, s37, s24
	s_mul_i32 s4, s4, s40
	s_mul_hi_u32 s41, s25, s4
	s_mul_i32 s46, s25, s4
	s_mul_i32 s48, s40, s37
	s_mul_hi_u32 s4, s40, s4
	s_mul_hi_u32 s47, s40, s37
	s_add_u32 s4, s4, s48
	s_addc_u32 s40, 0, s47
	s_add_u32 s4, s4, s46
	s_mul_hi_u32 s24, s25, s37
	s_addc_u32 s4, s40, s41
	s_addc_u32 s24, s24, 0
	s_mul_i32 s37, s25, s37
	s_add_u32 s4, s4, s37
	s_addc_u32 s24, 0, s24
	v_add_co_u32_e32 v4, vcc, s4, v4
	s_cmp_lg_u64 vcc, 0
	s_addc_u32 s4, s25, s24
	v_readfirstlane_b32 s37, v4
	s_mul_i32 s25, s36, s4
	s_mul_hi_u32 s40, s36, s37
	s_mul_hi_u32 s24, s36, s4
	s_add_u32 s25, s40, s25
	s_addc_u32 s24, 0, s24
	s_mul_hi_u32 s41, s5, s37
	s_mul_i32 s37, s5, s37
	s_add_u32 s25, s25, s37
	s_mul_hi_u32 s40, s5, s4
	s_addc_u32 s24, s24, s41
	s_addc_u32 s25, s40, 0
	s_mul_i32 s4, s5, s4
	s_add_u32 s4, s24, s4
	s_addc_u32 s24, 0, s25
	s_mul_hi_u32 s25, s33, s4
	s_mul_i32 s4, s33, s4
	s_mul_i32 s24, s33, s24
	v_mov_b32_e32 v4, s4
	s_add_i32 s25, s25, s24
	v_sub_co_u32_e32 v4, vcc, s36, v4
	s_cmp_lg_u64 vcc, 0
	s_subb_u32 s4, s5, s25
	v_subrev_co_u32_e32 v5, vcc, s33, v4
	s_cmp_lg_u64 vcc, 0
	s_subb_u32 s24, s4, 0
	v_subrev_co_u32_e32 v6, vcc, s33, v5
	s_cmp_lg_u64 vcc, 0
	s_subb_u32 s25, s24, 0
	v_cmp_le_u32_e32 vcc, s33, v5
	s_cmp_eq_u32 s24, 0
	v_cndmask_b32_e64 v7, 0, -1, vcc
	s_cselect_b64 vcc, -1, 0
	v_cndmask_b32_e32 v7, -1, v7, vcc
	v_mov_b32_e32 v8, s24
	v_mov_b32_e32 v9, s25
	v_cmp_ne_u32_e32 vcc, 0, v7
	v_cndmask_b32_e32 v7, v8, v9, vcc
	v_cndmask_b32_e32 v6, v5, v6, vcc
	v_cmp_le_u32_e32 vcc, s33, v4
	s_cmp_eq_u32 s4, 0
	v_cndmask_b32_e64 v5, 0, -1, vcc
	s_cselect_b64 vcc, -1, 0
	v_cndmask_b32_e32 v5, -1, v5, vcc
	v_mov_b32_e32 v8, s4
	v_cmp_ne_u32_e32 vcc, 0, v5
	v_cndmask_b32_e32 v5, v8, v7, vcc
	v_cndmask_b32_e32 v4, v4, v6, vcc
	s_cbranch_execnz .LBB129_342
.LBB129_341:                            ;   in Loop: Header=BB129_31 Depth=1
	v_cvt_f32_u32_e32 v4, s33
	s_sub_i32 s4, 0, s33
	v_rcp_iflag_f32_e32 v4, v4
	v_mul_f32_e32 v4, 0x4f7ffffe, v4
	v_cvt_u32_f32_e32 v4, v4
	v_mul_lo_u32 v5, s4, v4
	v_mul_hi_u32 v5, v4, v5
	v_add_u32_e32 v4, v4, v5
	v_mul_hi_u32 v4, s36, v4
	v_mul_lo_u32 v4, v4, s33
	v_sub_u32_e32 v4, s36, v4
	v_subrev_u32_e32 v5, s33, v4
	v_cmp_le_u32_e32 vcc, s33, v4
	v_cndmask_b32_e32 v4, v4, v5, vcc
	v_subrev_u32_e32 v5, s33, v4
	v_cmp_le_u32_e32 vcc, s33, v4
	v_cndmask_b32_e32 v14, v4, v5, vcc
	v_pk_mov_b32 v[4:5], v[14:15], v[14:15] op_sel:[0,1]
.LBB129_342:                            ;   in Loop: Header=BB129_31 Depth=1
	v_mov_b32_e32 v6, s5
	v_sub_co_u32_e32 v4, vcc, s36, v4
	v_subb_co_u32_e32 v5, vcc, v6, v5, vcc
	v_cmp_gt_u64_e32 vcc, v[4:5], v[0:1]
	s_mov_b64 s[4:5], 0
                                        ; implicit-def: $vgpr43
	s_and_saveexec_b64 s[24:25], vcc
	s_cbranch_execz .LBB129_353
; %bb.343:                              ;   in Loop: Header=BB129_31 Depth=1
	v_mov_b32_e32 v8, v0
	v_pk_mov_b32 v[6:7], v[0:1], v[0:1] op_sel:[0,1]
                                        ; implicit-def: $sgpr36_sgpr37
	s_branch .LBB129_345
.LBB129_344:                            ;   in Loop: Header=BB129_345 Depth=2
	s_or_b64 exec, exec, s[40:41]
	s_waitcnt lgkmcnt(0)
	s_barrier
	ds_read_u16 v9, v15 offset:3072
	v_mov_b32_e32 v14, s64
	v_add_co_u32_e32 v6, vcc, s33, v6
	v_addc_co_u32_e32 v7, vcc, v7, v14, vcc
	s_waitcnt lgkmcnt(0)
	v_cmp_ne_u16_sdwa s[40:41], v9, v15 src0_sel:BYTE_0 src1_sel:DWORD
	v_cmp_ge_u64_e32 vcc, v[6:7], v[4:5]
	s_or_b64 s[46:47], vcc, s[40:41]
	s_and_b64 s[46:47], exec, s[46:47]
	s_or_b64 s[4:5], s[46:47], s[4:5]
	s_andn2_b64 s[36:37], s[36:37], exec
	s_and_b64 s[40:41], s[40:41], exec
	v_add_u32_e32 v8, s33, v8
	s_or_b64 s[36:37], s[36:37], s[40:41]
	s_barrier
	s_andn2_b64 exec, exec, s[4:5]
	s_cbranch_execz .LBB129_352
.LBB129_345:                            ;   Parent Loop BB129_31 Depth=1
                                        ; =>  This Inner Loop Header: Depth=2
	v_cmp_gt_u64_e32 vcc, s[0:1], v[6:7]
	v_mov_b32_e32 v9, 0
	s_and_saveexec_b64 s[40:41], vcc
	s_cbranch_execz .LBB129_347
; %bb.346:                              ;   in Loop: Header=BB129_345 Depth=2
	ds_read_u8 v9, v8
.LBB129_347:                            ;   in Loop: Header=BB129_345 Depth=2
	s_or_b64 exec, exec, s[40:41]
	s_waitcnt lgkmcnt(0)
	v_and_b32_e32 v14, v9, v41
	v_cmp_eq_u32_sdwa s[40:41], v14, v42 src0_sel:BYTE_0 src1_sel:DWORD
	s_and_b64 s[46:47], vcc, s[40:41]
	s_and_saveexec_b64 s[40:41], s[46:47]
	s_cbranch_execz .LBB129_344
; %bb.348:                              ;   in Loop: Header=BB129_345 Depth=2
	v_lshlrev_b16_e32 v9, 8, v9
	v_or_b32_e32 v9, 1, v9
	ds_write_b16 v15, v9 offset:3072
	s_branch .LBB129_344
.LBB129_349:                            ;   in Loop: Header=BB129_31 Depth=1
                                        ; implicit-def: $vgpr2_vgpr3
	s_branch .LBB129_299
.LBB129_350:                            ;   in Loop: Header=BB129_31 Depth=1
                                        ; implicit-def: $vgpr2_vgpr3
	s_branch .LBB129_312
.LBB129_351:                            ;   in Loop: Header=BB129_31 Depth=1
	s_mov_b64 s[24:25], -1
	s_mov_b64 s[4:5], 0
                                        ; implicit-def: $sgpr36_sgpr37
                                        ; implicit-def: $vgpr43
	s_mov_b64 s[40:41], s[24:25]
	s_cbranch_execnz .LBB129_354
	s_branch .LBB129_366
.LBB129_352:                            ;   in Loop: Header=BB129_31 Depth=1
	s_or_b64 exec, exec, s[4:5]
	v_lshrrev_b16_e32 v43, 8, v9
	s_and_b64 s[4:5], s[36:37], exec
.LBB129_353:                            ;   in Loop: Header=BB129_31 Depth=1
	s_or_b64 exec, exec, s[24:25]
	s_mov_b64 s[24:25], 0
	s_mov_b64 s[36:37], -1
	s_mov_b64 s[40:41], s[24:25]
	s_branch .LBB129_366
.LBB129_354:                            ;   in Loop: Header=BB129_31 Depth=1
	v_readlane_b32 s40, v53, 33
	v_readlane_b32 s41, v53, 34
	s_mov_b32 s40, s81
	s_cmp_lg_u64 s[40:41], 0
	v_writelane_b32 v53, s40, 33
	v_writelane_b32 v53, s41, 34
	s_cbranch_scc0 .LBB129_394
; %bb.355:                              ;   in Loop: Header=BB129_31 Depth=1
	v_cvt_f32_u32_e32 v4, s33
	s_sub_u32 s0, 0, s33
	s_subb_u32 s1, 0, 0
	v_mac_f32_e32 v4, 0, v40
	v_rcp_f32_e32 v4, v4
	v_mul_f32_e32 v4, 0x5f7ffffc, v4
	v_mul_f32_e32 v5, 0x2f800000, v4
	v_trunc_f32_e32 v5, v5
	v_mac_f32_e32 v4, 0xcf800000, v5
	v_cvt_u32_f32_e32 v5, v5
	v_cvt_u32_f32_e32 v4, v4
	v_readfirstlane_b32 s4, v5
	v_readfirstlane_b32 s5, v4
	s_mul_i32 s24, s0, s4
	s_mul_hi_u32 s36, s0, s5
	s_mul_i32 s25, s1, s5
	s_add_i32 s24, s36, s24
	s_mul_i32 s37, s0, s5
	s_add_i32 s24, s24, s25
	s_mul_hi_u32 s36, s5, s37
	s_mul_hi_u32 s25, s5, s24
	s_mul_i32 s5, s5, s24
	s_add_u32 s5, s36, s5
	s_addc_u32 s25, 0, s25
	s_mul_hi_u32 s40, s4, s37
	s_mul_i32 s37, s4, s37
	s_add_u32 s5, s5, s37
	s_mul_hi_u32 s36, s4, s24
	s_addc_u32 s5, s25, s40
	s_addc_u32 s25, s36, 0
	s_mul_i32 s24, s4, s24
	s_add_u32 s5, s5, s24
	s_addc_u32 s24, 0, s25
	v_add_co_u32_e32 v4, vcc, s5, v4
	s_cmp_lg_u64 vcc, 0
	s_addc_u32 s4, s4, s24
	v_readfirstlane_b32 s24, v4
	s_mul_i32 s5, s0, s4
	s_mul_hi_u32 s25, s0, s24
	s_add_i32 s5, s25, s5
	s_mul_i32 s1, s1, s24
	s_add_i32 s5, s5, s1
	s_mul_i32 s0, s0, s24
	s_mul_hi_u32 s25, s4, s0
	s_mul_i32 s36, s4, s0
	s_mul_i32 s40, s24, s5
	s_mul_hi_u32 s0, s24, s0
	s_mul_hi_u32 s37, s24, s5
	s_add_u32 s0, s0, s40
	s_addc_u32 s24, 0, s37
	s_add_u32 s0, s0, s36
	s_mul_hi_u32 s1, s4, s5
	s_addc_u32 s0, s24, s25
	s_addc_u32 s1, s1, 0
	s_mul_i32 s5, s4, s5
	s_add_u32 s0, s0, s5
	s_addc_u32 s1, 0, s1
	v_add_co_u32_e32 v4, vcc, s0, v4
	s_cmp_lg_u64 vcc, 0
	s_addc_u32 s0, s4, s1
	v_readlane_b32 s36, v53, 31
	v_readfirstlane_b32 s5, v4
	s_mul_i32 s4, s36, s0
	s_mul_hi_u32 s24, s36, s5
	s_mul_hi_u32 s1, s36, s0
	s_add_u32 s4, s24, s4
	s_addc_u32 s1, 0, s1
	s_mul_hi_u32 s25, s41, s5
	s_mul_i32 s5, s41, s5
	s_add_u32 s4, s4, s5
	s_mul_hi_u32 s24, s41, s0
	s_addc_u32 s1, s1, s25
	s_addc_u32 s4, s24, 0
	s_mul_i32 s0, s41, s0
	s_add_u32 s0, s1, s0
	s_addc_u32 s1, 0, s4
	s_mul_hi_u32 s4, s33, s0
	s_mul_i32 s0, s33, s0
	s_mul_i32 s1, s33, s1
	v_mov_b32_e32 v4, s0
	s_add_i32 s4, s4, s1
	v_sub_co_u32_e32 v4, vcc, s36, v4
	s_cmp_lg_u64 vcc, 0
	s_subb_u32 s0, s41, s4
	v_subrev_co_u32_e32 v5, vcc, s33, v4
	s_cmp_lg_u64 vcc, 0
	s_subb_u32 s1, s0, 0
	v_subrev_co_u32_e32 v6, vcc, s33, v5
	s_cmp_lg_u64 vcc, 0
	s_subb_u32 s4, s1, 0
	v_cmp_le_u32_e32 vcc, s33, v5
	s_cmp_eq_u32 s1, 0
	v_cndmask_b32_e64 v7, 0, -1, vcc
	s_cselect_b64 vcc, -1, 0
	v_cndmask_b32_e32 v7, -1, v7, vcc
	v_mov_b32_e32 v8, s1
	v_mov_b32_e32 v9, s4
	v_cmp_ne_u32_e32 vcc, 0, v7
	v_cndmask_b32_e32 v7, v8, v9, vcc
	v_cndmask_b32_e32 v6, v5, v6, vcc
	v_cmp_le_u32_e32 vcc, s33, v4
	s_cmp_eq_u32 s0, 0
	v_cndmask_b32_e64 v5, 0, -1, vcc
	s_cselect_b64 vcc, -1, 0
	v_cndmask_b32_e32 v5, -1, v5, vcc
	v_mov_b32_e32 v8, s0
	v_cmp_ne_u32_e32 vcc, 0, v5
	v_cndmask_b32_e32 v5, v8, v7, vcc
	v_cndmask_b32_e32 v4, v4, v6, vcc
	s_cbranch_execnz .LBB129_357
.LBB129_356:                            ;   in Loop: Header=BB129_31 Depth=1
	v_cvt_f32_u32_e32 v4, s33
	s_sub_i32 s0, 0, s33
	v_rcp_iflag_f32_e32 v4, v4
	v_mul_f32_e32 v4, 0x4f7ffffe, v4
	v_cvt_u32_f32_e32 v4, v4
	v_mul_lo_u32 v5, s0, v4
	v_mul_hi_u32 v5, v4, v5
	v_add_u32_e32 v4, v4, v5
	v_readlane_b32 s0, v53, 31
	v_mul_hi_u32 v4, s0, v4
	v_mul_lo_u32 v4, v4, s33
	v_sub_u32_e32 v4, s0, v4
	v_subrev_u32_e32 v5, s33, v4
	v_cmp_le_u32_e32 vcc, s33, v4
	v_cndmask_b32_e32 v4, v4, v5, vcc
	v_subrev_u32_e32 v5, s33, v4
	v_cmp_le_u32_e32 vcc, s33, v4
	v_cndmask_b32_e32 v14, v4, v5, vcc
	v_pk_mov_b32 v[4:5], v[14:15], v[14:15] op_sel:[0,1]
.LBB129_357:                            ;   in Loop: Header=BB129_31 Depth=1
	v_readlane_b32 s0, v53, 33
	v_readlane_b32 s1, v53, 34
	;; [unrolled: 1-line block ×3, first 2 shown]
	v_mov_b32_e32 v6, s1
	v_sub_co_u32_e32 v4, vcc, s0, v4
	v_subb_co_u32_e32 v5, vcc, v6, v5, vcc
	v_cmp_gt_u64_e32 vcc, v[4:5], v[0:1]
	s_mov_b64 s[4:5], 0
                                        ; implicit-def: $vgpr43
	s_and_saveexec_b64 s[0:1], vcc
	s_cbranch_execz .LBB129_365
; %bb.358:                              ;   in Loop: Header=BB129_31 Depth=1
	v_pk_mov_b32 v[6:7], v[26:27], v[26:27] op_sel:[0,1]
	v_pk_mov_b32 v[8:9], v[0:1], v[0:1] op_sel:[0,1]
                                        ; implicit-def: $sgpr24_sgpr25
	s_branch .LBB129_360
.LBB129_359:                            ;   in Loop: Header=BB129_360 Depth=2
	s_or_b64 exec, exec, s[36:37]
	s_waitcnt lgkmcnt(0)
	s_barrier
	ds_read_u16 v14, v15 offset:3072
	v_mov_b32_e32 v28, s64
	v_add_co_u32_e32 v8, vcc, s33, v8
	v_addc_co_u32_e32 v9, vcc, v9, v28, vcc
	s_waitcnt lgkmcnt(0)
	v_cmp_ne_u16_sdwa s[36:37], v14, v15 src0_sel:BYTE_0 src1_sel:DWORD
	v_cmp_ge_u64_e32 vcc, v[8:9], v[4:5]
	s_or_b64 s[40:41], vcc, s[36:37]
	s_and_b64 s[40:41], exec, s[40:41]
	s_mul_i32 s46, s58, s33
	s_or_b64 s[4:5], s[40:41], s[4:5]
	v_mov_b32_e32 v28, s65
	v_add_co_u32_e32 v6, vcc, s46, v6
	s_andn2_b64 s[24:25], s[24:25], exec
	s_and_b64 s[36:37], s[36:37], exec
	v_addc_co_u32_e32 v7, vcc, v7, v28, vcc
	s_or_b64 s[24:25], s[24:25], s[36:37]
	s_barrier
	s_andn2_b64 exec, exec, s[4:5]
	s_cbranch_execz .LBB129_364
.LBB129_360:                            ;   Parent Loop BB129_31 Depth=1
                                        ; =>  This Inner Loop Header: Depth=2
	v_cmp_gt_u64_e32 vcc, s[60:61], v[8:9]
	v_mov_b32_e32 v14, 0
	s_and_saveexec_b64 s[36:37], vcc
	s_cbranch_execz .LBB129_362
; %bb.361:                              ;   in Loop: Header=BB129_360 Depth=2
	global_load_ubyte v14, v[6:7], off
.LBB129_362:                            ;   in Loop: Header=BB129_360 Depth=2
	s_or_b64 exec, exec, s[36:37]
	s_waitcnt vmcnt(0)
	v_and_b32_e32 v28, v14, v41
	v_cmp_eq_u32_sdwa s[36:37], v28, v42 src0_sel:BYTE_0 src1_sel:DWORD
	s_and_b64 s[40:41], vcc, s[36:37]
	s_and_saveexec_b64 s[36:37], s[40:41]
	s_cbranch_execz .LBB129_359
; %bb.363:                              ;   in Loop: Header=BB129_360 Depth=2
	v_lshlrev_b16_e32 v14, 8, v14
	v_or_b32_e32 v14, 1, v14
	ds_write_b16 v15, v14 offset:3072
	s_branch .LBB129_359
.LBB129_364:                            ;   in Loop: Header=BB129_31 Depth=1
	s_or_b64 exec, exec, s[4:5]
	v_lshrrev_b16_e32 v43, 8, v14
	s_and_b64 s[4:5], s[24:25], exec
.LBB129_365:                            ;   in Loop: Header=BB129_31 Depth=1
	s_or_b64 exec, exec, s[0:1]
	s_mov_b64 s[36:37], 0
	s_mov_b64 s[24:25], -1
	s_mov_b64 s[40:41], 0
.LBB129_366:                            ;   in Loop: Header=BB129_31 Depth=1
	s_orn2_b64 s[0:1], s[4:5], exec
.LBB129_367:                            ;   in Loop: Header=BB129_31 Depth=1
	s_or_b64 exec, exec, s[42:43]
	s_mov_b64 s[46:47], 0
                                        ; implicit-def: $vgpr6
	s_and_saveexec_b64 s[42:43], s[0:1]
	s_cbranch_execz .LBB129_476
; %bb.368:                              ;   in Loop: Header=BB129_31 Depth=1
	v_mov_b32_e32 v4, 1
	s_xor_b64 s[4:5], s[44:45], -1
	v_mov_b32_e32 v5, 0
	v_mov_b32_e32 v6, 1
	s_and_saveexec_b64 s[0:1], s[4:5]
	s_cbranch_execz .LBB129_378
; %bb.369:                              ;   in Loop: Header=BB129_31 Depth=1
	v_cmp_ge_u64_e32 vcc, s[22:23], v[2:3]
                                        ; implicit-def: $sgpr46
                                        ; implicit-def: $sgpr4_sgpr5
	s_and_saveexec_b64 s[44:45], vcc
	s_xor_b64 s[44:45], exec, s[44:45]
	s_cbranch_execz .LBB129_375
; %bb.370:                              ;   in Loop: Header=BB129_31 Depth=1
	ds_read_b64 v[4:5], v15 offset:5120
	s_waitcnt lgkmcnt(0)
	v_cmp_ne_u64_e32 vcc, 0, v[4:5]
	s_cbranch_vccnz .LBB129_374
; %bb.371:                              ;   in Loop: Header=BB129_31 Depth=1
	s_mov_b64 s[4:5], exec
	v_readlane_b32 s46, v53, 10
	v_readlane_b32 s47, v53, 11
	s_and_b64 s[46:47], s[4:5], s[46:47]
	s_mov_b64 exec, s[46:47]
	s_cbranch_execz .LBB129_373
; %bb.372:                              ;   in Loop: Header=BB129_31 Depth=1
	v_pk_mov_b32 v[4:5], s[22:23], s[22:23] op_sel:[0,1]
	ds_write_b64 v15, v[4:5] offset:5128
.LBB129_373:                            ;   in Loop: Header=BB129_31 Depth=1
	s_or_b64 exec, exec, s[4:5]
	s_waitcnt lgkmcnt(0)
	s_barrier
.LBB129_374:                            ;   in Loop: Header=BB129_31 Depth=1
	v_readlane_b32 s4, v53, 55
	v_and_b32_e32 v4, s4, v42
	v_lshl_or_b32 v42, 2, s31, v4
	v_or_b32_e32 v41, s80, v41
	s_mov_b64 s[4:5], 0
	s_mov_b32 s46, 5
.LBB129_375:                            ;   in Loop: Header=BB129_31 Depth=1
	s_or_saveexec_b64 s[44:45], s[44:45]
	v_mov_b32_e32 v6, s46
	s_xor_b64 exec, exec, s[44:45]
; %bb.376:                              ;   in Loop: Header=BB129_31 Depth=1
	v_mov_b32_e32 v4, s23
	v_subrev_co_u32_e32 v2, vcc, s22, v2
	v_subb_co_u32_e32 v3, vcc, v3, v4, vcc
	v_mov_b32_e32 v6, 0
	s_or_b64 s[4:5], s[4:5], exec
; %bb.377:                              ;   in Loop: Header=BB129_31 Depth=1
	s_or_b64 exec, exec, s[44:45]
	s_and_b64 s[46:47], s[4:5], exec
	v_pk_mov_b32 v[4:5], v[2:3], v[2:3] op_sel:[0,1]
.LBB129_378:                            ;   in Loop: Header=BB129_31 Depth=1
	s_or_b64 exec, exec, s[0:1]
	s_mov_b64 s[0:1], -1
                                        ; implicit-def: $sgpr4_sgpr5
                                        ; implicit-def: $sgpr44_sgpr45
                                        ; implicit-def: $sgpr50_sgpr51
	s_and_saveexec_b64 s[22:23], s[46:47]
	s_cbranch_execz .LBB129_475
; %bb.379:                              ;   in Loop: Header=BB129_31 Depth=1
	s_cmp_eq_u64 s[18:19], 1
	s_cselect_b64 s[0:1], -1, 0
	v_cmp_eq_u64_e32 vcc, 1, v[4:5]
	s_and_b64 s[52:53], s[0:1], vcc
	s_mov_b64 s[4:5], -1
                                        ; implicit-def: $sgpr44_sgpr45
                                        ; implicit-def: $sgpr46_sgpr47
                                        ; implicit-def: $sgpr48_sgpr49
	s_and_saveexec_b64 s[50:51], s[52:53]
	s_cbranch_execz .LBB129_411
; %bb.380:                              ;   in Loop: Header=BB129_31 Depth=1
	ds_read_b64 v[2:3], v15 offset:5120
	s_waitcnt lgkmcnt(0)
	s_barrier
	v_readfirstlane_b32 s0, v2
	v_readfirstlane_b32 s1, v3
	s_mov_b64 s[4:5], exec
	v_readlane_b32 s44, v53, 26
	v_readlane_b32 s45, v53, 27
	s_and_b64 s[44:45], s[4:5], s[44:45]
	s_mov_b64 exec, s[44:45]
	s_cbranch_execz .LBB129_382
; %bb.381:                              ;   in Loop: Header=BB129_31 Depth=1
	ds_write_b8 v0, v15 offset:3072
.LBB129_382:                            ;   in Loop: Header=BB129_31 Depth=1
	s_or_b64 exec, exec, s[4:5]
	v_readlane_b32 s4, v53, 55
	v_and_b32_e32 v2, s4, v42
	v_lshl_or_b32 v42, 1, s31, v2
	v_or_b32_e32 v41, s80, v41
	s_cmp_eq_u64 s[0:1], 0
	s_waitcnt lgkmcnt(0)
	s_barrier
	s_cbranch_scc1 .LBB129_395
; %bb.383:                              ;   in Loop: Header=BB129_31 Depth=1
	v_readlane_b32 s4, v53, 30
	s_add_u32 s46, s4, s0
	v_readlane_b32 s4, v53, 32
	s_addc_u32 s5, s4, s1
	s_mov_b32 s4, s81
	s_cmp_lg_u64 s[4:5], 0
	s_cbranch_scc0 .LBB129_429
; %bb.384:                              ;   in Loop: Header=BB129_31 Depth=1
	v_cvt_f32_u32_e32 v2, s33
	s_sub_u32 s4, 0, s33
	s_subb_u32 s44, 0, 0
	v_mac_f32_e32 v2, 0, v40
	v_rcp_f32_e32 v2, v2
	v_mul_f32_e32 v2, 0x5f7ffffc, v2
	v_mul_f32_e32 v3, 0x2f800000, v2
	v_trunc_f32_e32 v3, v3
	v_mac_f32_e32 v2, 0xcf800000, v3
	v_cvt_u32_f32_e32 v3, v3
	v_cvt_u32_f32_e32 v2, v2
	v_readfirstlane_b32 s45, v3
	v_readfirstlane_b32 s47, v2
	s_mul_i32 s48, s4, s45
	s_mul_hi_u32 s54, s4, s47
	s_mul_i32 s49, s44, s47
	s_add_i32 s48, s54, s48
	s_mul_i32 s55, s4, s47
	s_add_i32 s48, s48, s49
	s_mul_hi_u32 s54, s47, s55
	s_mul_hi_u32 s49, s47, s48
	s_mul_i32 s47, s47, s48
	s_add_u32 s47, s54, s47
	s_addc_u32 s49, 0, s49
	s_mul_hi_u32 s68, s45, s55
	s_mul_i32 s55, s45, s55
	s_add_u32 s47, s47, s55
	s_mul_hi_u32 s54, s45, s48
	s_addc_u32 s47, s49, s68
	s_addc_u32 s49, s54, 0
	s_mul_i32 s48, s45, s48
	s_add_u32 s47, s47, s48
	s_addc_u32 s48, 0, s49
	v_add_co_u32_e32 v2, vcc, s47, v2
	s_cmp_lg_u64 vcc, 0
	s_addc_u32 s45, s45, s48
	v_readfirstlane_b32 s48, v2
	s_mul_i32 s47, s4, s45
	s_mul_hi_u32 s49, s4, s48
	s_add_i32 s47, s49, s47
	s_mul_i32 s44, s44, s48
	s_add_i32 s47, s47, s44
	s_mul_i32 s4, s4, s48
	s_mul_hi_u32 s49, s45, s4
	s_mul_i32 s54, s45, s4
	s_mul_i32 s68, s48, s47
	s_mul_hi_u32 s4, s48, s4
	s_mul_hi_u32 s55, s48, s47
	s_add_u32 s4, s4, s68
	s_addc_u32 s48, 0, s55
	s_add_u32 s4, s4, s54
	s_mul_hi_u32 s44, s45, s47
	s_addc_u32 s4, s48, s49
	s_addc_u32 s44, s44, 0
	s_mul_i32 s47, s45, s47
	s_add_u32 s4, s4, s47
	s_addc_u32 s44, 0, s44
	v_add_co_u32_e32 v2, vcc, s4, v2
	s_cmp_lg_u64 vcc, 0
	s_addc_u32 s4, s45, s44
	v_readfirstlane_b32 s47, v2
	s_mul_i32 s45, s46, s4
	s_mul_hi_u32 s48, s46, s47
	s_mul_hi_u32 s44, s46, s4
	s_add_u32 s45, s48, s45
	s_addc_u32 s44, 0, s44
	s_mul_hi_u32 s49, s5, s47
	s_mul_i32 s47, s5, s47
	s_add_u32 s45, s45, s47
	s_mul_hi_u32 s48, s5, s4
	s_addc_u32 s44, s44, s49
	s_addc_u32 s45, s48, 0
	s_mul_i32 s4, s5, s4
	s_add_u32 s4, s44, s4
	s_addc_u32 s44, 0, s45
	s_mul_hi_u32 s45, s33, s4
	s_mul_i32 s4, s33, s4
	s_mul_i32 s44, s33, s44
	v_mov_b32_e32 v2, s4
	s_add_i32 s45, s45, s44
	v_sub_co_u32_e32 v2, vcc, s46, v2
	s_cmp_lg_u64 vcc, 0
	s_subb_u32 s4, s5, s45
	v_subrev_co_u32_e32 v3, vcc, s33, v2
	s_cmp_lg_u64 vcc, 0
	s_subb_u32 s44, s4, 0
	v_subrev_co_u32_e32 v6, vcc, s33, v3
	s_cmp_lg_u64 vcc, 0
	s_subb_u32 s45, s44, 0
	v_cmp_le_u32_e32 vcc, s33, v3
	s_cmp_eq_u32 s44, 0
	v_cndmask_b32_e64 v7, 0, -1, vcc
	s_cselect_b64 vcc, -1, 0
	v_cndmask_b32_e32 v7, -1, v7, vcc
	v_mov_b32_e32 v8, s44
	v_mov_b32_e32 v9, s45
	v_cmp_ne_u32_e32 vcc, 0, v7
	v_cndmask_b32_e32 v7, v8, v9, vcc
	v_cndmask_b32_e32 v6, v3, v6, vcc
	v_cmp_le_u32_e32 vcc, s33, v2
	s_cmp_eq_u32 s4, 0
	v_cndmask_b32_e64 v3, 0, -1, vcc
	s_cselect_b64 vcc, -1, 0
	v_cndmask_b32_e32 v3, -1, v3, vcc
	v_mov_b32_e32 v8, s4
	v_cmp_ne_u32_e32 vcc, 0, v3
	v_cndmask_b32_e32 v3, v8, v7, vcc
	v_cndmask_b32_e32 v2, v2, v6, vcc
	s_cbranch_execnz .LBB129_386
.LBB129_385:                            ;   in Loop: Header=BB129_31 Depth=1
	v_cvt_f32_u32_e32 v2, s33
	s_sub_i32 s4, 0, s33
	v_rcp_iflag_f32_e32 v2, v2
	v_mul_f32_e32 v2, 0x4f7ffffe, v2
	v_cvt_u32_f32_e32 v2, v2
	v_mul_lo_u32 v3, s4, v2
	v_mul_hi_u32 v3, v2, v3
	v_add_u32_e32 v2, v2, v3
	v_mul_hi_u32 v2, s46, v2
	v_mul_lo_u32 v2, v2, s33
	v_sub_u32_e32 v2, s46, v2
	v_subrev_u32_e32 v3, s33, v2
	v_cmp_le_u32_e32 vcc, s33, v2
	v_cndmask_b32_e32 v2, v2, v3, vcc
	v_subrev_u32_e32 v3, s33, v2
	v_cmp_le_u32_e32 vcc, s33, v2
	v_cndmask_b32_e32 v14, v2, v3, vcc
	v_pk_mov_b32 v[2:3], v[14:15], v[14:15] op_sel:[0,1]
.LBB129_386:                            ;   in Loop: Header=BB129_31 Depth=1
	v_mov_b32_e32 v6, s5
	v_sub_co_u32_e32 v2, vcc, s46, v2
	v_subb_co_u32_e32 v3, vcc, v6, v3, vcc
	v_cmp_gt_u64_e32 vcc, v[2:3], v[0:1]
	s_mov_b64 s[4:5], 0
                                        ; implicit-def: $vgpr43
	s_and_saveexec_b64 s[44:45], vcc
	s_cbranch_execz .LBB129_397
; %bb.387:                              ;   in Loop: Header=BB129_31 Depth=1
	v_mov_b32_e32 v8, v0
	v_pk_mov_b32 v[6:7], v[0:1], v[0:1] op_sel:[0,1]
                                        ; implicit-def: $sgpr46_sgpr47
	s_branch .LBB129_389
.LBB129_388:                            ;   in Loop: Header=BB129_389 Depth=2
	s_or_b64 exec, exec, s[48:49]
	s_waitcnt lgkmcnt(0)
	s_barrier
	ds_read_u16 v9, v15 offset:3072
	v_mov_b32_e32 v14, s64
	v_add_co_u32_e32 v6, vcc, s33, v6
	v_addc_co_u32_e32 v7, vcc, v7, v14, vcc
	s_waitcnt lgkmcnt(0)
	v_cmp_ne_u16_sdwa s[48:49], v9, v15 src0_sel:BYTE_0 src1_sel:DWORD
	v_cmp_ge_u64_e32 vcc, v[6:7], v[2:3]
	s_or_b64 s[54:55], vcc, s[48:49]
	s_and_b64 s[54:55], exec, s[54:55]
	s_or_b64 s[4:5], s[54:55], s[4:5]
	s_andn2_b64 s[46:47], s[46:47], exec
	s_and_b64 s[48:49], s[48:49], exec
	v_add_u32_e32 v8, s33, v8
	s_or_b64 s[46:47], s[46:47], s[48:49]
	s_barrier
	s_andn2_b64 exec, exec, s[4:5]
	s_cbranch_execz .LBB129_396
.LBB129_389:                            ;   Parent Loop BB129_31 Depth=1
                                        ; =>  This Inner Loop Header: Depth=2
	v_cmp_gt_u64_e32 vcc, s[0:1], v[6:7]
	v_mov_b32_e32 v9, 0
	s_and_saveexec_b64 s[48:49], vcc
	s_cbranch_execz .LBB129_391
; %bb.390:                              ;   in Loop: Header=BB129_389 Depth=2
	ds_read_u8 v9, v8
.LBB129_391:                            ;   in Loop: Header=BB129_389 Depth=2
	s_or_b64 exec, exec, s[48:49]
	s_waitcnt lgkmcnt(0)
	v_and_b32_e32 v14, v9, v41
	v_cmp_eq_u32_sdwa s[48:49], v14, v42 src0_sel:BYTE_0 src1_sel:DWORD
	s_and_b64 s[54:55], vcc, s[48:49]
	s_and_saveexec_b64 s[48:49], s[54:55]
	s_cbranch_execz .LBB129_388
; %bb.392:                              ;   in Loop: Header=BB129_389 Depth=2
	v_lshlrev_b16_e32 v9, 8, v9
	v_or_b32_e32 v9, 1, v9
	ds_write_b16 v15, v9 offset:3072
	s_branch .LBB129_388
.LBB129_393:                            ;   in Loop: Header=BB129_31 Depth=1
                                        ; implicit-def: $vgpr4_vgpr5
	s_branch .LBB129_341
.LBB129_394:                            ;   in Loop: Header=BB129_31 Depth=1
                                        ; implicit-def: $vgpr4_vgpr5
	s_branch .LBB129_356
.LBB129_395:                            ;   in Loop: Header=BB129_31 Depth=1
	s_mov_b64 s[44:45], -1
	s_mov_b64 s[4:5], 0
                                        ; implicit-def: $sgpr46_sgpr47
                                        ; implicit-def: $vgpr43
	s_mov_b64 s[48:49], s[44:45]
	s_cbranch_execnz .LBB129_398
	s_branch .LBB129_410
.LBB129_396:                            ;   in Loop: Header=BB129_31 Depth=1
	s_or_b64 exec, exec, s[4:5]
	v_lshrrev_b16_e32 v43, 8, v9
	s_and_b64 s[4:5], s[46:47], exec
.LBB129_397:                            ;   in Loop: Header=BB129_31 Depth=1
	s_or_b64 exec, exec, s[44:45]
	s_mov_b64 s[44:45], 0
	s_mov_b64 s[46:47], -1
	s_mov_b64 s[48:49], s[44:45]
	s_branch .LBB129_410
.LBB129_398:                            ;   in Loop: Header=BB129_31 Depth=1
	v_readlane_b32 s48, v53, 33
	v_readlane_b32 s49, v53, 34
	s_mov_b32 s48, s81
	s_cmp_lg_u64 s[48:49], 0
	v_writelane_b32 v53, s48, 33
	v_writelane_b32 v53, s49, 34
	s_cbranch_scc0 .LBB129_430
; %bb.399:                              ;   in Loop: Header=BB129_31 Depth=1
	v_cvt_f32_u32_e32 v2, s33
	s_sub_u32 s0, 0, s33
	s_subb_u32 s1, 0, 0
	v_mac_f32_e32 v2, 0, v40
	v_rcp_f32_e32 v2, v2
	v_mul_f32_e32 v2, 0x5f7ffffc, v2
	v_mul_f32_e32 v3, 0x2f800000, v2
	v_trunc_f32_e32 v3, v3
	v_mac_f32_e32 v2, 0xcf800000, v3
	v_cvt_u32_f32_e32 v3, v3
	v_cvt_u32_f32_e32 v2, v2
	v_readfirstlane_b32 s4, v3
	v_readfirstlane_b32 s5, v2
	s_mul_i32 s44, s0, s4
	s_mul_hi_u32 s46, s0, s5
	s_mul_i32 s45, s1, s5
	s_add_i32 s44, s46, s44
	s_mul_i32 s47, s0, s5
	s_add_i32 s44, s44, s45
	s_mul_hi_u32 s46, s5, s47
	s_mul_hi_u32 s45, s5, s44
	s_mul_i32 s5, s5, s44
	s_add_u32 s5, s46, s5
	s_addc_u32 s45, 0, s45
	s_mul_hi_u32 s48, s4, s47
	s_mul_i32 s47, s4, s47
	s_add_u32 s5, s5, s47
	s_mul_hi_u32 s46, s4, s44
	s_addc_u32 s5, s45, s48
	s_addc_u32 s45, s46, 0
	s_mul_i32 s44, s4, s44
	s_add_u32 s5, s5, s44
	s_addc_u32 s44, 0, s45
	v_add_co_u32_e32 v2, vcc, s5, v2
	s_cmp_lg_u64 vcc, 0
	s_addc_u32 s4, s4, s44
	v_readfirstlane_b32 s44, v2
	s_mul_i32 s5, s0, s4
	s_mul_hi_u32 s45, s0, s44
	s_add_i32 s5, s45, s5
	s_mul_i32 s1, s1, s44
	s_add_i32 s5, s5, s1
	s_mul_i32 s0, s0, s44
	s_mul_hi_u32 s45, s4, s0
	s_mul_i32 s46, s4, s0
	s_mul_i32 s48, s44, s5
	s_mul_hi_u32 s0, s44, s0
	s_mul_hi_u32 s47, s44, s5
	s_add_u32 s0, s0, s48
	s_addc_u32 s44, 0, s47
	s_add_u32 s0, s0, s46
	s_mul_hi_u32 s1, s4, s5
	s_addc_u32 s0, s44, s45
	s_addc_u32 s1, s1, 0
	s_mul_i32 s5, s4, s5
	s_add_u32 s0, s0, s5
	s_addc_u32 s1, 0, s1
	v_add_co_u32_e32 v2, vcc, s0, v2
	s_cmp_lg_u64 vcc, 0
	s_addc_u32 s0, s4, s1
	v_readlane_b32 s46, v53, 31
	v_readfirstlane_b32 s5, v2
	s_mul_i32 s4, s46, s0
	s_mul_hi_u32 s44, s46, s5
	s_mul_hi_u32 s1, s46, s0
	s_add_u32 s4, s44, s4
	s_addc_u32 s1, 0, s1
	s_mul_hi_u32 s45, s49, s5
	s_mul_i32 s5, s49, s5
	s_add_u32 s4, s4, s5
	s_mul_hi_u32 s44, s49, s0
	s_addc_u32 s1, s1, s45
	s_addc_u32 s4, s44, 0
	s_mul_i32 s0, s49, s0
	s_add_u32 s0, s1, s0
	s_addc_u32 s1, 0, s4
	s_mul_hi_u32 s4, s33, s0
	s_mul_i32 s0, s33, s0
	s_mul_i32 s1, s33, s1
	v_mov_b32_e32 v2, s0
	s_add_i32 s4, s4, s1
	v_sub_co_u32_e32 v2, vcc, s46, v2
	s_cmp_lg_u64 vcc, 0
	s_subb_u32 s0, s49, s4
	v_subrev_co_u32_e32 v3, vcc, s33, v2
	s_cmp_lg_u64 vcc, 0
	s_subb_u32 s1, s0, 0
	v_subrev_co_u32_e32 v6, vcc, s33, v3
	s_cmp_lg_u64 vcc, 0
	s_subb_u32 s4, s1, 0
	v_cmp_le_u32_e32 vcc, s33, v3
	s_cmp_eq_u32 s1, 0
	v_cndmask_b32_e64 v7, 0, -1, vcc
	s_cselect_b64 vcc, -1, 0
	v_cndmask_b32_e32 v7, -1, v7, vcc
	v_mov_b32_e32 v8, s1
	v_mov_b32_e32 v9, s4
	v_cmp_ne_u32_e32 vcc, 0, v7
	v_cndmask_b32_e32 v7, v8, v9, vcc
	v_cndmask_b32_e32 v6, v3, v6, vcc
	v_cmp_le_u32_e32 vcc, s33, v2
	s_cmp_eq_u32 s0, 0
	v_cndmask_b32_e64 v3, 0, -1, vcc
	s_cselect_b64 vcc, -1, 0
	v_cndmask_b32_e32 v3, -1, v3, vcc
	v_mov_b32_e32 v8, s0
	v_cmp_ne_u32_e32 vcc, 0, v3
	v_cndmask_b32_e32 v3, v8, v7, vcc
	v_cndmask_b32_e32 v2, v2, v6, vcc
	s_cbranch_execnz .LBB129_401
.LBB129_400:                            ;   in Loop: Header=BB129_31 Depth=1
	v_cvt_f32_u32_e32 v2, s33
	s_sub_i32 s0, 0, s33
	v_rcp_iflag_f32_e32 v2, v2
	v_mul_f32_e32 v2, 0x4f7ffffe, v2
	v_cvt_u32_f32_e32 v2, v2
	v_mul_lo_u32 v3, s0, v2
	v_mul_hi_u32 v3, v2, v3
	v_add_u32_e32 v2, v2, v3
	v_readlane_b32 s0, v53, 31
	v_mul_hi_u32 v2, s0, v2
	v_mul_lo_u32 v2, v2, s33
	v_sub_u32_e32 v2, s0, v2
	v_subrev_u32_e32 v3, s33, v2
	v_cmp_le_u32_e32 vcc, s33, v2
	v_cndmask_b32_e32 v2, v2, v3, vcc
	v_subrev_u32_e32 v3, s33, v2
	v_cmp_le_u32_e32 vcc, s33, v2
	v_cndmask_b32_e32 v14, v2, v3, vcc
	v_pk_mov_b32 v[2:3], v[14:15], v[14:15] op_sel:[0,1]
.LBB129_401:                            ;   in Loop: Header=BB129_31 Depth=1
	v_readlane_b32 s0, v53, 33
	v_readlane_b32 s1, v53, 34
	v_readlane_b32 s0, v53, 31
	v_mov_b32_e32 v6, s1
	v_sub_co_u32_e32 v2, vcc, s0, v2
	v_subb_co_u32_e32 v3, vcc, v6, v3, vcc
	v_cmp_gt_u64_e32 vcc, v[2:3], v[0:1]
	s_mov_b64 s[4:5], 0
                                        ; implicit-def: $vgpr43
	s_and_saveexec_b64 s[0:1], vcc
	s_cbranch_execz .LBB129_409
; %bb.402:                              ;   in Loop: Header=BB129_31 Depth=1
	v_pk_mov_b32 v[6:7], v[26:27], v[26:27] op_sel:[0,1]
	v_pk_mov_b32 v[8:9], v[0:1], v[0:1] op_sel:[0,1]
                                        ; implicit-def: $sgpr44_sgpr45
	s_branch .LBB129_404
.LBB129_403:                            ;   in Loop: Header=BB129_404 Depth=2
	s_or_b64 exec, exec, s[46:47]
	s_waitcnt lgkmcnt(0)
	s_barrier
	ds_read_u16 v14, v15 offset:3072
	v_mov_b32_e32 v28, s64
	v_add_co_u32_e32 v8, vcc, s33, v8
	v_addc_co_u32_e32 v9, vcc, v9, v28, vcc
	s_waitcnt lgkmcnt(0)
	v_cmp_ne_u16_sdwa s[46:47], v14, v15 src0_sel:BYTE_0 src1_sel:DWORD
	v_cmp_ge_u64_e32 vcc, v[8:9], v[2:3]
	s_or_b64 s[48:49], vcc, s[46:47]
	s_and_b64 s[48:49], exec, s[48:49]
	s_mul_i32 s54, s58, s33
	s_or_b64 s[4:5], s[48:49], s[4:5]
	v_mov_b32_e32 v28, s65
	v_add_co_u32_e32 v6, vcc, s54, v6
	s_andn2_b64 s[44:45], s[44:45], exec
	s_and_b64 s[46:47], s[46:47], exec
	v_addc_co_u32_e32 v7, vcc, v7, v28, vcc
	s_or_b64 s[44:45], s[44:45], s[46:47]
	s_barrier
	s_andn2_b64 exec, exec, s[4:5]
	s_cbranch_execz .LBB129_408
.LBB129_404:                            ;   Parent Loop BB129_31 Depth=1
                                        ; =>  This Inner Loop Header: Depth=2
	v_cmp_gt_u64_e32 vcc, s[60:61], v[8:9]
	v_mov_b32_e32 v14, 0
	s_and_saveexec_b64 s[46:47], vcc
	s_cbranch_execz .LBB129_406
; %bb.405:                              ;   in Loop: Header=BB129_404 Depth=2
	global_load_ubyte v14, v[6:7], off
.LBB129_406:                            ;   in Loop: Header=BB129_404 Depth=2
	s_or_b64 exec, exec, s[46:47]
	s_waitcnt vmcnt(0)
	v_and_b32_e32 v28, v14, v41
	v_cmp_eq_u32_sdwa s[46:47], v28, v42 src0_sel:BYTE_0 src1_sel:DWORD
	s_and_b64 s[48:49], vcc, s[46:47]
	s_and_saveexec_b64 s[46:47], s[48:49]
	s_cbranch_execz .LBB129_403
; %bb.407:                              ;   in Loop: Header=BB129_404 Depth=2
	v_lshlrev_b16_e32 v14, 8, v14
	v_or_b32_e32 v14, 1, v14
	ds_write_b16 v15, v14 offset:3072
	s_branch .LBB129_403
.LBB129_408:                            ;   in Loop: Header=BB129_31 Depth=1
	s_or_b64 exec, exec, s[4:5]
	v_lshrrev_b16_e32 v43, 8, v14
	s_and_b64 s[4:5], s[44:45], exec
.LBB129_409:                            ;   in Loop: Header=BB129_31 Depth=1
	s_or_b64 exec, exec, s[0:1]
	s_mov_b64 s[46:47], 0
	s_mov_b64 s[44:45], -1
	s_mov_b64 s[48:49], 0
.LBB129_410:                            ;   in Loop: Header=BB129_31 Depth=1
	s_orn2_b64 s[4:5], s[4:5], exec
.LBB129_411:                            ;   in Loop: Header=BB129_31 Depth=1
	s_or_b64 exec, exec, s[50:51]
	s_mov_b64 s[0:1], 0
                                        ; implicit-def: $vgpr6
	s_and_saveexec_b64 s[50:51], s[4:5]
	s_cbranch_execz .LBB129_474
; %bb.412:                              ;   in Loop: Header=BB129_31 Depth=1
	v_mov_b32_e32 v2, 1
	s_xor_b64 s[4:5], s[52:53], -1
	s_mov_b64 s[54:55], 0
	v_mov_b32_e32 v3, 0
	v_mov_b32_e32 v6, 1
	s_and_saveexec_b64 s[0:1], s[4:5]
	s_cbranch_execz .LBB129_422
; %bb.413:                              ;   in Loop: Header=BB129_31 Depth=1
	v_cmp_ge_u64_e32 vcc, s[18:19], v[4:5]
                                        ; implicit-def: $sgpr54
                                        ; implicit-def: $sgpr4_sgpr5
	s_and_saveexec_b64 s[52:53], vcc
	s_xor_b64 s[52:53], exec, s[52:53]
	s_cbranch_execz .LBB129_419
; %bb.414:                              ;   in Loop: Header=BB129_31 Depth=1
	ds_read_b64 v[2:3], v15 offset:5120
	s_waitcnt lgkmcnt(0)
	v_cmp_ne_u64_e32 vcc, 0, v[2:3]
	s_cbranch_vccnz .LBB129_418
; %bb.415:                              ;   in Loop: Header=BB129_31 Depth=1
	s_mov_b64 s[4:5], exec
	v_readlane_b32 s54, v53, 10
	v_readlane_b32 s55, v53, 11
	s_and_b64 s[54:55], s[4:5], s[54:55]
	s_mov_b64 exec, s[54:55]
	s_cbranch_execz .LBB129_417
; %bb.416:                              ;   in Loop: Header=BB129_31 Depth=1
	v_pk_mov_b32 v[2:3], s[18:19], s[18:19] op_sel:[0,1]
	ds_write_b64 v15, v[2:3] offset:5128
.LBB129_417:                            ;   in Loop: Header=BB129_31 Depth=1
	s_or_b64 exec, exec, s[4:5]
	s_waitcnt lgkmcnt(0)
	s_barrier
.LBB129_418:                            ;   in Loop: Header=BB129_31 Depth=1
	v_readlane_b32 s4, v53, 55
	v_and_b32_e32 v2, s4, v42
	v_lshl_or_b32 v42, 1, s31, v2
	v_or_b32_e32 v41, s80, v41
	s_mov_b64 s[4:5], 0
	s_mov_b32 s54, 5
.LBB129_419:                            ;   in Loop: Header=BB129_31 Depth=1
	s_or_saveexec_b64 s[52:53], s[52:53]
	v_mov_b32_e32 v6, s54
	s_xor_b64 exec, exec, s[52:53]
; %bb.420:                              ;   in Loop: Header=BB129_31 Depth=1
	v_mov_b32_e32 v2, s19
	v_subrev_co_u32_e32 v4, vcc, s18, v4
	v_subb_co_u32_e32 v5, vcc, v5, v2, vcc
	v_mov_b32_e32 v6, 0
	s_or_b64 s[4:5], s[4:5], exec
; %bb.421:                              ;   in Loop: Header=BB129_31 Depth=1
	s_or_b64 exec, exec, s[52:53]
	s_and_b64 s[54:55], s[4:5], exec
	v_pk_mov_b32 v[2:3], v[4:5], v[4:5] op_sel:[0,1]
.LBB129_422:                            ;   in Loop: Header=BB129_31 Depth=1
	s_or_b64 exec, exec, s[0:1]
	s_mov_b64 s[52:53], -1
                                        ; implicit-def: $sgpr0_sgpr1
                                        ; implicit-def: $sgpr4_sgpr5
                                        ; implicit-def: $sgpr68_sgpr69
	s_and_saveexec_b64 s[18:19], s[54:55]
	s_cbranch_execz .LBB129_473
; %bb.423:                              ;   in Loop: Header=BB129_31 Depth=1
	s_cmp_eq_u64 s[16:17], 1
	s_cselect_b64 s[0:1], -1, 0
	v_cmp_eq_u64_e32 vcc, 1, v[2:3]
	s_and_b64 s[52:53], s[0:1], vcc
	s_mov_b64 s[84:85], -1
                                        ; implicit-def: $sgpr0_sgpr1
                                        ; implicit-def: $sgpr4_sgpr5
                                        ; implicit-def: $sgpr68_sgpr69
	s_and_saveexec_b64 s[54:55], s[52:53]
	s_cbranch_execz .LBB129_460
; %bb.424:                              ;   in Loop: Header=BB129_31 Depth=1
	ds_read_b64 v[4:5], v15 offset:5120
	s_waitcnt lgkmcnt(0)
	s_barrier
	v_readfirstlane_b32 s0, v4
	v_readfirstlane_b32 s1, v5
	s_mov_b64 s[4:5], exec
	v_readlane_b32 s68, v53, 26
	v_readlane_b32 s69, v53, 27
	s_and_b64 s[68:69], s[4:5], s[68:69]
	s_mov_b64 exec, s[68:69]
	s_cbranch_execz .LBB129_426
; %bb.425:                              ;   in Loop: Header=BB129_31 Depth=1
	ds_write_b8 v0, v15 offset:3072
.LBB129_426:                            ;   in Loop: Header=BB129_31 Depth=1
	s_or_b64 exec, exec, s[4:5]
	v_readlane_b32 s4, v53, 55
	v_and_b32_e32 v42, s4, v42
	v_or_b32_e32 v41, s80, v41
	s_cmp_eq_u64 s[0:1], 0
	s_waitcnt lgkmcnt(0)
	s_barrier
	s_cbranch_scc1 .LBB129_431
; %bb.427:                              ;   in Loop: Header=BB129_31 Depth=1
	v_readlane_b32 s4, v53, 30
	s_add_u32 s31, s4, s0
	v_readlane_b32 s4, v53, 32
	s_addc_u32 s5, s4, s1
	s_mov_b32 s4, s81
	s_cmp_lg_u64 s[4:5], 0
	s_cbranch_scc0 .LBB129_432
; %bb.428:                              ;   in Loop: Header=BB129_31 Depth=1
	v_cvt_f32_u32_e32 v4, s33
	s_sub_u32 s4, 0, s33
	s_subb_u32 s68, 0, 0
	v_mac_f32_e32 v4, 0, v40
	v_rcp_f32_e32 v4, v4
	v_mul_f32_e32 v4, 0x5f7ffffc, v4
	v_mul_f32_e32 v5, 0x2f800000, v4
	v_trunc_f32_e32 v5, v5
	v_mac_f32_e32 v4, 0xcf800000, v5
	v_cvt_u32_f32_e32 v5, v5
	v_cvt_u32_f32_e32 v4, v4
	v_readfirstlane_b32 s69, v5
	v_readfirstlane_b32 s84, v4
	s_mul_i32 s85, s4, s69
	s_mul_hi_u32 s87, s4, s84
	s_mul_i32 s86, s68, s84
	s_add_i32 s85, s87, s85
	s_mul_i32 s90, s4, s84
	s_add_i32 s85, s85, s86
	s_mul_hi_u32 s87, s84, s90
	s_mul_hi_u32 s86, s84, s85
	s_mul_i32 s84, s84, s85
	s_add_u32 s84, s87, s84
	s_addc_u32 s86, 0, s86
	s_mul_hi_u32 s91, s69, s90
	s_mul_i32 s90, s69, s90
	s_add_u32 s84, s84, s90
	s_mul_hi_u32 s87, s69, s85
	s_addc_u32 s84, s86, s91
	s_addc_u32 s86, s87, 0
	s_mul_i32 s85, s69, s85
	s_add_u32 s84, s84, s85
	s_addc_u32 s85, 0, s86
	v_add_co_u32_e32 v4, vcc, s84, v4
	s_cmp_lg_u64 vcc, 0
	s_addc_u32 s69, s69, s85
	v_readfirstlane_b32 s85, v4
	s_mul_i32 s84, s4, s69
	s_mul_hi_u32 s86, s4, s85
	s_add_i32 s84, s86, s84
	s_mul_i32 s68, s68, s85
	s_add_i32 s84, s84, s68
	s_mul_i32 s4, s4, s85
	s_mul_hi_u32 s86, s69, s4
	s_mul_i32 s87, s69, s4
	s_mul_i32 s91, s85, s84
	s_mul_hi_u32 s4, s85, s4
	s_mul_hi_u32 s90, s85, s84
	s_add_u32 s4, s4, s91
	s_addc_u32 s85, 0, s90
	s_add_u32 s4, s4, s87
	s_mul_hi_u32 s68, s69, s84
	s_addc_u32 s4, s85, s86
	s_addc_u32 s68, s68, 0
	s_mul_i32 s84, s69, s84
	s_add_u32 s4, s4, s84
	s_addc_u32 s68, 0, s68
	v_add_co_u32_e32 v4, vcc, s4, v4
	s_cmp_lg_u64 vcc, 0
	s_addc_u32 s4, s69, s68
	v_readfirstlane_b32 s84, v4
	s_mul_i32 s69, s31, s4
	s_mul_hi_u32 s85, s31, s84
	s_mul_hi_u32 s68, s31, s4
	s_add_u32 s69, s85, s69
	s_addc_u32 s68, 0, s68
	s_mul_hi_u32 s86, s5, s84
	s_mul_i32 s84, s5, s84
	s_add_u32 s69, s69, s84
	s_mul_hi_u32 s85, s5, s4
	s_addc_u32 s68, s68, s86
	s_addc_u32 s69, s85, 0
	s_mul_i32 s4, s5, s4
	s_add_u32 s4, s68, s4
	s_addc_u32 s68, 0, s69
	s_mul_hi_u32 s69, s33, s4
	s_mul_i32 s4, s33, s4
	s_mul_i32 s68, s33, s68
	v_mov_b32_e32 v4, s4
	s_add_i32 s69, s69, s68
	v_sub_co_u32_e32 v4, vcc, s31, v4
	s_cmp_lg_u64 vcc, 0
	s_subb_u32 s4, s5, s69
	v_subrev_co_u32_e32 v5, vcc, s33, v4
	s_cmp_lg_u64 vcc, 0
	s_subb_u32 s68, s4, 0
	v_subrev_co_u32_e32 v6, vcc, s33, v5
	s_cmp_lg_u64 vcc, 0
	s_subb_u32 s69, s68, 0
	v_cmp_le_u32_e32 vcc, s33, v5
	s_cmp_eq_u32 s68, 0
	v_cndmask_b32_e64 v7, 0, -1, vcc
	s_cselect_b64 vcc, -1, 0
	v_cndmask_b32_e32 v7, -1, v7, vcc
	v_mov_b32_e32 v8, s68
	v_mov_b32_e32 v9, s69
	v_cmp_ne_u32_e32 vcc, 0, v7
	v_cndmask_b32_e32 v7, v8, v9, vcc
	v_cndmask_b32_e32 v6, v5, v6, vcc
	v_cmp_le_u32_e32 vcc, s33, v4
	s_cmp_eq_u32 s4, 0
	v_cndmask_b32_e64 v5, 0, -1, vcc
	s_cselect_b64 vcc, -1, 0
	v_cndmask_b32_e32 v5, -1, v5, vcc
	v_mov_b32_e32 v8, s4
	v_cmp_ne_u32_e32 vcc, 0, v5
	v_cndmask_b32_e32 v5, v8, v7, vcc
	v_cndmask_b32_e32 v4, v4, v6, vcc
	s_mov_b64 s[68:69], 0
	s_branch .LBB129_433
.LBB129_429:                            ;   in Loop: Header=BB129_31 Depth=1
                                        ; implicit-def: $vgpr2_vgpr3
	s_branch .LBB129_385
.LBB129_430:                            ;   in Loop: Header=BB129_31 Depth=1
                                        ; implicit-def: $vgpr2_vgpr3
	s_branch .LBB129_400
.LBB129_431:                            ;   in Loop: Header=BB129_31 Depth=1
	s_mov_b64 s[0:1], -1
	s_mov_b64 s[84:85], 0
                                        ; implicit-def: $sgpr4_sgpr5
                                        ; implicit-def: $vgpr43
	s_branch .LBB129_444
.LBB129_432:                            ;   in Loop: Header=BB129_31 Depth=1
	s_mov_b64 s[68:69], -1
                                        ; implicit-def: $vgpr4_vgpr5
.LBB129_433:                            ;   in Loop: Header=BB129_31 Depth=1
	s_andn2_b64 vcc, exec, s[68:69]
	s_cbranch_vccnz .LBB129_435
; %bb.434:                              ;   in Loop: Header=BB129_31 Depth=1
	v_cvt_f32_u32_e32 v4, s33
	s_sub_i32 s4, 0, s33
	v_rcp_iflag_f32_e32 v4, v4
	v_mul_f32_e32 v4, 0x4f7ffffe, v4
	v_cvt_u32_f32_e32 v4, v4
	v_mul_lo_u32 v5, s4, v4
	v_mul_hi_u32 v5, v4, v5
	v_add_u32_e32 v4, v4, v5
	v_mul_hi_u32 v4, s31, v4
	v_mul_lo_u32 v4, v4, s33
	v_sub_u32_e32 v4, s31, v4
	v_subrev_u32_e32 v5, s33, v4
	v_cmp_le_u32_e32 vcc, s33, v4
	v_cndmask_b32_e32 v4, v4, v5, vcc
	v_subrev_u32_e32 v5, s33, v4
	v_cmp_le_u32_e32 vcc, s33, v4
	v_cndmask_b32_e32 v14, v4, v5, vcc
	v_pk_mov_b32 v[4:5], v[14:15], v[14:15] op_sel:[0,1]
.LBB129_435:                            ;   in Loop: Header=BB129_31 Depth=1
	v_mov_b32_e32 v6, s5
	v_sub_co_u32_e32 v4, vcc, s31, v4
	v_subb_co_u32_e32 v5, vcc, v6, v5, vcc
	v_cmp_gt_u64_e32 vcc, v[4:5], v[0:1]
	s_mov_b64 s[84:85], 0
                                        ; implicit-def: $vgpr43
	s_and_saveexec_b64 s[4:5], vcc
	s_cbranch_execz .LBB129_443
; %bb.436:                              ;   in Loop: Header=BB129_31 Depth=1
	s_mov_b64 s[68:69], 0
	v_mov_b32_e32 v8, v0
	v_pk_mov_b32 v[6:7], v[0:1], v[0:1] op_sel:[0,1]
                                        ; implicit-def: $sgpr84_sgpr85
	s_branch .LBB129_438
.LBB129_437:                            ;   in Loop: Header=BB129_438 Depth=2
	s_or_b64 exec, exec, s[86:87]
	s_waitcnt lgkmcnt(0)
	s_barrier
	ds_read_u16 v9, v15 offset:3072
	v_mov_b32_e32 v14, s64
	v_add_co_u32_e32 v6, vcc, s33, v6
	v_addc_co_u32_e32 v7, vcc, v7, v14, vcc
	s_waitcnt lgkmcnt(0)
	v_cmp_ne_u16_sdwa s[86:87], v9, v15 src0_sel:BYTE_0 src1_sel:DWORD
	v_cmp_ge_u64_e32 vcc, v[6:7], v[4:5]
	s_or_b64 s[90:91], vcc, s[86:87]
	s_and_b64 s[90:91], exec, s[90:91]
	s_or_b64 s[68:69], s[90:91], s[68:69]
	s_andn2_b64 s[84:85], s[84:85], exec
	s_and_b64 s[86:87], s[86:87], exec
	v_add_u32_e32 v8, s33, v8
	s_or_b64 s[84:85], s[84:85], s[86:87]
	s_barrier
	s_andn2_b64 exec, exec, s[68:69]
	s_cbranch_execz .LBB129_442
.LBB129_438:                            ;   Parent Loop BB129_31 Depth=1
                                        ; =>  This Inner Loop Header: Depth=2
	v_cmp_gt_u64_e32 vcc, s[0:1], v[6:7]
	v_mov_b32_e32 v9, 0
	s_and_saveexec_b64 s[86:87], vcc
	s_cbranch_execz .LBB129_440
; %bb.439:                              ;   in Loop: Header=BB129_438 Depth=2
	ds_read_u8 v9, v8
.LBB129_440:                            ;   in Loop: Header=BB129_438 Depth=2
	s_or_b64 exec, exec, s[86:87]
	s_waitcnt lgkmcnt(0)
	v_and_b32_e32 v14, v9, v41
	v_cmp_eq_u32_sdwa s[86:87], v14, v42 src0_sel:BYTE_0 src1_sel:DWORD
	s_and_b64 s[90:91], vcc, s[86:87]
	s_and_saveexec_b64 s[86:87], s[90:91]
	s_cbranch_execz .LBB129_437
; %bb.441:                              ;   in Loop: Header=BB129_438 Depth=2
	v_lshlrev_b16_e32 v9, 8, v9
	v_or_b32_e32 v9, 1, v9
	ds_write_b16 v15, v9 offset:3072
	s_branch .LBB129_437
.LBB129_442:                            ;   in Loop: Header=BB129_31 Depth=1
	s_or_b64 exec, exec, s[68:69]
	v_lshrrev_b16_e32 v43, 8, v9
	s_and_b64 s[84:85], s[84:85], exec
.LBB129_443:                            ;   in Loop: Header=BB129_31 Depth=1
	s_or_b64 exec, exec, s[4:5]
	s_mov_b64 s[0:1], 0
	s_mov_b64 s[4:5], -1
.LBB129_444:                            ;   in Loop: Header=BB129_31 Depth=1
	s_and_b64 vcc, exec, s[0:1]
	s_mov_b64 s[68:69], s[0:1]
	s_cbranch_vccz .LBB129_459
; %bb.445:                              ;   in Loop: Header=BB129_31 Depth=1
	v_readlane_b32 s86, v53, 33
	v_readlane_b32 s87, v53, 34
	s_mov_b32 s86, s81
	s_cmp_lg_u64 s[86:87], 0
	v_writelane_b32 v53, s86, 33
	v_writelane_b32 v53, s87, 34
	s_cbranch_scc0 .LBB129_447
; %bb.446:                              ;   in Loop: Header=BB129_31 Depth=1
	v_cvt_f32_u32_e32 v4, s33
	s_sub_u32 s0, 0, s33
	s_subb_u32 s1, 0, 0
	v_mac_f32_e32 v4, 0, v40
	v_rcp_f32_e32 v4, v4
	v_mul_f32_e32 v4, 0x5f7ffffc, v4
	v_mul_f32_e32 v5, 0x2f800000, v4
	v_trunc_f32_e32 v5, v5
	v_mac_f32_e32 v4, 0xcf800000, v5
	v_cvt_u32_f32_e32 v5, v5
	v_cvt_u32_f32_e32 v4, v4
	v_readfirstlane_b32 s4, v5
	v_readfirstlane_b32 s5, v4
	s_mul_i32 s31, s0, s4
	s_mul_hi_u32 s69, s0, s5
	s_mul_i32 s68, s1, s5
	s_add_i32 s31, s69, s31
	s_mul_i32 s84, s0, s5
	s_add_i32 s31, s31, s68
	s_mul_hi_u32 s69, s5, s84
	s_mul_hi_u32 s68, s5, s31
	s_mul_i32 s5, s5, s31
	s_add_u32 s5, s69, s5
	s_addc_u32 s68, 0, s68
	s_mul_hi_u32 s85, s4, s84
	s_mul_i32 s84, s4, s84
	s_add_u32 s5, s5, s84
	s_mul_hi_u32 s69, s4, s31
	s_addc_u32 s5, s68, s85
	s_addc_u32 s68, s69, 0
	s_mul_i32 s31, s4, s31
	s_add_u32 s5, s5, s31
	s_addc_u32 s31, 0, s68
	v_add_co_u32_e32 v4, vcc, s5, v4
	s_cmp_lg_u64 vcc, 0
	s_addc_u32 s4, s4, s31
	v_readfirstlane_b32 s31, v4
	s_mul_i32 s5, s0, s4
	s_mul_hi_u32 s68, s0, s31
	s_add_i32 s5, s68, s5
	s_mul_i32 s1, s1, s31
	s_add_i32 s5, s5, s1
	s_mul_i32 s0, s0, s31
	s_mul_hi_u32 s68, s4, s0
	s_mul_i32 s69, s4, s0
	s_mul_i32 s85, s31, s5
	s_mul_hi_u32 s0, s31, s0
	s_mul_hi_u32 s84, s31, s5
	s_add_u32 s0, s0, s85
	s_addc_u32 s31, 0, s84
	s_add_u32 s0, s0, s69
	s_mul_hi_u32 s1, s4, s5
	s_addc_u32 s0, s31, s68
	s_addc_u32 s1, s1, 0
	s_mul_i32 s5, s4, s5
	s_add_u32 s0, s0, s5
	s_addc_u32 s1, 0, s1
	v_add_co_u32_e32 v4, vcc, s0, v4
	s_cmp_lg_u64 vcc, 0
	s_addc_u32 s0, s4, s1
	v_readlane_b32 s69, v53, 31
	v_readfirstlane_b32 s5, v4
	s_mul_i32 s4, s69, s0
	s_mul_hi_u32 s31, s69, s5
	s_mul_hi_u32 s1, s69, s0
	s_add_u32 s4, s31, s4
	s_addc_u32 s1, 0, s1
	s_mul_hi_u32 s68, s87, s5
	s_mul_i32 s5, s87, s5
	s_add_u32 s4, s4, s5
	s_mul_hi_u32 s31, s87, s0
	s_addc_u32 s1, s1, s68
	s_addc_u32 s4, s31, 0
	s_mul_i32 s0, s87, s0
	s_add_u32 s0, s1, s0
	s_addc_u32 s1, 0, s4
	s_mul_hi_u32 s4, s33, s0
	s_mul_i32 s0, s33, s0
	s_mul_i32 s1, s33, s1
	v_mov_b32_e32 v4, s0
	s_add_i32 s4, s4, s1
	v_sub_co_u32_e32 v4, vcc, s69, v4
	s_cmp_lg_u64 vcc, 0
	s_subb_u32 s0, s87, s4
	v_subrev_co_u32_e32 v5, vcc, s33, v4
	s_cmp_lg_u64 vcc, 0
	s_subb_u32 s1, s0, 0
	v_subrev_co_u32_e32 v6, vcc, s33, v5
	s_cmp_lg_u64 vcc, 0
	s_subb_u32 s4, s1, 0
	v_cmp_le_u32_e32 vcc, s33, v5
	s_cmp_eq_u32 s1, 0
	v_cndmask_b32_e64 v7, 0, -1, vcc
	s_cselect_b64 vcc, -1, 0
	v_cndmask_b32_e32 v7, -1, v7, vcc
	v_mov_b32_e32 v8, s1
	v_mov_b32_e32 v9, s4
	v_cmp_ne_u32_e32 vcc, 0, v7
	v_cndmask_b32_e32 v7, v8, v9, vcc
	v_cndmask_b32_e32 v6, v5, v6, vcc
	v_cmp_le_u32_e32 vcc, s33, v4
	s_cmp_eq_u32 s0, 0
	v_cndmask_b32_e64 v5, 0, -1, vcc
	s_cselect_b64 vcc, -1, 0
	v_cndmask_b32_e32 v5, -1, v5, vcc
	v_mov_b32_e32 v8, s0
	v_cmp_ne_u32_e32 vcc, 0, v5
	v_cndmask_b32_e32 v5, v8, v7, vcc
	v_cndmask_b32_e32 v4, v4, v6, vcc
	s_mov_b64 s[0:1], 0
	s_branch .LBB129_448
.LBB129_447:                            ;   in Loop: Header=BB129_31 Depth=1
	s_mov_b64 s[0:1], -1
                                        ; implicit-def: $vgpr4_vgpr5
.LBB129_448:                            ;   in Loop: Header=BB129_31 Depth=1
	s_andn2_b64 vcc, exec, s[0:1]
	s_cbranch_vccnz .LBB129_450
; %bb.449:                              ;   in Loop: Header=BB129_31 Depth=1
	v_cvt_f32_u32_e32 v4, s33
	s_sub_i32 s0, 0, s33
	v_rcp_iflag_f32_e32 v4, v4
	v_mul_f32_e32 v4, 0x4f7ffffe, v4
	v_cvt_u32_f32_e32 v4, v4
	v_mul_lo_u32 v5, s0, v4
	v_mul_hi_u32 v5, v4, v5
	v_add_u32_e32 v4, v4, v5
	v_readlane_b32 s0, v53, 31
	v_mul_hi_u32 v4, s0, v4
	v_mul_lo_u32 v4, v4, s33
	v_sub_u32_e32 v4, s0, v4
	v_subrev_u32_e32 v5, s33, v4
	v_cmp_le_u32_e32 vcc, s33, v4
	v_cndmask_b32_e32 v4, v4, v5, vcc
	v_subrev_u32_e32 v5, s33, v4
	v_cmp_le_u32_e32 vcc, s33, v4
	v_cndmask_b32_e32 v14, v4, v5, vcc
	v_pk_mov_b32 v[4:5], v[14:15], v[14:15] op_sel:[0,1]
.LBB129_450:                            ;   in Loop: Header=BB129_31 Depth=1
	v_readlane_b32 s0, v53, 33
	v_readlane_b32 s1, v53, 34
	;; [unrolled: 1-line block ×3, first 2 shown]
	v_mov_b32_e32 v6, s1
	v_sub_co_u32_e32 v4, vcc, s0, v4
	v_subb_co_u32_e32 v5, vcc, v6, v5, vcc
	v_cmp_gt_u64_e32 vcc, v[4:5], v[0:1]
	s_mov_b64 s[84:85], 0
                                        ; implicit-def: $vgpr43
	s_and_saveexec_b64 s[0:1], vcc
	s_cbranch_execz .LBB129_458
; %bb.451:                              ;   in Loop: Header=BB129_31 Depth=1
	s_mov_b64 s[4:5], 0
	v_pk_mov_b32 v[6:7], v[26:27], v[26:27] op_sel:[0,1]
	v_pk_mov_b32 v[8:9], v[0:1], v[0:1] op_sel:[0,1]
                                        ; implicit-def: $sgpr68_sgpr69
	s_branch .LBB129_453
.LBB129_452:                            ;   in Loop: Header=BB129_453 Depth=2
	s_or_b64 exec, exec, s[84:85]
	s_waitcnt lgkmcnt(0)
	s_barrier
	ds_read_u16 v14, v15 offset:3072
	v_mov_b32_e32 v28, s64
	v_add_co_u32_e32 v8, vcc, s33, v8
	v_addc_co_u32_e32 v9, vcc, v9, v28, vcc
	s_waitcnt lgkmcnt(0)
	v_cmp_ne_u16_sdwa s[84:85], v14, v15 src0_sel:BYTE_0 src1_sel:DWORD
	v_cmp_ge_u64_e32 vcc, v[8:9], v[4:5]
	s_or_b64 s[86:87], vcc, s[84:85]
	s_and_b64 s[86:87], exec, s[86:87]
	s_mul_i32 s31, s58, s33
	s_or_b64 s[4:5], s[86:87], s[4:5]
	v_mov_b32_e32 v28, s65
	v_add_co_u32_e32 v6, vcc, s31, v6
	s_andn2_b64 s[68:69], s[68:69], exec
	s_and_b64 s[84:85], s[84:85], exec
	v_addc_co_u32_e32 v7, vcc, v7, v28, vcc
	s_or_b64 s[68:69], s[68:69], s[84:85]
	s_barrier
	s_andn2_b64 exec, exec, s[4:5]
	s_cbranch_execz .LBB129_457
.LBB129_453:                            ;   Parent Loop BB129_31 Depth=1
                                        ; =>  This Inner Loop Header: Depth=2
	v_cmp_gt_u64_e32 vcc, s[60:61], v[8:9]
	v_mov_b32_e32 v14, 0
	s_and_saveexec_b64 s[84:85], vcc
	s_cbranch_execz .LBB129_455
; %bb.454:                              ;   in Loop: Header=BB129_453 Depth=2
	global_load_ubyte v14, v[6:7], off
.LBB129_455:                            ;   in Loop: Header=BB129_453 Depth=2
	s_or_b64 exec, exec, s[84:85]
	s_waitcnt vmcnt(0)
	v_and_b32_e32 v28, v14, v41
	v_cmp_eq_u32_sdwa s[84:85], v28, v42 src0_sel:BYTE_0 src1_sel:DWORD
	s_and_b64 s[86:87], vcc, s[84:85]
	s_and_saveexec_b64 s[84:85], s[86:87]
	s_cbranch_execz .LBB129_452
; %bb.456:                              ;   in Loop: Header=BB129_453 Depth=2
	v_lshlrev_b16_e32 v14, 8, v14
	v_or_b32_e32 v14, 1, v14
	ds_write_b16 v15, v14 offset:3072
	s_branch .LBB129_452
.LBB129_457:                            ;   in Loop: Header=BB129_31 Depth=1
	s_or_b64 exec, exec, s[4:5]
	v_lshrrev_b16_e32 v43, 8, v14
	s_and_b64 s[84:85], s[68:69], exec
.LBB129_458:                            ;   in Loop: Header=BB129_31 Depth=1
	s_or_b64 exec, exec, s[0:1]
	s_mov_b64 s[4:5], 0
	s_mov_b64 s[0:1], -1
	s_mov_b64 s[68:69], 0
.LBB129_459:                            ;   in Loop: Header=BB129_31 Depth=1
	s_orn2_b64 s[84:85], s[84:85], exec
.LBB129_460:                            ;   in Loop: Header=BB129_31 Depth=1
	s_or_b64 exec, exec, s[54:55]
	s_mov_b64 s[86:87], 0
                                        ; implicit-def: $vgpr6
                                        ; implicit-def: $vgpr4_vgpr5
	s_and_saveexec_b64 s[54:55], s[84:85]
	s_cbranch_execz .LBB129_472
; %bb.461:                              ;   in Loop: Header=BB129_31 Depth=1
	v_mov_b32_e32 v4, 1
	s_xor_b64 s[84:85], s[52:53], -1
	v_mov_b32_e32 v6, 1
	v_mov_b32_e32 v5, 0
	s_and_saveexec_b64 s[52:53], s[84:85]
	s_cbranch_execz .LBB129_471
; %bb.462:                              ;   in Loop: Header=BB129_31 Depth=1
	v_cmp_ge_u64_e32 vcc, s[16:17], v[2:3]
                                        ; implicit-def: $sgpr31
	s_and_saveexec_b64 s[84:85], vcc
	s_xor_b64 s[84:85], exec, s[84:85]
	s_cbranch_execz .LBB129_468
; %bb.463:                              ;   in Loop: Header=BB129_31 Depth=1
	ds_read_b64 v[4:5], v15 offset:5120
	s_waitcnt lgkmcnt(0)
	v_cmp_ne_u64_e32 vcc, 0, v[4:5]
	s_cbranch_vccnz .LBB129_467
; %bb.464:                              ;   in Loop: Header=BB129_31 Depth=1
	s_mov_b64 s[86:87], exec
	v_readlane_b32 s90, v53, 10
	v_readlane_b32 s91, v53, 11
	s_and_b64 s[90:91], s[86:87], s[90:91]
	s_mov_b64 exec, s[90:91]
	s_cbranch_execz .LBB129_466
; %bb.465:                              ;   in Loop: Header=BB129_31 Depth=1
	v_pk_mov_b32 v[4:5], s[16:17], s[16:17] op_sel:[0,1]
	ds_write_b64 v15, v[4:5] offset:5128
.LBB129_466:                            ;   in Loop: Header=BB129_31 Depth=1
	s_or_b64 exec, exec, s[86:87]
	s_waitcnt lgkmcnt(0)
	s_barrier
.LBB129_467:                            ;   in Loop: Header=BB129_31 Depth=1
	v_readlane_b32 s31, v53, 55
	v_and_b32_e32 v42, s31, v42
	v_or_b32_e32 v41, s80, v41
	s_mov_b32 s31, 5
.LBB129_468:                            ;   in Loop: Header=BB129_31 Depth=1
	s_or_saveexec_b64 s[84:85], s[84:85]
	v_mov_b32_e32 v6, s31
	s_xor_b64 exec, exec, s[84:85]
; %bb.469:                              ;   in Loop: Header=BB129_31 Depth=1
	v_mov_b32_e32 v4, s17
	v_subrev_co_u32_e32 v2, vcc, s16, v2
	v_subb_co_u32_e32 v3, vcc, v3, v4, vcc
	v_mov_b32_e32 v6, 5
; %bb.470:                              ;   in Loop: Header=BB129_31 Depth=1
	s_or_b64 exec, exec, s[84:85]
	v_pk_mov_b32 v[4:5], v[2:3], v[2:3] op_sel:[0,1]
.LBB129_471:                            ;   in Loop: Header=BB129_31 Depth=1
	s_or_b64 exec, exec, s[52:53]
	s_mov_b64 s[86:87], exec
.LBB129_472:                            ;   in Loop: Header=BB129_31 Depth=1
	s_or_b64 exec, exec, s[54:55]
	s_orn2_b64 s[52:53], s[86:87], exec
	v_pk_mov_b32 v[2:3], v[4:5], v[4:5] op_sel:[0,1]
.LBB129_473:                            ;   in Loop: Header=BB129_31 Depth=1
	s_or_b64 exec, exec, s[18:19]
	s_andn2_b64 s[16:17], s[44:45], exec
	s_and_b64 s[0:1], s[0:1], exec
	s_or_b64 s[44:45], s[16:17], s[0:1]
	s_andn2_b64 s[0:1], s[46:47], exec
	s_and_b64 s[4:5], s[4:5], exec
	s_or_b64 s[46:47], s[0:1], s[4:5]
	;; [unrolled: 3-line block ×3, first 2 shown]
	s_and_b64 s[0:1], s[52:53], exec
	v_pk_mov_b32 v[4:5], v[2:3], v[2:3] op_sel:[0,1]
.LBB129_474:                            ;   in Loop: Header=BB129_31 Depth=1
	s_or_b64 exec, exec, s[50:51]
	s_and_b64 s[50:51], s[44:45], exec
	s_and_b64 s[44:45], s[46:47], exec
	;; [unrolled: 1-line block ×3, first 2 shown]
	s_orn2_b64 s[0:1], s[0:1], exec
.LBB129_475:                            ;   in Loop: Header=BB129_31 Depth=1
	s_or_b64 exec, exec, s[22:23]
	s_andn2_b64 s[16:17], s[24:25], exec
	s_and_b64 s[18:19], s[50:51], exec
	s_or_b64 s[24:25], s[16:17], s[18:19]
	s_andn2_b64 s[16:17], s[36:37], exec
	s_and_b64 s[18:19], s[44:45], exec
	s_or_b64 s[36:37], s[16:17], s[18:19]
	s_andn2_b64 s[16:17], s[40:41], exec
	s_and_b64 s[4:5], s[4:5], exec
	s_or_b64 s[40:41], s[16:17], s[4:5]
	s_and_b64 s[46:47], s[0:1], exec
	v_pk_mov_b32 v[2:3], v[4:5], v[4:5] op_sel:[0,1]
.LBB129_476:                            ;   in Loop: Header=BB129_31 Depth=1
	s_or_b64 exec, exec, s[42:43]
	s_and_b64 s[24:25], s[24:25], exec
	s_and_b64 s[4:5], s[36:37], exec
	;; [unrolled: 1-line block ×3, first 2 shown]
	s_orn2_b64 s[36:37], s[46:47], exec
.LBB129_477:                            ;   in Loop: Header=BB129_31 Depth=1
	s_or_b64 exec, exec, s[6:7]
	s_mov_b64 s[6:7], s[28:29]
	s_mov_b64 s[16:17], s[26:27]
	s_and_saveexec_b64 s[18:19], s[36:37]
; %bb.478:                              ;   in Loop: Header=BB129_31 Depth=1
	v_cmp_ne_u32_e64 s[6:7], 5, v6
	v_cmp_eq_u32_e32 vcc, 5, v6
	s_andn2_b64 s[16:17], s[26:27], exec
	s_and_b64 s[6:7], s[6:7], exec
	s_or_b64 s[16:17], s[16:17], s[6:7]
	s_andn2_b64 s[6:7], s[28:29], exec
	s_and_b64 s[22:23], vcc, exec
	s_andn2_b64 s[24:25], s[24:25], exec
	s_andn2_b64 s[4:5], s[4:5], exec
	s_andn2_b64 s[0:1], s[0:1], exec
	s_or_b64 s[6:7], s[6:7], s[22:23]
; %bb.479:                              ;   in Loop: Header=BB129_31 Depth=1
	s_or_b64 exec, exec, s[18:19]
	s_andn2_b64 s[14:15], s[14:15], exec
	s_and_b64 s[18:19], s[24:25], exec
	s_or_b64 s[14:15], s[14:15], s[18:19]
	s_andn2_b64 s[18:19], s[38:39], exec
	s_and_b64 s[4:5], s[4:5], exec
	s_or_b64 s[38:39], s[18:19], s[4:5]
	s_andn2_b64 s[4:5], s[20:21], exec
	s_and_b64 s[0:1], s[0:1], exec
	s_or_b64 s[20:21], s[4:5], s[0:1]
	s_andn2_b64 s[0:1], s[26:27], exec
	s_and_b64 s[4:5], s[16:17], exec
	s_or_b64 s[26:27], s[0:1], s[4:5]
	s_andn2_b64 s[0:1], s[28:29], exec
	s_and_b64 s[4:5], s[6:7], exec
	s_or_b64 s[28:29], s[0:1], s[4:5]
	v_mov_b32_e32 v30, v42
	v_mov_b32_e32 v31, v41
	;; [unrolled: 1-line block ×3, first 2 shown]
.LBB129_480:                            ;   in Loop: Header=BB129_31 Depth=1
	s_or_b64 exec, exec, s[34:35]
	s_mov_b64 s[36:37], s[20:21]
	s_mov_b64 s[34:35], s[20:21]
	s_and_saveexec_b64 s[0:1], s[28:29]
.LBB129_481:                            ;   in Loop: Header=BB129_31 Depth=1
	v_mov_b32_e32 v6, 0
	s_andn2_b64 s[20:21], s[20:21], exec
	s_andn2_b64 s[14:15], s[14:15], exec
	s_andn2_b64 s[38:39], s[38:39], exec
	s_andn2_b64 s[36:37], s[36:37], exec
	s_andn2_b64 s[34:35], s[34:35], exec
	s_or_b64 s[26:27], s[26:27], exec
.LBB129_482:                            ;   in Loop: Header=BB129_31 Depth=1
	s_or_b64 exec, exec, s[0:1]
	s_andn2_b64 s[0:1], s[12:13], exec
	s_and_b64 s[6:7], s[20:21], exec
	s_or_b64 s[12:13], s[0:1], s[6:7]
	s_andn2_b64 s[0:1], s[88:89], exec
	s_and_b64 s[6:7], s[14:15], exec
	s_or_b64 s[88:89], s[0:1], s[6:7]
	s_andn2_b64 s[0:1], s[10:11], exec
	s_and_b64 s[6:7], s[38:39], exec
	s_or_b64 s[10:11], s[0:1], s[6:7]
	s_andn2_b64 s[0:1], s[8:9], exec
	s_and_b64 s[6:7], s[36:37], exec
	s_or_b64 s[8:9], s[0:1], s[6:7]
	v_readlane_b32 s0, v53, 53
	v_readlane_b32 s1, v53, 54
	s_andn2_b64 s[0:1], s[0:1], exec
	s_and_b64 s[6:7], s[34:35], exec
	s_mov_b64 s[4:5], -1
	s_or_b64 s[24:25], s[0:1], s[6:7]
                                        ; implicit-def: $vgpr41
                                        ; implicit-def: $vgpr42
                                        ; implicit-def: $vgpr28_vgpr29
                                        ; implicit-def: $vgpr43
	s_and_saveexec_b64 s[0:1], s[26:27]
	s_xor_b64 s[0:1], exec, s[0:1]
	s_cbranch_execz .LBB129_30
; %bb.483:                              ;   in Loop: Header=BB129_31 Depth=1
	v_cmp_eq_u32_e32 vcc, 0, v6
	s_mov_b64 s[6:7], -1
	s_and_saveexec_b64 s[14:15], vcc
	s_cbranch_execz .LBB129_29
; %bb.484:                              ;   in Loop: Header=BB129_31 Depth=1
	v_readlane_b32 s4, v53, 52
	s_xor_b32 s4, s4, 1
	v_writelane_b32 v53, s4, 52
	v_readlane_b32 s4, v53, 37
	s_add_i32 s16, s4, -2
	s_cmp_eq_u32 s4, 0
	s_cselect_b64 s[4:5], -1, 0
	s_xor_b64 s[6:7], exec, -1
	s_orn2_b64 s[4:5], s[4:5], exec
	v_writelane_b32 v53, s16, 37
	s_branch .LBB129_29
.LBB129_485:
	s_or_b64 exec, exec, s[78:79]
	s_xor_b64 s[4:5], s[76:77], -1
	s_xor_b64 s[10:11], s[74:75], -1
	;; [unrolled: 1-line block ×5, first 2 shown]
	s_mov_b64 s[2:3], 0
	s_and_saveexec_b64 s[12:13], s[6:7]
	s_xor_b64 s[6:7], exec, s[12:13]
	s_cbranch_execnz .LBB129_490
; %bb.486:
	s_andn2_saveexec_b64 s[0:1], s[6:7]
	s_cbranch_execnz .LBB129_509
.LBB129_487:
	s_or_b64 exec, exec, s[0:1]
	s_and_saveexec_b64 s[0:1], s[2:3]
.LBB129_488:
	; divergent unreachable
.LBB129_489:
	s_endpgm
.LBB129_490:
	s_and_saveexec_b64 s[12:13], s[8:9]
	s_xor_b64 s[8:9], exec, s[12:13]
	s_cbranch_execz .LBB129_507
; %bb.491:
	s_and_saveexec_b64 s[12:13], s[10:11]
	s_xor_b64 s[10:11], exec, s[12:13]
	s_cbranch_execz .LBB129_505
; %bb.492:
	;; [unrolled: 4-line block ×3, first 2 shown]
	s_and_saveexec_b64 s[2:3], s[0:1]
	s_xor_b64 s[0:1], exec, s[2:3]
; %bb.494:
	v_mov_b32_e32 v32, v30
; %bb.495:
	s_or_b64 exec, exec, s[0:1]
	s_mov_b64 s[0:1], exec
	v_readlane_b32 s2, v53, 10
	v_readlane_b32 s3, v53, 11
	;; [unrolled: 1-line block ×4, first 2 shown]
	s_and_b64 s[2:3], s[0:1], s[2:3]
	v_readlane_b32 s39, v53, 45
	v_readlane_b32 s41, v53, 15
	s_mov_b64 exec, s[2:3]
	s_cbranch_execz .LBB129_497
; %bb.496:
	v_mov_b32_e32 v2, 0
	v_mov_b32_e32 v3, v2
	ds_write_b64 v2, v[2:3] offset:5136
.LBB129_497:
	s_or_b64 exec, exec, s[0:1]
	v_mov_b32_e32 v19, 0
	s_waitcnt lgkmcnt(0)
	s_barrier
	s_mov_b64 s[0:1], exec
	v_readlane_b32 s2, v53, 24
	v_readlane_b32 s3, v53, 25
	s_and_b64 s[2:3], s[0:1], s[2:3]
	s_mov_b64 exec, s[2:3]
	s_cbranch_execz .LBB129_499
; %bb.498:
	global_load_ubyte v19, v[12:13], off
.LBB129_499:
	s_or_b64 exec, exec, s[0:1]
	v_readlane_b32 s4, v53, 2
	s_add_u32 s0, s60, 63
	v_readlane_b32 s5, v53, 3
	v_readlane_b32 s16, v53, 0
	s_addc_u32 s15, s61, 0
	s_and_b32 s14, s0, 0xffffffc0
	v_readlane_b32 s17, v53, 1
	s_mul_i32 s0, s16, s5
	s_mul_hi_u32 s1, s16, s4
	s_add_i32 s0, s1, s0
	s_mul_i32 s1, s17, s4
	s_mul_i32 s3, s16, s4
	v_readlane_b32 s4, v53, 6
	s_add_i32 s2, s0, s1
	v_readlane_b32 s5, v53, 7
	s_mul_i32 s0, s4, s73
	s_mul_hi_u32 s1, s4, s72
	s_add_i32 s0, s1, s0
	s_mul_i32 s1, s5, s72
	s_add_i32 s1, s0, s1
	s_mul_i32 s0, s4, s72
	v_readlane_b32 s4, v53, 4
	v_readlane_b32 s5, v53, 5
	s_add_u32 s3, s4, s3
	s_addc_u32 s2, s5, s2
	s_add_u32 s16, s3, s56
	s_addc_u32 s17, s2, s57
	s_lshl_b64 s[0:1], s[0:1], 3
	v_readlane_b32 s2, v53, 8
	v_readlane_b32 s3, v53, 9
	s_add_u32 s2, s2, s0
	s_addc_u32 s3, s3, s1
	s_lshl_b64 s[0:1], s[70:71], 3
	s_add_u32 s46, s2, s0
	s_addc_u32 s47, s3, s1
	v_readlane_b32 s0, v53, 12
	v_readlane_b32 s1, v53, 13
	s_load_dwordx2 s[18:19], s[0:1], 0x368
	s_load_dwordx2 s[20:21], s[0:1], 0x510
	v_cmp_gt_u64_e32 vcc, s[14:15], v[0:1]
	s_mov_b64 s[24:25], -1
	s_mov_b64 s[0:1], 0
	v_add_u32_e32 v18, s33, v0
	s_mov_b64 s[4:5], 0
	s_and_saveexec_b64 s[2:3], vcc
	s_cbranch_execnz .LBB129_510
; %bb.500:
	s_or_b64 exec, exec, s[2:3]
	s_and_saveexec_b64 s[22:23], s[24:25]
	s_cbranch_execnz .LBB129_525
.LBB129_501:
	s_or_b64 exec, exec, s[22:23]
	s_and_saveexec_b64 s[2:3], s[4:5]
	s_xor_b64 s[2:3], exec, s[2:3]
	s_cbranch_execnz .LBB129_547
.LBB129_502:
	s_or_b64 exec, exec, s[2:3]
	s_and_b64 s[2:3], s[0:1], exec
.LBB129_503:
	s_andn2_saveexec_b64 s[0:1], s[12:13]
	s_cbranch_execnz .LBB129_550
.LBB129_504:
	s_or_b64 exec, exec, s[0:1]
	s_and_b64 s[2:3], s[2:3], exec
.LBB129_505:
	s_andn2_saveexec_b64 s[0:1], s[10:11]
	s_cbranch_execnz .LBB129_549
.LBB129_506:
	s_or_b64 exec, exec, s[0:1]
	s_and_b64 s[2:3], s[2:3], exec
.LBB129_507:
	s_andn2_saveexec_b64 s[0:1], s[8:9]
	s_cbranch_execnz .LBB129_548
.LBB129_508:
	s_or_b64 exec, exec, s[0:1]
	s_and_b64 s[2:3], s[2:3], exec
	s_andn2_saveexec_b64 s[0:1], s[6:7]
	s_cbranch_execz .LBB129_487
.LBB129_509:
	s_or_b64 s[2:3], s[2:3], exec
	s_trap 2
	s_or_b64 exec, exec, s[0:1]
	s_and_saveexec_b64 s[0:1], s[2:3]
	s_cbranch_execnz .LBB129_488
	s_branch .LBB129_489
.LBB129_510:
	v_readlane_b32 s4, v53, 43
	s_add_u32 s4, s38, s4
	v_readlane_b32 s5, v53, 46
	s_addc_u32 s5, s39, s5
	v_pk_mov_b32 v[2:3], s[4:5], s[4:5] op_sel:[0,1]
	v_mad_u64_u32 v[2:3], s[4:5], s58, v18, v[2:3]
	v_mov_b32_e32 v4, v3
	v_mad_u64_u32 v[4:5], s[4:5], s59, v18, v[4:5]
	v_mov_b32_e32 v3, v4
	s_mov_b64 s[22:23], 0
	v_mov_b32_e32 v20, s64
	v_mov_b32_e32 v5, 0
	v_pk_mov_b32 v[14:15], v[0:1], v[0:1] op_sel:[0,1]
                                        ; implicit-def: $sgpr24_sgpr25
                                        ; implicit-def: $vgpr8_vgpr9
	s_branch .LBB129_512
.LBB129_511:                            ;   in Loop: Header=BB129_512 Depth=1
	s_or_b64 exec, exec, s[26:27]
	s_xor_b64 s[26:27], s[30:31], -1
	s_and_b64 s[4:5], exec, s[4:5]
	s_or_b64 s[22:23], s[4:5], s[22:23]
	s_andn2_b64 s[4:5], s[24:25], exec
	s_and_b64 s[24:25], s[26:27], exec
	s_or_b64 s[24:25], s[4:5], s[24:25]
	v_mov_b32_e32 v19, v21
	v_pk_mov_b32 v[14:15], v[6:7], v[6:7] op_sel:[0,1]
	s_andn2_b64 exec, exec, s[22:23]
	s_cbranch_execz .LBB129_524
.LBB129_512:                            ; =>This Inner Loop Header: Depth=1
	v_add_co_u32_e32 v6, vcc, s33, v14
	v_addc_co_u32_e32 v7, vcc, v15, v20, vcc
	v_cmp_gt_u64_e32 vcc, s[60:61], v[6:7]
	v_mov_b32_e32 v21, 0
	s_and_saveexec_b64 s[4:5], vcc
	s_cbranch_execz .LBB129_514
; %bb.513:                              ;   in Loop: Header=BB129_512 Depth=1
	global_load_ubyte v21, v[2:3], off
.LBB129_514:                            ;   in Loop: Header=BB129_512 Depth=1
	s_or_b64 exec, exec, s[4:5]
	s_waitcnt vmcnt(0)
	v_and_b32_e32 v4, 0xff, v19
	v_cmp_gt_u16_sdwa s[4:5], v4, v32 src0_sel:DWORD src1_sel:BYTE_0
	v_cndmask_b32_e64 v16, 0, 1, s[4:5]
	v_cmp_lt_u16_sdwa s[4:5], v4, v32 src0_sel:DWORD src1_sel:BYTE_0
	v_cndmask_b32_e64 v4, 0, 1, s[4:5]
	v_cndmask_b32_e64 v4, v4, v16, s[40:41]
	v_and_b32_e32 v4, 1, v4
	v_cmp_gt_u64_e32 vcc, s[60:61], v[14:15]
	v_cmp_eq_u32_e64 s[4:5], 1, v4
	s_and_b64 s[26:27], vcc, s[4:5]
	v_cndmask_b32_e64 v4, 0, 1, s[26:27]
	v_cmp_ne_u32_e32 vcc, 0, v4
	s_cmp_lg_u64 vcc, 0
	v_readlane_b32 s28, v53, 18
	s_cselect_b64 s[4:5], -1, 0
	v_readlane_b32 s29, v53, 19
	s_and_b64 s[4:5], s[28:29], s[4:5]
	s_and_saveexec_b64 s[28:29], s[4:5]
	s_cbranch_execz .LBB129_518
; %bb.515:                              ;   in Loop: Header=BB129_512 Depth=1
	s_mov_b64 s[34:35], exec
	v_mbcnt_lo_u32_b32 v4, s34, 0
	v_mbcnt_hi_u32_b32 v16, s35, v4
	s_bcnt1_i32_b64 s36, vcc
	v_cmp_eq_u32_e64 s[4:5], 0, v16
                                        ; implicit-def: $vgpr8_vgpr9
	s_and_saveexec_b64 s[30:31], s[4:5]
	s_cbranch_execz .LBB129_517
; %bb.516:                              ;   in Loop: Header=BB129_512 Depth=1
	s_bcnt1_i32_b64 s4, s[34:35]
	s_mul_i32 s4, s36, s4
	v_mov_b32_e32 v4, s4
	s_waitcnt lgkmcnt(0)
	ds_add_rtn_u64 v[8:9], v5, v[4:5] offset:5136
.LBB129_517:                            ;   in Loop: Header=BB129_512 Depth=1
	s_or_b64 exec, exec, s[30:31]
	s_waitcnt lgkmcnt(0)
	v_readfirstlane_b32 s4, v9
	v_readfirstlane_b32 s5, v8
	v_mov_b32_e32 v8, s5
	v_mov_b32_e32 v9, s4
	v_mad_u64_u32 v[8:9], s[4:5], s36, v16, v[8:9]
.LBB129_518:                            ;   in Loop: Header=BB129_512 Depth=1
	s_or_b64 exec, exec, s[28:29]
	s_waitcnt lgkmcnt(0)
	ds_bpermute_b32 v8, v36, v8
	ds_bpermute_b32 v9, v36, v9
	s_mov_b64 s[4:5], -1
	s_mov_b64 s[34:35], -1
                                        ; implicit-def: $sgpr30_sgpr31
	s_and_saveexec_b64 s[28:29], s[26:27]
	s_cbranch_execz .LBB129_522
; %bb.519:                              ;   in Loop: Header=BB129_512 Depth=1
	v_and_b32_e32 v16, vcc_lo, v10
	v_and_b32_e32 v4, vcc_hi, v11
	v_bcnt_u32_b32 v16, v16, 0
	v_bcnt_u32_b32 v4, v4, v16
	s_waitcnt lgkmcnt(0)
	v_add_co_u32_e32 v16, vcc, v8, v4
	v_addc_co_u32_e32 v17, vcc, 0, v9, vcc
	v_cmp_gt_u64_e32 vcc, s[62:63], v[16:17]
	s_mov_b64 s[26:27], 0
	s_and_saveexec_b64 s[30:31], vcc
	s_cbranch_execz .LBB129_521
; %bb.520:                              ;   in Loop: Header=BB129_512 Depth=1
	v_mul_lo_u32 v4, v17, s20
	v_mul_lo_u32 v24, v16, s21
	v_mad_u64_u32 v[22:23], s[34:35], v16, s20, 0
	v_add3_u32 v23, v23, v24, v4
	v_pk_mov_b32 v[24:25], s[16:17], s[16:17] op_sel:[0,1]
	v_mad_u64_u32 v[24:25], s[34:35], v16, s18, v[24:25]
	v_mul_lo_u32 v4, v16, s19
	v_mul_lo_u32 v16, v17, s18
	v_add3_u32 v25, v16, v25, v4
	v_lshlrev_b64 v[16:17], 3, v[22:23]
	v_mov_b32_e32 v4, s47
	v_add_co_u32_e32 v16, vcc, s46, v16
	s_mov_b64 s[26:27], exec
	v_addc_co_u32_e32 v17, vcc, v4, v17, vcc
	global_store_byte v[24:25], v19, off
	global_store_dwordx2 v[16:17], v[14:15], off
.LBB129_521:                            ;   in Loop: Header=BB129_512 Depth=1
	s_or_b64 exec, exec, s[30:31]
	s_mov_b64 s[30:31], -1
	s_orn2_b64 s[34:35], s[26:27], exec
.LBB129_522:                            ;   in Loop: Header=BB129_512 Depth=1
	s_or_b64 exec, exec, s[28:29]
	s_and_saveexec_b64 s[26:27], s[34:35]
	s_cbranch_execz .LBB129_511
; %bb.523:                              ;   in Loop: Header=BB129_512 Depth=1
	s_mul_i32 s4, s58, s33
	v_mov_b32_e32 v4, s65
	v_add_co_u32_e32 v2, vcc, s4, v2
	v_addc_co_u32_e32 v3, vcc, v3, v4, vcc
	v_cmp_le_u64_e32 vcc, s[14:15], v[6:7]
	s_andn2_b64 s[30:31], s[30:31], exec
	s_orn2_b64 s[4:5], vcc, exec
	s_branch .LBB129_511
.LBB129_524:
	s_or_b64 exec, exec, s[22:23]
	s_mov_b64 s[4:5], exec
	s_orn2_b64 s[24:25], s[24:25], exec
	s_or_b64 exec, exec, s[2:3]
	s_and_saveexec_b64 s[22:23], s[24:25]
	s_cbranch_execz .LBB129_501
.LBB129_525:
	v_mov_b32_e32 v3, 0
	v_mov_b32_e32 v14, 0
	s_waitcnt lgkmcnt(0)
	s_barrier
	s_mov_b64 s[0:1], exec
	v_readlane_b32 s2, v53, 24
	v_readlane_b32 s3, v53, 25
	s_and_b64 s[2:3], s[0:1], s[2:3]
	s_mov_b64 exec, s[2:3]
	s_cbranch_execz .LBB129_527
; %bb.526:
	global_load_ubyte v14, v[12:13], off
.LBB129_527:
	s_or_b64 exec, exec, s[0:1]
	v_readlane_b32 s0, v53, 43
	s_add_u32 s0, s38, s0
	v_readlane_b32 s1, v53, 46
	s_addc_u32 s1, s39, s1
	v_pk_mov_b32 v[4:5], s[0:1], s[0:1] op_sel:[0,1]
	v_mad_u64_u32 v[4:5], s[0:1], s58, v18, v[4:5]
	v_mov_b32_e32 v2, v5
	v_mad_u64_u32 v[6:7], s[0:1], s59, v18, v[2:3]
	v_mov_b32_e32 v5, v6
	s_mov_b64 s[0:1], 0
                                        ; implicit-def: $sgpr24_sgpr25
                                        ; implicit-def: $sgpr26_sgpr27
                                        ; implicit-def: $sgpr28_sgpr29
                                        ; implicit-def: $vgpr6_vgpr7
	s_branch .LBB129_530
.LBB129_528:                            ;   in Loop: Header=BB129_530 Depth=1
	s_or_b64 exec, exec, s[36:37]
	s_andn2_b64 s[28:29], s[28:29], exec
	s_and_b64 s[34:35], s[40:41], exec
	s_andn2_b64 s[26:27], s[26:27], exec
	s_and_b64 s[2:3], s[2:3], exec
	s_or_b64 s[28:29], s[28:29], s[34:35]
	s_or_b64 s[26:27], s[26:27], s[2:3]
	v_pk_mov_b32 v[0:1], v[8:9], v[8:9] op_sel:[0,1]
.LBB129_529:                            ;   in Loop: Header=BB129_530 Depth=1
	s_or_b64 exec, exec, s[30:31]
	s_xor_b64 s[2:3], s[28:29], -1
	s_and_b64 s[30:31], exec, s[26:27]
	s_or_b64 s[0:1], s[30:31], s[0:1]
	s_andn2_b64 s[24:25], s[24:25], exec
	s_and_b64 s[2:3], s[2:3], exec
	s_or_b64 s[24:25], s[24:25], s[2:3]
	s_andn2_b64 exec, exec, s[0:1]
	s_cbranch_execz .LBB129_545
.LBB129_530:                            ; =>This Inner Loop Header: Depth=1
	v_cmp_gt_u64_e32 vcc, s[14:15], v[0:1]
	s_or_b64 s[28:29], s[28:29], exec
	s_or_b64 s[26:27], s[26:27], exec
	s_and_saveexec_b64 s[30:31], vcc
	s_cbranch_execz .LBB129_529
; %bb.531:                              ;   in Loop: Header=BB129_530 Depth=1
	v_mov_b32_e32 v2, s64
	v_add_co_u32_e32 v8, vcc, s33, v0
	v_addc_co_u32_e32 v9, vcc, v1, v2, vcc
	v_cmp_gt_u64_e32 vcc, s[60:61], v[8:9]
	v_mov_b32_e32 v15, 0
	s_and_saveexec_b64 s[2:3], vcc
	s_cbranch_execz .LBB129_533
; %bb.532:                              ;   in Loop: Header=BB129_530 Depth=1
	global_load_ubyte v15, v[4:5], off
.LBB129_533:                            ;   in Loop: Header=BB129_530 Depth=1
	s_or_b64 exec, exec, s[2:3]
	s_waitcnt vmcnt(0)
	v_and_b32_e32 v2, 0xff, v14
	v_cmp_gt_u64_e32 vcc, s[60:61], v[0:1]
	v_cmp_eq_u16_sdwa s[2:3], v2, v32 src0_sel:DWORD src1_sel:BYTE_0
	s_and_b64 s[36:37], vcc, s[2:3]
	v_cndmask_b32_e64 v2, 0, 1, s[36:37]
	v_cmp_ne_u32_e32 vcc, 0, v2
	s_cmp_lg_u64 vcc, 0
	v_readlane_b32 s34, v53, 18
	s_cselect_b64 s[2:3], -1, 0
	v_readlane_b32 s35, v53, 19
	s_and_b64 s[2:3], s[34:35], s[2:3]
	s_and_saveexec_b64 s[34:35], s[2:3]
	s_cbranch_execz .LBB129_537
; %bb.534:                              ;   in Loop: Header=BB129_530 Depth=1
	s_mov_b64 s[40:41], exec
	v_mbcnt_lo_u32_b32 v2, s40, 0
	v_mbcnt_hi_u32_b32 v12, s41, v2
	s_bcnt1_i32_b64 s42, vcc
	v_cmp_eq_u32_e64 s[2:3], 0, v12
                                        ; implicit-def: $vgpr6_vgpr7
	s_and_saveexec_b64 s[38:39], s[2:3]
	s_cbranch_execz .LBB129_536
; %bb.535:                              ;   in Loop: Header=BB129_530 Depth=1
	s_bcnt1_i32_b64 s2, s[40:41]
	s_mul_i32 s2, s42, s2
	v_mov_b32_e32 v2, s2
	ds_add_rtn_u64 v[6:7], v3, v[2:3] offset:5136
.LBB129_536:                            ;   in Loop: Header=BB129_530 Depth=1
	s_or_b64 exec, exec, s[38:39]
	s_waitcnt lgkmcnt(0)
	v_readfirstlane_b32 s2, v7
	v_readfirstlane_b32 s3, v6
	v_mov_b32_e32 v6, s3
	v_mov_b32_e32 v7, s2
	v_mad_u64_u32 v[6:7], s[2:3], s42, v12, v[6:7]
.LBB129_537:                            ;   in Loop: Header=BB129_530 Depth=1
	s_or_b64 exec, exec, s[34:35]
	ds_bpermute_b32 v6, v36, v6
	ds_bpermute_b32 v7, v36, v7
	s_cmp_eq_u64 vcc, 0
	s_cselect_b64 s[34:35], -1, 0
	s_mov_b64 s[38:39], -1
	s_mov_b64 s[40:41], -1
	s_waitcnt lgkmcnt(0)
	v_cmp_gt_u64_e64 s[2:3], s[62:63], v[6:7]
	s_or_b64 s[34:35], s[34:35], s[2:3]
	v_cndmask_b32_e64 v14, v14, v15, s[34:35]
	s_and_b64 s[42:43], s[36:37], s[34:35]
	s_mov_b64 s[2:3], -1
	s_and_saveexec_b64 s[36:37], s[42:43]
	s_cbranch_execz .LBB129_543
; %bb.538:                              ;   in Loop: Header=BB129_530 Depth=1
	v_and_b32_e32 v12, vcc_lo, v10
	v_and_b32_e32 v2, vcc_hi, v11
	v_bcnt_u32_b32 v12, v12, 0
	v_bcnt_u32_b32 v2, v2, v12
	v_mov_b32_e32 v13, s63
	v_sub_co_u32_e32 v12, vcc, s62, v6
	v_subb_co_u32_e32 v13, vcc, v13, v7, vcc
	v_cmp_le_u64_e64 s[38:39], v[12:13], v[2:3]
	v_cmp_gt_u64_e32 vcc, v[12:13], v[2:3]
	s_mov_b64 s[42:43], -1
	s_and_saveexec_b64 s[40:41], vcc
	s_cbranch_execz .LBB129_542
; %bb.539:                              ;   in Loop: Header=BB129_530 Depth=1
	v_add_co_u32_e32 v12, vcc, v6, v2
	v_addc_co_u32_e32 v13, vcc, 0, v7, vcc
	v_cmp_gt_u64_e32 vcc, s[62:63], v[12:13]
	s_mov_b64 s[44:45], s[38:39]
	s_and_saveexec_b64 s[42:43], vcc
	s_cbranch_execz .LBB129_541
; %bb.540:                              ;   in Loop: Header=BB129_530 Depth=1
	v_mul_lo_u32 v2, v13, s20
	v_mul_lo_u32 v14, v12, s21
	v_mad_u64_u32 v[16:17], s[44:45], v12, s20, 0
	v_pk_mov_b32 v[18:19], s[16:17], s[16:17] op_sel:[0,1]
	v_add3_u32 v17, v17, v14, v2
	v_mad_u64_u32 v[18:19], s[44:45], v12, s18, v[18:19]
	v_mul_lo_u32 v2, v12, s19
	v_mul_lo_u32 v12, v13, s18
	v_add3_u32 v19, v12, v19, v2
	v_lshlrev_b64 v[12:13], 3, v[16:17]
	v_mov_b32_e32 v2, s47
	v_add_co_u32_e32 v12, vcc, s46, v12
	v_addc_co_u32_e32 v13, vcc, v2, v13, vcc
	s_or_b64 s[44:45], s[38:39], exec
	global_store_byte v[18:19], v32, off
	global_store_dwordx2 v[12:13], v[0:1], off
.LBB129_541:                            ;   in Loop: Header=BB129_530 Depth=1
	s_or_b64 exec, exec, s[42:43]
	s_andn2_b64 s[38:39], s[38:39], exec
	s_and_b64 s[44:45], s[44:45], exec
	s_xor_b64 s[42:43], exec, -1
	s_or_b64 s[38:39], s[38:39], s[44:45]
.LBB129_542:                            ;   in Loop: Header=BB129_530 Depth=1
	s_or_b64 exec, exec, s[40:41]
	s_orn2_b64 s[40:41], s[42:43], exec
	s_or_b64 s[34:35], s[34:35], exec
	s_orn2_b64 s[38:39], s[38:39], exec
	v_mov_b32_e32 v14, v15
.LBB129_543:                            ;   in Loop: Header=BB129_530 Depth=1
	s_or_b64 exec, exec, s[36:37]
	s_and_saveexec_b64 s[36:37], s[38:39]
	s_cbranch_execz .LBB129_528
; %bb.544:                              ;   in Loop: Header=BB129_530 Depth=1
	s_xor_b64 s[2:3], s[34:35], -1
	v_readlane_b32 s34, v53, 51
	v_mov_b32_e32 v0, s65
	v_add_co_u32_e32 v4, vcc, s34, v4
	v_addc_co_u32_e32 v5, vcc, v5, v0, vcc
	s_or_b64 s[40:41], s[40:41], exec
	s_orn2_b64 s[2:3], s[2:3], exec
	s_branch .LBB129_528
.LBB129_545:
	s_or_b64 exec, exec, s[0:1]
	s_mov_b64 s[0:1], 0
	s_and_saveexec_b64 s[2:3], s[24:25]
	s_xor_b64 s[2:3], exec, s[2:3]
	s_cbranch_execnz .LBB129_551
.LBB129_546:
	s_or_b64 exec, exec, s[2:3]
	s_and_b64 s[0:1], s[0:1], exec
	s_andn2_b64 s[4:5], s[4:5], exec
	s_or_b64 exec, exec, s[22:23]
	s_and_saveexec_b64 s[2:3], s[4:5]
	s_xor_b64 s[2:3], exec, s[2:3]
	s_cbranch_execz .LBB129_502
.LBB129_547:
	s_or_b64 s[0:1], s[0:1], exec
	s_trap 2
	s_branch .LBB129_502
.LBB129_548:
	s_or_b64 s[2:3], s[2:3], exec
	s_trap 2
	s_branch .LBB129_508
.LBB129_549:
	s_or_b64 s[2:3], s[2:3], exec
	s_trap 2
	s_branch .LBB129_506
.LBB129_550:
	s_trap 2
	s_or_b64 s[2:3], s[2:3], exec
	s_branch .LBB129_504
.LBB129_551:
	s_mov_b64 s[0:1], exec
	s_trap 2
	s_branch .LBB129_546
	.section	.rodata,"a",@progbits
	.p2align	6, 0x0
	.amdhsa_kernel _ZN2at6native6sbtopk10gatherTopKIhmLin1ELb0EEEvNS_4cuda6detail10TensorInfoIKT_T0_EES8_S8_bS8_S8_NS5_IS6_S8_EES8_NS5_IlS8_EES8_PS6_
		.amdhsa_group_segment_fixed_size 5152
		.amdhsa_private_segment_fixed_size 0
		.amdhsa_kernarg_size 1568
		.amdhsa_user_sgpr_count 6
		.amdhsa_user_sgpr_private_segment_buffer 1
		.amdhsa_user_sgpr_dispatch_ptr 0
		.amdhsa_user_sgpr_queue_ptr 0
		.amdhsa_user_sgpr_kernarg_segment_ptr 1
		.amdhsa_user_sgpr_dispatch_id 0
		.amdhsa_user_sgpr_flat_scratch_init 0
		.amdhsa_user_sgpr_kernarg_preload_length 0
		.amdhsa_user_sgpr_kernarg_preload_offset 0
		.amdhsa_user_sgpr_private_segment_size 0
		.amdhsa_uses_dynamic_stack 0
		.amdhsa_system_sgpr_private_segment_wavefront_offset 0
		.amdhsa_system_sgpr_workgroup_id_x 1
		.amdhsa_system_sgpr_workgroup_id_y 1
		.amdhsa_system_sgpr_workgroup_id_z 1
		.amdhsa_system_sgpr_workgroup_info 0
		.amdhsa_system_vgpr_workitem_id 0
		.amdhsa_next_free_vgpr 54
		.amdhsa_next_free_sgpr 96
		.amdhsa_accum_offset 56
		.amdhsa_reserve_vcc 1
		.amdhsa_reserve_flat_scratch 0
		.amdhsa_float_round_mode_32 0
		.amdhsa_float_round_mode_16_64 0
		.amdhsa_float_denorm_mode_32 3
		.amdhsa_float_denorm_mode_16_64 3
		.amdhsa_dx10_clamp 1
		.amdhsa_ieee_mode 1
		.amdhsa_fp16_overflow 0
		.amdhsa_tg_split 0
		.amdhsa_exception_fp_ieee_invalid_op 0
		.amdhsa_exception_fp_denorm_src 0
		.amdhsa_exception_fp_ieee_div_zero 0
		.amdhsa_exception_fp_ieee_overflow 0
		.amdhsa_exception_fp_ieee_underflow 0
		.amdhsa_exception_fp_ieee_inexact 0
		.amdhsa_exception_int_div_zero 0
	.end_amdhsa_kernel
	.section	.text._ZN2at6native6sbtopk10gatherTopKIhmLin1ELb0EEEvNS_4cuda6detail10TensorInfoIKT_T0_EES8_S8_bS8_S8_NS5_IS6_S8_EES8_NS5_IlS8_EES8_PS6_,"axG",@progbits,_ZN2at6native6sbtopk10gatherTopKIhmLin1ELb0EEEvNS_4cuda6detail10TensorInfoIKT_T0_EES8_S8_bS8_S8_NS5_IS6_S8_EES8_NS5_IlS8_EES8_PS6_,comdat
.Lfunc_end129:
	.size	_ZN2at6native6sbtopk10gatherTopKIhmLin1ELb0EEEvNS_4cuda6detail10TensorInfoIKT_T0_EES8_S8_bS8_S8_NS5_IS6_S8_EES8_NS5_IlS8_EES8_PS6_, .Lfunc_end129-_ZN2at6native6sbtopk10gatherTopKIhmLin1ELb0EEEvNS_4cuda6detail10TensorInfoIKT_T0_EES8_S8_bS8_S8_NS5_IS6_S8_EES8_NS5_IlS8_EES8_PS6_
                                        ; -- End function
	.section	.AMDGPU.csdata,"",@progbits
; Kernel info:
; codeLenInByte = 28820
; NumSgprs: 100
; NumVgprs: 54
; NumAgprs: 0
; TotalNumVgprs: 54
; ScratchSize: 0
; MemoryBound: 0
; FloatMode: 240
; IeeeMode: 1
; LDSByteSize: 5152 bytes/workgroup (compile time only)
; SGPRBlocks: 12
; VGPRBlocks: 6
; NumSGPRsForWavesPerEU: 100
; NumVGPRsForWavesPerEU: 54
; AccumOffset: 56
; Occupancy: 8
; WaveLimiterHint : 1
; COMPUTE_PGM_RSRC2:SCRATCH_EN: 0
; COMPUTE_PGM_RSRC2:USER_SGPR: 6
; COMPUTE_PGM_RSRC2:TRAP_HANDLER: 0
; COMPUTE_PGM_RSRC2:TGID_X_EN: 1
; COMPUTE_PGM_RSRC2:TGID_Y_EN: 1
; COMPUTE_PGM_RSRC2:TGID_Z_EN: 1
; COMPUTE_PGM_RSRC2:TIDIG_COMP_CNT: 0
; COMPUTE_PGM_RSRC3_GFX90A:ACCUM_OFFSET: 13
; COMPUTE_PGM_RSRC3_GFX90A:TG_SPLIT: 0
	.section	.text._ZN2at6native6mbtopk23computeBlockDigitCountsIamjLi1EEEvNS_4cuda6detail10TensorInfoIKT_T0_EEjPjjS8_iijT1_PSB_Ps,"axG",@progbits,_ZN2at6native6mbtopk23computeBlockDigitCountsIamjLi1EEEvNS_4cuda6detail10TensorInfoIKT_T0_EEjPjjS8_iijT1_PSB_Ps,comdat
	.protected	_ZN2at6native6mbtopk23computeBlockDigitCountsIamjLi1EEEvNS_4cuda6detail10TensorInfoIKT_T0_EEjPjjS8_iijT1_PSB_Ps ; -- Begin function _ZN2at6native6mbtopk23computeBlockDigitCountsIamjLi1EEEvNS_4cuda6detail10TensorInfoIKT_T0_EEjPjjS8_iijT1_PSB_Ps
	.globl	_ZN2at6native6mbtopk23computeBlockDigitCountsIamjLi1EEEvNS_4cuda6detail10TensorInfoIKT_T0_EEjPjjS8_iijT1_PSB_Ps
	.p2align	8
	.type	_ZN2at6native6mbtopk23computeBlockDigitCountsIamjLi1EEEvNS_4cuda6detail10TensorInfoIKT_T0_EEjPjjS8_iijT1_PSB_Ps,@function
_ZN2at6native6mbtopk23computeBlockDigitCountsIamjLi1EEEvNS_4cuda6detail10TensorInfoIKT_T0_EEjPjjS8_iijT1_PSB_Ps: ; @_ZN2at6native6mbtopk23computeBlockDigitCountsIamjLi1EEEvNS_4cuda6detail10TensorInfoIKT_T0_EEjPjjS8_iijT1_PSB_Ps
; %bb.0:
	s_load_dwordx4 s[12:15], s[4:5], 0x1c0
	s_load_dword s2, s[4:5], 0x1b0
	s_load_dwordx2 s[0:1], s[4:5], 0x1e0
	s_mov_b32 s9, 0
	s_waitcnt lgkmcnt(0)
	v_cvt_f32_u32_e32 v1, s14
	s_sub_i32 s3, 0, s14
	s_mul_i32 s1, s1, s8
	s_add_i32 s1, s1, s7
	v_rcp_iflag_f32_e32 v1, v1
	s_mul_i32 s10, s1, s0
	s_add_i32 s10, s10, s6
	v_mul_f32_e32 v1, 0x4f7ffffe, v1
	v_cvt_u32_f32_e32 v1, v1
	v_readfirstlane_b32 s0, v1
	s_mul_i32 s3, s3, s0
	s_mul_hi_u32 s1, s0, s3
	s_add_i32 s0, s0, s1
	s_mul_hi_u32 s0, s10, s0
	s_mul_i32 s1, s0, s14
	s_sub_i32 s1, s10, s1
	s_add_i32 s3, s0, 1
	s_sub_i32 s6, s1, s14
	s_cmp_ge_u32 s1, s14
	s_cselect_b32 s0, s3, s0
	s_cselect_b32 s1, s6, s1
	s_add_i32 s3, s0, 1
	s_cmp_ge_u32 s1, s14
	s_cselect_b32 s8, s3, s0
	s_cmp_ge_u32 s8, s2
	s_cbranch_scc1 .LBB130_23
; %bb.1:
	s_load_dwordx4 s[0:3], s[4:5], 0x1d0
	s_lshl_b64 s[6:7], s[8:9], 2
	s_movk_i32 s9, 0x100
	v_cmp_gt_u32_e32 vcc, s9, v0
	v_lshlrev_b32_e32 v1, 2, v0
	s_waitcnt lgkmcnt(0)
	s_add_u32 s0, s0, s6
	s_addc_u32 s1, s1, s7
	s_and_saveexec_b64 s[6:7], vcc
	s_cbranch_execz .LBB130_3
; %bb.2:
	v_mov_b32_e32 v2, 0
	ds_write_b32 v1, v2
.LBB130_3:
	s_or_b64 exec, exec, s[6:7]
	s_load_dword s11, s[4:5], 0x1a0
	s_mul_i32 s6, s8, s14
	s_sub_i32 s6, s10, s6
	s_add_i32 s7, s6, 1
	s_mul_i32 s6, s13, s6
	s_lshl_b32 s16, s6, 8
	s_waitcnt lgkmcnt(0)
	s_sub_i32 s6, s11, s16
	s_add_u32 s6, s6, 0xff
	s_addc_u32 s9, 0, 0
	v_mov_b32_e32 v2, s6
	v_alignbit_b32 v2, s9, v2, 8
	s_cmp_lt_u32 s7, s14
	v_readfirstlane_b32 s6, v2
	s_cselect_b32 s13, s13, s6
	s_cmp_lt_i32 s13, 1
	s_mov_b32 s9, 0
	s_barrier
	s_cbranch_scc1 .LBB130_19
; %bb.4:
	s_load_dwordx2 s[18:19], s[4:5], 0xd0
	s_load_dwordx2 s[6:7], s[4:5], 0x1b8
	;; [unrolled: 1-line block ×3, first 2 shown]
	s_load_dword s14, s[0:1], 0x0
	v_add_u32_e32 v2, s16, v0
	s_waitcnt lgkmcnt(0)
	s_mul_i32 s0, s19, s8
	s_mul_hi_u32 s1, s18, s8
	s_add_i32 s1, s1, s0
	s_mul_i32 s0, s18, s8
	s_add_u32 s4, s20, s0
	s_addc_u32 s5, s21, s1
	s_and_b32 s12, s12, 0xff
	s_cmp_eq_u32 s13, 1
	s_cbranch_scc1 .LBB130_14
; %bb.5:
	s_and_b32 s16, s13, 0x7ffffffe
	s_mov_b32 s17, 0
	v_mov_b32_e32 v3, 1
	v_mov_b32_e32 v4, v2
	s_branch .LBB130_7
.LBB130_6:                              ;   in Loop: Header=BB130_7 Depth=1
	s_or_b64 exec, exec, s[8:9]
	s_add_i32 s17, s17, 2
	s_cmp_eq_u32 s16, s17
	v_add_u32_e32 v4, 0x200, v4
	s_cbranch_scc1 .LBB130_13
.LBB130_7:                              ; =>This Inner Loop Header: Depth=1
	v_cmp_gt_u32_e64 s[0:1], s11, v4
	s_and_saveexec_b64 s[8:9], s[0:1]
	s_cbranch_execz .LBB130_10
; %bb.8:                                ;   in Loop: Header=BB130_7 Depth=1
	v_pk_mov_b32 v[6:7], s[4:5], s[4:5] op_sel:[0,1]
	v_mad_u64_u32 v[6:7], s[0:1], v4, s6, v[6:7]
	v_mov_b32_e32 v8, v7
	v_mad_u64_u32 v[8:9], s[0:1], v4, s7, v[8:9]
	v_mov_b32_e32 v7, v8
	global_load_sbyte v5, v[6:7], off
	s_waitcnt vmcnt(0)
	v_add_u32_e32 v5, 0x80, v5
	v_xor_b32_e32 v6, s14, v5
	v_and_b32_e32 v6, s15, v6
	v_cmp_eq_u32_e64 s[0:1], 0, v6
	s_and_b64 exec, exec, s[0:1]
	s_cbranch_execz .LBB130_10
; %bb.9:                                ;   in Loop: Header=BB130_7 Depth=1
	v_lshrrev_b32_e32 v5, s12, v5
	v_lshlrev_b32_e32 v5, 2, v5
	ds_add_u32 v5, v3
.LBB130_10:                             ;   in Loop: Header=BB130_7 Depth=1
	s_or_b64 exec, exec, s[8:9]
	v_add_u32_e32 v5, 0x100, v4
	v_cmp_gt_u32_e64 s[0:1], s11, v5
	s_and_saveexec_b64 s[8:9], s[0:1]
	s_cbranch_execz .LBB130_6
; %bb.11:                               ;   in Loop: Header=BB130_7 Depth=1
	v_pk_mov_b32 v[6:7], s[4:5], s[4:5] op_sel:[0,1]
	v_mad_u64_u32 v[6:7], s[0:1], v5, s6, v[6:7]
	v_mov_b32_e32 v8, v7
	v_mad_u64_u32 v[8:9], s[0:1], v5, s7, v[8:9]
	v_mov_b32_e32 v7, v8
	global_load_sbyte v5, v[6:7], off
	s_waitcnt vmcnt(0)
	v_add_u32_e32 v5, 0x80, v5
	v_xor_b32_e32 v6, s14, v5
	v_and_b32_e32 v6, s15, v6
	v_cmp_eq_u32_e64 s[0:1], 0, v6
	s_and_b64 exec, exec, s[0:1]
	s_cbranch_execz .LBB130_6
; %bb.12:                               ;   in Loop: Header=BB130_7 Depth=1
	v_lshrrev_b32_e32 v5, s12, v5
	v_lshlrev_b32_e32 v5, 2, v5
	ds_add_u32 v5, v3
	s_branch .LBB130_6
.LBB130_13:
	s_lshl_b32 s9, s16, 8
.LBB130_14:
	s_bitcmp0_b32 s13, 0
	s_cbranch_scc1 .LBB130_19
; %bb.15:
	v_add_u32_e32 v2, s9, v2
	v_cmp_gt_u32_e64 s[0:1], s11, v2
	s_and_saveexec_b64 s[8:9], s[0:1]
	s_cbranch_execz .LBB130_18
; %bb.16:
	v_pk_mov_b32 v[4:5], s[4:5], s[4:5] op_sel:[0,1]
	v_mad_u64_u32 v[4:5], s[0:1], v2, s6, v[4:5]
	v_mov_b32_e32 v6, v5
	v_mad_u64_u32 v[2:3], s[0:1], v2, s7, v[6:7]
	v_mov_b32_e32 v5, v2
	global_load_sbyte v2, v[4:5], off
	s_waitcnt vmcnt(0)
	v_add_u32_e32 v2, 0x80, v2
	v_xor_b32_e32 v3, s14, v2
	v_and_b32_e32 v3, s15, v3
	v_cmp_eq_u32_e64 s[0:1], 0, v3
	s_and_b64 exec, exec, s[0:1]
	s_cbranch_execz .LBB130_18
; %bb.17:
	v_lshrrev_b32_e32 v2, s12, v2
	v_lshlrev_b32_e32 v2, 2, v2
	v_mov_b32_e32 v3, 1
	ds_add_u32 v2, v3
.LBB130_18:
	s_or_b64 exec, exec, s[8:9]
.LBB130_19:
	v_mov_b32_e32 v2, 0
	s_waitcnt lgkmcnt(0)
	s_barrier
	s_and_saveexec_b64 s[0:1], vcc
	s_cbranch_execz .LBB130_21
; %bb.20:
	ds_read_b32 v2, v1
.LBB130_21:
	s_or_b64 exec, exec, s[0:1]
	s_and_saveexec_b64 s[0:1], vcc
	s_cbranch_execz .LBB130_23
; %bb.22:
	v_lshl_or_b32 v0, s10, 8, v0
	v_mov_b32_e32 v1, 0
	v_lshlrev_b64 v[0:1], 1, v[0:1]
	v_mov_b32_e32 v3, s3
	v_add_co_u32_e32 v0, vcc, s2, v0
	v_addc_co_u32_e32 v1, vcc, v3, v1, vcc
	s_waitcnt lgkmcnt(0)
	global_store_short v[0:1], v2, off
.LBB130_23:
	s_endpgm
	.section	.rodata,"a",@progbits
	.p2align	6, 0x0
	.amdhsa_kernel _ZN2at6native6mbtopk23computeBlockDigitCountsIamjLi1EEEvNS_4cuda6detail10TensorInfoIKT_T0_EEjPjjS8_iijT1_PSB_Ps
		.amdhsa_group_segment_fixed_size 1024
		.amdhsa_private_segment_fixed_size 0
		.amdhsa_kernarg_size 736
		.amdhsa_user_sgpr_count 6
		.amdhsa_user_sgpr_private_segment_buffer 1
		.amdhsa_user_sgpr_dispatch_ptr 0
		.amdhsa_user_sgpr_queue_ptr 0
		.amdhsa_user_sgpr_kernarg_segment_ptr 1
		.amdhsa_user_sgpr_dispatch_id 0
		.amdhsa_user_sgpr_flat_scratch_init 0
		.amdhsa_user_sgpr_kernarg_preload_length 0
		.amdhsa_user_sgpr_kernarg_preload_offset 0
		.amdhsa_user_sgpr_private_segment_size 0
		.amdhsa_uses_dynamic_stack 0
		.amdhsa_system_sgpr_private_segment_wavefront_offset 0
		.amdhsa_system_sgpr_workgroup_id_x 1
		.amdhsa_system_sgpr_workgroup_id_y 1
		.amdhsa_system_sgpr_workgroup_id_z 1
		.amdhsa_system_sgpr_workgroup_info 0
		.amdhsa_system_vgpr_workitem_id 0
		.amdhsa_next_free_vgpr 10
		.amdhsa_next_free_sgpr 22
		.amdhsa_accum_offset 12
		.amdhsa_reserve_vcc 1
		.amdhsa_reserve_flat_scratch 0
		.amdhsa_float_round_mode_32 0
		.amdhsa_float_round_mode_16_64 0
		.amdhsa_float_denorm_mode_32 3
		.amdhsa_float_denorm_mode_16_64 3
		.amdhsa_dx10_clamp 1
		.amdhsa_ieee_mode 1
		.amdhsa_fp16_overflow 0
		.amdhsa_tg_split 0
		.amdhsa_exception_fp_ieee_invalid_op 0
		.amdhsa_exception_fp_denorm_src 0
		.amdhsa_exception_fp_ieee_div_zero 0
		.amdhsa_exception_fp_ieee_overflow 0
		.amdhsa_exception_fp_ieee_underflow 0
		.amdhsa_exception_fp_ieee_inexact 0
		.amdhsa_exception_int_div_zero 0
	.end_amdhsa_kernel
	.section	.text._ZN2at6native6mbtopk23computeBlockDigitCountsIamjLi1EEEvNS_4cuda6detail10TensorInfoIKT_T0_EEjPjjS8_iijT1_PSB_Ps,"axG",@progbits,_ZN2at6native6mbtopk23computeBlockDigitCountsIamjLi1EEEvNS_4cuda6detail10TensorInfoIKT_T0_EEjPjjS8_iijT1_PSB_Ps,comdat
.Lfunc_end130:
	.size	_ZN2at6native6mbtopk23computeBlockDigitCountsIamjLi1EEEvNS_4cuda6detail10TensorInfoIKT_T0_EEjPjjS8_iijT1_PSB_Ps, .Lfunc_end130-_ZN2at6native6mbtopk23computeBlockDigitCountsIamjLi1EEEvNS_4cuda6detail10TensorInfoIKT_T0_EEjPjjS8_iijT1_PSB_Ps
                                        ; -- End function
	.section	.AMDGPU.csdata,"",@progbits
; Kernel info:
; codeLenInByte = 868
; NumSgprs: 26
; NumVgprs: 10
; NumAgprs: 0
; TotalNumVgprs: 10
; ScratchSize: 0
; MemoryBound: 0
; FloatMode: 240
; IeeeMode: 1
; LDSByteSize: 1024 bytes/workgroup (compile time only)
; SGPRBlocks: 3
; VGPRBlocks: 1
; NumSGPRsForWavesPerEU: 26
; NumVGPRsForWavesPerEU: 10
; AccumOffset: 12
; Occupancy: 8
; WaveLimiterHint : 1
; COMPUTE_PGM_RSRC2:SCRATCH_EN: 0
; COMPUTE_PGM_RSRC2:USER_SGPR: 6
; COMPUTE_PGM_RSRC2:TRAP_HANDLER: 0
; COMPUTE_PGM_RSRC2:TGID_X_EN: 1
; COMPUTE_PGM_RSRC2:TGID_Y_EN: 1
; COMPUTE_PGM_RSRC2:TGID_Z_EN: 1
; COMPUTE_PGM_RSRC2:TIDIG_COMP_CNT: 0
; COMPUTE_PGM_RSRC3_GFX90A:ACCUM_OFFSET: 2
; COMPUTE_PGM_RSRC3_GFX90A:TG_SPLIT: 0
	.section	.text._ZN2at6native6mbtopk10gatherTopKIamLi1EEEvNS_4cuda6detail10TensorInfoIKT_T0_EES8_S8_bjS8_NS5_IS6_S8_EES8_NS5_IlS8_EES8_jjPS6_PjSD_j,"axG",@progbits,_ZN2at6native6mbtopk10gatherTopKIamLi1EEEvNS_4cuda6detail10TensorInfoIKT_T0_EES8_S8_bjS8_NS5_IS6_S8_EES8_NS5_IlS8_EES8_jjPS6_PjSD_j,comdat
	.protected	_ZN2at6native6mbtopk10gatherTopKIamLi1EEEvNS_4cuda6detail10TensorInfoIKT_T0_EES8_S8_bjS8_NS5_IS6_S8_EES8_NS5_IlS8_EES8_jjPS6_PjSD_j ; -- Begin function _ZN2at6native6mbtopk10gatherTopKIamLi1EEEvNS_4cuda6detail10TensorInfoIKT_T0_EES8_S8_bjS8_NS5_IS6_S8_EES8_NS5_IlS8_EES8_jjPS6_PjSD_j
	.globl	_ZN2at6native6mbtopk10gatherTopKIamLi1EEEvNS_4cuda6detail10TensorInfoIKT_T0_EES8_S8_bjS8_NS5_IS6_S8_EES8_NS5_IlS8_EES8_jjPS6_PjSD_j
	.p2align	8
	.type	_ZN2at6native6mbtopk10gatherTopKIamLi1EEEvNS_4cuda6detail10TensorInfoIKT_T0_EES8_S8_bjS8_NS5_IS6_S8_EES8_NS5_IlS8_EES8_jjPS6_PjSD_j,@function
_ZN2at6native6mbtopk10gatherTopKIamLi1EEEvNS_4cuda6detail10TensorInfoIKT_T0_EES8_S8_bjS8_NS5_IS6_S8_EES8_NS5_IlS8_EES8_jjPS6_PjSD_j: ; @_ZN2at6native6mbtopk10gatherTopKIamLi1EEEvNS_4cuda6detail10TensorInfoIKT_T0_EES8_S8_bjS8_NS5_IS6_S8_EES8_NS5_IlS8_EES8_jjPS6_PjSD_j
; %bb.0:
	s_load_dwordx2 s[0:1], s[4:5], 0x538
	s_load_dword s2, s[4:5], 0x530
	s_waitcnt lgkmcnt(0)
	s_mul_i32 s1, s1, s8
	s_add_i32 s1, s1, s7
	s_mul_i32 s0, s1, s0
	s_add_i32 s0, s0, s6
	s_cmp_ge_u32 s0, s2
	s_cbranch_scc1 .LBB131_42
; %bb.1:
	s_load_dwordx2 s[20:21], s[4:5], 0x510
	s_load_dwordx4 s[8:11], s[4:5], 0x1a0
	s_waitcnt lgkmcnt(0)
	v_cvt_f32_u32_e32 v1, s21
	s_sub_i32 s2, 0, s21
	s_lshl_b32 s1, s20, 8
	v_rcp_iflag_f32_e32 v1, v1
	v_mul_f32_e32 v1, 0x4f7ffffe, v1
	v_cvt_u32_f32_e32 v1, v1
	v_readfirstlane_b32 s3, v1
	s_mul_i32 s2, s2, s3
	s_mul_hi_u32 s2, s3, s2
	s_add_i32 s3, s3, s2
	s_mul_hi_u32 s2, s0, s3
	s_mul_i32 s3, s2, s21
	s_sub_i32 s3, s0, s3
	s_add_i32 s6, s2, 1
	s_sub_i32 s7, s3, s21
	s_cmp_ge_u32 s3, s21
	s_cselect_b32 s2, s6, s2
	s_cselect_b32 s3, s7, s3
	s_add_i32 s6, s2, 1
	s_cmp_ge_u32 s3, s21
	s_cselect_b32 s38, s6, s2
	s_mul_i32 s22, s38, s21
	s_sub_i32 s39, s0, s22
	s_add_i32 s0, s39, 1
	s_cmp_lt_u32 s0, s21
	s_mul_i32 s33, s39, s1
	s_cbranch_scc1 .LBB131_3
; %bb.2:
	s_sub_u32 s0, s8, s33
	s_subb_u32 s1, s9, 0
	s_add_u32 s0, s0, 0xff
	s_addc_u32 s1, s1, 0
	s_ashr_i32 s2, s1, 31
	s_lshr_b32 s2, s2, 24
	s_add_u32 s0, s0, s2
	s_addc_u32 s1, s1, 0
	v_mov_b32_e32 v1, s0
	v_alignbit_b32 v1, s1, v1, 8
	v_readfirstlane_b32 s20, v1
.LBB131_3:
	s_load_dwordx4 s[12:15], s[4:5], 0x518
	v_mov_b32_e32 v1, s38
	v_cmp_ne_u32_e64 s[0:1], 0, v0
	v_cmp_eq_u32_e64 s[2:3], 0, v0
	s_waitcnt lgkmcnt(0)
	global_load_ubyte v5, v1, s[12:13]
	s_load_dwordx2 s[6:7], s[4:5], 0x0
	s_load_dwordx2 s[28:29], s[4:5], 0xd0
	;; [unrolled: 1-line block ×4, first 2 shown]
	s_and_saveexec_b64 s[12:13], s[2:3]
	s_cbranch_execz .LBB131_19
; %bb.4:
	s_load_dwordx2 s[30:31], s[4:5], 0x528
	s_mov_b32 s23, 0
	s_lshl_b64 s[34:35], s[22:23], 2
	s_add_u32 s16, s14, s34
	s_addc_u32 s17, s15, s35
	s_waitcnt lgkmcnt(0)
	s_add_u32 s18, s30, s34
	s_addc_u32 s19, s31, s35
	s_mov_b32 s22, 0
	s_mov_b32 s40, 0
	s_cmp_lt_u32 s21, 4
	s_cbranch_scc1 .LBB131_16
; %bb.5:
	s_mov_b32 s41, 0
.LBB131_6:                              ; =>This Inner Loop Header: Depth=1
	s_add_u32 s16, s14, s34
	s_addc_u32 s17, s15, s35
	s_load_dwordx4 s[16:19], s[16:17], 0x0
	s_add_u32 s36, s30, s34
	s_addc_u32 s37, s31, s35
	s_cmp_ge_u32 s41, s39
	s_cbranch_scc0 .LBB131_13
; %bb.7:                                ;   in Loop: Header=BB131_6 Depth=1
	s_add_i32 s42, s41, 1
	s_cmp_ge_u32 s42, s39
	s_cbranch_scc0 .LBB131_14
.LBB131_8:                              ;   in Loop: Header=BB131_6 Depth=1
	s_add_i32 s42, s42, 1
	s_cmp_ge_u32 s42, s39
	s_cbranch_scc0 .LBB131_15
.LBB131_9:                              ;   in Loop: Header=BB131_6 Depth=1
	s_add_i32 s42, s42, 1
	s_cmp_ge_u32 s42, s39
	s_cbranch_scc1 .LBB131_11
.LBB131_10:                             ;   in Loop: Header=BB131_6 Depth=1
	s_load_dword s36, s[36:37], 0xc
	s_waitcnt lgkmcnt(0)
	s_add_i32 s23, s23, s19
	s_add_i32 s22, s36, s22
.LBB131_11:                             ;   in Loop: Header=BB131_6 Depth=1
	s_waitcnt lgkmcnt(0)
	s_add_i32 s16, s16, s40
	s_add_i32 s16, s16, s17
	;; [unrolled: 1-line block ×4, first 2 shown]
	s_add_u32 s14, s14, 16
	s_addc_u32 s15, s15, 0
	s_add_u32 s30, s30, 16
	s_addc_u32 s31, s31, 0
	s_add_i32 s37, s42, 4
	s_add_u32 s18, s30, s34
	s_addc_u32 s19, s31, s35
	s_add_u32 s16, s14, s34
	s_addc_u32 s17, s15, s35
	s_add_i32 s36, s42, 1
	s_cmp_ge_u32 s37, s21
	s_cbranch_scc1 .LBB131_17
; %bb.12:                               ;   in Loop: Header=BB131_6 Depth=1
	s_mov_b32 s41, s36
	s_branch .LBB131_6
.LBB131_13:                             ;   in Loop: Header=BB131_6 Depth=1
	s_load_dword s42, s[36:37], 0x0
	s_waitcnt lgkmcnt(0)
	s_add_i32 s23, s16, s23
	s_add_i32 s22, s42, s22
	;; [unrolled: 1-line block ×3, first 2 shown]
	s_cmp_ge_u32 s42, s39
	s_cbranch_scc1 .LBB131_8
.LBB131_14:                             ;   in Loop: Header=BB131_6 Depth=1
	s_load_dword s43, s[36:37], 0x4
	s_waitcnt lgkmcnt(0)
	s_add_i32 s23, s23, s17
	s_add_i32 s22, s43, s22
	;; [unrolled: 1-line block ×3, first 2 shown]
	s_cmp_ge_u32 s42, s39
	s_cbranch_scc1 .LBB131_9
.LBB131_15:                             ;   in Loop: Header=BB131_6 Depth=1
	s_load_dword s43, s[36:37], 0x8
	s_waitcnt lgkmcnt(0)
	s_add_i32 s23, s23, s18
	s_add_i32 s22, s43, s22
	;; [unrolled: 1-line block ×3, first 2 shown]
	s_cmp_ge_u32 s42, s39
	s_cbranch_scc0 .LBB131_10
	s_branch .LBB131_11
.LBB131_16:
	s_mov_b32 s14, 0
	s_cmp_ge_u32 s14, s21
	s_cbranch_scc0 .LBB131_40
	s_branch .LBB131_18
.LBB131_17:
	s_add_i32 s14, s41, 4
	s_cmp_ge_u32 s14, s21
	s_cbranch_scc0 .LBB131_40
.LBB131_18:
	v_mov_b32_e32 v2, s22
	v_mov_b32_e32 v3, s40
	v_mov_b32_e32 v4, s23
	v_mov_b32_e32 v1, 0
	ds_write_b96 v1, v[2:4] offset:1056
.LBB131_19:
	s_or_b64 exec, exec, s[12:13]
	s_load_dwordx4 s[12:15], s[4:5], 0x1b8
	s_load_dwordx4 s[16:19], s[4:5], 0x360
	s_cmp_eq_u32 s20, 0
	s_waitcnt lgkmcnt(0)
	s_barrier
	s_cbranch_scc1 .LBB131_42
; %bb.20:
	s_mul_i32 s23, s27, s38
	s_mul_hi_u32 s27, s26, s38
	s_mul_i32 s21, s29, s38
	s_mul_hi_u32 s22, s28, s38
	s_add_i32 s27, s27, s23
	s_mul_i32 s23, s25, s38
	s_mul_hi_u32 s25, s24, s38
	v_mov_b32_e32 v1, 0
	s_add_i32 s21, s22, s21
	s_mul_i32 s22, s28, s38
	s_add_i32 s25, s25, s23
	ds_read_b96 v[2:4], v1 offset:1056
	s_add_u32 s22, s6, s22
	s_mul_i32 s26, s26, s38
	s_addc_u32 s23, s7, s21
	s_mul_i32 s24, s24, s38
	s_add_u32 s14, s14, s26
	s_addc_u32 s15, s15, s27
	s_lshl_b64 s[6:7], s[24:25], 3
	s_add_u32 s21, s18, s6
	s_load_dword s6, s[4:5], 0x1b0
	s_waitcnt lgkmcnt(0)
	v_add_u32_e32 v2, v2, v3
	v_lshrrev_b32_e32 v3, 5, v0
	v_add_lshl_u32 v9, v3, v0, 2
	v_lshlrev_b32_e32 v3, 2, v0
	v_lshrrev_b32_e32 v6, 3, v0
	s_addc_u32 s26, s19, s7
	s_load_dwordx2 s[18:19], s[4:5], 0x508
	v_add_lshl_u32 v10, v6, v3, 2
	v_add_u32_e32 v3, -1, v0
	v_lshrrev_b32_e32 v6, 5, v3
	v_add_lshl_u32 v11, v6, v3, 2
	v_mbcnt_lo_u32_b32 v3, -1, 0
	s_movk_i32 s27, 0x80
	s_bitcmp1_b32 s6, 0
	v_mbcnt_hi_u32_b32 v12, -1, v3
	s_waitcnt vmcnt(0)
	v_add_u32_sdwa v8, sext(v5), s27 dst_sel:DWORD dst_unused:UNUSED_PAD src0_sel:BYTE_0 src1_sel:DWORD
	s_cselect_b64 s[4:5], -1, 0
	v_cmp_gt_u32_e64 s[6:7], 64, v0
	v_add_u32_e32 v0, s33, v0
	v_and_b32_e32 v13, 15, v12
	v_bfe_i32 v14, v12, 4, 1
	v_add_u32_e32 v15, -1, v12
	v_and_b32_e32 v16, 64, v12
                                        ; implicit-def: $vgpr17
	s_branch .LBB131_23
.LBB131_21:                             ;   in Loop: Header=BB131_23 Depth=1
	s_or_b64 exec, exec, s[24:25]
	v_add_u32_e32 v2, v3, v2
.LBB131_22:                             ;   in Loop: Header=BB131_23 Depth=1
	s_add_i32 s20, s20, -1
	v_add_u32_e32 v4, v18, v4
	s_cmp_lg_u32 s20, 0
	v_add_u32_e32 v0, 0x100, v0
	s_cbranch_scc0 .LBB131_42
.LBB131_23:                             ; =>This Inner Loop Header: Depth=1
	v_cmp_gt_u64_e32 vcc, s[8:9], v[0:1]
	v_mov_b32_e32 v3, v1
	v_mov_b32_e32 v6, v1
	s_and_saveexec_b64 s[24:25], vcc
	s_cbranch_execz .LBB131_25
; %bb.24:                               ;   in Loop: Header=BB131_23 Depth=1
	v_pk_mov_b32 v[6:7], s[22:23], s[22:23] op_sel:[0,1]
	v_mad_u64_u32 v[6:7], s[28:29], v0, s12, v[6:7]
	v_mov_b32_e32 v18, v7
	v_mad_u64_u32 v[18:19], s[28:29], v0, s13, v[18:19]
	v_mov_b32_e32 v7, v18
	global_load_ubyte v17, v[6:7], off
	s_waitcnt vmcnt(0)
	v_add_u32_sdwa v3, sext(v17), s27 dst_sel:DWORD dst_unused:UNUSED_PAD src0_sel:BYTE_0 src1_sel:DWORD
	v_cmp_gt_u32_e32 vcc, v3, v8
	v_cndmask_b32_e64 v6, 0, 1, vcc
	v_cmp_lt_u32_e32 vcc, v3, v8
	v_cndmask_b32_e64 v3, 0, 1, vcc
	v_cndmask_b32_e64 v3, v3, v6, s[4:5]
	v_cmp_eq_u16_sdwa s[28:29], v17, v5 src0_sel:DWORD src1_sel:BYTE_0
	v_and_b32_e32 v3, 1, v3
	v_cndmask_b32_e64 v6, 0, 1, s[28:29]
.LBB131_25:                             ;   in Loop: Header=BB131_23 Depth=1
	s_or_b64 exec, exec, s[24:25]
	ds_write_b32 v9, v3
	s_waitcnt lgkmcnt(0)
	s_barrier
	s_and_saveexec_b64 s[24:25], s[6:7]
	s_cbranch_execz .LBB131_27
; %bb.26:                               ;   in Loop: Header=BB131_23 Depth=1
	ds_read2_b32 v[18:19], v10 offset1:1
	ds_read2_b32 v[20:21], v10 offset0:2 offset1:3
	v_cmp_ne_u32_e32 vcc, 0, v13
	; wave barrier
	s_waitcnt lgkmcnt(1)
	v_add_u32_e32 v7, v19, v18
	s_waitcnt lgkmcnt(0)
	v_add3_u32 v7, v7, v20, v21
	s_nop 1
	v_mov_b32_dpp v19, v7 row_shr:1 row_mask:0xf bank_mask:0xf
	v_cndmask_b32_e32 v19, 0, v19, vcc
	v_add_u32_e32 v7, v19, v7
	v_cmp_lt_u32_e32 vcc, 1, v13
	s_nop 0
	v_mov_b32_dpp v19, v7 row_shr:2 row_mask:0xf bank_mask:0xf
	v_cndmask_b32_e32 v19, 0, v19, vcc
	v_add_u32_e32 v7, v7, v19
	v_cmp_lt_u32_e32 vcc, 3, v13
	;; [unrolled: 5-line block ×4, first 2 shown]
	s_nop 0
	v_mov_b32_dpp v19, v7 row_bcast:15 row_mask:0xf bank_mask:0xf
	v_and_b32_e32 v19, v14, v19
	v_add_u32_e32 v7, v7, v19
	s_nop 1
	v_mov_b32_dpp v19, v7 row_bcast:31 row_mask:0xf bank_mask:0xf
	v_cndmask_b32_e32 v19, 0, v19, vcc
	v_cmp_lt_i32_e32 vcc, v15, v16
	v_add_u32_e32 v7, v7, v19
	v_cndmask_b32_e32 v19, v15, v12, vcc
	v_lshlrev_b32_e32 v19, 2, v19
	ds_bpermute_b32 v7, v19, v7
	s_waitcnt lgkmcnt(0)
	v_add_u32_e32 v7, v7, v18
	v_cndmask_b32_e64 v7, v7, v3, s[2:3]
	ds_write_b32 v10, v7
	; wave barrier
	ds_read2_b32 v[18:19], v10 offset0:1 offset1:2
	ds_read_b32 v20, v10 offset:12
	s_waitcnt lgkmcnt(1)
	v_add_u32_e32 v7, v18, v7
	v_add_u32_e32 v18, v19, v7
	ds_write2_b32 v10, v7, v18 offset0:1 offset1:2
	s_waitcnt lgkmcnt(1)
	v_add_u32_e32 v7, v20, v18
	ds_write_b32 v10, v7 offset:12
.LBB131_27:                             ;   in Loop: Header=BB131_23 Depth=1
	s_or_b64 exec, exec, s[24:25]
	v_mov_b32_e32 v7, 0
	s_waitcnt lgkmcnt(0)
	s_barrier
	s_and_saveexec_b64 s[24:25], s[0:1]
	s_cbranch_execz .LBB131_29
; %bb.28:                               ;   in Loop: Header=BB131_23 Depth=1
	ds_read_b32 v7, v11
.LBB131_29:                             ;   in Loop: Header=BB131_23 Depth=1
	s_or_b64 exec, exec, s[24:25]
	ds_read_b32 v18, v1 offset:1048
	v_cmp_ne_u32_e32 vcc, 0, v3
	s_waitcnt lgkmcnt(0)
	s_barrier
	s_and_saveexec_b64 s[24:25], vcc
	s_cbranch_execz .LBB131_31
; %bb.30:                               ;   in Loop: Header=BB131_23 Depth=1
	v_add_u32_e32 v3, v7, v4
	v_pk_mov_b32 v[20:21], s[14:15], s[14:15] op_sel:[0,1]
	v_mad_u64_u32 v[20:21], s[28:29], v3, s16, v[20:21]
	v_mov_b32_e32 v22, v21
	v_mad_u64_u32 v[22:23], s[28:29], v3, s17, v[22:23]
	v_mov_b32_e32 v21, v22
	global_store_byte v[20:21], v17, off
	v_mad_u64_u32 v[20:21], s[28:29], v3, s18, 0
	v_mov_b32_e32 v22, v21
	v_mad_u64_u32 v[22:23], s[28:29], v3, s19, v[22:23]
	v_mov_b32_e32 v21, v22
	v_lshlrev_b64 v[20:21], 3, v[20:21]
	v_mov_b32_e32 v3, s26
	v_add_co_u32_e32 v20, vcc, s21, v20
	v_addc_co_u32_e32 v21, vcc, v3, v21, vcc
	global_store_dwordx2 v[20:21], v[0:1], off
.LBB131_31:                             ;   in Loop: Header=BB131_23 Depth=1
	s_or_b64 exec, exec, s[24:25]
	v_mov_b32_e32 v3, v1
	v_cmp_le_u64_e32 vcc, s[10:11], v[2:3]
	s_cbranch_vccnz .LBB131_22
; %bb.32:                               ;   in Loop: Header=BB131_23 Depth=1
	ds_write_b32 v9, v6
	s_waitcnt lgkmcnt(0)
	s_barrier
	s_and_saveexec_b64 s[24:25], s[6:7]
	s_cbranch_execz .LBB131_34
; %bb.33:                               ;   in Loop: Header=BB131_23 Depth=1
	ds_read2_b32 v[20:21], v10 offset1:1
	ds_read2_b32 v[22:23], v10 offset0:2 offset1:3
	v_cmp_ne_u32_e32 vcc, 0, v13
	; wave barrier
	s_waitcnt lgkmcnt(1)
	v_add_u32_e32 v3, v21, v20
	s_waitcnt lgkmcnt(0)
	v_add3_u32 v3, v3, v22, v23
	s_nop 1
	v_mov_b32_dpp v7, v3 row_shr:1 row_mask:0xf bank_mask:0xf
	v_cndmask_b32_e32 v7, 0, v7, vcc
	v_add_u32_e32 v3, v7, v3
	v_cmp_lt_u32_e32 vcc, 1, v13
	s_nop 0
	v_mov_b32_dpp v7, v3 row_shr:2 row_mask:0xf bank_mask:0xf
	v_cndmask_b32_e32 v7, 0, v7, vcc
	v_add_u32_e32 v3, v3, v7
	v_cmp_lt_u32_e32 vcc, 3, v13
	;; [unrolled: 5-line block ×4, first 2 shown]
	s_nop 0
	v_mov_b32_dpp v7, v3 row_bcast:15 row_mask:0xf bank_mask:0xf
	v_and_b32_e32 v7, v14, v7
	v_add_u32_e32 v3, v3, v7
	s_nop 1
	v_mov_b32_dpp v7, v3 row_bcast:31 row_mask:0xf bank_mask:0xf
	v_cndmask_b32_e32 v7, 0, v7, vcc
	v_cmp_lt_i32_e32 vcc, v15, v16
	v_add_u32_e32 v3, v3, v7
	v_cndmask_b32_e32 v7, v15, v12, vcc
	v_lshlrev_b32_e32 v7, 2, v7
	ds_bpermute_b32 v3, v7, v3
	s_waitcnt lgkmcnt(0)
	v_add_u32_e32 v3, v3, v20
	v_cndmask_b32_e64 v3, v3, v6, s[2:3]
	ds_write_b32 v10, v3
	; wave barrier
	ds_read2_b32 v[20:21], v10 offset0:1 offset1:2
	ds_read_b32 v7, v10 offset:12
	s_waitcnt lgkmcnt(1)
	v_add_u32_e32 v3, v20, v3
	v_add_u32_e32 v19, v21, v3
	ds_write2_b32 v10, v3, v19 offset0:1 offset1:2
	s_waitcnt lgkmcnt(1)
	v_add_u32_e32 v3, v7, v19
	ds_write_b32 v10, v3 offset:12
.LBB131_34:                             ;   in Loop: Header=BB131_23 Depth=1
	s_or_b64 exec, exec, s[24:25]
	v_mov_b32_e32 v7, 0
	s_waitcnt lgkmcnt(0)
	s_barrier
	s_and_saveexec_b64 s[24:25], s[0:1]
	s_cbranch_execz .LBB131_36
; %bb.35:                               ;   in Loop: Header=BB131_23 Depth=1
	ds_read_b32 v7, v11
.LBB131_36:                             ;   in Loop: Header=BB131_23 Depth=1
	s_or_b64 exec, exec, s[24:25]
	ds_read_b32 v3, v1 offset:1048
	v_cmp_ne_u32_e32 vcc, 0, v6
	s_waitcnt lgkmcnt(0)
	s_barrier
	s_and_saveexec_b64 s[24:25], vcc
	s_cbranch_execz .LBB131_21
; %bb.37:                               ;   in Loop: Header=BB131_23 Depth=1
	v_add_u32_e32 v6, v7, v2
	v_mov_b32_e32 v7, v1
	v_cmp_gt_u64_e32 vcc, s[10:11], v[6:7]
	s_and_b64 exec, exec, vcc
	s_cbranch_execz .LBB131_21
; %bb.38:                               ;   in Loop: Header=BB131_23 Depth=1
	v_pk_mov_b32 v[20:21], s[14:15], s[14:15] op_sel:[0,1]
	v_mad_u64_u32 v[20:21], s[28:29], v6, s16, v[20:21]
	v_mov_b32_e32 v22, v21
	v_mad_u64_u32 v[22:23], s[28:29], v6, s17, v[22:23]
	v_mov_b32_e32 v21, v22
	global_store_byte v[20:21], v17, off
	v_mad_u64_u32 v[20:21], s[28:29], v6, s18, 0
	v_mov_b32_e32 v22, v21
	v_mad_u64_u32 v[6:7], s[28:29], v6, s19, v[22:23]
	v_mov_b32_e32 v21, v6
	v_lshlrev_b64 v[6:7], 3, v[20:21]
	v_mov_b32_e32 v19, s26
	v_add_co_u32_e32 v6, vcc, s21, v6
	v_addc_co_u32_e32 v7, vcc, v19, v7, vcc
	global_store_dwordx2 v[6:7], v[0:1], off
	s_branch .LBB131_21
.LBB131_39:                             ;   in Loop: Header=BB131_40 Depth=1
	s_add_u32 s16, s16, 4
	s_addc_u32 s17, s17, 0
	s_waitcnt lgkmcnt(0)
	s_add_i32 s40, s15, s40
	s_add_u32 s18, s18, 4
	s_addc_u32 s19, s19, 0
	s_add_i32 s14, s14, 1
	s_cmp_lt_u32 s14, s21
	s_cbranch_scc0 .LBB131_18
.LBB131_40:                             ; =>This Inner Loop Header: Depth=1
	s_load_dword s15, s[16:17], 0x0
	s_cmp_ge_u32 s14, s39
	s_cbranch_scc1 .LBB131_39
; %bb.41:                               ;   in Loop: Header=BB131_40 Depth=1
	s_load_dword s30, s[18:19], 0x0
	s_waitcnt lgkmcnt(0)
	s_add_i32 s23, s15, s23
	s_add_i32 s22, s30, s22
	s_branch .LBB131_39
.LBB131_42:
	s_endpgm
	.section	.rodata,"a",@progbits
	.p2align	6, 0x0
	.amdhsa_kernel _ZN2at6native6mbtopk10gatherTopKIamLi1EEEvNS_4cuda6detail10TensorInfoIKT_T0_EES8_S8_bjS8_NS5_IS6_S8_EES8_NS5_IlS8_EES8_jjPS6_PjSD_j
		.amdhsa_group_segment_fixed_size 1068
		.amdhsa_private_segment_fixed_size 0
		.amdhsa_kernarg_size 1592
		.amdhsa_user_sgpr_count 6
		.amdhsa_user_sgpr_private_segment_buffer 1
		.amdhsa_user_sgpr_dispatch_ptr 0
		.amdhsa_user_sgpr_queue_ptr 0
		.amdhsa_user_sgpr_kernarg_segment_ptr 1
		.amdhsa_user_sgpr_dispatch_id 0
		.amdhsa_user_sgpr_flat_scratch_init 0
		.amdhsa_user_sgpr_kernarg_preload_length 0
		.amdhsa_user_sgpr_kernarg_preload_offset 0
		.amdhsa_user_sgpr_private_segment_size 0
		.amdhsa_uses_dynamic_stack 0
		.amdhsa_system_sgpr_private_segment_wavefront_offset 0
		.amdhsa_system_sgpr_workgroup_id_x 1
		.amdhsa_system_sgpr_workgroup_id_y 1
		.amdhsa_system_sgpr_workgroup_id_z 1
		.amdhsa_system_sgpr_workgroup_info 0
		.amdhsa_system_vgpr_workitem_id 0
		.amdhsa_next_free_vgpr 24
		.amdhsa_next_free_sgpr 44
		.amdhsa_accum_offset 24
		.amdhsa_reserve_vcc 1
		.amdhsa_reserve_flat_scratch 0
		.amdhsa_float_round_mode_32 0
		.amdhsa_float_round_mode_16_64 0
		.amdhsa_float_denorm_mode_32 3
		.amdhsa_float_denorm_mode_16_64 3
		.amdhsa_dx10_clamp 1
		.amdhsa_ieee_mode 1
		.amdhsa_fp16_overflow 0
		.amdhsa_tg_split 0
		.amdhsa_exception_fp_ieee_invalid_op 0
		.amdhsa_exception_fp_denorm_src 0
		.amdhsa_exception_fp_ieee_div_zero 0
		.amdhsa_exception_fp_ieee_overflow 0
		.amdhsa_exception_fp_ieee_underflow 0
		.amdhsa_exception_fp_ieee_inexact 0
		.amdhsa_exception_int_div_zero 0
	.end_amdhsa_kernel
	.section	.text._ZN2at6native6mbtopk10gatherTopKIamLi1EEEvNS_4cuda6detail10TensorInfoIKT_T0_EES8_S8_bjS8_NS5_IS6_S8_EES8_NS5_IlS8_EES8_jjPS6_PjSD_j,"axG",@progbits,_ZN2at6native6mbtopk10gatherTopKIamLi1EEEvNS_4cuda6detail10TensorInfoIKT_T0_EES8_S8_bjS8_NS5_IS6_S8_EES8_NS5_IlS8_EES8_jjPS6_PjSD_j,comdat
.Lfunc_end131:
	.size	_ZN2at6native6mbtopk10gatherTopKIamLi1EEEvNS_4cuda6detail10TensorInfoIKT_T0_EES8_S8_bjS8_NS5_IS6_S8_EES8_NS5_IlS8_EES8_jjPS6_PjSD_j, .Lfunc_end131-_ZN2at6native6mbtopk10gatherTopKIamLi1EEEvNS_4cuda6detail10TensorInfoIKT_T0_EES8_S8_bjS8_NS5_IS6_S8_EES8_NS5_IlS8_EES8_jjPS6_PjSD_j
                                        ; -- End function
	.section	.AMDGPU.csdata,"",@progbits
; Kernel info:
; codeLenInByte = 2136
; NumSgprs: 48
; NumVgprs: 24
; NumAgprs: 0
; TotalNumVgprs: 24
; ScratchSize: 0
; MemoryBound: 0
; FloatMode: 240
; IeeeMode: 1
; LDSByteSize: 1068 bytes/workgroup (compile time only)
; SGPRBlocks: 5
; VGPRBlocks: 2
; NumSGPRsForWavesPerEU: 48
; NumVGPRsForWavesPerEU: 24
; AccumOffset: 24
; Occupancy: 8
; WaveLimiterHint : 1
; COMPUTE_PGM_RSRC2:SCRATCH_EN: 0
; COMPUTE_PGM_RSRC2:USER_SGPR: 6
; COMPUTE_PGM_RSRC2:TRAP_HANDLER: 0
; COMPUTE_PGM_RSRC2:TGID_X_EN: 1
; COMPUTE_PGM_RSRC2:TGID_Y_EN: 1
; COMPUTE_PGM_RSRC2:TGID_Z_EN: 1
; COMPUTE_PGM_RSRC2:TIDIG_COMP_CNT: 0
; COMPUTE_PGM_RSRC3_GFX90A:ACCUM_OFFSET: 5
; COMPUTE_PGM_RSRC3_GFX90A:TG_SPLIT: 0
	.section	.text._ZN2at6native6sbtopk10gatherTopKIamLi1ELb0EEEvNS_4cuda6detail10TensorInfoIKT_T0_EES8_S8_bS8_S8_NS5_IS6_S8_EES8_NS5_IlS8_EES8_PS6_,"axG",@progbits,_ZN2at6native6sbtopk10gatherTopKIamLi1ELb0EEEvNS_4cuda6detail10TensorInfoIKT_T0_EES8_S8_bS8_S8_NS5_IS6_S8_EES8_NS5_IlS8_EES8_PS6_,comdat
	.protected	_ZN2at6native6sbtopk10gatherTopKIamLi1ELb0EEEvNS_4cuda6detail10TensorInfoIKT_T0_EES8_S8_bS8_S8_NS5_IS6_S8_EES8_NS5_IlS8_EES8_PS6_ ; -- Begin function _ZN2at6native6sbtopk10gatherTopKIamLi1ELb0EEEvNS_4cuda6detail10TensorInfoIKT_T0_EES8_S8_bS8_S8_NS5_IS6_S8_EES8_NS5_IlS8_EES8_PS6_
	.globl	_ZN2at6native6sbtopk10gatherTopKIamLi1ELb0EEEvNS_4cuda6detail10TensorInfoIKT_T0_EES8_S8_bS8_S8_NS5_IS6_S8_EES8_NS5_IlS8_EES8_PS6_
	.p2align	8
	.type	_ZN2at6native6sbtopk10gatherTopKIamLi1ELb0EEEvNS_4cuda6detail10TensorInfoIKT_T0_EES8_S8_bS8_S8_NS5_IS6_S8_EES8_NS5_IlS8_EES8_PS6_,@function
_ZN2at6native6sbtopk10gatherTopKIamLi1ELb0EEEvNS_4cuda6detail10TensorInfoIKT_T0_EES8_S8_bS8_S8_NS5_IS6_S8_EES8_NS5_IlS8_EES8_PS6_: ; @_ZN2at6native6sbtopk10gatherTopKIamLi1ELb0EEEvNS_4cuda6detail10TensorInfoIKT_T0_EES8_S8_bS8_S8_NS5_IS6_S8_EES8_NS5_IlS8_EES8_PS6_
; %bb.0:
	s_load_dwordx4 s[60:63], s[4:5], 0x1b8
	s_load_dwordx2 s[14:15], s[4:5], 0x520
	s_add_u32 s2, s4, 0x520
	s_addc_u32 s3, s5, 0
	s_mov_b32 s17, 0
	s_waitcnt lgkmcnt(0)
	v_mov_b32_e32 v2, s60
	s_mul_i32 s0, s15, s8
	s_add_i32 s0, s0, s7
	s_mul_i32 s0, s0, s14
	v_mov_b32_e32 v3, s61
	s_add_i32 s16, s0, s6
	v_cmp_ge_u64_e32 vcc, s[16:17], v[2:3]
	s_cbranch_vccnz .LBB132_480
; %bb.1:
	s_load_dwordx2 s[0:1], s[4:5], 0x440
                                        ; implicit-def: $vgpr48 : SGPR spill to VGPR lane
	v_cmp_eq_u32_e64 s[10:11], 0, v0
	s_waitcnt lgkmcnt(0)
	v_writelane_b32 v48, s0, 0
	v_writelane_b32 v48, s1, 1
	s_load_dwordx2 s[0:1], s[4:5], 0x370
	s_waitcnt lgkmcnt(0)
	v_writelane_b32 v48, s0, 2
	v_writelane_b32 v48, s1, 3
	s_load_dwordx2 s[0:1], s[4:5], 0x298
	s_waitcnt lgkmcnt(0)
	v_writelane_b32 v48, s0, 4
	v_writelane_b32 v48, s1, 5
	s_load_dwordx4 s[56:59], s[4:5], 0x1a0
	s_load_dwordx2 s[0:1], s[4:5], 0x1c8
	s_waitcnt lgkmcnt(0)
	v_writelane_b32 v48, s0, 6
	v_writelane_b32 v48, s1, 7
	s_load_dwordx2 s[0:1], s[4:5], 0xd0
	s_load_dwordx2 s[12:13], s[4:5], 0x0
	s_mov_b64 s[8:9], exec
	v_writelane_b32 v48, s10, 8
	v_writelane_b32 v48, s11, 9
	s_and_b64 s[10:11], s[8:9], s[10:11]
	s_mov_b64 exec, s[10:11]
	s_cbranch_execz .LBB132_3
; %bb.2:
	v_mov_b32_e32 v2, 0
	v_mov_b32_e32 v4, s56
	;; [unrolled: 1-line block ×4, first 2 shown]
	ds_write_b32 v2, v2 offset:5144
	ds_write_b128 v2, v[2:5] offset:5120
.LBB132_3:
	s_or_b64 exec, exec, s[8:9]
	v_writelane_b32 v48, s4, 10
	s_load_dword s7, s[4:5], 0x1b0
	s_waitcnt lgkmcnt(0)
	s_mul_i32 s1, s1, s16
	s_mul_hi_u32 s8, s0, s16
	v_writelane_b32 v48, s5, 11
	s_add_i32 s1, s8, s1
	s_mov_b32 s4, s16
	s_mul_i32 s0, s0, s16
	v_writelane_b32 v48, s4, 12
	s_add_u32 s12, s12, s0
	v_writelane_b32 v48, s5, 13
	s_addc_u32 s13, s13, s1
	v_writelane_b32 v48, s0, 14
	s_bitcmp1_b32 s7, 0
	v_writelane_b32 v48, s1, 15
	s_cselect_b64 s[0:1], -1, 0
	v_writelane_b32 v48, s0, 16
	v_writelane_b32 v48, s1, 17
	s_xor_b64 s[0:1], s[0:1], -1
	v_mbcnt_lo_u32_b32 v1, -1, 0
	v_writelane_b32 v48, s0, 18
	v_mbcnt_hi_u32_b32 v33, -1, v1
	v_writelane_b32 v48, s1, 19
	v_cmp_eq_u32_e64 s[0:1], 0, v33
	v_writelane_b32 v48, s0, 20
	v_cmp_gt_u32_e32 vcc, 64, v0
	v_cmp_gt_i32_e64 s[10:11], 4, v33
	v_writelane_b32 v48, s1, 21
	s_and_b64 s[0:1], vcc, s[10:11]
	v_mov_b32_e32 v2, 0xc00
	v_writelane_b32 v48, s0, 22
	v_mov_b32_e32 v3, 0
	v_writelane_b32 v48, s1, 23
	v_cmp_gt_u64_e64 s[0:1], s[56:57], v[2:3]
	v_mov_b32_e32 v15, 0
	v_writelane_b32 v48, s0, 24
	v_pk_mov_b32 v[4:5], s[12:13], s[12:13] op_sel:[0,1]
	v_writelane_b32 v48, s1, 25
	v_mov_b32_e32 v1, v15
	v_mad_u64_u32 v[2:3], s[0:1], v0, s62, 0
	v_mad_u64_u32 v[12:13], s[0:1], v0, s62, v[4:5]
	v_cmp_gt_u64_e64 s[0:1], s[56:57], v[0:1]
	v_writelane_b32 v48, s0, 26
	v_writelane_b32 v48, s1, 27
	v_cmp_gt_u32_e64 s[0:1], 2, v0
	v_writelane_b32 v48, s0, 28
	s_barrier
	v_writelane_b32 v48, s1, 29
	s_load_dword s0, s[2:3], 0xc
	v_lshrrev_b32_e32 v4, 4, v0
	v_and_b32_e32 v34, 60, v4
	v_lshlrev_b32_e32 v4, 2, v33
	v_lshlrev_b32_e32 v16, 2, v0
	s_waitcnt lgkmcnt(0)
	s_and_b32 s33, s0, 0xffff
	s_bfe_u32 s1, s0, 0xa0006
	v_cmp_gt_u16_e64 s[4:5], s0, 63
	v_writelane_b32 v48, s4, 30
	s_add_u32 s0, s33, -1
	v_writelane_b32 v48, s5, 31
	s_addc_u32 s4, 0, -1
	v_writelane_b32 v48, s0, 32
	s_add_u32 s0, s0, s56
	s_addc_u32 s5, s4, s57
	v_writelane_b32 v48, s0, 33
	s_cmp_lt_u32 s6, s14
	v_writelane_b32 v48, s4, 34
	s_cselect_b32 s0, 12, 18
	v_writelane_b32 v48, s4, 35
	s_add_u32 s2, s2, s0
	v_writelane_b32 v48, s5, 36
	s_addc_u32 s3, s3, 0
	v_writelane_b32 v48, s2, 37
	v_writelane_b32 v48, s3, 38
	s_add_i32 s0, s1, -1
	s_bfe_u32 s2, s33, 0x30006
	s_mov_b32 s3, 6
	s_cmp_gt_u32 s0, 6
	v_writelane_b32 v48, s3, 39
	s_cselect_b64 s[4:5], -1, 0
	v_writelane_b32 v48, s4, 40
	s_and_b32 s85, s1, 0x3f8
	v_writelane_b32 v48, s5, 41
	s_cmp_lg_u32 s2, 0
	v_and_b32_e32 v32, 0x100, v4
	v_lshlrev_b64 v[4:5], v33, -1
	v_writelane_b32 v48, s2, 42
	s_cselect_b64 s[0:1], -1, 0
	v_not_b32_e32 v11, v5
	v_writelane_b32 v48, s0, 43
	v_or_b32_e32 v5, 3, v16
	v_writelane_b32 v48, s1, 44
	v_mad_u64_u32 v[18:19], s[0:1], s62, v5, 0
	v_not_b32_e32 v10, v4
	v_mov_b32_e32 v4, v19
	v_mad_u64_u32 v[4:5], s[0:1], s63, v5, v[4:5]
	s_lshl_b64 s[0:1], s[62:63], 2
	v_writelane_b32 v48, s0, 45
	v_or_b32_e32 v5, 2, v16
	v_writelane_b32 v48, s1, 46
	v_mad_u64_u32 v[20:21], s[0:1], s62, v5, 0
	v_mov_b32_e32 v19, v4
	v_mov_b32_e32 v4, v21
	v_mad_u64_u32 v[4:5], s[0:1], s63, v5, v[4:5]
	v_mov_b32_e32 v21, v4
	v_pk_mov_b32 v[4:5], s[62:63], s[62:63] op_sel:[0,1]
	v_mad_u64_u32 v[22:23], s[0:1], s62, v16, v[4:5]
	v_mov_b32_e32 v4, v23
	v_mul_lo_u32 v6, v0, s63
	v_mad_u64_u32 v[4:5], s[0:1], s63, v16, v[4:5]
	v_add_u32_e32 v3, v3, v6
	s_mul_i32 s0, s63, s33
	s_mul_hi_u32 s1, s62, s33
	s_mov_b32 s79, 0
	v_lshlrev_b64 v[24:25], 2, v[2:3]
	v_mov_b32_e32 v2, 0xc00
	s_add_i32 s87, s1, s0
	s_mul_i32 s0, s62, s33
	v_add_u32_e32 v13, v6, v13
	v_mov_b32_e32 v17, v15
	s_mov_b32 s86, s79
	v_mov_b32_e32 v23, v4
	v_lshl_or_b32 v35, v33, 3, v2
	v_writelane_b32 v48, s0, 47
	s_mov_b64 s[94:95], 0
	v_pk_mov_b32 v[26:27], s[58:59], s[58:59] op_sel:[0,1]
	s_movk_i32 s84, 0x80
	v_mov_b32_e32 v36, 0x4f800000
	v_mov_b32_e32 v39, 0
	s_mov_b32 s0, 0
	v_mov_b32_e32 v38, 0
	v_mov_b32_e32 v37, 0
                                        ; implicit-def: $sgpr66_sgpr67
                                        ; implicit-def: $sgpr68_sgpr69
                                        ; implicit-def: $sgpr60_sgpr61
                                        ; implicit-def: $sgpr2_sgpr3
                                        ; implicit-def: $sgpr72_sgpr73
                                        ; implicit-def: $sgpr22_sgpr23
                                        ; implicit-def: $sgpr88_sgpr89
	v_writelane_b32 v48, s0, 48
                                        ; implicit-def: $sgpr90_sgpr91
                                        ; implicit-def: $sgpr64_sgpr65
                                        ; implicit-def: $sgpr30_sgpr31
	s_branch .LBB132_6
.LBB132_4:                              ;   in Loop: Header=BB132_6 Depth=1
	s_or_b64 exec, exec, s[10:11]
	s_andn2_b64 s[0:1], s[30:31], exec
	s_and_b64 s[8:9], s[8:9], exec
	s_or_b64 s[30:31], s[0:1], s[8:9]
	s_andn2_b64 s[64:65], s[64:65], exec
	s_andn2_b64 s[90:91], s[90:91], exec
	;; [unrolled: 1-line block ×4, first 2 shown]
	s_orn2_b64 s[6:7], s[6:7], exec
	v_mov_b32_e32 v37, v29
	v_mov_b32_e32 v38, v28
	v_pk_mov_b32 v[26:27], v[2:3], v[2:3] op_sel:[0,1]
	v_mov_b32_e32 v39, v30
.LBB132_5:                              ;   in Loop: Header=BB132_6 Depth=1
	s_or_b64 exec, exec, s[4:5]
	s_and_b64 s[0:1], exec, s[6:7]
	s_or_b64 s[94:95], s[0:1], s[94:95]
	s_andn2_b64 s[0:1], s[72:73], exec
	s_and_b64 s[4:5], s[30:31], exec
	s_or_b64 s[72:73], s[0:1], s[4:5]
	s_andn2_b64 s[0:1], s[2:3], exec
	s_and_b64 s[2:3], s[64:65], exec
	;; [unrolled: 3-line block ×5, first 2 shown]
	s_or_b64 s[66:67], s[0:1], s[4:5]
	s_andn2_b64 exec, exec, s[94:95]
	s_cbranch_execz .LBB132_476
.LBB132_6:                              ; =>This Loop Header: Depth=1
                                        ;     Child Loop BB132_11 Depth 2
                                        ;     Child Loop BB132_26 Depth 2
	;; [unrolled: 1-line block ×24, first 2 shown]
	ds_read_b128 v[2:5], v15 offset:5120
	s_waitcnt lgkmcnt(0)
	v_readfirstlane_b32 s9, v3
	v_readfirstlane_b32 s8, v2
	s_cmp_lg_u64 s[8:9], 0
	s_cbranch_scc1 .LBB132_33
; %bb.7:                                ;   in Loop: Header=BB132_6 Depth=1
	v_readlane_b32 s0, v48, 24
	v_readlane_b32 s1, v48, 25
	s_and_b64 vcc, exec, s[0:1]
	s_cbranch_vccz .LBB132_19
; %bb.8:                                ;   in Loop: Header=BB132_6 Depth=1
	s_mov_b64 s[0:1], 0xc01
	v_cmp_gt_u64_e32 vcc, s[0:1], v[4:5]
	s_mov_b64 s[8:9], 0
	s_mov_b64 s[4:5], 0
	s_cbranch_vccz .LBB132_20
; %bb.9:                                ;   in Loop: Header=BB132_6 Depth=1
	v_readlane_b32 s0, v48, 37
	v_readlane_b32 s1, v48, 38
	s_nop 4
	global_load_ushort v6, v15, s[0:1]
	global_load_ubyte v7, v[12:13], off
	v_pk_mov_b32 v[2:3], s[12:13], s[12:13] op_sel:[0,1]
	s_waitcnt vmcnt(1)
	v_readfirstlane_b32 s0, v6
	s_and_b32 s0, 0xffff, s0
	v_add_u32_e32 v5, s0, v0
	v_mad_u64_u32 v[2:3], s[6:7], s62, v5, v[2:3]
	v_mov_b32_e32 v4, v3
	s_mul_i32 s1, s63, s0
	s_mul_hi_u32 s10, s62, s0
	v_mad_u64_u32 v[4:5], s[6:7], s63, v5, v[4:5]
	s_mul_i32 s0, s62, s0
	s_add_i32 s1, s10, s1
	v_mov_b32_e32 v3, v4
	v_pk_mov_b32 v[4:5], v[0:1], v[0:1] op_sel:[0,1]
	s_branch .LBB132_11
.LBB132_10:                             ;   in Loop: Header=BB132_11 Depth=2
	s_or_b64 exec, exec, s[6:7]
	v_mov_b32_e32 v7, s1
	v_add_co_u32_e32 v2, vcc, s0, v2
	v_addc_co_u32_e32 v3, vcc, v3, v7, vcc
	v_mov_b32_e32 v7, v8
	s_andn2_b64 exec, exec, s[4:5]
	s_cbranch_execz .LBB132_92
.LBB132_11:                             ;   Parent Loop BB132_6 Depth=1
                                        ; =>  This Inner Loop Header: Depth=2
	v_add_co_u32_sdwa v4, vcc, v4, v6 dst_sel:DWORD dst_unused:UNUSED_PAD src0_sel:DWORD src1_sel:WORD_0
	v_addc_co_u32_e32 v5, vcc, 0, v5, vcc
	v_cmp_gt_u64_e64 s[6:7], s[56:57], v[4:5]
	v_cmp_le_u64_e32 vcc, s[56:57], v[4:5]
	s_waitcnt lgkmcnt(0)
	v_mov_b32_e32 v9, 0
	v_mov_b32_e32 v8, 0
	s_and_saveexec_b64 s[10:11], s[6:7]
	s_cbranch_execz .LBB132_13
; %bb.12:                               ;   in Loop: Header=BB132_11 Depth=2
	global_load_ubyte v8, v[2:3], off
.LBB132_13:                             ;   in Loop: Header=BB132_11 Depth=2
	s_or_b64 exec, exec, s[10:11]
	s_waitcnt vmcnt(0)
	v_add_u32_sdwa v14, sext(v7), s84 dst_sel:DWORD dst_unused:UNUSED_PAD src0_sel:BYTE_0 src1_sel:DWORD
	v_and_b32_e32 v14, v14, v37
	v_cmp_eq_u32_e64 s[14:15], v14, v38
	s_cmp_lg_u64 s[14:15], 0
	v_readlane_b32 s10, v48, 20
	s_cselect_b64 s[6:7], -1, 0
	v_readlane_b32 s11, v48, 21
	s_and_b64 s[6:7], s[10:11], s[6:7]
	s_and_saveexec_b64 s[10:11], s[6:7]
	s_cbranch_execz .LBB132_17
; %bb.14:                               ;   in Loop: Header=BB132_11 Depth=2
	s_mov_b64 s[18:19], exec
	v_mbcnt_lo_u32_b32 v9, s18, 0
	v_mbcnt_hi_u32_b32 v9, s19, v9
	s_bcnt1_i32_b64 s20, s[14:15]
	v_cmp_eq_u32_e64 s[6:7], 0, v9
                                        ; implicit-def: $vgpr14
	s_and_saveexec_b64 s[16:17], s[6:7]
	s_cbranch_execz .LBB132_16
; %bb.15:                               ;   in Loop: Header=BB132_11 Depth=2
	s_bcnt1_i32_b64 s6, s[18:19]
	s_mul_i32 s6, s20, s6
	v_mov_b32_e32 v14, s6
	ds_add_rtn_u32 v14, v15, v14 offset:5144
.LBB132_16:                             ;   in Loop: Header=BB132_11 Depth=2
	s_or_b64 exec, exec, s[16:17]
	s_waitcnt lgkmcnt(0)
	v_readfirstlane_b32 s6, v14
	v_mov_b32_e32 v14, s6
	v_mad_u32_u24 v9, s20, v9, v14
.LBB132_17:                             ;   in Loop: Header=BB132_11 Depth=2
	s_or_b64 exec, exec, s[10:11]
	ds_bpermute_b32 v9, v32, v9
	s_and_b64 s[6:7], exec, vcc
	s_or_b64 s[4:5], s[6:7], s[4:5]
	s_and_saveexec_b64 s[6:7], s[14:15]
	s_cbranch_execz .LBB132_10
; %bb.18:                               ;   in Loop: Header=BB132_11 Depth=2
	v_and_b32_e32 v28, s14, v10
	v_and_b32_e32 v14, s15, v11
	v_bcnt_u32_b32 v28, v28, 0
	v_bcnt_u32_b32 v14, v14, v28
	s_waitcnt lgkmcnt(0)
	v_add_u32_e32 v9, v9, v14
	ds_write_b8 v9, v7
	s_branch .LBB132_10
.LBB132_19:                             ;   in Loop: Header=BB132_6 Depth=1
	s_mov_b64 s[8:9], -1
	s_mov_b64 s[4:5], 0
.LBB132_20:                             ;   in Loop: Header=BB132_6 Depth=1
	s_and_b64 vcc, exec, s[8:9]
	s_cbranch_vccz .LBB132_31
.LBB132_21:                             ;   in Loop: Header=BB132_6 Depth=1
	v_mov_b32_e32 v6, 0
	s_mov_b64 s[4:5], exec
	v_readlane_b32 s0, v48, 26
	v_readlane_b32 s1, v48, 27
	s_and_b64 s[0:1], s[4:5], s[0:1]
	s_mov_b64 exec, s[0:1]
	s_cbranch_execz .LBB132_23
; %bb.22:                               ;   in Loop: Header=BB132_6 Depth=1
	global_load_ubyte v6, v[12:13], off
.LBB132_23:                             ;   in Loop: Header=BB132_6 Depth=1
	s_or_b64 exec, exec, s[4:5]
	s_mov_b64 s[4:5], exec
	v_readlane_b32 s0, v48, 26
	v_readlane_b32 s1, v48, 27
	s_and_b64 s[0:1], s[4:5], s[0:1]
	s_mov_b64 exec, s[0:1]
	s_cbranch_execz .LBB132_28
; %bb.24:                               ;   in Loop: Header=BB132_6 Depth=1
	v_readlane_b32 s0, v48, 37
	v_readlane_b32 s1, v48, 38
	v_pk_mov_b32 v[2:3], s[12:13], s[12:13] op_sel:[0,1]
	s_mov_b64 s[8:9], 0
	v_mov_b32_e32 v8, v0
	s_nop 1
	global_load_ushort v7, v15, s[0:1]
	s_waitcnt vmcnt(0)
	v_readfirstlane_b32 s0, v7
	s_and_b32 s0, 0xffff, s0
	v_add_u32_e32 v5, s0, v0
	v_mad_u64_u32 v[2:3], s[6:7], s62, v5, v[2:3]
	v_mov_b32_e32 v4, v3
	s_mul_i32 s10, s63, s0
	s_mul_hi_u32 s11, s62, s0
	v_mad_u64_u32 v[4:5], s[6:7], s63, v5, v[4:5]
	s_mul_i32 s1, s62, s0
	s_add_i32 s14, s11, s10
	v_mov_b32_e32 v3, v4
	v_pk_mov_b32 v[4:5], v[0:1], v[0:1] op_sel:[0,1]
	s_branch .LBB132_26
.LBB132_25:                             ;   in Loop: Header=BB132_26 Depth=2
	s_or_b64 exec, exec, s[10:11]
	s_and_b64 s[6:7], exec, vcc
	ds_write_b8 v8, v6
	v_mov_b32_e32 v6, s14
	v_add_co_u32_e32 v2, vcc, s1, v2
	s_or_b64 s[8:9], s[6:7], s[8:9]
	v_add_u32_e32 v8, s0, v8
	v_addc_co_u32_e32 v3, vcc, v3, v6, vcc
	s_waitcnt vmcnt(0)
	v_mov_b32_e32 v6, v9
	s_andn2_b64 exec, exec, s[8:9]
	s_cbranch_execz .LBB132_28
.LBB132_26:                             ;   Parent Loop BB132_6 Depth=1
                                        ; =>  This Inner Loop Header: Depth=2
	v_add_co_u32_sdwa v4, vcc, v4, v7 dst_sel:DWORD dst_unused:UNUSED_PAD src0_sel:DWORD src1_sel:WORD_0
	v_addc_co_u32_e32 v5, vcc, 0, v5, vcc
	v_cmp_gt_u64_e64 s[6:7], s[56:57], v[4:5]
	v_cmp_le_u64_e32 vcc, s[56:57], v[4:5]
	v_mov_b32_e32 v9, 0
	s_and_saveexec_b64 s[10:11], s[6:7]
	s_cbranch_execz .LBB132_25
; %bb.27:                               ;   in Loop: Header=BB132_26 Depth=2
	global_load_ubyte v9, v[2:3], off
	s_branch .LBB132_25
.LBB132_28:                             ;   in Loop: Header=BB132_6 Depth=1
	s_or_b64 exec, exec, s[4:5]
	s_waitcnt lgkmcnt(0)
	s_barrier
	s_mov_b64 s[4:5], exec
	v_readlane_b32 s0, v48, 8
	v_readlane_b32 s1, v48, 9
	s_and_b64 s[0:1], s[4:5], s[0:1]
	s_mov_b64 exec, s[0:1]
	s_cbranch_execz .LBB132_30
; %bb.29:                               ;   in Loop: Header=BB132_6 Depth=1
	v_pk_mov_b32 v[2:3], s[56:57], s[56:57] op_sel:[0,1]
	ds_write_b64 v15, v[2:3] offset:5120
.LBB132_30:                             ;   in Loop: Header=BB132_6 Depth=1
	s_or_b64 exec, exec, s[4:5]
	s_mov_b64 s[4:5], -1
	s_waitcnt lgkmcnt(0)
	s_barrier
                                        ; implicit-def: $sgpr8_sgpr9
.LBB132_31:                             ;   in Loop: Header=BB132_6 Depth=1
	s_and_b64 vcc, exec, s[4:5]
	s_cbranch_vccz .LBB132_33
; %bb.32:                               ;   in Loop: Header=BB132_6 Depth=1
	ds_read_b64 v[2:3], v15 offset:5120
	s_waitcnt lgkmcnt(0)
	v_readfirstlane_b32 s8, v2
.LBB132_33:                             ;   in Loop: Header=BB132_6 Depth=1
	s_cmp_lt_i32 s8, 1
	v_writelane_b32 v48, s22, 49
	v_writelane_b32 v48, s23, 50
	s_cbranch_scc0 .LBB132_48
; %bb.34:                               ;   in Loop: Header=BB132_6 Depth=1
	v_readlane_b32 s0, v48, 37
	v_readlane_b32 s1, v48, 38
	s_nop 4
	global_load_ushort v2, v15, s[0:1]
	s_mov_b32 s0, s79
	s_waitcnt vmcnt(0)
	v_readfirstlane_b32 s1, v2
	s_and_b32 s9, s1, 0xffff
	s_lshl_b32 s78, s9, 2
	s_mov_b32 s1, s57
	s_cmp_lg_u64 s[0:1], 0
	s_cbranch_scc0 .LBB132_68
; %bb.35:                               ;   in Loop: Header=BB132_6 Depth=1
	v_cvt_f32_u32_e32 v2, s78
	s_sub_u32 s0, 0, s78
	s_subb_u32 s1, 0, 0
	v_mac_f32_e32 v2, 0, v36
	v_rcp_f32_e32 v2, v2
	v_mul_f32_e32 v2, 0x5f7ffffc, v2
	v_mul_f32_e32 v3, 0x2f800000, v2
	v_trunc_f32_e32 v3, v3
	v_mac_f32_e32 v2, 0xcf800000, v3
	v_cvt_u32_f32_e32 v3, v3
	v_cvt_u32_f32_e32 v2, v2
	v_readfirstlane_b32 s4, v3
	v_readfirstlane_b32 s5, v2
	s_mul_i32 s6, s0, s4
	s_mul_hi_u32 s10, s0, s5
	s_mul_i32 s7, s1, s5
	s_add_i32 s6, s10, s6
	s_mul_i32 s11, s0, s5
	s_add_i32 s6, s6, s7
	s_mul_hi_u32 s10, s5, s11
	s_mul_hi_u32 s7, s5, s6
	s_mul_i32 s5, s5, s6
	s_add_u32 s5, s10, s5
	s_addc_u32 s7, 0, s7
	s_mul_hi_u32 s14, s4, s11
	s_mul_i32 s11, s4, s11
	s_add_u32 s5, s5, s11
	s_mul_hi_u32 s10, s4, s6
	s_addc_u32 s5, s7, s14
	s_addc_u32 s7, s10, 0
	s_mul_i32 s6, s4, s6
	s_add_u32 s5, s5, s6
	s_addc_u32 s6, 0, s7
	v_add_co_u32_e32 v2, vcc, s5, v2
	s_cmp_lg_u64 vcc, 0
	s_addc_u32 s4, s4, s6
	v_readfirstlane_b32 s6, v2
	s_mul_i32 s5, s0, s4
	s_mul_hi_u32 s7, s0, s6
	s_add_i32 s5, s7, s5
	s_mul_i32 s1, s1, s6
	s_add_i32 s5, s5, s1
	s_mul_i32 s0, s0, s6
	s_mul_hi_u32 s7, s4, s0
	s_mul_i32 s10, s4, s0
	s_mul_i32 s14, s6, s5
	s_mul_hi_u32 s0, s6, s0
	s_mul_hi_u32 s11, s6, s5
	s_add_u32 s0, s0, s14
	s_addc_u32 s6, 0, s11
	s_add_u32 s0, s0, s10
	s_mul_hi_u32 s1, s4, s5
	s_addc_u32 s0, s6, s7
	s_addc_u32 s1, s1, 0
	s_mul_i32 s5, s4, s5
	s_add_u32 s0, s0, s5
	s_addc_u32 s1, 0, s1
	v_add_co_u32_e32 v2, vcc, s0, v2
	s_cmp_lg_u64 vcc, 0
	s_addc_u32 s0, s4, s1
	v_readfirstlane_b32 s5, v2
	s_mul_i32 s4, s56, s0
	s_mul_hi_u32 s6, s56, s5
	s_mul_hi_u32 s1, s56, s0
	s_add_u32 s4, s6, s4
	s_addc_u32 s1, 0, s1
	s_mul_hi_u32 s7, s57, s5
	s_mul_i32 s5, s57, s5
	s_add_u32 s4, s4, s5
	s_mul_hi_u32 s6, s57, s0
	s_addc_u32 s1, s1, s7
	s_addc_u32 s4, s6, 0
	s_mul_i32 s0, s57, s0
	s_add_u32 s0, s1, s0
	s_addc_u32 s1, 0, s4
	s_mul_hi_u32 s4, s78, s0
	s_mul_i32 s0, s78, s0
	s_mul_i32 s1, s78, s1
	v_mov_b32_e32 v2, s0
	s_add_i32 s4, s4, s1
	v_sub_co_u32_e32 v2, vcc, s56, v2
	s_cmp_lg_u64 vcc, 0
	s_subb_u32 s0, s57, s4
	v_subrev_co_u32_e32 v3, vcc, s78, v2
	s_cmp_lg_u64 vcc, 0
	s_subb_u32 s1, s0, 0
	v_subrev_co_u32_e32 v4, vcc, s78, v3
	s_cmp_lg_u64 vcc, 0
	s_subb_u32 s4, s1, 0
	v_cmp_le_u32_e32 vcc, s78, v3
	s_cmp_eq_u32 s1, 0
	v_cndmask_b32_e64 v5, 0, -1, vcc
	s_cselect_b64 vcc, -1, 0
	v_cndmask_b32_e32 v5, -1, v5, vcc
	v_mov_b32_e32 v6, s1
	v_mov_b32_e32 v7, s4
	v_cmp_ne_u32_e32 vcc, 0, v5
	v_cndmask_b32_e32 v5, v6, v7, vcc
	v_cndmask_b32_e32 v4, v3, v4, vcc
	v_cmp_le_u32_e32 vcc, s78, v2
	s_cmp_eq_u32 s0, 0
	v_cndmask_b32_e64 v3, 0, -1, vcc
	s_cselect_b64 vcc, -1, 0
	v_cndmask_b32_e32 v3, -1, v3, vcc
	v_mov_b32_e32 v6, s0
	v_cmp_ne_u32_e32 vcc, 0, v3
	v_cndmask_b32_e32 v3, v6, v5, vcc
	v_cndmask_b32_e32 v2, v2, v4, vcc
	s_cbranch_execnz .LBB132_37
.LBB132_36:                             ;   in Loop: Header=BB132_6 Depth=1
	v_cvt_f32_u32_e32 v2, s78
	s_sub_i32 s0, 0, s78
	v_rcp_iflag_f32_e32 v2, v2
	v_mul_f32_e32 v2, 0x4f7ffffe, v2
	v_cvt_u32_f32_e32 v2, v2
	v_mul_lo_u32 v3, s0, v2
	v_mul_hi_u32 v3, v2, v3
	v_add_u32_e32 v2, v2, v3
	v_mul_hi_u32 v2, s56, v2
	v_mul_lo_u32 v2, v2, s78
	v_sub_u32_e32 v2, s56, v2
	v_subrev_u32_e32 v3, s78, v2
	v_cmp_le_u32_e32 vcc, s78, v2
	v_cndmask_b32_e32 v2, v2, v3, vcc
	v_subrev_u32_e32 v3, s78, v2
	v_cmp_le_u32_e32 vcc, s78, v2
	v_cndmask_b32_e32 v14, v2, v3, vcc
	v_pk_mov_b32 v[2:3], v[14:15], v[14:15] op_sel:[0,1]
.LBB132_37:                             ;   in Loop: Header=BB132_6 Depth=1
	v_mov_b32_e32 v4, s57
	v_sub_co_u32_e32 v28, vcc, s56, v2
	v_subb_co_u32_e32 v29, vcc, v4, v3, vcc
	v_pk_mov_b32 v[2:3], 0, 0
	v_cmp_gt_u64_e32 vcc, v[28:29], v[16:17]
	s_mov_b64 s[82:83], 0
	v_pk_mov_b32 v[4:5], v[2:3], v[2:3] op_sel:[0,1]
	v_pk_mov_b32 v[6:7], v[2:3], v[2:3] op_sel:[0,1]
	;; [unrolled: 1-line block ×3, first 2 shown]
	s_and_saveexec_b64 s[10:11], vcc
	s_cbranch_execz .LBB132_41
; %bb.38:                               ;   in Loop: Header=BB132_6 Depth=1
	v_readlane_b32 s6, v48, 45
	v_readlane_b32 s7, v48, 46
	;; [unrolled: 1-line block ×3, first 2 shown]
	s_mul_i32 s1, s7, s9
	s_mul_hi_u32 s4, s6, s9
	s_and_b32 s0, s0, 0xfe
	s_add_i32 s1, s4, s1
	s_mul_i32 s70, s6, s9
	s_mov_b64 s[74:75], s[12:13]
	s_mov_b64 s[4:5], 0
	;; [unrolled: 1-line block ×5, first 2 shown]
	v_pk_mov_b32 v[30:31], v[16:17], v[16:17] op_sel:[0,1]
.LBB132_39:                             ;   Parent Loop BB132_6 Depth=1
                                        ; =>  This Inner Loop Header: Depth=2
	v_add_co_u32_e64 v30, s[6:7], s78, v30
	v_addc_co_u32_e64 v31, s[6:7], 0, v31, s[6:7]
	v_mov_b32_e32 v7, s75
	v_add_co_u32_e32 v2, vcc, s74, v22
	v_add_co_u32_e64 v8, s[6:7], s74, v24
	v_add_co_u32_e64 v4, s[14:15], s74, v20
	;; [unrolled: 1-line block ×3, first 2 shown]
	v_addc_co_u32_e64 v9, s[6:7], v7, v25, s[6:7]
	v_addc_co_u32_e32 v3, vcc, v7, v23, vcc
	v_addc_co_u32_e64 v5, vcc, v7, v21, s[14:15]
	v_addc_co_u32_e64 v7, vcc, v7, v19, s[16:17]
	global_load_sbyte v8, v[8:9], off
	s_nop 0
	global_load_sbyte v2, v[2:3], off
	s_nop 0
	;; [unrolled: 2-line block ×3, first 2 shown]
	global_load_sbyte v4, v[6:7], off
	v_cmp_ge_u64_e32 vcc, v[30:31], v[28:29]
	s_waitcnt vmcnt(3)
	v_add_u32_e32 v5, 0x80, v8
	s_waitcnt vmcnt(2)
	v_add_u32_e32 v2, 0x80, v2
	v_and_b32_e32 v6, v5, v37
	v_bfe_u32 v5, v5, s0, 2
	s_waitcnt vmcnt(1)
	v_add_u32_e32 v3, 0x80, v3
	v_and_b32_e32 v7, v2, v37
	v_bfe_u32 v2, v2, s0, 2
	v_cmp_eq_u32_e64 s[20:21], v6, v38
	v_cmp_eq_u32_e64 s[6:7], 0, v5
	s_waitcnt vmcnt(0)
	v_add_u32_e32 v4, 0x80, v4
	v_and_b32_e32 v8, v3, v37
	v_bfe_u32 v3, v3, s0, 2
	v_cmp_eq_u32_e64 s[18:19], v7, v38
	v_cmp_eq_u32_e64 s[34:35], 0, v2
	s_and_b64 s[6:7], s[20:21], s[6:7]
	v_and_b32_e32 v9, v4, v37
	v_bfe_u32 v4, v4, s0, 2
	v_cmp_eq_u32_e64 s[16:17], v8, v38
	v_cmp_eq_u32_e64 s[36:37], 0, v3
	;; [unrolled: 1-line block ×5, first 2 shown]
	v_cndmask_b32_e64 v2, 0, 1, s[6:7]
	s_and_b64 s[6:7], s[18:19], s[34:35]
	v_cmp_eq_u32_e64 s[14:15], v9, v38
	v_cmp_eq_u32_e64 s[38:39], 0, v4
	;; [unrolled: 1-line block ×5, first 2 shown]
	v_cndmask_b32_e64 v3, 0, 1, s[6:7]
	s_and_b64 s[6:7], s[16:17], s[36:37]
	v_cmp_eq_u32_e64 s[46:47], 1, v4
	v_cmp_eq_u32_e64 s[54:55], 2, v4
	;; [unrolled: 1-line block ×3, first 2 shown]
	v_cndmask_b32_e64 v4, 0, 1, s[6:7]
	s_and_b64 s[6:7], s[14:15], s[38:39]
	v_cmp_eq_u32_e64 s[40:41], 1, v5
	v_cmp_eq_u32_e64 s[48:49], 2, v5
	;; [unrolled: 1-line block ×3, first 2 shown]
	v_cndmask_b32_e64 v5, 0, 1, s[6:7]
	v_cmp_ne_u32_e64 s[6:7], 0, v2
	v_cmp_ne_u32_e64 s[34:35], 0, v3
	v_cmp_ne_u32_e64 s[36:37], 0, v4
	v_cmp_ne_u32_e64 s[38:39], 0, v5
	s_bcnt1_i32_b64 s6, s[6:7]
	s_bcnt1_i32_b64 s7, s[34:35]
	s_bcnt1_i32_b64 s34, s[36:37]
	s_bcnt1_i32_b64 s35, s[38:39]
	s_add_u32 s6, s6, s80
	s_addc_u32 s36, 0, s81
	s_add_u32 s6, s6, s7
	s_addc_u32 s7, s36, 0
	s_add_u32 s6, s6, s34
	s_addc_u32 s7, s7, 0
	s_add_u32 s80, s6, s35
	s_addc_u32 s81, s7, 0
	s_and_b64 s[6:7], s[20:21], s[40:41]
	v_cndmask_b32_e64 v4, 0, 1, s[6:7]
	s_and_b64 s[6:7], s[18:19], s[42:43]
	v_cndmask_b32_e64 v5, 0, 1, s[6:7]
	s_and_b64 s[6:7], s[16:17], s[44:45]
	v_cndmask_b32_e64 v6, 0, 1, s[6:7]
	s_and_b64 s[6:7], s[14:15], s[46:47]
	v_cndmask_b32_e64 v7, 0, 1, s[6:7]
	v_cmp_ne_u32_e64 s[6:7], 0, v4
	v_cmp_ne_u32_e64 s[34:35], 0, v5
	v_cmp_ne_u32_e64 s[36:37], 0, v6
	v_cmp_ne_u32_e64 s[38:39], 0, v7
	s_bcnt1_i32_b64 s6, s[6:7]
	s_bcnt1_i32_b64 s7, s[34:35]
	s_bcnt1_i32_b64 s34, s[36:37]
	s_bcnt1_i32_b64 s35, s[38:39]
	s_add_u32 s6, s6, s76
	s_addc_u32 s36, 0, s77
	s_add_u32 s6, s6, s7
	s_addc_u32 s7, s36, 0
	s_add_u32 s6, s6, s34
	s_addc_u32 s7, s7, 0
	s_add_u32 s76, s6, s35
	s_addc_u32 s77, s7, 0
	s_and_b64 s[6:7], s[20:21], s[48:49]
	v_cndmask_b32_e64 v6, 0, 1, s[6:7]
	s_and_b64 s[6:7], s[18:19], s[50:51]
	v_cndmask_b32_e64 v7, 0, 1, s[6:7]
	s_and_b64 s[6:7], s[16:17], s[52:53]
	v_cndmask_b32_e64 v8, 0, 1, s[6:7]
	s_and_b64 s[6:7], s[14:15], s[54:55]
	;; [unrolled: 24-line block ×3, first 2 shown]
	v_cndmask_b32_e64 v40, 0, 1, s[6:7]
	v_cmp_ne_u32_e64 s[6:7], 0, v8
	v_cmp_ne_u32_e64 s[14:15], 0, v9
	;; [unrolled: 1-line block ×4, first 2 shown]
	s_bcnt1_i32_b64 s6, s[6:7]
	s_bcnt1_i32_b64 s7, s[14:15]
	;; [unrolled: 1-line block ×4, first 2 shown]
	s_add_u32 s4, s6, s4
	s_addc_u32 s5, 0, s5
	s_add_u32 s4, s4, s7
	s_addc_u32 s5, s5, 0
	;; [unrolled: 2-line block ×5, first 2 shown]
	v_pk_mov_b32 v[2:3], s[80:81], s[80:81] op_sel:[0,1]
	v_pk_mov_b32 v[4:5], s[76:77], s[76:77] op_sel:[0,1]
	;; [unrolled: 1-line block ×3, first 2 shown]
	s_or_b64 s[82:83], vcc, s[82:83]
	v_pk_mov_b32 v[8:9], s[4:5], s[4:5] op_sel:[0,1]
	s_andn2_b64 exec, exec, s[82:83]
	s_cbranch_execnz .LBB132_39
; %bb.40:                               ;   in Loop: Header=BB132_6 Depth=1
	s_or_b64 exec, exec, s[82:83]
.LBB132_41:                             ;   in Loop: Header=BB132_6 Depth=1
	s_or_b64 exec, exec, s[10:11]
	v_add_co_u32_e32 v28, vcc, v28, v0
	v_addc_co_u32_e32 v29, vcc, 0, v29, vcc
	v_cmp_gt_u64_e32 vcc, s[56:57], v[28:29]
	v_mov_b32_e32 v14, 0
	s_and_saveexec_b64 s[4:5], vcc
	s_cbranch_execz .LBB132_43
; %bb.42:                               ;   in Loop: Header=BB132_6 Depth=1
	v_pk_mov_b32 v[30:31], s[12:13], s[12:13] op_sel:[0,1]
	v_mad_u64_u32 v[30:31], s[0:1], v28, s62, v[30:31]
	v_mul_lo_u32 v14, v28, s63
	v_mul_lo_u32 v40, v29, s62
	v_add3_u32 v31, v40, v31, v14
	global_load_ubyte v14, v[30:31], off
.LBB132_43:                             ;   in Loop: Header=BB132_6 Depth=1
	s_or_b64 exec, exec, s[4:5]
	s_and_saveexec_b64 s[4:5], vcc
	s_cbranch_execz .LBB132_50
; %bb.44:                               ;   in Loop: Header=BB132_6 Depth=1
	v_readlane_b32 s0, v48, 39
	s_and_b32 s0, s0, 0xfe
	s_mov_b64 s[10:11], 0
	s_branch .LBB132_46
.LBB132_45:                             ;   in Loop: Header=BB132_46 Depth=2
	s_or_b64 exec, exec, s[14:15]
	s_waitcnt vmcnt(0)
	v_add_u32_sdwa v14, sext(v14), s84 dst_sel:DWORD dst_unused:UNUSED_PAD src0_sel:BYTE_0 src1_sel:DWORD
	s_and_b64 s[6:7], exec, vcc
	v_and_b32_e32 v31, v14, v37
	v_bfe_u32 v14, v14, s0, 2
	s_or_b64 s[10:11], s[6:7], s[10:11]
	v_cmp_eq_u32_e32 vcc, v31, v38
	v_cmp_eq_u32_e64 s[6:7], 0, v14
	s_and_b64 s[6:7], vcc, s[6:7]
	v_cndmask_b32_e64 v31, 0, 1, s[6:7]
	v_cmp_ne_u32_e64 s[6:7], 0, v31
	s_bcnt1_i32_b64 s1, s[6:7]
	v_add_co_u32_e64 v2, s[6:7], s1, v2
	v_addc_co_u32_e64 v3, s[6:7], 0, v3, s[6:7]
	v_cmp_eq_u32_e64 s[6:7], 1, v14
	s_and_b64 s[6:7], vcc, s[6:7]
	v_cndmask_b32_e64 v31, 0, 1, s[6:7]
	v_cmp_ne_u32_e64 s[6:7], 0, v31
	s_bcnt1_i32_b64 s1, s[6:7]
	v_add_co_u32_e64 v4, s[6:7], s1, v4
	v_addc_co_u32_e64 v5, s[6:7], 0, v5, s[6:7]
	;; [unrolled: 7-line block ×3, first 2 shown]
	v_cmp_eq_u32_e64 s[6:7], 3, v14
	s_and_b64 s[6:7], vcc, s[6:7]
	v_cndmask_b32_e64 v14, 0, 1, s[6:7]
	v_cmp_ne_u32_e32 vcc, 0, v14
	s_bcnt1_i32_b64 s1, vcc
	v_add_co_u32_e32 v8, vcc, s1, v8
	v_addc_co_u32_e32 v9, vcc, 0, v9, vcc
	v_mov_b32_e32 v14, v30
	s_andn2_b64 exec, exec, s[10:11]
	s_cbranch_execz .LBB132_49
.LBB132_46:                             ;   Parent Loop BB132_6 Depth=1
                                        ; =>  This Inner Loop Header: Depth=2
	v_mov_b32_e32 v30, s79
	v_add_co_u32_e32 v28, vcc, s9, v28
	v_addc_co_u32_e32 v29, vcc, v29, v30, vcc
	v_cmp_gt_u64_e64 s[6:7], s[56:57], v[28:29]
	v_cmp_le_u64_e32 vcc, s[56:57], v[28:29]
	v_mov_b32_e32 v30, 0
	s_and_saveexec_b64 s[14:15], s[6:7]
	s_cbranch_execz .LBB132_45
; %bb.47:                               ;   in Loop: Header=BB132_46 Depth=2
	v_pk_mov_b32 v[30:31], s[12:13], s[12:13] op_sel:[0,1]
	v_mad_u64_u32 v[30:31], s[6:7], v28, s62, v[30:31]
	v_mul_lo_u32 v40, v28, s63
	v_mul_lo_u32 v41, v29, s62
	v_add3_u32 v31, v41, v31, v40
	global_load_ubyte v30, v[30:31], off
	s_branch .LBB132_45
.LBB132_48:                             ;   in Loop: Header=BB132_6 Depth=1
                                        ; implicit-def: $vgpr8_vgpr9
                                        ; implicit-def: $vgpr4_vgpr5
	s_cbranch_execnz .LBB132_51
	s_branch .LBB132_60
.LBB132_49:                             ;   in Loop: Header=BB132_6 Depth=1
	s_or_b64 exec, exec, s[10:11]
.LBB132_50:                             ;   in Loop: Header=BB132_6 Depth=1
	s_or_b64 exec, exec, s[4:5]
	s_branch .LBB132_60
.LBB132_51:                             ;   in Loop: Header=BB132_6 Depth=1
	v_readlane_b32 s0, v48, 37
	v_readlane_b32 s1, v48, 38
	s_mov_b64 s[10:11], 0
	s_nop 3
	global_load_ushort v14, v15, s[0:1]
	s_waitcnt vmcnt(0)
	v_readfirstlane_b32 s0, v14
	s_and_b32 s0, 0xffff, s0
	s_lshl_b32 s9, s0, 2
	v_cvt_f32_u32_e32 v2, s9
	s_sub_i32 s0, 0, s9
	v_rcp_iflag_f32_e32 v4, v2
	v_pk_mov_b32 v[2:3], 0, 0
	v_pk_mov_b32 v[6:7], v[2:3], v[2:3] op_sel:[0,1]
	v_mul_f32_e32 v4, 0x4f7ffffe, v4
	v_cvt_u32_f32_e32 v8, v4
	v_pk_mov_b32 v[4:5], v[2:3], v[2:3] op_sel:[0,1]
	v_readfirstlane_b32 s1, v8
	s_mul_i32 s0, s0, s1
	s_mul_hi_u32 s0, s1, s0
	s_add_i32 s1, s1, s0
	s_mul_hi_u32 s0, s8, s1
	s_mul_i32 s0, s0, s9
	s_sub_i32 s0, s8, s0
	s_sub_i32 s1, s0, s9
	s_cmp_ge_u32 s0, s9
	s_cselect_b32 s0, s1, s0
	s_sub_i32 s1, s0, s9
	s_cmp_ge_u32 s0, s9
	s_cselect_b32 s0, s1, s0
	s_sub_i32 s78, s8, s0
	v_cmp_gt_u32_e32 vcc, s78, v16
	v_pk_mov_b32 v[8:9], v[2:3], v[2:3] op_sel:[0,1]
	s_and_saveexec_b64 s[4:5], vcc
	s_cbranch_execz .LBB132_55
; %bb.52:                               ;   in Loop: Header=BB132_6 Depth=1
	v_readlane_b32 s0, v48, 39
	s_and_b32 s0, s0, 0xfe
	v_mov_b32_e32 v30, v16
	s_mov_b64 s[74:75], 0
	s_mov_b64 s[76:77], 0
	;; [unrolled: 1-line block ×4, first 2 shown]
	v_pk_mov_b32 v[28:29], v[16:17], v[16:17] op_sel:[0,1]
.LBB132_53:                             ;   Parent Loop BB132_6 Depth=1
                                        ; =>  This Inner Loop Header: Depth=2
	ds_read_b32 v2, v30
	v_add_co_u32_e32 v28, vcc, s9, v28
	v_addc_co_u32_e32 v29, vcc, 0, v29, vcc
	s_waitcnt lgkmcnt(0)
	v_add_u32_sdwa v3, sext(v2), s84 dst_sel:DWORD dst_unused:UNUSED_PAD src0_sel:BYTE_0 src1_sel:DWORD
	v_add_u32_sdwa v4, sext(v2), s84 dst_sel:DWORD dst_unused:UNUSED_PAD src0_sel:BYTE_1 src1_sel:DWORD
	v_and_b32_e32 v6, v3, v37
	v_bfe_u32 v3, v3, s0, 2
	v_add_u32_sdwa v5, sext(v2), s84 dst_sel:DWORD dst_unused:UNUSED_PAD src0_sel:BYTE_2 src1_sel:DWORD
	v_add_u32_sdwa v2, sext(v2), s84 dst_sel:DWORD dst_unused:UNUSED_PAD src0_sel:BYTE_3 src1_sel:DWORD
	v_and_b32_e32 v7, v4, v37
	v_bfe_u32 v4, v4, s0, 2
	v_cmp_eq_u32_e64 s[20:21], v6, v38
	v_cmp_eq_u32_e64 s[6:7], 0, v3
	v_and_b32_e32 v8, v5, v37
	v_and_b32_e32 v9, v2, v37
	v_bfe_u32 v5, v5, s0, 2
	v_bfe_u32 v2, v2, s0, 2
	v_cmp_eq_u32_e64 s[18:19], v7, v38
	v_cmp_eq_u32_e64 s[34:35], 0, v4
	s_and_b64 s[6:7], s[20:21], s[6:7]
	v_cmp_eq_u32_e64 s[16:17], v8, v38
	v_cmp_eq_u32_e64 s[36:37], 0, v5
	;; [unrolled: 1-line block ×6, first 2 shown]
	v_cndmask_b32_e64 v2, 0, 1, s[6:7]
	s_and_b64 s[6:7], s[18:19], s[34:35]
	v_cmp_eq_u32_e64 s[14:15], v9, v38
	v_cmp_eq_u32_e64 s[40:41], 1, v3
	;; [unrolled: 1-line block ×4, first 2 shown]
	v_cndmask_b32_e64 v3, 0, 1, s[6:7]
	s_and_b64 s[6:7], s[16:17], s[36:37]
	v_cmp_eq_u32_e64 s[42:43], 1, v4
	v_cmp_eq_u32_e64 s[50:51], 2, v4
	;; [unrolled: 1-line block ×3, first 2 shown]
	v_cndmask_b32_e64 v4, 0, 1, s[6:7]
	s_and_b64 s[6:7], s[14:15], s[38:39]
	v_cmp_eq_u32_e64 s[44:45], 1, v5
	v_cmp_eq_u32_e64 s[52:53], 2, v5
	;; [unrolled: 1-line block ×3, first 2 shown]
	v_cndmask_b32_e64 v5, 0, 1, s[6:7]
	v_cmp_ne_u32_e64 s[6:7], 0, v2
	v_cmp_ne_u32_e64 s[34:35], 0, v3
	v_cmp_ne_u32_e64 s[36:37], 0, v4
	v_cmp_ne_u32_e64 s[38:39], 0, v5
	s_bcnt1_i32_b64 s1, s[6:7]
	s_bcnt1_i32_b64 s6, s[34:35]
	s_bcnt1_i32_b64 s7, s[36:37]
	s_bcnt1_i32_b64 s34, s[38:39]
	s_add_u32 s1, s1, s82
	s_addc_u32 s35, 0, s83
	s_add_u32 s1, s1, s6
	s_addc_u32 s6, s35, 0
	s_add_u32 s1, s1, s7
	s_addc_u32 s6, s6, 0
	s_add_u32 s82, s1, s34
	s_addc_u32 s83, s6, 0
	s_and_b64 s[6:7], s[20:21], s[40:41]
	v_cndmask_b32_e64 v4, 0, 1, s[6:7]
	s_and_b64 s[6:7], s[18:19], s[42:43]
	v_cndmask_b32_e64 v5, 0, 1, s[6:7]
	s_and_b64 s[6:7], s[16:17], s[44:45]
	v_cndmask_b32_e64 v6, 0, 1, s[6:7]
	s_and_b64 s[6:7], s[14:15], s[46:47]
	v_cndmask_b32_e64 v7, 0, 1, s[6:7]
	v_cmp_ne_u32_e64 s[6:7], 0, v4
	v_cmp_ne_u32_e64 s[34:35], 0, v5
	v_cmp_ne_u32_e64 s[36:37], 0, v6
	v_cmp_ne_u32_e64 s[38:39], 0, v7
	s_bcnt1_i32_b64 s1, s[6:7]
	s_bcnt1_i32_b64 s6, s[34:35]
	s_bcnt1_i32_b64 s7, s[36:37]
	s_bcnt1_i32_b64 s34, s[38:39]
	s_add_u32 s1, s1, s80
	s_addc_u32 s35, 0, s81
	s_add_u32 s1, s1, s6
	s_addc_u32 s6, s35, 0
	s_add_u32 s1, s1, s7
	s_addc_u32 s6, s6, 0
	s_add_u32 s80, s1, s34
	s_addc_u32 s81, s6, 0
	s_and_b64 s[6:7], s[20:21], s[48:49]
	v_cndmask_b32_e64 v6, 0, 1, s[6:7]
	s_and_b64 s[6:7], s[18:19], s[50:51]
	v_cndmask_b32_e64 v7, 0, 1, s[6:7]
	s_and_b64 s[6:7], s[16:17], s[52:53]
	v_cndmask_b32_e64 v8, 0, 1, s[6:7]
	s_and_b64 s[6:7], s[14:15], s[54:55]
	v_cndmask_b32_e64 v9, 0, 1, s[6:7]
	v_cmp_ne_u32_e64 s[6:7], 0, v6
	v_cmp_ne_u32_e64 s[34:35], 0, v7
	v_cmp_ne_u32_e64 s[36:37], 0, v8
	v_cmp_ne_u32_e64 s[38:39], 0, v9
	s_bcnt1_i32_b64 s1, s[6:7]
	s_bcnt1_i32_b64 s6, s[34:35]
	s_bcnt1_i32_b64 s7, s[36:37]
	s_bcnt1_i32_b64 s34, s[38:39]
	s_add_u32 s1, s1, s76
	s_addc_u32 s35, 0, s77
	s_add_u32 s1, s1, s6
	s_addc_u32 s6, s35, 0
	s_add_u32 s1, s1, s7
	s_addc_u32 s6, s6, 0
	s_add_u32 s76, s1, s34
	s_addc_u32 s77, s6, 0
	s_and_b64 s[6:7], s[20:21], s[28:29]
	v_cndmask_b32_e64 v8, 0, 1, s[6:7]
	s_and_b64 s[6:7], s[18:19], s[26:27]
	v_cndmask_b32_e64 v9, 0, 1, s[6:7]
	s_and_b64 s[6:7], s[16:17], s[24:25]
	v_cndmask_b32_e64 v31, 0, 1, s[6:7]
	s_and_b64 s[6:7], s[14:15], s[22:23]
	v_cndmask_b32_e64 v40, 0, 1, s[6:7]
	v_cmp_ne_u32_e64 s[6:7], 0, v8
	v_cmp_ne_u32_e64 s[14:15], 0, v9
	;; [unrolled: 1-line block ×4, first 2 shown]
	s_bcnt1_i32_b64 s1, s[6:7]
	s_bcnt1_i32_b64 s6, s[14:15]
	;; [unrolled: 1-line block ×4, first 2 shown]
	s_add_u32 s1, s1, s74
	s_addc_u32 s15, 0, s75
	s_add_u32 s1, s1, s6
	s_addc_u32 s6, s15, 0
	s_add_u32 s1, s1, s7
	s_addc_u32 s6, s6, 0
	s_add_u32 s74, s1, s14
	v_cmp_le_u64_e32 vcc, s[78:79], v[28:29]
	s_addc_u32 s75, s6, 0
	v_add_u32_e32 v30, s9, v30
	v_pk_mov_b32 v[2:3], s[82:83], s[82:83] op_sel:[0,1]
	v_pk_mov_b32 v[4:5], s[80:81], s[80:81] op_sel:[0,1]
	;; [unrolled: 1-line block ×3, first 2 shown]
	s_or_b64 s[10:11], vcc, s[10:11]
	v_pk_mov_b32 v[8:9], s[74:75], s[74:75] op_sel:[0,1]
	s_andn2_b64 exec, exec, s[10:11]
	s_cbranch_execnz .LBB132_53
; %bb.54:                               ;   in Loop: Header=BB132_6 Depth=1
	s_or_b64 exec, exec, s[10:11]
.LBB132_55:                             ;   in Loop: Header=BB132_6 Depth=1
	s_or_b64 exec, exec, s[4:5]
	v_and_b32_e32 v30, 0xffff, v14
	v_add_u32_e32 v14, s78, v0
	v_cmp_gt_u32_e32 vcc, s8, v14
	s_and_saveexec_b64 s[4:5], vcc
	s_cbranch_execz .LBB132_59
; %bb.56:                               ;   in Loop: Header=BB132_6 Depth=1
	v_readlane_b32 s0, v48, 39
	s_and_b32 s78, s8, 0x7fffffff
	s_and_b32 s0, s0, 0xfe
	s_mov_b64 s[8:9], 0
	v_pk_mov_b32 v[28:29], v[14:15], v[14:15] op_sel:[0,1]
.LBB132_57:                             ;   Parent Loop BB132_6 Depth=1
                                        ; =>  This Inner Loop Header: Depth=2
	ds_read_i8 v31, v14
	v_add_co_u32_e32 v28, vcc, v28, v30
	v_addc_co_u32_e32 v29, vcc, 0, v29, vcc
	s_waitcnt lgkmcnt(0)
	v_add_u32_e32 v31, 0x80, v31
	v_and_b32_e32 v40, v31, v37
	v_bfe_u32 v31, v31, s0, 2
	v_cmp_eq_u32_e64 s[6:7], v40, v38
	v_cmp_eq_u32_e64 s[14:15], 0, v31
	v_cmp_eq_u32_e64 s[16:17], 1, v31
	s_and_b64 s[10:11], s[6:7], s[14:15]
	v_cmp_eq_u32_e64 s[18:19], 2, v31
	v_cmp_eq_u32_e64 s[20:21], 3, v31
	v_cndmask_b32_e64 v31, 0, 1, s[10:11]
	s_and_b64 s[10:11], s[6:7], s[16:17]
	v_cndmask_b32_e64 v40, 0, 1, s[10:11]
	s_and_b64 s[10:11], s[6:7], s[18:19]
	s_and_b64 s[6:7], s[6:7], s[20:21]
	v_cndmask_b32_e64 v41, 0, 1, s[10:11]
	v_cndmask_b32_e64 v42, 0, 1, s[6:7]
	v_cmp_ne_u32_e64 s[6:7], 0, v31
	v_cmp_ne_u32_e64 s[14:15], 0, v40
	;; [unrolled: 1-line block ×4, first 2 shown]
	v_cmp_le_u64_e32 vcc, s[78:79], v[28:29]
	s_bcnt1_i32_b64 s1, s[6:7]
	s_bcnt1_i32_b64 s6, s[14:15]
	;; [unrolled: 1-line block ×4, first 2 shown]
	s_or_b64 s[8:9], vcc, s[8:9]
	v_add_co_u32_e32 v2, vcc, s1, v2
	v_addc_co_u32_e32 v3, vcc, 0, v3, vcc
	v_add_co_u32_e32 v4, vcc, s6, v4
	v_addc_co_u32_e32 v5, vcc, 0, v5, vcc
	;; [unrolled: 2-line block ×3, first 2 shown]
	v_add_co_u32_e32 v8, vcc, s10, v8
	v_add_u32_e32 v14, v14, v30
	v_addc_co_u32_e32 v9, vcc, 0, v9, vcc
	s_andn2_b64 exec, exec, s[8:9]
	s_cbranch_execnz .LBB132_57
; %bb.58:                               ;   in Loop: Header=BB132_6 Depth=1
	s_or_b64 exec, exec, s[8:9]
.LBB132_59:                             ;   in Loop: Header=BB132_6 Depth=1
	s_or_b64 exec, exec, s[4:5]
.LBB132_60:                             ;   in Loop: Header=BB132_6 Depth=1
	v_readlane_b32 s0, v48, 48
	s_lshl_b32 s0, s0, 6
	s_mov_b64 s[4:5], exec
	v_readlane_b32 s6, v48, 20
	v_readlane_b32 s7, v48, 21
	s_and_b64 s[6:7], s[4:5], s[6:7]
	s_mov_b64 exec, s[6:7]
	s_cbranch_execz .LBB132_62
; %bb.61:                               ;   in Loop: Header=BB132_6 Depth=1
	s_waitcnt vmcnt(0)
	v_or_b32_e32 v14, s0, v34
	v_lshlrev_b32_e32 v14, 3, v14
	ds_write_b128 v14, v[2:5] offset:3072
	ds_write_b128 v14, v[6:9] offset:3088
.LBB132_62:                             ;   in Loop: Header=BB132_6 Depth=1
	s_or_b64 exec, exec, s[4:5]
	s_waitcnt lgkmcnt(0)
	s_barrier
	s_mov_b64 s[4:5], exec
	v_readlane_b32 s6, v48, 22
	v_readlane_b32 s7, v48, 23
	s_and_b64 s[6:7], s[4:5], s[6:7]
	s_mov_b64 exec, s[6:7]
	s_cbranch_execz .LBB132_74
; %bb.63:                               ;   in Loop: Header=BB132_6 Depth=1
	v_readlane_b32 s6, v48, 30
	v_readlane_b32 s7, v48, 31
	s_andn2_b64 vcc, exec, s[6:7]
	v_pk_mov_b32 v[2:3], 0, 0
	s_cbranch_vccnz .LBB132_73
; %bb.64:                               ;   in Loop: Header=BB132_6 Depth=1
	v_readlane_b32 s6, v48, 40
	v_readlane_b32 s7, v48, 41
	s_andn2_b64 vcc, exec, s[6:7]
	s_cbranch_vccnz .LBB132_69
; %bb.65:                               ;   in Loop: Header=BB132_6 Depth=1
	v_readlane_b32 s1, v48, 48
	v_lshl_add_u32 v4, s1, 9, v35
	s_mov_b32 s1, 0
	v_pk_mov_b32 v[2:3], 0, 0
.LBB132_66:                             ;   Parent Loop BB132_6 Depth=1
                                        ; =>  This Inner Loop Header: Depth=2
	s_waitcnt vmcnt(0)
	ds_read2_b64 v[6:9], v4 offset1:4
	ds_read2_b64 v[28:31], v4 offset0:8 offset1:12
	ds_read2_b64 v[40:43], v4 offset0:16 offset1:20
	;; [unrolled: 1-line block ×3, first 2 shown]
	s_add_i32 s1, s1, 8
	s_waitcnt lgkmcnt(3)
	v_add_co_u32_e32 v2, vcc, v6, v2
	v_addc_co_u32_e32 v3, vcc, v7, v3, vcc
	v_add_co_u32_e32 v2, vcc, v8, v2
	v_addc_co_u32_e32 v3, vcc, v9, v3, vcc
	s_waitcnt lgkmcnt(2)
	v_add_co_u32_e32 v2, vcc, v28, v2
	v_addc_co_u32_e32 v3, vcc, v29, v3, vcc
	v_add_co_u32_e32 v2, vcc, v30, v2
	v_addc_co_u32_e32 v3, vcc, v31, v3, vcc
	;; [unrolled: 5-line block ×3, first 2 shown]
	s_waitcnt lgkmcnt(0)
	v_add_co_u32_e32 v2, vcc, v44, v2
	v_addc_co_u32_e32 v3, vcc, v45, v3, vcc
	v_add_co_u32_e32 v2, vcc, v46, v2
	v_add_u32_e32 v4, 0x100, v4
	s_cmp_eq_u32 s85, s1
	v_addc_co_u32_e32 v3, vcc, v47, v3, vcc
	s_cbranch_scc0 .LBB132_66
; %bb.67:                               ;   in Loop: Header=BB132_6 Depth=1
	s_mov_b32 s1, s85
	s_branch .LBB132_70
.LBB132_68:                             ;   in Loop: Header=BB132_6 Depth=1
                                        ; implicit-def: $vgpr2_vgpr3
	s_branch .LBB132_36
.LBB132_69:                             ;   in Loop: Header=BB132_6 Depth=1
	s_mov_b32 s1, 0
	v_pk_mov_b32 v[2:3], 0, 0
.LBB132_70:                             ;   in Loop: Header=BB132_6 Depth=1
	v_readlane_b32 s6, v48, 43
	v_readlane_b32 s7, v48, 44
	s_andn2_b64 vcc, exec, s[6:7]
	s_cbranch_vccnz .LBB132_73
; %bb.71:                               ;   in Loop: Header=BB132_6 Depth=1
	v_readlane_b32 s6, v48, 48
	s_lshl_b32 s6, s6, 9
	s_lshl_b32 s1, s1, 5
	s_add_i32 s6, s6, s1
	v_add_u32_e32 v4, s6, v35
	v_readlane_b32 s1, v48, 42
.LBB132_72:                             ;   Parent Loop BB132_6 Depth=1
                                        ; =>  This Inner Loop Header: Depth=2
	s_waitcnt vmcnt(0)
	ds_read_b64 v[6:7], v4
	s_add_i32 s1, s1, -1
	v_add_u32_e32 v4, 32, v4
	s_cmp_lg_u32 s1, 0
	s_waitcnt lgkmcnt(0)
	v_add_co_u32_e32 v2, vcc, v6, v2
	v_addc_co_u32_e32 v3, vcc, v7, v3, vcc
	s_cbranch_scc1 .LBB132_72
.LBB132_73:                             ;   in Loop: Header=BB132_6 Depth=1
	v_add_lshl_u32 v4, s0, v33, 3
	ds_write_b64 v4, v[2:3] offset:3072
.LBB132_74:                             ;   in Loop: Header=BB132_6 Depth=1
	s_or_b64 exec, exec, s[4:5]
	s_lshl_b32 s0, s0, 3
	s_waitcnt vmcnt(0)
	v_mov_b32_e32 v6, s0
	s_waitcnt lgkmcnt(0)
	s_barrier
	ds_read_b128 v[2:5], v6 offset:3072
	ds_read_b128 v[6:9], v6 offset:3088
	v_readlane_b32 s0, v48, 39
	s_and_b32 s93, s0, 0xfe
	v_readlane_b32 s0, v48, 18
	s_lshl_b32 s78, 3, s93
	v_readlane_b32 s1, v48, 19
	s_waitcnt lgkmcnt(1)
	v_readfirstlane_b32 s17, v3
	v_readfirstlane_b32 s16, v2
	;; [unrolled: 1-line block ×4, first 2 shown]
	s_waitcnt lgkmcnt(0)
	v_readfirstlane_b32 s23, v7
	v_readfirstlane_b32 s22, v6
	;; [unrolled: 1-line block ×4, first 2 shown]
	s_not_b32 s92, s78
	s_andn2_b64 vcc, exec, s[0:1]
	v_cmp_eq_u64_e64 s[14:15], 1, v[26:27]
	s_cbranch_vccnz .LBB132_90
; %bb.75:                               ;   in Loop: Header=BB132_6 Depth=1
	s_cmp_eq_u64 s[16:17], 1
	s_cselect_b64 s[0:1], -1, 0
	s_and_b64 s[6:7], s[0:1], s[14:15]
	s_mov_b64 s[4:5], -1
	v_mov_b32_e32 v28, v38
	v_mov_b32_e32 v29, v37
	;; [unrolled: 1-line block ×3, first 2 shown]
                                        ; implicit-def: $sgpr20_sgpr21
                                        ; implicit-def: $sgpr36_sgpr37
                                        ; implicit-def: $sgpr34_sgpr35
	s_and_saveexec_b64 s[8:9], s[6:7]
	s_cbranch_execz .LBB132_112
; %bb.76:                               ;   in Loop: Header=BB132_6 Depth=1
	ds_read_b64 v[2:3], v15 offset:5120
	s_waitcnt lgkmcnt(0)
	s_barrier
	v_readfirstlane_b32 s4, v2
	v_readfirstlane_b32 s5, v3
	s_mov_b64 s[10:11], exec
	v_readlane_b32 s0, v48, 28
	v_readlane_b32 s1, v48, 29
	s_and_b64 s[0:1], s[10:11], s[0:1]
	s_mov_b64 exec, s[0:1]
	s_cbranch_execz .LBB132_78
; %bb.77:                               ;   in Loop: Header=BB132_6 Depth=1
	ds_write_b8 v0, v15 offset:3072
.LBB132_78:                             ;   in Loop: Header=BB132_6 Depth=1
	s_or_b64 exec, exec, s[10:11]
	v_and_b32_e32 v28, s92, v38
	v_or_b32_e32 v29, s78, v37
	s_cmp_eq_u64 s[4:5], 0
	s_waitcnt lgkmcnt(0)
	s_barrier
	s_cbranch_scc1 .LBB132_95
; %bb.79:                               ;   in Loop: Header=BB132_6 Depth=1
	v_readlane_b32 s0, v48, 32
	s_add_u32 s0, s0, s4
	v_readlane_b32 s1, v48, 34
	s_addc_u32 s11, s1, s5
	s_mov_b32 s10, s79
	s_cmp_lg_u64 s[10:11], 0
	s_cbranch_scc0 .LBB132_139
; %bb.80:                               ;   in Loop: Header=BB132_6 Depth=1
	v_cvt_f32_u32_e32 v2, s33
	s_sub_u32 s1, 0, s33
	s_subb_u32 s10, 0, 0
	v_mac_f32_e32 v2, 0, v36
	v_rcp_f32_e32 v2, v2
	v_mul_f32_e32 v2, 0x5f7ffffc, v2
	v_mul_f32_e32 v3, 0x2f800000, v2
	v_trunc_f32_e32 v3, v3
	v_mac_f32_e32 v2, 0xcf800000, v3
	v_cvt_u32_f32_e32 v3, v3
	v_cvt_u32_f32_e32 v2, v2
	v_readfirstlane_b32 s20, v3
	v_readfirstlane_b32 s21, v2
	s_mul_i32 s26, s1, s20
	s_mul_hi_u32 s28, s1, s21
	s_mul_i32 s27, s10, s21
	s_add_i32 s26, s28, s26
	s_mul_i32 s29, s1, s21
	s_add_i32 s26, s26, s27
	s_mul_hi_u32 s28, s21, s29
	s_mul_hi_u32 s27, s21, s26
	s_mul_i32 s21, s21, s26
	s_add_u32 s21, s28, s21
	s_addc_u32 s27, 0, s27
	s_mul_hi_u32 s34, s20, s29
	s_mul_i32 s29, s20, s29
	s_add_u32 s21, s21, s29
	s_mul_hi_u32 s28, s20, s26
	s_addc_u32 s21, s27, s34
	s_addc_u32 s27, s28, 0
	s_mul_i32 s26, s20, s26
	s_add_u32 s21, s21, s26
	s_addc_u32 s26, 0, s27
	v_add_co_u32_e32 v2, vcc, s21, v2
	s_cmp_lg_u64 vcc, 0
	s_addc_u32 s20, s20, s26
	v_readfirstlane_b32 s26, v2
	s_mul_i32 s21, s1, s20
	s_mul_hi_u32 s27, s1, s26
	s_add_i32 s21, s27, s21
	s_mul_i32 s10, s10, s26
	s_add_i32 s21, s21, s10
	s_mul_i32 s1, s1, s26
	s_mul_hi_u32 s27, s20, s1
	s_mul_i32 s28, s20, s1
	s_mul_i32 s34, s26, s21
	s_mul_hi_u32 s1, s26, s1
	s_mul_hi_u32 s29, s26, s21
	s_add_u32 s1, s1, s34
	s_addc_u32 s26, 0, s29
	s_add_u32 s1, s1, s28
	s_mul_hi_u32 s10, s20, s21
	s_addc_u32 s1, s26, s27
	s_addc_u32 s10, s10, 0
	s_mul_i32 s21, s20, s21
	s_add_u32 s1, s1, s21
	s_addc_u32 s10, 0, s10
	v_add_co_u32_e32 v2, vcc, s1, v2
	s_cmp_lg_u64 vcc, 0
	s_addc_u32 s1, s20, s10
	v_readfirstlane_b32 s21, v2
	s_mul_i32 s20, s0, s1
	s_mul_hi_u32 s26, s0, s21
	s_mul_hi_u32 s10, s0, s1
	s_add_u32 s20, s26, s20
	s_addc_u32 s10, 0, s10
	s_mul_hi_u32 s27, s11, s21
	s_mul_i32 s21, s11, s21
	s_add_u32 s20, s20, s21
	s_mul_hi_u32 s26, s11, s1
	s_addc_u32 s10, s10, s27
	s_addc_u32 s20, s26, 0
	s_mul_i32 s1, s11, s1
	s_add_u32 s1, s10, s1
	s_addc_u32 s10, 0, s20
	s_mul_hi_u32 s20, s33, s1
	s_mul_i32 s1, s33, s1
	s_mul_i32 s10, s33, s10
	v_mov_b32_e32 v2, s1
	s_add_i32 s20, s20, s10
	v_sub_co_u32_e32 v2, vcc, s0, v2
	s_cmp_lg_u64 vcc, 0
	s_subb_u32 s1, s11, s20
	v_subrev_co_u32_e32 v3, vcc, s33, v2
	s_cmp_lg_u64 vcc, 0
	s_subb_u32 s10, s1, 0
	v_subrev_co_u32_e32 v4, vcc, s33, v3
	s_cmp_lg_u64 vcc, 0
	s_subb_u32 s20, s10, 0
	v_cmp_le_u32_e32 vcc, s33, v3
	s_cmp_eq_u32 s10, 0
	v_cndmask_b32_e64 v5, 0, -1, vcc
	s_cselect_b64 vcc, -1, 0
	v_cndmask_b32_e32 v5, -1, v5, vcc
	v_mov_b32_e32 v6, s10
	v_mov_b32_e32 v7, s20
	v_cmp_ne_u32_e32 vcc, 0, v5
	v_cndmask_b32_e32 v5, v6, v7, vcc
	v_cndmask_b32_e32 v4, v3, v4, vcc
	v_cmp_le_u32_e32 vcc, s33, v2
	s_cmp_eq_u32 s1, 0
	v_cndmask_b32_e64 v3, 0, -1, vcc
	s_cselect_b64 vcc, -1, 0
	v_cndmask_b32_e32 v3, -1, v3, vcc
	v_mov_b32_e32 v6, s1
	v_cmp_ne_u32_e32 vcc, 0, v3
	v_cndmask_b32_e32 v3, v6, v5, vcc
	v_cndmask_b32_e32 v2, v2, v4, vcc
	s_cbranch_execnz .LBB132_82
.LBB132_81:                             ;   in Loop: Header=BB132_6 Depth=1
	v_cvt_f32_u32_e32 v2, s33
	s_sub_i32 s1, 0, s33
	v_rcp_iflag_f32_e32 v2, v2
	v_mul_f32_e32 v2, 0x4f7ffffe, v2
	v_cvt_u32_f32_e32 v2, v2
	v_mul_lo_u32 v3, s1, v2
	v_mul_hi_u32 v3, v2, v3
	v_add_u32_e32 v2, v2, v3
	v_mul_hi_u32 v2, s0, v2
	v_mul_lo_u32 v2, v2, s33
	v_sub_u32_e32 v2, s0, v2
	v_subrev_u32_e32 v3, s33, v2
	v_cmp_le_u32_e32 vcc, s33, v2
	v_cndmask_b32_e32 v2, v2, v3, vcc
	v_subrev_u32_e32 v3, s33, v2
	v_cmp_le_u32_e32 vcc, s33, v2
	v_cndmask_b32_e32 v14, v2, v3, vcc
	v_pk_mov_b32 v[2:3], v[14:15], v[14:15] op_sel:[0,1]
.LBB132_82:                             ;   in Loop: Header=BB132_6 Depth=1
	v_mov_b32_e32 v4, s11
	v_sub_co_u32_e32 v2, vcc, s0, v2
	v_subb_co_u32_e32 v3, vcc, v4, v3, vcc
	v_cmp_gt_u64_e32 vcc, v[2:3], v[0:1]
	s_mov_b64 s[10:11], 0
                                        ; implicit-def: $vgpr30
	s_and_saveexec_b64 s[20:21], vcc
	s_cbranch_execz .LBB132_97
; %bb.83:                               ;   in Loop: Header=BB132_6 Depth=1
	v_mov_b32_e32 v6, v0
	v_pk_mov_b32 v[4:5], v[0:1], v[0:1] op_sel:[0,1]
                                        ; implicit-def: $sgpr26_sgpr27
	s_branch .LBB132_85
.LBB132_84:                             ;   in Loop: Header=BB132_85 Depth=2
	s_or_b64 exec, exec, s[28:29]
	s_waitcnt lgkmcnt(0)
	s_barrier
	ds_read_u16 v7, v15 offset:3072
	v_mov_b32_e32 v8, s86
	v_add_co_u32_e32 v4, vcc, s33, v4
	v_addc_co_u32_e32 v5, vcc, v5, v8, vcc
	s_waitcnt lgkmcnt(0)
	v_cmp_ne_u16_sdwa s[0:1], v7, v15 src0_sel:BYTE_0 src1_sel:DWORD
	v_cmp_ge_u64_e32 vcc, v[4:5], v[2:3]
	s_or_b64 s[28:29], vcc, s[0:1]
	s_and_b64 s[28:29], exec, s[28:29]
	s_or_b64 s[10:11], s[28:29], s[10:11]
	s_andn2_b64 s[26:27], s[26:27], exec
	s_and_b64 s[0:1], s[0:1], exec
	v_add_u32_e32 v6, s33, v6
	s_or_b64 s[26:27], s[26:27], s[0:1]
	s_barrier
	s_andn2_b64 exec, exec, s[10:11]
	s_cbranch_execz .LBB132_96
.LBB132_85:                             ;   Parent Loop BB132_6 Depth=1
                                        ; =>  This Inner Loop Header: Depth=2
	v_cmp_gt_u64_e32 vcc, s[4:5], v[4:5]
	v_mov_b32_e32 v7, 0
	s_and_saveexec_b64 s[28:29], vcc
	s_cbranch_execz .LBB132_87
; %bb.86:                               ;   in Loop: Header=BB132_85 Depth=2
	ds_read_u8 v7, v6
.LBB132_87:                             ;   in Loop: Header=BB132_85 Depth=2
	s_or_b64 exec, exec, s[28:29]
	s_and_saveexec_b64 s[28:29], vcc
	s_cbranch_execz .LBB132_84
; %bb.88:                               ;   in Loop: Header=BB132_85 Depth=2
	s_waitcnt lgkmcnt(0)
	v_add_u32_sdwa v8, sext(v7), s84 dst_sel:DWORD dst_unused:UNUSED_PAD src0_sel:BYTE_0 src1_sel:DWORD
	v_and_b32_e32 v8, v8, v29
	v_cmp_eq_u32_e32 vcc, v8, v28
	s_and_b64 exec, exec, vcc
	s_cbranch_execz .LBB132_84
; %bb.89:                               ;   in Loop: Header=BB132_85 Depth=2
	v_lshlrev_b16_e32 v7, 8, v7
	v_or_b32_e32 v7, 1, v7
	ds_write_b16 v15, v7 offset:3072
	s_branch .LBB132_84
.LBB132_90:                             ;   in Loop: Header=BB132_6 Depth=1
	s_mov_b64 s[28:29], 0
	s_mov_b64 s[26:27], 0
                                        ; implicit-def: $sgpr34_sgpr35
                                        ; implicit-def: $sgpr36_sgpr37
                                        ; implicit-def: $sgpr20_sgpr21
                                        ; implicit-def: $vgpr6
                                        ; implicit-def: $vgpr2_vgpr3
                                        ; implicit-def: $vgpr28
                                        ; implicit-def: $vgpr29
                                        ; implicit-def: $vgpr30
	s_cbranch_execnz .LBB132_276
.LBB132_91:                             ;   in Loop: Header=BB132_6 Depth=1
	s_mov_b64 s[14:15], s[20:21]
	s_mov_b64 s[38:39], s[20:21]
	s_and_saveexec_b64 s[4:5], s[28:29]
	s_cbranch_execnz .LBB132_472
	s_branch .LBB132_473
.LBB132_92:                             ;   in Loop: Header=BB132_6 Depth=1
	s_or_b64 exec, exec, s[4:5]
	s_waitcnt lgkmcnt(0)
	s_barrier
	s_mov_b64 s[4:5], exec
	v_readlane_b32 s0, v48, 8
	v_readlane_b32 s1, v48, 9
	s_and_b64 s[0:1], s[4:5], s[0:1]
	s_mov_b64 exec, s[0:1]
	s_cbranch_execz .LBB132_94
; %bb.93:                               ;   in Loop: Header=BB132_6 Depth=1
	ds_read_b32 v2, v15 offset:5144
	s_waitcnt lgkmcnt(0)
	v_ashrrev_i32_e32 v3, 31, v2
	ds_write_b64 v15, v[2:3] offset:5120
.LBB132_94:                             ;   in Loop: Header=BB132_6 Depth=1
	s_or_b64 exec, exec, s[4:5]
	s_waitcnt lgkmcnt(0)
	s_barrier
	s_mov_b64 s[4:5], -1
	s_and_b64 vcc, exec, s[8:9]
	s_cbranch_vccnz .LBB132_21
	s_branch .LBB132_31
.LBB132_95:                             ;   in Loop: Header=BB132_6 Depth=1
	s_mov_b64 s[20:21], -1
	s_mov_b64 s[10:11], 0
                                        ; implicit-def: $sgpr34_sgpr35
                                        ; implicit-def: $vgpr30
	s_mov_b64 s[36:37], s[20:21]
	s_cbranch_execnz .LBB132_98
	s_branch .LBB132_111
.LBB132_96:                             ;   in Loop: Header=BB132_6 Depth=1
	s_or_b64 exec, exec, s[10:11]
	v_lshrrev_b16_e32 v30, 8, v7
	s_and_b64 s[10:11], s[26:27], exec
.LBB132_97:                             ;   in Loop: Header=BB132_6 Depth=1
	s_or_b64 exec, exec, s[20:21]
	s_mov_b64 s[34:35], -1
	s_mov_b64 s[20:21], 0
	s_mov_b64 s[36:37], s[20:21]
	s_branch .LBB132_111
.LBB132_98:                             ;   in Loop: Header=BB132_6 Depth=1
	v_readlane_b32 s26, v48, 35
	v_readlane_b32 s27, v48, 36
	s_mov_b32 s26, s79
	s_cmp_lg_u64 s[26:27], 0
	v_writelane_b32 v48, s26, 35
	v_writelane_b32 v48, s27, 36
	s_cbranch_scc0 .LBB132_140
; %bb.99:                               ;   in Loop: Header=BB132_6 Depth=1
	v_cvt_f32_u32_e32 v2, s33
	s_sub_u32 s0, 0, s33
	s_subb_u32 s1, 0, 0
	v_mac_f32_e32 v2, 0, v36
	v_rcp_f32_e32 v2, v2
	v_mul_f32_e32 v2, 0x5f7ffffc, v2
	v_mul_f32_e32 v3, 0x2f800000, v2
	v_trunc_f32_e32 v3, v3
	v_mac_f32_e32 v2, 0xcf800000, v3
	v_cvt_u32_f32_e32 v3, v3
	v_cvt_u32_f32_e32 v2, v2
	v_readfirstlane_b32 s4, v3
	v_readfirstlane_b32 s5, v2
	s_mul_i32 s10, s0, s4
	s_mul_hi_u32 s20, s0, s5
	s_mul_i32 s11, s1, s5
	s_add_i32 s10, s20, s10
	s_mul_i32 s21, s0, s5
	s_add_i32 s10, s10, s11
	s_mul_hi_u32 s20, s5, s21
	s_mul_hi_u32 s11, s5, s10
	s_mul_i32 s5, s5, s10
	s_add_u32 s5, s20, s5
	s_addc_u32 s11, 0, s11
	s_mul_hi_u32 s26, s4, s21
	s_mul_i32 s21, s4, s21
	s_add_u32 s5, s5, s21
	s_mul_hi_u32 s20, s4, s10
	s_addc_u32 s5, s11, s26
	s_addc_u32 s11, s20, 0
	s_mul_i32 s10, s4, s10
	s_add_u32 s5, s5, s10
	s_addc_u32 s10, 0, s11
	v_add_co_u32_e32 v2, vcc, s5, v2
	s_cmp_lg_u64 vcc, 0
	s_addc_u32 s4, s4, s10
	v_readfirstlane_b32 s10, v2
	s_mul_i32 s5, s0, s4
	s_mul_hi_u32 s11, s0, s10
	s_add_i32 s5, s11, s5
	s_mul_i32 s1, s1, s10
	s_add_i32 s5, s5, s1
	s_mul_i32 s0, s0, s10
	s_mul_hi_u32 s11, s4, s0
	s_mul_i32 s20, s4, s0
	s_mul_i32 s26, s10, s5
	s_mul_hi_u32 s0, s10, s0
	s_mul_hi_u32 s21, s10, s5
	s_add_u32 s0, s0, s26
	s_addc_u32 s10, 0, s21
	s_add_u32 s0, s0, s20
	s_mul_hi_u32 s1, s4, s5
	s_addc_u32 s0, s10, s11
	s_addc_u32 s1, s1, 0
	s_mul_i32 s5, s4, s5
	s_add_u32 s0, s0, s5
	s_addc_u32 s1, 0, s1
	v_add_co_u32_e32 v2, vcc, s0, v2
	s_cmp_lg_u64 vcc, 0
	s_addc_u32 s0, s4, s1
	v_readlane_b32 s20, v48, 33
	v_readfirstlane_b32 s5, v2
	s_mul_i32 s4, s20, s0
	s_mul_hi_u32 s10, s20, s5
	s_mul_hi_u32 s1, s20, s0
	s_add_u32 s4, s10, s4
	s_addc_u32 s1, 0, s1
	s_mul_hi_u32 s11, s27, s5
	s_mul_i32 s5, s27, s5
	s_add_u32 s4, s4, s5
	s_mul_hi_u32 s10, s27, s0
	s_addc_u32 s1, s1, s11
	s_addc_u32 s4, s10, 0
	s_mul_i32 s0, s27, s0
	s_add_u32 s0, s1, s0
	s_addc_u32 s1, 0, s4
	s_mul_hi_u32 s4, s33, s0
	s_mul_i32 s0, s33, s0
	s_mul_i32 s1, s33, s1
	v_mov_b32_e32 v2, s0
	s_add_i32 s4, s4, s1
	v_sub_co_u32_e32 v2, vcc, s20, v2
	s_cmp_lg_u64 vcc, 0
	s_subb_u32 s0, s27, s4
	v_subrev_co_u32_e32 v3, vcc, s33, v2
	s_cmp_lg_u64 vcc, 0
	s_subb_u32 s1, s0, 0
	v_subrev_co_u32_e32 v4, vcc, s33, v3
	s_cmp_lg_u64 vcc, 0
	s_subb_u32 s4, s1, 0
	v_cmp_le_u32_e32 vcc, s33, v3
	s_cmp_eq_u32 s1, 0
	v_cndmask_b32_e64 v5, 0, -1, vcc
	s_cselect_b64 vcc, -1, 0
	v_cndmask_b32_e32 v5, -1, v5, vcc
	v_mov_b32_e32 v6, s1
	v_mov_b32_e32 v7, s4
	v_cmp_ne_u32_e32 vcc, 0, v5
	v_cndmask_b32_e32 v5, v6, v7, vcc
	v_cndmask_b32_e32 v4, v3, v4, vcc
	v_cmp_le_u32_e32 vcc, s33, v2
	s_cmp_eq_u32 s0, 0
	v_cndmask_b32_e64 v3, 0, -1, vcc
	s_cselect_b64 vcc, -1, 0
	v_cndmask_b32_e32 v3, -1, v3, vcc
	v_mov_b32_e32 v6, s0
	v_cmp_ne_u32_e32 vcc, 0, v3
	v_cndmask_b32_e32 v3, v6, v5, vcc
	v_cndmask_b32_e32 v2, v2, v4, vcc
	s_cbranch_execnz .LBB132_101
.LBB132_100:                            ;   in Loop: Header=BB132_6 Depth=1
	v_cvt_f32_u32_e32 v2, s33
	s_sub_i32 s0, 0, s33
	v_rcp_iflag_f32_e32 v2, v2
	v_mul_f32_e32 v2, 0x4f7ffffe, v2
	v_cvt_u32_f32_e32 v2, v2
	v_mul_lo_u32 v3, s0, v2
	v_mul_hi_u32 v3, v2, v3
	v_add_u32_e32 v2, v2, v3
	v_readlane_b32 s0, v48, 33
	v_mul_hi_u32 v2, s0, v2
	v_mul_lo_u32 v2, v2, s33
	v_sub_u32_e32 v2, s0, v2
	v_subrev_u32_e32 v3, s33, v2
	v_cmp_le_u32_e32 vcc, s33, v2
	v_cndmask_b32_e32 v2, v2, v3, vcc
	v_subrev_u32_e32 v3, s33, v2
	v_cmp_le_u32_e32 vcc, s33, v2
	v_cndmask_b32_e32 v14, v2, v3, vcc
	v_pk_mov_b32 v[2:3], v[14:15], v[14:15] op_sel:[0,1]
.LBB132_101:                            ;   in Loop: Header=BB132_6 Depth=1
	v_readlane_b32 s0, v48, 35
	v_readlane_b32 s1, v48, 36
	;; [unrolled: 1-line block ×3, first 2 shown]
	v_mov_b32_e32 v4, s1
	v_sub_co_u32_e32 v2, vcc, s0, v2
	v_subb_co_u32_e32 v3, vcc, v4, v3, vcc
	v_cmp_gt_u64_e32 vcc, v[2:3], v[0:1]
	s_mov_b64 s[10:11], 0
                                        ; implicit-def: $vgpr30
	s_and_saveexec_b64 s[4:5], vcc
	s_cbranch_execz .LBB132_110
; %bb.102:                              ;   in Loop: Header=BB132_6 Depth=1
	v_pk_mov_b32 v[4:5], v[12:13], v[12:13] op_sel:[0,1]
	v_pk_mov_b32 v[6:7], v[0:1], v[0:1] op_sel:[0,1]
                                        ; implicit-def: $sgpr20_sgpr21
	s_branch .LBB132_104
.LBB132_103:                            ;   in Loop: Header=BB132_104 Depth=2
	s_or_b64 exec, exec, s[26:27]
	s_waitcnt lgkmcnt(0)
	s_barrier
	s_waitcnt vmcnt(0)
	ds_read_u16 v8, v15 offset:3072
	v_mov_b32_e32 v9, s86
	v_add_co_u32_e32 v6, vcc, s33, v6
	v_addc_co_u32_e32 v7, vcc, v7, v9, vcc
	s_waitcnt lgkmcnt(0)
	v_cmp_ne_u16_sdwa s[0:1], v8, v15 src0_sel:BYTE_0 src1_sel:DWORD
	v_cmp_ge_u64_e32 vcc, v[6:7], v[2:3]
	s_or_b64 s[26:27], vcc, s[0:1]
	s_and_b64 s[26:27], exec, s[26:27]
	s_mul_i32 s28, s62, s33
	s_or_b64 s[10:11], s[26:27], s[10:11]
	v_mov_b32_e32 v9, s87
	v_add_co_u32_e32 v4, vcc, s28, v4
	s_andn2_b64 s[20:21], s[20:21], exec
	s_and_b64 s[0:1], s[0:1], exec
	v_addc_co_u32_e32 v5, vcc, v5, v9, vcc
	s_or_b64 s[20:21], s[20:21], s[0:1]
	s_barrier
	s_andn2_b64 exec, exec, s[10:11]
	s_cbranch_execz .LBB132_109
.LBB132_104:                            ;   Parent Loop BB132_6 Depth=1
                                        ; =>  This Inner Loop Header: Depth=2
	v_cmp_gt_u64_e32 vcc, s[56:57], v[6:7]
	v_mov_b32_e32 v8, 0
	s_and_saveexec_b64 s[26:27], vcc
	s_cbranch_execz .LBB132_106
; %bb.105:                              ;   in Loop: Header=BB132_104 Depth=2
	global_load_ubyte v8, v[4:5], off
.LBB132_106:                            ;   in Loop: Header=BB132_104 Depth=2
	s_or_b64 exec, exec, s[26:27]
	s_and_saveexec_b64 s[26:27], vcc
	s_cbranch_execz .LBB132_103
; %bb.107:                              ;   in Loop: Header=BB132_104 Depth=2
	s_waitcnt vmcnt(0)
	v_add_u32_sdwa v9, sext(v8), s84 dst_sel:DWORD dst_unused:UNUSED_PAD src0_sel:BYTE_0 src1_sel:DWORD
	v_and_b32_e32 v9, v9, v29
	v_cmp_eq_u32_e32 vcc, v9, v28
	s_and_b64 exec, exec, vcc
	s_cbranch_execz .LBB132_103
; %bb.108:                              ;   in Loop: Header=BB132_104 Depth=2
	v_lshlrev_b16_e32 v8, 8, v8
	v_or_b32_e32 v8, 1, v8
	ds_write_b16 v15, v8 offset:3072
	s_branch .LBB132_103
.LBB132_109:                            ;   in Loop: Header=BB132_6 Depth=1
	s_or_b64 exec, exec, s[10:11]
	v_lshrrev_b16_e32 v30, 8, v8
	s_and_b64 s[10:11], s[20:21], exec
.LBB132_110:                            ;   in Loop: Header=BB132_6 Depth=1
	s_or_b64 exec, exec, s[4:5]
	s_mov_b64 s[36:37], -1
	s_mov_b64 s[20:21], 0
	s_mov_b64 s[34:35], 0
.LBB132_111:                            ;   in Loop: Header=BB132_6 Depth=1
	s_orn2_b64 s[4:5], s[10:11], exec
.LBB132_112:                            ;   in Loop: Header=BB132_6 Depth=1
	s_or_b64 exec, exec, s[8:9]
	s_mov_b64 s[38:39], 0
	s_mov_b64 s[28:29], 0
	;; [unrolled: 1-line block ×3, first 2 shown]
                                        ; implicit-def: $vgpr6
                                        ; implicit-def: $vgpr2_vgpr3
	s_and_saveexec_b64 s[40:41], s[4:5]
	s_cbranch_execz .LBB132_275
; %bb.113:                              ;   in Loop: Header=BB132_6 Depth=1
	v_mov_b32_e32 v2, 1
	s_xor_b64 s[0:1], s[6:7], -1
	s_mov_b64 s[6:7], 0
	v_mov_b32_e32 v3, 0
	v_mov_b32_e32 v6, 1
	s_and_saveexec_b64 s[4:5], s[0:1]
	s_cbranch_execz .LBB132_123
; %bb.114:                              ;   in Loop: Header=BB132_6 Depth=1
	v_cmp_ge_u64_e32 vcc, s[16:17], v[26:27]
                                        ; implicit-def: $sgpr0
                                        ; implicit-def: $sgpr6_sgpr7
	s_and_saveexec_b64 s[8:9], vcc
	s_xor_b64 s[8:9], exec, s[8:9]
	s_cbranch_execz .LBB132_120
; %bb.115:                              ;   in Loop: Header=BB132_6 Depth=1
	ds_read_b64 v[2:3], v15 offset:5120
	s_waitcnt lgkmcnt(0)
	v_cmp_ne_u64_e32 vcc, 0, v[2:3]
	s_cbranch_vccnz .LBB132_119
; %bb.116:                              ;   in Loop: Header=BB132_6 Depth=1
	s_mov_b64 s[6:7], exec
	v_readlane_b32 s0, v48, 8
	v_readlane_b32 s1, v48, 9
	s_and_b64 s[0:1], s[6:7], s[0:1]
	s_mov_b64 exec, s[0:1]
	s_cbranch_execz .LBB132_118
; %bb.117:                              ;   in Loop: Header=BB132_6 Depth=1
	v_pk_mov_b32 v[2:3], s[16:17], s[16:17] op_sel:[0,1]
	ds_write_b64 v15, v[2:3] offset:5128
.LBB132_118:                            ;   in Loop: Header=BB132_6 Depth=1
	s_or_b64 exec, exec, s[6:7]
	s_waitcnt lgkmcnt(0)
	s_barrier
.LBB132_119:                            ;   in Loop: Header=BB132_6 Depth=1
	v_and_b32_e32 v28, s92, v28
	v_or_b32_e32 v29, s78, v29
	s_mov_b64 s[6:7], 0
	s_mov_b32 s0, 8
.LBB132_120:                            ;   in Loop: Header=BB132_6 Depth=1
	s_or_saveexec_b64 s[8:9], s[8:9]
	v_mov_b32_e32 v6, s0
	v_pk_mov_b32 v[2:3], v[26:27], v[26:27] op_sel:[0,1]
	s_xor_b64 exec, exec, s[8:9]
; %bb.121:                              ;   in Loop: Header=BB132_6 Depth=1
	v_mov_b32_e32 v3, s17
	v_subrev_co_u32_e32 v2, vcc, s16, v26
	v_subb_co_u32_e32 v3, vcc, v27, v3, vcc
	v_mov_b32_e32 v6, 0
	s_or_b64 s[6:7], s[6:7], exec
; %bb.122:                              ;   in Loop: Header=BB132_6 Depth=1
	s_or_b64 exec, exec, s[8:9]
	s_and_b64 s[6:7], s[6:7], exec
.LBB132_123:                            ;   in Loop: Header=BB132_6 Depth=1
	s_or_b64 exec, exec, s[4:5]
	s_mov_b64 s[28:29], -1
                                        ; implicit-def: $sgpr4_sgpr5
                                        ; implicit-def: $sgpr8_sgpr9
                                        ; implicit-def: $sgpr10_sgpr11
	s_and_saveexec_b64 s[0:1], s[6:7]
	s_xor_b64 s[6:7], exec, s[0:1]
	s_cbranch_execz .LBB132_272
; %bb.124:                              ;   in Loop: Header=BB132_6 Depth=1
	s_cmp_eq_u64 s[18:19], 1
	s_cselect_b64 s[0:1], -1, 0
	v_cmp_eq_u64_e32 vcc, 1, v[2:3]
	s_and_b64 s[8:9], s[0:1], vcc
	s_mov_b64 s[4:5], -1
                                        ; implicit-def: $sgpr26_sgpr27
                                        ; implicit-def: $sgpr42_sgpr43
                                        ; implicit-def: $sgpr28_sgpr29
	s_and_saveexec_b64 s[44:45], s[8:9]
	s_cbranch_execz .LBB132_158
; %bb.125:                              ;   in Loop: Header=BB132_6 Depth=1
	ds_read_b64 v[4:5], v15 offset:5120
	s_waitcnt lgkmcnt(0)
	s_barrier
	v_readfirstlane_b32 s4, v4
	v_readfirstlane_b32 s5, v5
	s_mov_b64 s[10:11], exec
	v_readlane_b32 s0, v48, 28
	v_readlane_b32 s1, v48, 29
	s_and_b64 s[0:1], s[10:11], s[0:1]
	s_mov_b64 exec, s[0:1]
	s_cbranch_execz .LBB132_127
; %bb.126:                              ;   in Loop: Header=BB132_6 Depth=1
	ds_write_b8 v0, v15 offset:3072
.LBB132_127:                            ;   in Loop: Header=BB132_6 Depth=1
	s_or_b64 exec, exec, s[10:11]
	v_and_b32_e32 v4, s92, v28
	v_lshl_or_b32 v28, 1, s93, v4
	v_or_b32_e32 v29, s78, v29
	s_cmp_eq_u64 s[4:5], 0
	s_waitcnt lgkmcnt(0)
	s_barrier
	s_cbranch_scc1 .LBB132_141
; %bb.128:                              ;   in Loop: Header=BB132_6 Depth=1
	v_readlane_b32 s0, v48, 32
	s_add_u32 s0, s0, s4
	v_readlane_b32 s1, v48, 34
	s_addc_u32 s11, s1, s5
	s_mov_b32 s10, s79
	s_cmp_lg_u64 s[10:11], 0
	s_cbranch_scc0 .LBB132_185
; %bb.129:                              ;   in Loop: Header=BB132_6 Depth=1
	v_cvt_f32_u32_e32 v4, s33
	s_sub_u32 s1, 0, s33
	s_subb_u32 s10, 0, 0
	v_mac_f32_e32 v4, 0, v36
	v_rcp_f32_e32 v4, v4
	v_mul_f32_e32 v4, 0x5f7ffffc, v4
	v_mul_f32_e32 v5, 0x2f800000, v4
	v_trunc_f32_e32 v5, v5
	v_mac_f32_e32 v4, 0xcf800000, v5
	v_cvt_u32_f32_e32 v5, v5
	v_cvt_u32_f32_e32 v4, v4
	v_readfirstlane_b32 s26, v5
	v_readfirstlane_b32 s27, v4
	s_mul_i32 s28, s1, s26
	s_mul_hi_u32 s42, s1, s27
	s_mul_i32 s29, s10, s27
	s_add_i32 s28, s42, s28
	s_mul_i32 s43, s1, s27
	s_add_i32 s28, s28, s29
	s_mul_hi_u32 s42, s27, s43
	s_mul_hi_u32 s29, s27, s28
	s_mul_i32 s27, s27, s28
	s_add_u32 s27, s42, s27
	s_addc_u32 s29, 0, s29
	s_mul_hi_u32 s46, s26, s43
	s_mul_i32 s43, s26, s43
	s_add_u32 s27, s27, s43
	s_mul_hi_u32 s42, s26, s28
	s_addc_u32 s27, s29, s46
	s_addc_u32 s29, s42, 0
	s_mul_i32 s28, s26, s28
	s_add_u32 s27, s27, s28
	s_addc_u32 s28, 0, s29
	v_add_co_u32_e32 v4, vcc, s27, v4
	s_cmp_lg_u64 vcc, 0
	s_addc_u32 s26, s26, s28
	v_readfirstlane_b32 s28, v4
	s_mul_i32 s27, s1, s26
	s_mul_hi_u32 s29, s1, s28
	s_add_i32 s27, s29, s27
	s_mul_i32 s10, s10, s28
	s_add_i32 s27, s27, s10
	s_mul_i32 s1, s1, s28
	s_mul_hi_u32 s29, s26, s1
	s_mul_i32 s42, s26, s1
	s_mul_i32 s46, s28, s27
	s_mul_hi_u32 s1, s28, s1
	s_mul_hi_u32 s43, s28, s27
	s_add_u32 s1, s1, s46
	s_addc_u32 s28, 0, s43
	s_add_u32 s1, s1, s42
	s_mul_hi_u32 s10, s26, s27
	s_addc_u32 s1, s28, s29
	s_addc_u32 s10, s10, 0
	s_mul_i32 s27, s26, s27
	s_add_u32 s1, s1, s27
	s_addc_u32 s10, 0, s10
	v_add_co_u32_e32 v4, vcc, s1, v4
	s_cmp_lg_u64 vcc, 0
	s_addc_u32 s1, s26, s10
	v_readfirstlane_b32 s27, v4
	s_mul_i32 s26, s0, s1
	s_mul_hi_u32 s28, s0, s27
	s_mul_hi_u32 s10, s0, s1
	s_add_u32 s26, s28, s26
	s_addc_u32 s10, 0, s10
	s_mul_hi_u32 s29, s11, s27
	s_mul_i32 s27, s11, s27
	s_add_u32 s26, s26, s27
	s_mul_hi_u32 s28, s11, s1
	s_addc_u32 s10, s10, s29
	s_addc_u32 s26, s28, 0
	s_mul_i32 s1, s11, s1
	s_add_u32 s1, s10, s1
	s_addc_u32 s10, 0, s26
	s_mul_hi_u32 s26, s33, s1
	s_mul_i32 s1, s33, s1
	s_mul_i32 s10, s33, s10
	v_mov_b32_e32 v4, s1
	s_add_i32 s26, s26, s10
	v_sub_co_u32_e32 v4, vcc, s0, v4
	s_cmp_lg_u64 vcc, 0
	s_subb_u32 s1, s11, s26
	v_subrev_co_u32_e32 v5, vcc, s33, v4
	s_cmp_lg_u64 vcc, 0
	s_subb_u32 s10, s1, 0
	v_subrev_co_u32_e32 v6, vcc, s33, v5
	s_cmp_lg_u64 vcc, 0
	s_subb_u32 s26, s10, 0
	v_cmp_le_u32_e32 vcc, s33, v5
	s_cmp_eq_u32 s10, 0
	v_cndmask_b32_e64 v7, 0, -1, vcc
	s_cselect_b64 vcc, -1, 0
	v_cndmask_b32_e32 v7, -1, v7, vcc
	v_mov_b32_e32 v8, s10
	v_mov_b32_e32 v9, s26
	v_cmp_ne_u32_e32 vcc, 0, v7
	v_cndmask_b32_e32 v7, v8, v9, vcc
	v_cndmask_b32_e32 v6, v5, v6, vcc
	v_cmp_le_u32_e32 vcc, s33, v4
	s_cmp_eq_u32 s1, 0
	v_cndmask_b32_e64 v5, 0, -1, vcc
	s_cselect_b64 vcc, -1, 0
	v_cndmask_b32_e32 v5, -1, v5, vcc
	v_mov_b32_e32 v8, s1
	v_cmp_ne_u32_e32 vcc, 0, v5
	v_cndmask_b32_e32 v5, v8, v7, vcc
	v_cndmask_b32_e32 v4, v4, v6, vcc
	s_cbranch_execnz .LBB132_131
.LBB132_130:                            ;   in Loop: Header=BB132_6 Depth=1
	v_cvt_f32_u32_e32 v4, s33
	s_sub_i32 s1, 0, s33
	v_rcp_iflag_f32_e32 v4, v4
	v_mul_f32_e32 v4, 0x4f7ffffe, v4
	v_cvt_u32_f32_e32 v4, v4
	v_mul_lo_u32 v5, s1, v4
	v_mul_hi_u32 v5, v4, v5
	v_add_u32_e32 v4, v4, v5
	v_mul_hi_u32 v4, s0, v4
	v_mul_lo_u32 v4, v4, s33
	v_sub_u32_e32 v4, s0, v4
	v_subrev_u32_e32 v5, s33, v4
	v_cmp_le_u32_e32 vcc, s33, v4
	v_cndmask_b32_e32 v4, v4, v5, vcc
	v_subrev_u32_e32 v5, s33, v4
	v_cmp_le_u32_e32 vcc, s33, v4
	v_cndmask_b32_e32 v14, v4, v5, vcc
	v_pk_mov_b32 v[4:5], v[14:15], v[14:15] op_sel:[0,1]
.LBB132_131:                            ;   in Loop: Header=BB132_6 Depth=1
	v_mov_b32_e32 v6, s11
	v_sub_co_u32_e32 v4, vcc, s0, v4
	v_subb_co_u32_e32 v5, vcc, v6, v5, vcc
	v_cmp_gt_u64_e32 vcc, v[4:5], v[0:1]
	s_mov_b64 s[10:11], 0
                                        ; implicit-def: $vgpr30
	s_and_saveexec_b64 s[26:27], vcc
	s_cbranch_execz .LBB132_143
; %bb.132:                              ;   in Loop: Header=BB132_6 Depth=1
	v_mov_b32_e32 v8, v0
	v_pk_mov_b32 v[6:7], v[0:1], v[0:1] op_sel:[0,1]
                                        ; implicit-def: $sgpr28_sgpr29
	s_branch .LBB132_134
.LBB132_133:                            ;   in Loop: Header=BB132_134 Depth=2
	s_or_b64 exec, exec, s[42:43]
	s_waitcnt lgkmcnt(0)
	s_barrier
	ds_read_u16 v9, v15 offset:3072
	v_mov_b32_e32 v14, s86
	v_add_co_u32_e32 v6, vcc, s33, v6
	v_addc_co_u32_e32 v7, vcc, v7, v14, vcc
	s_waitcnt lgkmcnt(0)
	v_cmp_ne_u16_sdwa s[0:1], v9, v15 src0_sel:BYTE_0 src1_sel:DWORD
	v_cmp_ge_u64_e32 vcc, v[6:7], v[4:5]
	s_or_b64 s[42:43], vcc, s[0:1]
	s_and_b64 s[42:43], exec, s[42:43]
	s_or_b64 s[10:11], s[42:43], s[10:11]
	s_andn2_b64 s[28:29], s[28:29], exec
	s_and_b64 s[0:1], s[0:1], exec
	v_add_u32_e32 v8, s33, v8
	s_or_b64 s[28:29], s[28:29], s[0:1]
	s_barrier
	s_andn2_b64 exec, exec, s[10:11]
	s_cbranch_execz .LBB132_142
.LBB132_134:                            ;   Parent Loop BB132_6 Depth=1
                                        ; =>  This Inner Loop Header: Depth=2
	v_cmp_gt_u64_e32 vcc, s[4:5], v[6:7]
	v_mov_b32_e32 v9, 0
	s_and_saveexec_b64 s[42:43], vcc
	s_cbranch_execz .LBB132_136
; %bb.135:                              ;   in Loop: Header=BB132_134 Depth=2
	ds_read_u8 v9, v8
.LBB132_136:                            ;   in Loop: Header=BB132_134 Depth=2
	s_or_b64 exec, exec, s[42:43]
	s_and_saveexec_b64 s[42:43], vcc
	s_cbranch_execz .LBB132_133
; %bb.137:                              ;   in Loop: Header=BB132_134 Depth=2
	s_waitcnt lgkmcnt(0)
	v_add_u32_sdwa v14, sext(v9), s84 dst_sel:DWORD dst_unused:UNUSED_PAD src0_sel:BYTE_0 src1_sel:DWORD
	v_and_b32_e32 v14, v14, v29
	v_cmp_eq_u32_e32 vcc, v14, v28
	s_and_b64 exec, exec, vcc
	s_cbranch_execz .LBB132_133
; %bb.138:                              ;   in Loop: Header=BB132_134 Depth=2
	v_lshlrev_b16_e32 v9, 8, v9
	v_or_b32_e32 v9, 1, v9
	ds_write_b16 v15, v9 offset:3072
	s_branch .LBB132_133
.LBB132_139:                            ;   in Loop: Header=BB132_6 Depth=1
                                        ; implicit-def: $vgpr2_vgpr3
	s_branch .LBB132_81
.LBB132_140:                            ;   in Loop: Header=BB132_6 Depth=1
                                        ; implicit-def: $vgpr2_vgpr3
	s_branch .LBB132_100
.LBB132_141:                            ;   in Loop: Header=BB132_6 Depth=1
	s_mov_b64 s[26:27], -1
	s_mov_b64 s[10:11], 0
                                        ; implicit-def: $sgpr28_sgpr29
                                        ; implicit-def: $vgpr30
	s_mov_b64 s[42:43], s[26:27]
	s_cbranch_execnz .LBB132_144
	s_branch .LBB132_157
.LBB132_142:                            ;   in Loop: Header=BB132_6 Depth=1
	s_or_b64 exec, exec, s[10:11]
	v_lshrrev_b16_e32 v30, 8, v9
	s_and_b64 s[10:11], s[28:29], exec
.LBB132_143:                            ;   in Loop: Header=BB132_6 Depth=1
	s_or_b64 exec, exec, s[26:27]
	s_mov_b64 s[28:29], -1
	s_mov_b64 s[26:27], 0
	s_mov_b64 s[42:43], s[26:27]
	s_branch .LBB132_157
.LBB132_144:                            ;   in Loop: Header=BB132_6 Depth=1
	v_readlane_b32 s28, v48, 35
	v_readlane_b32 s29, v48, 36
	s_mov_b32 s28, s79
	s_cmp_lg_u64 s[28:29], 0
	v_writelane_b32 v48, s28, 35
	v_writelane_b32 v48, s29, 36
	s_cbranch_scc0 .LBB132_186
; %bb.145:                              ;   in Loop: Header=BB132_6 Depth=1
	v_cvt_f32_u32_e32 v4, s33
	s_sub_u32 s0, 0, s33
	s_subb_u32 s1, 0, 0
	v_mac_f32_e32 v4, 0, v36
	v_rcp_f32_e32 v4, v4
	v_mul_f32_e32 v4, 0x5f7ffffc, v4
	v_mul_f32_e32 v5, 0x2f800000, v4
	v_trunc_f32_e32 v5, v5
	v_mac_f32_e32 v4, 0xcf800000, v5
	v_cvt_u32_f32_e32 v5, v5
	v_cvt_u32_f32_e32 v4, v4
	v_readfirstlane_b32 s4, v5
	v_readfirstlane_b32 s5, v4
	s_mul_i32 s10, s0, s4
	s_mul_hi_u32 s26, s0, s5
	s_mul_i32 s11, s1, s5
	s_add_i32 s10, s26, s10
	s_mul_i32 s27, s0, s5
	s_add_i32 s10, s10, s11
	s_mul_hi_u32 s26, s5, s27
	s_mul_hi_u32 s11, s5, s10
	s_mul_i32 s5, s5, s10
	s_add_u32 s5, s26, s5
	s_addc_u32 s11, 0, s11
	s_mul_hi_u32 s28, s4, s27
	s_mul_i32 s27, s4, s27
	s_add_u32 s5, s5, s27
	s_mul_hi_u32 s26, s4, s10
	s_addc_u32 s5, s11, s28
	s_addc_u32 s11, s26, 0
	s_mul_i32 s10, s4, s10
	s_add_u32 s5, s5, s10
	s_addc_u32 s10, 0, s11
	v_add_co_u32_e32 v4, vcc, s5, v4
	s_cmp_lg_u64 vcc, 0
	s_addc_u32 s4, s4, s10
	v_readfirstlane_b32 s10, v4
	s_mul_i32 s5, s0, s4
	s_mul_hi_u32 s11, s0, s10
	s_add_i32 s5, s11, s5
	s_mul_i32 s1, s1, s10
	s_add_i32 s5, s5, s1
	s_mul_i32 s0, s0, s10
	s_mul_hi_u32 s11, s4, s0
	s_mul_i32 s26, s4, s0
	s_mul_i32 s28, s10, s5
	s_mul_hi_u32 s0, s10, s0
	s_mul_hi_u32 s27, s10, s5
	s_add_u32 s0, s0, s28
	s_addc_u32 s10, 0, s27
	s_add_u32 s0, s0, s26
	s_mul_hi_u32 s1, s4, s5
	s_addc_u32 s0, s10, s11
	s_addc_u32 s1, s1, 0
	s_mul_i32 s5, s4, s5
	s_add_u32 s0, s0, s5
	s_addc_u32 s1, 0, s1
	v_add_co_u32_e32 v4, vcc, s0, v4
	s_cmp_lg_u64 vcc, 0
	s_addc_u32 s0, s4, s1
	v_readlane_b32 s26, v48, 33
	v_readfirstlane_b32 s5, v4
	s_mul_i32 s4, s26, s0
	s_mul_hi_u32 s10, s26, s5
	s_mul_hi_u32 s1, s26, s0
	s_add_u32 s4, s10, s4
	s_addc_u32 s1, 0, s1
	s_mul_hi_u32 s11, s29, s5
	s_mul_i32 s5, s29, s5
	s_add_u32 s4, s4, s5
	s_mul_hi_u32 s10, s29, s0
	s_addc_u32 s1, s1, s11
	s_addc_u32 s4, s10, 0
	s_mul_i32 s0, s29, s0
	s_add_u32 s0, s1, s0
	s_addc_u32 s1, 0, s4
	s_mul_hi_u32 s4, s33, s0
	s_mul_i32 s0, s33, s0
	s_mul_i32 s1, s33, s1
	v_mov_b32_e32 v4, s0
	s_add_i32 s4, s4, s1
	v_sub_co_u32_e32 v4, vcc, s26, v4
	s_cmp_lg_u64 vcc, 0
	s_subb_u32 s0, s29, s4
	v_subrev_co_u32_e32 v5, vcc, s33, v4
	s_cmp_lg_u64 vcc, 0
	s_subb_u32 s1, s0, 0
	v_subrev_co_u32_e32 v6, vcc, s33, v5
	s_cmp_lg_u64 vcc, 0
	s_subb_u32 s4, s1, 0
	v_cmp_le_u32_e32 vcc, s33, v5
	s_cmp_eq_u32 s1, 0
	v_cndmask_b32_e64 v7, 0, -1, vcc
	s_cselect_b64 vcc, -1, 0
	v_cndmask_b32_e32 v7, -1, v7, vcc
	v_mov_b32_e32 v8, s1
	v_mov_b32_e32 v9, s4
	v_cmp_ne_u32_e32 vcc, 0, v7
	v_cndmask_b32_e32 v7, v8, v9, vcc
	v_cndmask_b32_e32 v6, v5, v6, vcc
	v_cmp_le_u32_e32 vcc, s33, v4
	s_cmp_eq_u32 s0, 0
	v_cndmask_b32_e64 v5, 0, -1, vcc
	s_cselect_b64 vcc, -1, 0
	v_cndmask_b32_e32 v5, -1, v5, vcc
	v_mov_b32_e32 v8, s0
	v_cmp_ne_u32_e32 vcc, 0, v5
	v_cndmask_b32_e32 v5, v8, v7, vcc
	v_cndmask_b32_e32 v4, v4, v6, vcc
	s_cbranch_execnz .LBB132_147
.LBB132_146:                            ;   in Loop: Header=BB132_6 Depth=1
	v_cvt_f32_u32_e32 v4, s33
	s_sub_i32 s0, 0, s33
	v_rcp_iflag_f32_e32 v4, v4
	v_mul_f32_e32 v4, 0x4f7ffffe, v4
	v_cvt_u32_f32_e32 v4, v4
	v_mul_lo_u32 v5, s0, v4
	v_mul_hi_u32 v5, v4, v5
	v_add_u32_e32 v4, v4, v5
	v_readlane_b32 s0, v48, 33
	v_mul_hi_u32 v4, s0, v4
	v_mul_lo_u32 v4, v4, s33
	v_sub_u32_e32 v4, s0, v4
	v_subrev_u32_e32 v5, s33, v4
	v_cmp_le_u32_e32 vcc, s33, v4
	v_cndmask_b32_e32 v4, v4, v5, vcc
	v_subrev_u32_e32 v5, s33, v4
	v_cmp_le_u32_e32 vcc, s33, v4
	v_cndmask_b32_e32 v14, v4, v5, vcc
	v_pk_mov_b32 v[4:5], v[14:15], v[14:15] op_sel:[0,1]
.LBB132_147:                            ;   in Loop: Header=BB132_6 Depth=1
	v_readlane_b32 s0, v48, 35
	v_readlane_b32 s1, v48, 36
	v_readlane_b32 s0, v48, 33
	v_mov_b32_e32 v6, s1
	v_sub_co_u32_e32 v4, vcc, s0, v4
	v_subb_co_u32_e32 v5, vcc, v6, v5, vcc
	v_cmp_gt_u64_e32 vcc, v[4:5], v[0:1]
	s_mov_b64 s[10:11], 0
                                        ; implicit-def: $vgpr30
	s_and_saveexec_b64 s[4:5], vcc
	s_cbranch_execz .LBB132_156
; %bb.148:                              ;   in Loop: Header=BB132_6 Depth=1
	v_pk_mov_b32 v[6:7], v[12:13], v[12:13] op_sel:[0,1]
	v_pk_mov_b32 v[8:9], v[0:1], v[0:1] op_sel:[0,1]
                                        ; implicit-def: $sgpr26_sgpr27
	s_branch .LBB132_150
.LBB132_149:                            ;   in Loop: Header=BB132_150 Depth=2
	s_or_b64 exec, exec, s[28:29]
	s_waitcnt lgkmcnt(0)
	s_barrier
	s_waitcnt vmcnt(0)
	ds_read_u16 v14, v15 offset:3072
	v_mov_b32_e32 v30, s86
	v_add_co_u32_e32 v8, vcc, s33, v8
	v_addc_co_u32_e32 v9, vcc, v9, v30, vcc
	s_waitcnt lgkmcnt(0)
	v_cmp_ne_u16_sdwa s[0:1], v14, v15 src0_sel:BYTE_0 src1_sel:DWORD
	v_cmp_ge_u64_e32 vcc, v[8:9], v[4:5]
	s_or_b64 s[28:29], vcc, s[0:1]
	s_and_b64 s[28:29], exec, s[28:29]
	s_mul_i32 s42, s62, s33
	s_or_b64 s[10:11], s[28:29], s[10:11]
	v_mov_b32_e32 v30, s87
	v_add_co_u32_e32 v6, vcc, s42, v6
	s_andn2_b64 s[26:27], s[26:27], exec
	s_and_b64 s[0:1], s[0:1], exec
	v_addc_co_u32_e32 v7, vcc, v7, v30, vcc
	s_or_b64 s[26:27], s[26:27], s[0:1]
	s_barrier
	s_andn2_b64 exec, exec, s[10:11]
	s_cbranch_execz .LBB132_155
.LBB132_150:                            ;   Parent Loop BB132_6 Depth=1
                                        ; =>  This Inner Loop Header: Depth=2
	v_cmp_gt_u64_e32 vcc, s[56:57], v[8:9]
	v_mov_b32_e32 v14, 0
	s_and_saveexec_b64 s[28:29], vcc
	s_cbranch_execz .LBB132_152
; %bb.151:                              ;   in Loop: Header=BB132_150 Depth=2
	global_load_ubyte v14, v[6:7], off
.LBB132_152:                            ;   in Loop: Header=BB132_150 Depth=2
	s_or_b64 exec, exec, s[28:29]
	s_and_saveexec_b64 s[28:29], vcc
	s_cbranch_execz .LBB132_149
; %bb.153:                              ;   in Loop: Header=BB132_150 Depth=2
	s_waitcnt vmcnt(0)
	v_add_u32_sdwa v30, sext(v14), s84 dst_sel:DWORD dst_unused:UNUSED_PAD src0_sel:BYTE_0 src1_sel:DWORD
	v_and_b32_e32 v30, v30, v29
	v_cmp_eq_u32_e32 vcc, v30, v28
	s_and_b64 exec, exec, vcc
	s_cbranch_execz .LBB132_149
; %bb.154:                              ;   in Loop: Header=BB132_150 Depth=2
	v_lshlrev_b16_e32 v14, 8, v14
	v_or_b32_e32 v14, 1, v14
	ds_write_b16 v15, v14 offset:3072
	s_branch .LBB132_149
.LBB132_155:                            ;   in Loop: Header=BB132_6 Depth=1
	s_or_b64 exec, exec, s[10:11]
	v_lshrrev_b16_e32 v30, 8, v14
	s_and_b64 s[10:11], s[26:27], exec
.LBB132_156:                            ;   in Loop: Header=BB132_6 Depth=1
	s_or_b64 exec, exec, s[4:5]
	s_mov_b64 s[42:43], -1
	s_mov_b64 s[26:27], 0
	s_mov_b64 s[28:29], 0
.LBB132_157:                            ;   in Loop: Header=BB132_6 Depth=1
	s_orn2_b64 s[4:5], s[10:11], exec
.LBB132_158:                            ;   in Loop: Header=BB132_6 Depth=1
	s_or_b64 exec, exec, s[44:45]
	s_mov_b64 s[46:47], 0
                                        ; implicit-def: $vgpr6
	s_and_saveexec_b64 s[44:45], s[4:5]
	s_cbranch_execz .LBB132_271
; %bb.159:                              ;   in Loop: Header=BB132_6 Depth=1
	v_mov_b32_e32 v4, 1
	s_xor_b64 s[0:1], s[8:9], -1
	s_mov_b64 s[48:49], 0
	v_mov_b32_e32 v5, 0
	v_mov_b32_e32 v6, 1
	s_and_saveexec_b64 s[4:5], s[0:1]
	s_cbranch_execz .LBB132_169
; %bb.160:                              ;   in Loop: Header=BB132_6 Depth=1
	v_cmp_ge_u64_e32 vcc, s[18:19], v[2:3]
                                        ; implicit-def: $sgpr0
                                        ; implicit-def: $sgpr8_sgpr9
	s_and_saveexec_b64 s[10:11], vcc
	s_xor_b64 s[10:11], exec, s[10:11]
	s_cbranch_execz .LBB132_166
; %bb.161:                              ;   in Loop: Header=BB132_6 Depth=1
	ds_read_b64 v[4:5], v15 offset:5120
	s_waitcnt lgkmcnt(0)
	v_cmp_ne_u64_e32 vcc, 0, v[4:5]
	s_cbranch_vccnz .LBB132_165
; %bb.162:                              ;   in Loop: Header=BB132_6 Depth=1
	s_mov_b64 s[8:9], exec
	v_readlane_b32 s0, v48, 8
	v_readlane_b32 s1, v48, 9
	s_and_b64 s[0:1], s[8:9], s[0:1]
	s_mov_b64 exec, s[0:1]
	s_cbranch_execz .LBB132_164
; %bb.163:                              ;   in Loop: Header=BB132_6 Depth=1
	v_pk_mov_b32 v[4:5], s[18:19], s[18:19] op_sel:[0,1]
	ds_write_b64 v15, v[4:5] offset:5128
.LBB132_164:                            ;   in Loop: Header=BB132_6 Depth=1
	s_or_b64 exec, exec, s[8:9]
	s_waitcnt lgkmcnt(0)
	s_barrier
.LBB132_165:                            ;   in Loop: Header=BB132_6 Depth=1
	v_and_b32_e32 v4, s92, v28
	v_lshl_or_b32 v28, 1, s93, v4
	v_or_b32_e32 v29, s78, v29
	s_mov_b64 s[8:9], 0
	s_mov_b32 s0, 8
.LBB132_166:                            ;   in Loop: Header=BB132_6 Depth=1
	s_or_saveexec_b64 s[10:11], s[10:11]
	v_mov_b32_e32 v6, s0
	s_xor_b64 exec, exec, s[10:11]
; %bb.167:                              ;   in Loop: Header=BB132_6 Depth=1
	v_mov_b32_e32 v4, s19
	v_subrev_co_u32_e32 v2, vcc, s18, v2
	v_subb_co_u32_e32 v3, vcc, v3, v4, vcc
	v_mov_b32_e32 v6, 0
	s_or_b64 s[8:9], s[8:9], exec
; %bb.168:                              ;   in Loop: Header=BB132_6 Depth=1
	s_or_b64 exec, exec, s[10:11]
	s_and_b64 s[48:49], s[8:9], exec
	v_pk_mov_b32 v[4:5], v[2:3], v[2:3] op_sel:[0,1]
.LBB132_169:                            ;   in Loop: Header=BB132_6 Depth=1
	s_or_b64 exec, exec, s[4:5]
	s_mov_b64 s[4:5], -1
                                        ; implicit-def: $sgpr8_sgpr9
                                        ; implicit-def: $sgpr10_sgpr11
                                        ; implicit-def: $sgpr52_sgpr53
	s_and_saveexec_b64 s[46:47], s[48:49]
	s_cbranch_execz .LBB132_270
; %bb.170:                              ;   in Loop: Header=BB132_6 Depth=1
	s_cmp_eq_u64 s[22:23], 1
	s_cselect_b64 s[0:1], -1, 0
	v_cmp_eq_u64_e32 vcc, 1, v[4:5]
	s_and_b64 s[54:55], s[0:1], vcc
	s_mov_b64 s[10:11], -1
                                        ; implicit-def: $sgpr8_sgpr9
                                        ; implicit-def: $sgpr50_sgpr51
                                        ; implicit-def: $sgpr48_sgpr49
	s_and_saveexec_b64 s[52:53], s[54:55]
	s_cbranch_execz .LBB132_204
; %bb.171:                              ;   in Loop: Header=BB132_6 Depth=1
	ds_read_b64 v[2:3], v15 offset:5120
	s_waitcnt lgkmcnt(0)
	s_barrier
	v_readfirstlane_b32 s4, v2
	v_readfirstlane_b32 s5, v3
	s_mov_b64 s[8:9], exec
	v_readlane_b32 s0, v48, 28
	v_readlane_b32 s1, v48, 29
	s_and_b64 s[0:1], s[8:9], s[0:1]
	s_mov_b64 exec, s[0:1]
	s_cbranch_execz .LBB132_173
; %bb.172:                              ;   in Loop: Header=BB132_6 Depth=1
	ds_write_b8 v0, v15 offset:3072
.LBB132_173:                            ;   in Loop: Header=BB132_6 Depth=1
	s_or_b64 exec, exec, s[8:9]
	v_and_b32_e32 v2, s92, v28
	v_lshl_or_b32 v28, 2, s93, v2
	v_or_b32_e32 v29, s78, v29
	s_cmp_eq_u64 s[4:5], 0
	s_waitcnt lgkmcnt(0)
	s_barrier
	s_cbranch_scc1 .LBB132_187
; %bb.174:                              ;   in Loop: Header=BB132_6 Depth=1
	v_readlane_b32 s0, v48, 32
	s_add_u32 s0, s0, s4
	v_readlane_b32 s1, v48, 34
	s_addc_u32 s9, s1, s5
	s_mov_b32 s8, s79
	s_cmp_lg_u64 s[8:9], 0
	s_cbranch_scc0 .LBB132_222
; %bb.175:                              ;   in Loop: Header=BB132_6 Depth=1
	v_cvt_f32_u32_e32 v2, s33
	s_sub_u32 s1, 0, s33
	s_subb_u32 s8, 0, 0
	v_mac_f32_e32 v2, 0, v36
	v_rcp_f32_e32 v2, v2
	v_mul_f32_e32 v2, 0x5f7ffffc, v2
	v_mul_f32_e32 v3, 0x2f800000, v2
	v_trunc_f32_e32 v3, v3
	v_mac_f32_e32 v2, 0xcf800000, v3
	v_cvt_u32_f32_e32 v3, v3
	v_cvt_u32_f32_e32 v2, v2
	v_readfirstlane_b32 s10, v3
	v_readfirstlane_b32 s11, v2
	s_mul_i32 s48, s1, s10
	s_mul_hi_u32 s50, s1, s11
	s_mul_i32 s49, s8, s11
	s_add_i32 s48, s50, s48
	s_mul_i32 s51, s1, s11
	s_add_i32 s48, s48, s49
	s_mul_hi_u32 s50, s11, s51
	s_mul_hi_u32 s49, s11, s48
	s_mul_i32 s11, s11, s48
	s_add_u32 s11, s50, s11
	s_addc_u32 s49, 0, s49
	s_mul_hi_u32 s70, s10, s51
	s_mul_i32 s51, s10, s51
	s_add_u32 s11, s11, s51
	s_mul_hi_u32 s50, s10, s48
	s_addc_u32 s11, s49, s70
	s_addc_u32 s49, s50, 0
	s_mul_i32 s48, s10, s48
	s_add_u32 s11, s11, s48
	s_addc_u32 s48, 0, s49
	v_add_co_u32_e32 v2, vcc, s11, v2
	s_cmp_lg_u64 vcc, 0
	s_addc_u32 s10, s10, s48
	v_readfirstlane_b32 s48, v2
	s_mul_i32 s11, s1, s10
	s_mul_hi_u32 s49, s1, s48
	s_add_i32 s11, s49, s11
	s_mul_i32 s8, s8, s48
	s_add_i32 s11, s11, s8
	s_mul_i32 s1, s1, s48
	s_mul_hi_u32 s49, s10, s1
	s_mul_i32 s50, s10, s1
	s_mul_i32 s70, s48, s11
	s_mul_hi_u32 s1, s48, s1
	s_mul_hi_u32 s51, s48, s11
	s_add_u32 s1, s1, s70
	s_addc_u32 s48, 0, s51
	s_add_u32 s1, s1, s50
	s_mul_hi_u32 s8, s10, s11
	s_addc_u32 s1, s48, s49
	s_addc_u32 s8, s8, 0
	s_mul_i32 s11, s10, s11
	s_add_u32 s1, s1, s11
	s_addc_u32 s8, 0, s8
	v_add_co_u32_e32 v2, vcc, s1, v2
	s_cmp_lg_u64 vcc, 0
	s_addc_u32 s1, s10, s8
	v_readfirstlane_b32 s11, v2
	s_mul_i32 s10, s0, s1
	s_mul_hi_u32 s48, s0, s11
	s_mul_hi_u32 s8, s0, s1
	s_add_u32 s10, s48, s10
	s_addc_u32 s8, 0, s8
	s_mul_hi_u32 s49, s9, s11
	s_mul_i32 s11, s9, s11
	s_add_u32 s10, s10, s11
	s_mul_hi_u32 s48, s9, s1
	s_addc_u32 s8, s8, s49
	s_addc_u32 s10, s48, 0
	s_mul_i32 s1, s9, s1
	s_add_u32 s1, s8, s1
	s_addc_u32 s8, 0, s10
	s_mul_hi_u32 s10, s33, s1
	s_mul_i32 s1, s33, s1
	s_mul_i32 s8, s33, s8
	v_mov_b32_e32 v2, s1
	s_add_i32 s10, s10, s8
	v_sub_co_u32_e32 v2, vcc, s0, v2
	s_cmp_lg_u64 vcc, 0
	s_subb_u32 s1, s9, s10
	v_subrev_co_u32_e32 v3, vcc, s33, v2
	s_cmp_lg_u64 vcc, 0
	s_subb_u32 s8, s1, 0
	v_subrev_co_u32_e32 v6, vcc, s33, v3
	s_cmp_lg_u64 vcc, 0
	s_subb_u32 s10, s8, 0
	v_cmp_le_u32_e32 vcc, s33, v3
	s_cmp_eq_u32 s8, 0
	v_cndmask_b32_e64 v7, 0, -1, vcc
	s_cselect_b64 vcc, -1, 0
	v_cndmask_b32_e32 v7, -1, v7, vcc
	v_mov_b32_e32 v8, s8
	v_mov_b32_e32 v9, s10
	v_cmp_ne_u32_e32 vcc, 0, v7
	v_cndmask_b32_e32 v7, v8, v9, vcc
	v_cndmask_b32_e32 v6, v3, v6, vcc
	v_cmp_le_u32_e32 vcc, s33, v2
	s_cmp_eq_u32 s1, 0
	v_cndmask_b32_e64 v3, 0, -1, vcc
	s_cselect_b64 vcc, -1, 0
	v_cndmask_b32_e32 v3, -1, v3, vcc
	v_mov_b32_e32 v8, s1
	v_cmp_ne_u32_e32 vcc, 0, v3
	v_cndmask_b32_e32 v3, v8, v7, vcc
	v_cndmask_b32_e32 v2, v2, v6, vcc
	s_cbranch_execnz .LBB132_177
.LBB132_176:                            ;   in Loop: Header=BB132_6 Depth=1
	v_cvt_f32_u32_e32 v2, s33
	s_sub_i32 s1, 0, s33
	v_rcp_iflag_f32_e32 v2, v2
	v_mul_f32_e32 v2, 0x4f7ffffe, v2
	v_cvt_u32_f32_e32 v2, v2
	v_mul_lo_u32 v3, s1, v2
	v_mul_hi_u32 v3, v2, v3
	v_add_u32_e32 v2, v2, v3
	v_mul_hi_u32 v2, s0, v2
	v_mul_lo_u32 v2, v2, s33
	v_sub_u32_e32 v2, s0, v2
	v_subrev_u32_e32 v3, s33, v2
	v_cmp_le_u32_e32 vcc, s33, v2
	v_cndmask_b32_e32 v2, v2, v3, vcc
	v_subrev_u32_e32 v3, s33, v2
	v_cmp_le_u32_e32 vcc, s33, v2
	v_cndmask_b32_e32 v14, v2, v3, vcc
	v_pk_mov_b32 v[2:3], v[14:15], v[14:15] op_sel:[0,1]
.LBB132_177:                            ;   in Loop: Header=BB132_6 Depth=1
	v_mov_b32_e32 v6, s9
	v_sub_co_u32_e32 v2, vcc, s0, v2
	v_subb_co_u32_e32 v3, vcc, v6, v3, vcc
	v_cmp_gt_u64_e32 vcc, v[2:3], v[0:1]
	s_mov_b64 s[10:11], 0
                                        ; implicit-def: $vgpr30
	s_and_saveexec_b64 s[8:9], vcc
	s_cbranch_execz .LBB132_189
; %bb.178:                              ;   in Loop: Header=BB132_6 Depth=1
	v_mov_b32_e32 v8, v0
	v_pk_mov_b32 v[6:7], v[0:1], v[0:1] op_sel:[0,1]
                                        ; implicit-def: $sgpr48_sgpr49
	s_branch .LBB132_180
.LBB132_179:                            ;   in Loop: Header=BB132_180 Depth=2
	s_or_b64 exec, exec, s[50:51]
	s_waitcnt lgkmcnt(0)
	s_barrier
	ds_read_u16 v9, v15 offset:3072
	v_mov_b32_e32 v14, s86
	v_add_co_u32_e32 v6, vcc, s33, v6
	v_addc_co_u32_e32 v7, vcc, v7, v14, vcc
	s_waitcnt lgkmcnt(0)
	v_cmp_ne_u16_sdwa s[0:1], v9, v15 src0_sel:BYTE_0 src1_sel:DWORD
	v_cmp_ge_u64_e32 vcc, v[6:7], v[2:3]
	s_or_b64 s[50:51], vcc, s[0:1]
	s_and_b64 s[50:51], exec, s[50:51]
	s_or_b64 s[10:11], s[50:51], s[10:11]
	s_andn2_b64 s[48:49], s[48:49], exec
	s_and_b64 s[0:1], s[0:1], exec
	v_add_u32_e32 v8, s33, v8
	s_or_b64 s[48:49], s[48:49], s[0:1]
	s_barrier
	s_andn2_b64 exec, exec, s[10:11]
	s_cbranch_execz .LBB132_188
.LBB132_180:                            ;   Parent Loop BB132_6 Depth=1
                                        ; =>  This Inner Loop Header: Depth=2
	v_cmp_gt_u64_e32 vcc, s[4:5], v[6:7]
	v_mov_b32_e32 v9, 0
	s_and_saveexec_b64 s[50:51], vcc
	s_cbranch_execz .LBB132_182
; %bb.181:                              ;   in Loop: Header=BB132_180 Depth=2
	ds_read_u8 v9, v8
.LBB132_182:                            ;   in Loop: Header=BB132_180 Depth=2
	s_or_b64 exec, exec, s[50:51]
	s_and_saveexec_b64 s[50:51], vcc
	s_cbranch_execz .LBB132_179
; %bb.183:                              ;   in Loop: Header=BB132_180 Depth=2
	s_waitcnt lgkmcnt(0)
	v_add_u32_sdwa v14, sext(v9), s84 dst_sel:DWORD dst_unused:UNUSED_PAD src0_sel:BYTE_0 src1_sel:DWORD
	v_and_b32_e32 v14, v14, v29
	v_cmp_eq_u32_e32 vcc, v14, v28
	s_and_b64 exec, exec, vcc
	s_cbranch_execz .LBB132_179
; %bb.184:                              ;   in Loop: Header=BB132_180 Depth=2
	v_lshlrev_b16_e32 v9, 8, v9
	v_or_b32_e32 v9, 1, v9
	ds_write_b16 v15, v9 offset:3072
	s_branch .LBB132_179
.LBB132_185:                            ;   in Loop: Header=BB132_6 Depth=1
                                        ; implicit-def: $vgpr4_vgpr5
	s_branch .LBB132_130
.LBB132_186:                            ;   in Loop: Header=BB132_6 Depth=1
                                        ; implicit-def: $vgpr4_vgpr5
	s_branch .LBB132_146
.LBB132_187:                            ;   in Loop: Header=BB132_6 Depth=1
	s_mov_b64 s[8:9], -1
	s_mov_b64 s[10:11], 0
                                        ; implicit-def: $sgpr48_sgpr49
                                        ; implicit-def: $vgpr30
	s_mov_b64 s[50:51], s[8:9]
	s_cbranch_execnz .LBB132_190
	s_branch .LBB132_203
.LBB132_188:                            ;   in Loop: Header=BB132_6 Depth=1
	s_or_b64 exec, exec, s[10:11]
	v_lshrrev_b16_e32 v30, 8, v9
	s_and_b64 s[10:11], s[48:49], exec
.LBB132_189:                            ;   in Loop: Header=BB132_6 Depth=1
	s_or_b64 exec, exec, s[8:9]
	s_mov_b64 s[48:49], -1
	s_mov_b64 s[8:9], 0
	s_mov_b64 s[50:51], s[8:9]
	s_branch .LBB132_203
.LBB132_190:                            ;   in Loop: Header=BB132_6 Depth=1
	v_readlane_b32 s48, v48, 35
	v_readlane_b32 s49, v48, 36
	s_mov_b32 s48, s79
	s_cmp_lg_u64 s[48:49], 0
	v_writelane_b32 v48, s48, 35
	v_writelane_b32 v48, s49, 36
	s_cbranch_scc0 .LBB132_223
; %bb.191:                              ;   in Loop: Header=BB132_6 Depth=1
	v_cvt_f32_u32_e32 v2, s33
	s_sub_u32 s0, 0, s33
	s_subb_u32 s1, 0, 0
	v_mac_f32_e32 v2, 0, v36
	v_rcp_f32_e32 v2, v2
	v_mul_f32_e32 v2, 0x5f7ffffc, v2
	v_mul_f32_e32 v3, 0x2f800000, v2
	v_trunc_f32_e32 v3, v3
	v_mac_f32_e32 v2, 0xcf800000, v3
	v_cvt_u32_f32_e32 v3, v3
	v_cvt_u32_f32_e32 v2, v2
	v_readfirstlane_b32 s4, v3
	v_readfirstlane_b32 s5, v2
	s_mul_i32 s8, s0, s4
	s_mul_hi_u32 s10, s0, s5
	s_mul_i32 s9, s1, s5
	s_add_i32 s8, s10, s8
	s_mul_i32 s11, s0, s5
	s_add_i32 s8, s8, s9
	s_mul_hi_u32 s10, s5, s11
	s_mul_hi_u32 s9, s5, s8
	s_mul_i32 s5, s5, s8
	s_add_u32 s5, s10, s5
	s_addc_u32 s9, 0, s9
	s_mul_hi_u32 s48, s4, s11
	s_mul_i32 s11, s4, s11
	s_add_u32 s5, s5, s11
	s_mul_hi_u32 s10, s4, s8
	s_addc_u32 s5, s9, s48
	s_addc_u32 s9, s10, 0
	s_mul_i32 s8, s4, s8
	s_add_u32 s5, s5, s8
	s_addc_u32 s8, 0, s9
	v_add_co_u32_e32 v2, vcc, s5, v2
	s_cmp_lg_u64 vcc, 0
	s_addc_u32 s4, s4, s8
	v_readfirstlane_b32 s8, v2
	s_mul_i32 s5, s0, s4
	s_mul_hi_u32 s9, s0, s8
	s_add_i32 s5, s9, s5
	s_mul_i32 s1, s1, s8
	s_add_i32 s5, s5, s1
	s_mul_i32 s0, s0, s8
	s_mul_hi_u32 s9, s4, s0
	s_mul_i32 s10, s4, s0
	s_mul_i32 s48, s8, s5
	s_mul_hi_u32 s0, s8, s0
	s_mul_hi_u32 s11, s8, s5
	s_add_u32 s0, s0, s48
	s_addc_u32 s8, 0, s11
	s_add_u32 s0, s0, s10
	s_mul_hi_u32 s1, s4, s5
	s_addc_u32 s0, s8, s9
	s_addc_u32 s1, s1, 0
	s_mul_i32 s5, s4, s5
	s_add_u32 s0, s0, s5
	s_addc_u32 s1, 0, s1
	v_add_co_u32_e32 v2, vcc, s0, v2
	s_cmp_lg_u64 vcc, 0
	s_addc_u32 s0, s4, s1
	v_readlane_b32 s10, v48, 33
	v_readfirstlane_b32 s5, v2
	s_mul_i32 s4, s10, s0
	s_mul_hi_u32 s8, s10, s5
	s_mul_hi_u32 s1, s10, s0
	s_add_u32 s4, s8, s4
	s_addc_u32 s1, 0, s1
	s_mul_hi_u32 s9, s49, s5
	s_mul_i32 s5, s49, s5
	s_add_u32 s4, s4, s5
	s_mul_hi_u32 s8, s49, s0
	s_addc_u32 s1, s1, s9
	s_addc_u32 s4, s8, 0
	s_mul_i32 s0, s49, s0
	s_add_u32 s0, s1, s0
	s_addc_u32 s1, 0, s4
	s_mul_hi_u32 s4, s33, s0
	s_mul_i32 s0, s33, s0
	s_mul_i32 s1, s33, s1
	v_mov_b32_e32 v2, s0
	s_add_i32 s4, s4, s1
	v_sub_co_u32_e32 v2, vcc, s10, v2
	s_cmp_lg_u64 vcc, 0
	s_subb_u32 s0, s49, s4
	v_subrev_co_u32_e32 v3, vcc, s33, v2
	s_cmp_lg_u64 vcc, 0
	s_subb_u32 s1, s0, 0
	v_subrev_co_u32_e32 v6, vcc, s33, v3
	s_cmp_lg_u64 vcc, 0
	s_subb_u32 s4, s1, 0
	v_cmp_le_u32_e32 vcc, s33, v3
	s_cmp_eq_u32 s1, 0
	v_cndmask_b32_e64 v7, 0, -1, vcc
	s_cselect_b64 vcc, -1, 0
	v_cndmask_b32_e32 v7, -1, v7, vcc
	v_mov_b32_e32 v8, s1
	v_mov_b32_e32 v9, s4
	v_cmp_ne_u32_e32 vcc, 0, v7
	v_cndmask_b32_e32 v7, v8, v9, vcc
	v_cndmask_b32_e32 v6, v3, v6, vcc
	v_cmp_le_u32_e32 vcc, s33, v2
	s_cmp_eq_u32 s0, 0
	v_cndmask_b32_e64 v3, 0, -1, vcc
	s_cselect_b64 vcc, -1, 0
	v_cndmask_b32_e32 v3, -1, v3, vcc
	v_mov_b32_e32 v8, s0
	v_cmp_ne_u32_e32 vcc, 0, v3
	v_cndmask_b32_e32 v3, v8, v7, vcc
	v_cndmask_b32_e32 v2, v2, v6, vcc
	s_cbranch_execnz .LBB132_193
.LBB132_192:                            ;   in Loop: Header=BB132_6 Depth=1
	v_cvt_f32_u32_e32 v2, s33
	s_sub_i32 s0, 0, s33
	v_rcp_iflag_f32_e32 v2, v2
	v_mul_f32_e32 v2, 0x4f7ffffe, v2
	v_cvt_u32_f32_e32 v2, v2
	v_mul_lo_u32 v3, s0, v2
	v_mul_hi_u32 v3, v2, v3
	v_add_u32_e32 v2, v2, v3
	v_readlane_b32 s0, v48, 33
	v_mul_hi_u32 v2, s0, v2
	v_mul_lo_u32 v2, v2, s33
	v_sub_u32_e32 v2, s0, v2
	v_subrev_u32_e32 v3, s33, v2
	v_cmp_le_u32_e32 vcc, s33, v2
	v_cndmask_b32_e32 v2, v2, v3, vcc
	v_subrev_u32_e32 v3, s33, v2
	v_cmp_le_u32_e32 vcc, s33, v2
	v_cndmask_b32_e32 v14, v2, v3, vcc
	v_pk_mov_b32 v[2:3], v[14:15], v[14:15] op_sel:[0,1]
.LBB132_193:                            ;   in Loop: Header=BB132_6 Depth=1
	v_readlane_b32 s0, v48, 35
	v_readlane_b32 s1, v48, 36
	;; [unrolled: 1-line block ×3, first 2 shown]
	v_mov_b32_e32 v6, s1
	v_sub_co_u32_e32 v2, vcc, s0, v2
	v_subb_co_u32_e32 v3, vcc, v6, v3, vcc
	v_cmp_gt_u64_e32 vcc, v[2:3], v[0:1]
	s_mov_b64 s[10:11], 0
                                        ; implicit-def: $vgpr30
	s_and_saveexec_b64 s[4:5], vcc
	s_cbranch_execz .LBB132_202
; %bb.194:                              ;   in Loop: Header=BB132_6 Depth=1
	s_mov_b64 s[8:9], 0
	v_pk_mov_b32 v[6:7], v[12:13], v[12:13] op_sel:[0,1]
	v_pk_mov_b32 v[8:9], v[0:1], v[0:1] op_sel:[0,1]
                                        ; implicit-def: $sgpr10_sgpr11
	s_branch .LBB132_196
.LBB132_195:                            ;   in Loop: Header=BB132_196 Depth=2
	s_or_b64 exec, exec, s[48:49]
	s_waitcnt lgkmcnt(0)
	s_barrier
	s_waitcnt vmcnt(0)
	ds_read_u16 v14, v15 offset:3072
	v_mov_b32_e32 v30, s86
	v_add_co_u32_e32 v8, vcc, s33, v8
	v_addc_co_u32_e32 v9, vcc, v9, v30, vcc
	s_waitcnt lgkmcnt(0)
	v_cmp_ne_u16_sdwa s[0:1], v14, v15 src0_sel:BYTE_0 src1_sel:DWORD
	v_cmp_ge_u64_e32 vcc, v[8:9], v[2:3]
	s_or_b64 s[48:49], vcc, s[0:1]
	s_and_b64 s[48:49], exec, s[48:49]
	s_mul_i32 s50, s62, s33
	s_or_b64 s[8:9], s[48:49], s[8:9]
	v_mov_b32_e32 v30, s87
	v_add_co_u32_e32 v6, vcc, s50, v6
	s_andn2_b64 s[10:11], s[10:11], exec
	s_and_b64 s[0:1], s[0:1], exec
	v_addc_co_u32_e32 v7, vcc, v7, v30, vcc
	s_or_b64 s[10:11], s[10:11], s[0:1]
	s_barrier
	s_andn2_b64 exec, exec, s[8:9]
	s_cbranch_execz .LBB132_201
.LBB132_196:                            ;   Parent Loop BB132_6 Depth=1
                                        ; =>  This Inner Loop Header: Depth=2
	v_cmp_gt_u64_e32 vcc, s[56:57], v[8:9]
	v_mov_b32_e32 v14, 0
	s_and_saveexec_b64 s[48:49], vcc
	s_cbranch_execz .LBB132_198
; %bb.197:                              ;   in Loop: Header=BB132_196 Depth=2
	global_load_ubyte v14, v[6:7], off
.LBB132_198:                            ;   in Loop: Header=BB132_196 Depth=2
	s_or_b64 exec, exec, s[48:49]
	s_and_saveexec_b64 s[48:49], vcc
	s_cbranch_execz .LBB132_195
; %bb.199:                              ;   in Loop: Header=BB132_196 Depth=2
	s_waitcnt vmcnt(0)
	v_add_u32_sdwa v30, sext(v14), s84 dst_sel:DWORD dst_unused:UNUSED_PAD src0_sel:BYTE_0 src1_sel:DWORD
	v_and_b32_e32 v30, v30, v29
	v_cmp_eq_u32_e32 vcc, v30, v28
	s_and_b64 exec, exec, vcc
	s_cbranch_execz .LBB132_195
; %bb.200:                              ;   in Loop: Header=BB132_196 Depth=2
	v_lshlrev_b16_e32 v14, 8, v14
	v_or_b32_e32 v14, 1, v14
	ds_write_b16 v15, v14 offset:3072
	s_branch .LBB132_195
.LBB132_201:                            ;   in Loop: Header=BB132_6 Depth=1
	s_or_b64 exec, exec, s[8:9]
	v_lshrrev_b16_e32 v30, 8, v14
	s_and_b64 s[10:11], s[10:11], exec
.LBB132_202:                            ;   in Loop: Header=BB132_6 Depth=1
	s_or_b64 exec, exec, s[4:5]
	s_mov_b64 s[50:51], -1
	s_mov_b64 s[8:9], 0
	s_mov_b64 s[48:49], 0
.LBB132_203:                            ;   in Loop: Header=BB132_6 Depth=1
	s_orn2_b64 s[10:11], s[10:11], exec
.LBB132_204:                            ;   in Loop: Header=BB132_6 Depth=1
	s_or_b64 exec, exec, s[52:53]
	s_mov_b64 s[4:5], 0
                                        ; implicit-def: $vgpr6
	s_and_saveexec_b64 s[52:53], s[10:11]
	s_cbranch_execz .LBB132_269
; %bb.205:                              ;   in Loop: Header=BB132_6 Depth=1
	v_mov_b32_e32 v2, 1
	s_xor_b64 s[0:1], s[54:55], -1
	s_mov_b64 s[80:81], 0
	v_mov_b32_e32 v3, 0
	v_mov_b32_e32 v6, 1
	s_and_saveexec_b64 s[4:5], s[0:1]
	s_cbranch_execz .LBB132_215
; %bb.206:                              ;   in Loop: Header=BB132_6 Depth=1
	v_cmp_ge_u64_e32 vcc, s[22:23], v[4:5]
                                        ; implicit-def: $sgpr0
                                        ; implicit-def: $sgpr10_sgpr11
	s_and_saveexec_b64 s[54:55], vcc
	s_xor_b64 s[54:55], exec, s[54:55]
	s_cbranch_execz .LBB132_212
; %bb.207:                              ;   in Loop: Header=BB132_6 Depth=1
	ds_read_b64 v[2:3], v15 offset:5120
	s_waitcnt lgkmcnt(0)
	v_cmp_ne_u64_e32 vcc, 0, v[2:3]
	s_cbranch_vccnz .LBB132_211
; %bb.208:                              ;   in Loop: Header=BB132_6 Depth=1
	s_mov_b64 s[10:11], exec
	v_readlane_b32 s0, v48, 8
	v_readlane_b32 s1, v48, 9
	s_and_b64 s[0:1], s[10:11], s[0:1]
	s_mov_b64 exec, s[0:1]
	s_cbranch_execz .LBB132_210
; %bb.209:                              ;   in Loop: Header=BB132_6 Depth=1
	v_pk_mov_b32 v[2:3], s[22:23], s[22:23] op_sel:[0,1]
	ds_write_b64 v15, v[2:3] offset:5128
.LBB132_210:                            ;   in Loop: Header=BB132_6 Depth=1
	s_or_b64 exec, exec, s[10:11]
	s_waitcnt lgkmcnt(0)
	s_barrier
.LBB132_211:                            ;   in Loop: Header=BB132_6 Depth=1
	v_and_b32_e32 v2, s92, v28
	v_lshl_or_b32 v28, 2, s93, v2
	v_or_b32_e32 v29, s78, v29
	s_mov_b64 s[10:11], 0
	s_mov_b32 s0, 8
.LBB132_212:                            ;   in Loop: Header=BB132_6 Depth=1
	s_or_saveexec_b64 s[54:55], s[54:55]
	v_mov_b32_e32 v6, s0
	s_xor_b64 exec, exec, s[54:55]
; %bb.213:                              ;   in Loop: Header=BB132_6 Depth=1
	v_mov_b32_e32 v2, s23
	v_subrev_co_u32_e32 v4, vcc, s22, v4
	v_subb_co_u32_e32 v5, vcc, v5, v2, vcc
	v_mov_b32_e32 v6, 0
	s_or_b64 s[10:11], s[10:11], exec
; %bb.214:                              ;   in Loop: Header=BB132_6 Depth=1
	s_or_b64 exec, exec, s[54:55]
	s_and_b64 s[80:81], s[10:11], exec
	v_pk_mov_b32 v[2:3], v[4:5], v[4:5] op_sel:[0,1]
.LBB132_215:                            ;   in Loop: Header=BB132_6 Depth=1
	s_or_b64 exec, exec, s[4:5]
	s_mov_b64 s[76:77], -1
                                        ; implicit-def: $sgpr4_sgpr5
                                        ; implicit-def: $sgpr74_sgpr75
                                        ; implicit-def: $sgpr10_sgpr11
	s_and_saveexec_b64 s[54:55], s[80:81]
	s_cbranch_execz .LBB132_268
; %bb.216:                              ;   in Loop: Header=BB132_6 Depth=1
	s_cmp_eq_u64 s[24:25], 1
	s_cselect_b64 s[0:1], -1, 0
	v_cmp_eq_u64_e32 vcc, 1, v[2:3]
	s_and_b64 s[70:71], s[0:1], vcc
	s_mov_b64 s[80:81], -1
                                        ; implicit-def: $sgpr4_sgpr5
                                        ; implicit-def: $sgpr74_sgpr75
                                        ; implicit-def: $sgpr10_sgpr11
	s_and_saveexec_b64 s[76:77], s[70:71]
	s_cbranch_execz .LBB132_255
; %bb.217:                              ;   in Loop: Header=BB132_6 Depth=1
	ds_read_b64 v[4:5], v15 offset:5120
	s_waitcnt lgkmcnt(0)
	s_barrier
	v_readfirstlane_b32 s4, v4
	v_readfirstlane_b32 s5, v5
	s_mov_b64 s[10:11], exec
	v_readlane_b32 s0, v48, 28
	v_readlane_b32 s1, v48, 29
	s_and_b64 s[0:1], s[10:11], s[0:1]
	s_mov_b64 exec, s[0:1]
	s_cbranch_execz .LBB132_219
; %bb.218:                              ;   in Loop: Header=BB132_6 Depth=1
	ds_write_b8 v0, v15 offset:3072
.LBB132_219:                            ;   in Loop: Header=BB132_6 Depth=1
	s_or_b64 exec, exec, s[10:11]
	v_or_b32_e32 v28, s78, v28
	v_or_b32_e32 v29, s78, v29
	s_cmp_eq_u64 s[4:5], 0
	v_writelane_b32 v48, s76, 51
	s_mov_b64 s[82:83], s[70:71]
	s_waitcnt lgkmcnt(0)
	s_barrier
	v_writelane_b32 v48, s77, 52
	s_cbranch_scc1 .LBB132_224
; %bb.220:                              ;   in Loop: Header=BB132_6 Depth=1
	v_readlane_b32 s0, v48, 32
	s_add_u32 s0, s0, s4
	v_readlane_b32 s1, v48, 34
	s_addc_u32 s11, s1, s5
	s_mov_b32 s10, s79
	s_cmp_lg_u64 s[10:11], 0
	s_cbranch_scc0 .LBB132_225
; %bb.221:                              ;   in Loop: Header=BB132_6 Depth=1
	v_cvt_f32_u32_e32 v4, s33
	s_sub_u32 s1, 0, s33
	s_subb_u32 s10, 0, 0
	v_mac_f32_e32 v4, 0, v36
	v_rcp_f32_e32 v4, v4
	v_mul_f32_e32 v4, 0x5f7ffffc, v4
	v_mul_f32_e32 v5, 0x2f800000, v4
	v_trunc_f32_e32 v5, v5
	v_mac_f32_e32 v4, 0xcf800000, v5
	v_cvt_u32_f32_e32 v5, v5
	v_cvt_u32_f32_e32 v4, v4
	v_readfirstlane_b32 s70, v5
	v_readfirstlane_b32 s71, v4
	s_mul_i32 s74, s1, s70
	s_mul_hi_u32 s76, s1, s71
	s_mul_i32 s75, s10, s71
	s_add_i32 s74, s76, s74
	s_mul_i32 s77, s1, s71
	s_add_i32 s74, s74, s75
	s_mul_hi_u32 s76, s71, s77
	s_mul_hi_u32 s75, s71, s74
	s_mul_i32 s71, s71, s74
	s_add_u32 s71, s76, s71
	s_addc_u32 s75, 0, s75
	s_mul_hi_u32 s80, s70, s77
	s_mul_i32 s77, s70, s77
	s_add_u32 s71, s71, s77
	s_mul_hi_u32 s76, s70, s74
	s_addc_u32 s71, s75, s80
	s_addc_u32 s75, s76, 0
	s_mul_i32 s74, s70, s74
	s_add_u32 s71, s71, s74
	s_addc_u32 s74, 0, s75
	v_add_co_u32_e32 v4, vcc, s71, v4
	s_cmp_lg_u64 vcc, 0
	s_addc_u32 s70, s70, s74
	v_readfirstlane_b32 s74, v4
	s_mul_i32 s71, s1, s70
	s_mul_hi_u32 s75, s1, s74
	s_add_i32 s71, s75, s71
	s_mul_i32 s10, s10, s74
	s_add_i32 s71, s71, s10
	s_mul_i32 s1, s1, s74
	s_mul_hi_u32 s75, s70, s1
	s_mul_i32 s76, s70, s1
	s_mul_i32 s80, s74, s71
	s_mul_hi_u32 s1, s74, s1
	s_mul_hi_u32 s77, s74, s71
	s_add_u32 s1, s1, s80
	s_addc_u32 s74, 0, s77
	s_add_u32 s1, s1, s76
	s_mul_hi_u32 s10, s70, s71
	s_addc_u32 s1, s74, s75
	s_addc_u32 s10, s10, 0
	s_mul_i32 s71, s70, s71
	s_add_u32 s1, s1, s71
	s_addc_u32 s10, 0, s10
	v_add_co_u32_e32 v4, vcc, s1, v4
	s_cmp_lg_u64 vcc, 0
	s_addc_u32 s1, s70, s10
	v_readfirstlane_b32 s71, v4
	s_mul_i32 s70, s0, s1
	s_mul_hi_u32 s74, s0, s71
	s_mul_hi_u32 s10, s0, s1
	s_add_u32 s70, s74, s70
	s_addc_u32 s10, 0, s10
	s_mul_hi_u32 s75, s11, s71
	s_mul_i32 s71, s11, s71
	s_add_u32 s70, s70, s71
	s_mul_hi_u32 s74, s11, s1
	s_addc_u32 s10, s10, s75
	s_addc_u32 s70, s74, 0
	s_mul_i32 s1, s11, s1
	s_add_u32 s1, s10, s1
	s_addc_u32 s10, 0, s70
	s_mul_hi_u32 s70, s33, s1
	s_mul_i32 s1, s33, s1
	s_mul_i32 s10, s33, s10
	v_mov_b32_e32 v4, s1
	s_add_i32 s70, s70, s10
	v_sub_co_u32_e32 v4, vcc, s0, v4
	s_cmp_lg_u64 vcc, 0
	s_subb_u32 s1, s11, s70
	v_subrev_co_u32_e32 v5, vcc, s33, v4
	s_cmp_lg_u64 vcc, 0
	s_subb_u32 s10, s1, 0
	v_subrev_co_u32_e32 v6, vcc, s33, v5
	s_cmp_lg_u64 vcc, 0
	s_subb_u32 s70, s10, 0
	v_cmp_le_u32_e32 vcc, s33, v5
	s_cmp_eq_u32 s10, 0
	v_cndmask_b32_e64 v7, 0, -1, vcc
	s_cselect_b64 vcc, -1, 0
	v_cndmask_b32_e32 v7, -1, v7, vcc
	v_mov_b32_e32 v8, s10
	v_mov_b32_e32 v9, s70
	v_cmp_ne_u32_e32 vcc, 0, v7
	v_cndmask_b32_e32 v7, v8, v9, vcc
	v_cndmask_b32_e32 v6, v5, v6, vcc
	v_cmp_le_u32_e32 vcc, s33, v4
	s_cmp_eq_u32 s1, 0
	v_cndmask_b32_e64 v5, 0, -1, vcc
	s_cselect_b64 vcc, -1, 0
	v_cndmask_b32_e32 v5, -1, v5, vcc
	v_mov_b32_e32 v8, s1
	v_cmp_ne_u32_e32 vcc, 0, v5
	v_cndmask_b32_e32 v5, v8, v7, vcc
	v_cndmask_b32_e32 v4, v4, v6, vcc
	s_mov_b64 s[74:75], 0
	s_branch .LBB132_226
.LBB132_222:                            ;   in Loop: Header=BB132_6 Depth=1
                                        ; implicit-def: $vgpr2_vgpr3
	s_andn2_b64 vcc, exec, s[10:11]
	s_cbranch_vccz .LBB132_176
	s_branch .LBB132_177
.LBB132_223:                            ;   in Loop: Header=BB132_6 Depth=1
                                        ; implicit-def: $vgpr2_vgpr3
	s_branch .LBB132_192
.LBB132_224:                            ;   in Loop: Header=BB132_6 Depth=1
	s_mov_b64 s[4:5], -1
	s_mov_b64 s[76:77], 0
                                        ; implicit-def: $sgpr10_sgpr11
                                        ; implicit-def: $vgpr30
	s_branch .LBB132_238
.LBB132_225:                            ;   in Loop: Header=BB132_6 Depth=1
	s_mov_b64 s[74:75], -1
                                        ; implicit-def: $vgpr4_vgpr5
.LBB132_226:                            ;   in Loop: Header=BB132_6 Depth=1
	s_andn2_b64 vcc, exec, s[74:75]
	s_cbranch_vccnz .LBB132_228
; %bb.227:                              ;   in Loop: Header=BB132_6 Depth=1
	v_cvt_f32_u32_e32 v4, s33
	s_sub_i32 s1, 0, s33
	v_rcp_iflag_f32_e32 v4, v4
	v_mul_f32_e32 v4, 0x4f7ffffe, v4
	v_cvt_u32_f32_e32 v4, v4
	v_mul_lo_u32 v5, s1, v4
	v_mul_hi_u32 v5, v4, v5
	v_add_u32_e32 v4, v4, v5
	v_mul_hi_u32 v4, s0, v4
	v_mul_lo_u32 v4, v4, s33
	v_sub_u32_e32 v4, s0, v4
	v_subrev_u32_e32 v5, s33, v4
	v_cmp_le_u32_e32 vcc, s33, v4
	v_cndmask_b32_e32 v4, v4, v5, vcc
	v_subrev_u32_e32 v5, s33, v4
	v_cmp_le_u32_e32 vcc, s33, v4
	v_cndmask_b32_e32 v14, v4, v5, vcc
	v_pk_mov_b32 v[4:5], v[14:15], v[14:15] op_sel:[0,1]
.LBB132_228:                            ;   in Loop: Header=BB132_6 Depth=1
	v_mov_b32_e32 v6, s11
	v_sub_co_u32_e32 v4, vcc, s0, v4
	v_subb_co_u32_e32 v5, vcc, v6, v5, vcc
	v_cmp_gt_u64_e32 vcc, v[4:5], v[0:1]
	s_mov_b64 s[76:77], 0
                                        ; implicit-def: $vgpr30
	s_and_saveexec_b64 s[10:11], vcc
	s_cbranch_execz .LBB132_237
; %bb.229:                              ;   in Loop: Header=BB132_6 Depth=1
	s_mov_b64 s[74:75], 0
	v_mov_b32_e32 v8, v0
	v_pk_mov_b32 v[6:7], v[0:1], v[0:1] op_sel:[0,1]
                                        ; implicit-def: $sgpr76_sgpr77
	s_branch .LBB132_231
.LBB132_230:                            ;   in Loop: Header=BB132_231 Depth=2
	s_or_b64 exec, exec, s[80:81]
	s_waitcnt lgkmcnt(0)
	s_barrier
	ds_read_u16 v9, v15 offset:3072
	v_mov_b32_e32 v14, s86
	v_add_co_u32_e32 v6, vcc, s33, v6
	v_addc_co_u32_e32 v7, vcc, v7, v14, vcc
	s_waitcnt lgkmcnt(0)
	v_cmp_ne_u16_sdwa s[0:1], v9, v15 src0_sel:BYTE_0 src1_sel:DWORD
	v_cmp_ge_u64_e32 vcc, v[6:7], v[4:5]
	s_or_b64 s[70:71], vcc, s[0:1]
	s_and_b64 s[70:71], exec, s[70:71]
	s_or_b64 s[74:75], s[70:71], s[74:75]
	s_andn2_b64 s[70:71], s[76:77], exec
	s_and_b64 s[0:1], s[0:1], exec
	v_add_u32_e32 v8, s33, v8
	s_or_b64 s[76:77], s[70:71], s[0:1]
	s_barrier
	s_andn2_b64 exec, exec, s[74:75]
	s_cbranch_execz .LBB132_236
.LBB132_231:                            ;   Parent Loop BB132_6 Depth=1
                                        ; =>  This Inner Loop Header: Depth=2
	v_cmp_gt_u64_e32 vcc, s[4:5], v[6:7]
	v_mov_b32_e32 v9, 0
	s_and_saveexec_b64 s[80:81], vcc
	s_cbranch_execz .LBB132_233
; %bb.232:                              ;   in Loop: Header=BB132_231 Depth=2
	ds_read_u8 v9, v8
.LBB132_233:                            ;   in Loop: Header=BB132_231 Depth=2
	s_or_b64 exec, exec, s[80:81]
	s_and_saveexec_b64 s[80:81], vcc
	s_cbranch_execz .LBB132_230
; %bb.234:                              ;   in Loop: Header=BB132_231 Depth=2
	s_waitcnt lgkmcnt(0)
	v_add_u32_sdwa v14, sext(v9), s84 dst_sel:DWORD dst_unused:UNUSED_PAD src0_sel:BYTE_0 src1_sel:DWORD
	v_and_b32_e32 v14, v14, v29
	v_cmp_eq_u32_e32 vcc, v14, v28
	s_and_b64 exec, exec, vcc
	s_cbranch_execz .LBB132_230
; %bb.235:                              ;   in Loop: Header=BB132_231 Depth=2
	v_lshlrev_b16_e32 v9, 8, v9
	v_or_b32_e32 v9, 1, v9
	ds_write_b16 v15, v9 offset:3072
	s_branch .LBB132_230
.LBB132_236:                            ;   in Loop: Header=BB132_6 Depth=1
	s_or_b64 exec, exec, s[74:75]
	v_lshrrev_b16_e32 v30, 8, v9
	s_and_b64 s[76:77], s[76:77], exec
.LBB132_237:                            ;   in Loop: Header=BB132_6 Depth=1
	s_or_b64 exec, exec, s[10:11]
	s_mov_b64 s[10:11], -1
	s_mov_b64 s[4:5], 0
.LBB132_238:                            ;   in Loop: Header=BB132_6 Depth=1
	s_and_b64 vcc, exec, s[4:5]
	s_mov_b64 s[74:75], s[4:5]
	s_cbranch_vccz .LBB132_254
; %bb.239:                              ;   in Loop: Header=BB132_6 Depth=1
	v_readlane_b32 s74, v48, 35
	v_readlane_b32 s75, v48, 36
	s_mov_b32 s74, s79
	s_cmp_lg_u64 s[74:75], 0
	v_writelane_b32 v48, s74, 35
	v_writelane_b32 v48, s75, 36
	s_cbranch_scc0 .LBB132_241
; %bb.240:                              ;   in Loop: Header=BB132_6 Depth=1
	v_cvt_f32_u32_e32 v4, s33
	s_sub_u32 s0, 0, s33
	s_subb_u32 s1, 0, 0
	v_mac_f32_e32 v4, 0, v36
	v_rcp_f32_e32 v4, v4
	v_mul_f32_e32 v4, 0x5f7ffffc, v4
	v_mul_f32_e32 v5, 0x2f800000, v4
	v_trunc_f32_e32 v5, v5
	v_mac_f32_e32 v4, 0xcf800000, v5
	v_cvt_u32_f32_e32 v5, v5
	v_cvt_u32_f32_e32 v4, v4
	v_readfirstlane_b32 s4, v5
	v_readfirstlane_b32 s5, v4
	s_mul_i32 s10, s0, s4
	s_mul_hi_u32 s70, s0, s5
	s_mul_i32 s11, s1, s5
	s_add_i32 s10, s70, s10
	s_mul_i32 s71, s0, s5
	s_add_i32 s10, s10, s11
	s_mul_hi_u32 s70, s5, s71
	s_mul_hi_u32 s11, s5, s10
	s_mul_i32 s5, s5, s10
	s_add_u32 s5, s70, s5
	s_addc_u32 s11, 0, s11
	s_mul_hi_u32 s74, s4, s71
	s_mul_i32 s71, s4, s71
	s_add_u32 s5, s5, s71
	s_mul_hi_u32 s70, s4, s10
	s_addc_u32 s5, s11, s74
	s_addc_u32 s11, s70, 0
	s_mul_i32 s10, s4, s10
	s_add_u32 s5, s5, s10
	s_addc_u32 s10, 0, s11
	v_add_co_u32_e32 v4, vcc, s5, v4
	s_cmp_lg_u64 vcc, 0
	s_addc_u32 s4, s4, s10
	v_readfirstlane_b32 s10, v4
	s_mul_i32 s5, s0, s4
	s_mul_hi_u32 s11, s0, s10
	s_add_i32 s5, s11, s5
	s_mul_i32 s1, s1, s10
	s_add_i32 s5, s5, s1
	s_mul_i32 s0, s0, s10
	s_mul_hi_u32 s11, s4, s0
	s_mul_i32 s70, s4, s0
	s_mul_i32 s74, s10, s5
	s_mul_hi_u32 s0, s10, s0
	s_mul_hi_u32 s71, s10, s5
	s_add_u32 s0, s0, s74
	s_addc_u32 s10, 0, s71
	s_add_u32 s0, s0, s70
	s_mul_hi_u32 s1, s4, s5
	s_addc_u32 s0, s10, s11
	s_addc_u32 s1, s1, 0
	s_mul_i32 s5, s4, s5
	s_add_u32 s0, s0, s5
	s_addc_u32 s1, 0, s1
	v_add_co_u32_e32 v4, vcc, s0, v4
	s_cmp_lg_u64 vcc, 0
	s_addc_u32 s0, s4, s1
	v_readlane_b32 s70, v48, 33
	v_readfirstlane_b32 s5, v4
	s_mul_i32 s4, s70, s0
	s_mul_hi_u32 s10, s70, s5
	s_mul_hi_u32 s1, s70, s0
	s_add_u32 s4, s10, s4
	s_addc_u32 s1, 0, s1
	s_mul_hi_u32 s11, s75, s5
	s_mul_i32 s5, s75, s5
	s_add_u32 s4, s4, s5
	s_mul_hi_u32 s10, s75, s0
	s_addc_u32 s1, s1, s11
	s_addc_u32 s4, s10, 0
	s_mul_i32 s0, s75, s0
	s_add_u32 s0, s1, s0
	s_addc_u32 s1, 0, s4
	s_mul_hi_u32 s4, s33, s0
	s_mul_i32 s0, s33, s0
	s_mul_i32 s1, s33, s1
	v_mov_b32_e32 v4, s0
	s_add_i32 s4, s4, s1
	v_sub_co_u32_e32 v4, vcc, s70, v4
	s_cmp_lg_u64 vcc, 0
	s_subb_u32 s0, s75, s4
	v_subrev_co_u32_e32 v5, vcc, s33, v4
	s_cmp_lg_u64 vcc, 0
	s_subb_u32 s1, s0, 0
	v_subrev_co_u32_e32 v6, vcc, s33, v5
	s_cmp_lg_u64 vcc, 0
	s_subb_u32 s4, s1, 0
	v_cmp_le_u32_e32 vcc, s33, v5
	s_cmp_eq_u32 s1, 0
	v_cndmask_b32_e64 v7, 0, -1, vcc
	s_cselect_b64 vcc, -1, 0
	v_cndmask_b32_e32 v7, -1, v7, vcc
	v_mov_b32_e32 v8, s1
	v_mov_b32_e32 v9, s4
	v_cmp_ne_u32_e32 vcc, 0, v7
	v_cndmask_b32_e32 v7, v8, v9, vcc
	v_cndmask_b32_e32 v6, v5, v6, vcc
	v_cmp_le_u32_e32 vcc, s33, v4
	s_cmp_eq_u32 s0, 0
	v_cndmask_b32_e64 v5, 0, -1, vcc
	s_cselect_b64 vcc, -1, 0
	v_cndmask_b32_e32 v5, -1, v5, vcc
	v_mov_b32_e32 v8, s0
	v_cmp_ne_u32_e32 vcc, 0, v5
	v_cndmask_b32_e32 v5, v8, v7, vcc
	v_cndmask_b32_e32 v4, v4, v6, vcc
	s_mov_b64 s[4:5], 0
	s_branch .LBB132_242
.LBB132_241:                            ;   in Loop: Header=BB132_6 Depth=1
	s_mov_b64 s[4:5], -1
                                        ; implicit-def: $vgpr4_vgpr5
.LBB132_242:                            ;   in Loop: Header=BB132_6 Depth=1
	s_andn2_b64 vcc, exec, s[4:5]
	s_cbranch_vccnz .LBB132_244
; %bb.243:                              ;   in Loop: Header=BB132_6 Depth=1
	v_cvt_f32_u32_e32 v4, s33
	s_sub_i32 s0, 0, s33
	v_rcp_iflag_f32_e32 v4, v4
	v_mul_f32_e32 v4, 0x4f7ffffe, v4
	v_cvt_u32_f32_e32 v4, v4
	v_mul_lo_u32 v5, s0, v4
	v_mul_hi_u32 v5, v4, v5
	v_add_u32_e32 v4, v4, v5
	v_readlane_b32 s0, v48, 33
	v_mul_hi_u32 v4, s0, v4
	v_mul_lo_u32 v4, v4, s33
	v_sub_u32_e32 v4, s0, v4
	v_subrev_u32_e32 v5, s33, v4
	v_cmp_le_u32_e32 vcc, s33, v4
	v_cndmask_b32_e32 v4, v4, v5, vcc
	v_subrev_u32_e32 v5, s33, v4
	v_cmp_le_u32_e32 vcc, s33, v4
	v_cndmask_b32_e32 v14, v4, v5, vcc
	v_pk_mov_b32 v[4:5], v[14:15], v[14:15] op_sel:[0,1]
.LBB132_244:                            ;   in Loop: Header=BB132_6 Depth=1
	v_readlane_b32 s0, v48, 35
	v_readlane_b32 s1, v48, 36
	;; [unrolled: 1-line block ×3, first 2 shown]
	v_mov_b32_e32 v6, s1
	v_sub_co_u32_e32 v4, vcc, s0, v4
	v_subb_co_u32_e32 v5, vcc, v6, v5, vcc
	v_cmp_gt_u64_e32 vcc, v[4:5], v[0:1]
	s_mov_b64 s[76:77], 0
                                        ; implicit-def: $vgpr30
	s_and_saveexec_b64 s[4:5], vcc
	s_cbranch_execz .LBB132_253
; %bb.245:                              ;   in Loop: Header=BB132_6 Depth=1
	s_mov_b64 s[10:11], 0
	v_pk_mov_b32 v[6:7], v[12:13], v[12:13] op_sel:[0,1]
	v_pk_mov_b32 v[8:9], v[0:1], v[0:1] op_sel:[0,1]
                                        ; implicit-def: $sgpr74_sgpr75
	s_branch .LBB132_247
.LBB132_246:                            ;   in Loop: Header=BB132_247 Depth=2
	s_or_b64 exec, exec, s[76:77]
	s_waitcnt lgkmcnt(0)
	s_barrier
	s_waitcnt vmcnt(0)
	ds_read_u16 v14, v15 offset:3072
	v_mov_b32_e32 v30, s86
	v_add_co_u32_e32 v8, vcc, s33, v8
	v_addc_co_u32_e32 v9, vcc, v9, v30, vcc
	s_waitcnt lgkmcnt(0)
	v_cmp_ne_u16_sdwa s[0:1], v14, v15 src0_sel:BYTE_0 src1_sel:DWORD
	v_cmp_ge_u64_e32 vcc, v[8:9], v[4:5]
	s_or_b64 s[70:71], vcc, s[0:1]
	s_and_b64 s[70:71], exec, s[70:71]
	s_mul_i32 s76, s62, s33
	s_or_b64 s[10:11], s[70:71], s[10:11]
	v_mov_b32_e32 v30, s87
	v_add_co_u32_e32 v6, vcc, s76, v6
	s_andn2_b64 s[70:71], s[74:75], exec
	s_and_b64 s[0:1], s[0:1], exec
	v_addc_co_u32_e32 v7, vcc, v7, v30, vcc
	s_or_b64 s[74:75], s[70:71], s[0:1]
	s_barrier
	s_andn2_b64 exec, exec, s[10:11]
	s_cbranch_execz .LBB132_252
.LBB132_247:                            ;   Parent Loop BB132_6 Depth=1
                                        ; =>  This Inner Loop Header: Depth=2
	v_cmp_gt_u64_e32 vcc, s[56:57], v[8:9]
	v_mov_b32_e32 v14, 0
	s_and_saveexec_b64 s[76:77], vcc
	s_cbranch_execz .LBB132_249
; %bb.248:                              ;   in Loop: Header=BB132_247 Depth=2
	global_load_ubyte v14, v[6:7], off
.LBB132_249:                            ;   in Loop: Header=BB132_247 Depth=2
	s_or_b64 exec, exec, s[76:77]
	s_and_saveexec_b64 s[76:77], vcc
	s_cbranch_execz .LBB132_246
; %bb.250:                              ;   in Loop: Header=BB132_247 Depth=2
	s_waitcnt vmcnt(0)
	v_add_u32_sdwa v30, sext(v14), s84 dst_sel:DWORD dst_unused:UNUSED_PAD src0_sel:BYTE_0 src1_sel:DWORD
	v_and_b32_e32 v30, v30, v29
	v_cmp_eq_u32_e32 vcc, v30, v28
	s_and_b64 exec, exec, vcc
	s_cbranch_execz .LBB132_246
; %bb.251:                              ;   in Loop: Header=BB132_247 Depth=2
	v_lshlrev_b16_e32 v14, 8, v14
	v_or_b32_e32 v14, 1, v14
	ds_write_b16 v15, v14 offset:3072
	s_branch .LBB132_246
.LBB132_252:                            ;   in Loop: Header=BB132_6 Depth=1
	s_or_b64 exec, exec, s[10:11]
	v_lshrrev_b16_e32 v30, 8, v14
	s_and_b64 s[76:77], s[74:75], exec
.LBB132_253:                            ;   in Loop: Header=BB132_6 Depth=1
	s_or_b64 exec, exec, s[4:5]
	s_mov_b64 s[74:75], -1
	s_mov_b64 s[4:5], 0
	s_mov_b64 s[10:11], 0
.LBB132_254:                            ;   in Loop: Header=BB132_6 Depth=1
	s_orn2_b64 s[80:81], s[76:77], exec
	v_readlane_b32 s76, v48, 51
	s_mov_b64 s[70:71], s[82:83]
	v_readlane_b32 s77, v48, 52
.LBB132_255:                            ;   in Loop: Header=BB132_6 Depth=1
	s_or_b64 exec, exec, s[76:77]
	s_mov_b64 s[82:83], 0
                                        ; implicit-def: $vgpr6
                                        ; implicit-def: $vgpr4_vgpr5
	s_and_saveexec_b64 s[76:77], s[80:81]
	s_cbranch_execz .LBB132_267
; %bb.256:                              ;   in Loop: Header=BB132_6 Depth=1
	v_mov_b32_e32 v4, 1
	s_xor_b64 s[0:1], s[70:71], -1
	v_mov_b32_e32 v6, 1
	v_mov_b32_e32 v5, 0
	s_and_saveexec_b64 s[80:81], s[0:1]
	s_cbranch_execz .LBB132_266
; %bb.257:                              ;   in Loop: Header=BB132_6 Depth=1
	v_cmp_ge_u64_e32 vcc, s[24:25], v[2:3]
                                        ; implicit-def: $sgpr0
	s_and_saveexec_b64 s[70:71], vcc
	s_xor_b64 s[82:83], exec, s[70:71]
	s_cbranch_execz .LBB132_263
; %bb.258:                              ;   in Loop: Header=BB132_6 Depth=1
	ds_read_b64 v[4:5], v15 offset:5120
	s_waitcnt lgkmcnt(0)
	v_cmp_ne_u64_e32 vcc, 0, v[4:5]
	s_cbranch_vccnz .LBB132_262
; %bb.259:                              ;   in Loop: Header=BB132_6 Depth=1
	s_mov_b64 vcc, exec
	v_readlane_b32 s0, v48, 8
	v_readlane_b32 s1, v48, 9
	s_and_b64 s[0:1], vcc, s[0:1]
	s_mov_b64 exec, s[0:1]
	s_cbranch_execz .LBB132_261
; %bb.260:                              ;   in Loop: Header=BB132_6 Depth=1
	v_pk_mov_b32 v[4:5], s[24:25], s[24:25] op_sel:[0,1]
	ds_write_b64 v15, v[4:5] offset:5128
.LBB132_261:                            ;   in Loop: Header=BB132_6 Depth=1
	s_or_b64 exec, exec, vcc
	s_waitcnt lgkmcnt(0)
	s_barrier
.LBB132_262:                            ;   in Loop: Header=BB132_6 Depth=1
	v_or_b32_e32 v28, s78, v28
	v_or_b32_e32 v29, s78, v29
	s_mov_b32 s0, 8
.LBB132_263:                            ;   in Loop: Header=BB132_6 Depth=1
	s_or_saveexec_b64 s[82:83], s[82:83]
	v_mov_b32_e32 v6, s0
	s_xor_b64 exec, exec, s[82:83]
; %bb.264:                              ;   in Loop: Header=BB132_6 Depth=1
	v_mov_b32_e32 v4, s25
	v_subrev_co_u32_e32 v2, vcc, s24, v2
	v_subb_co_u32_e32 v3, vcc, v3, v4, vcc
	v_mov_b32_e32 v6, 8
; %bb.265:                              ;   in Loop: Header=BB132_6 Depth=1
	s_or_b64 exec, exec, s[82:83]
	v_pk_mov_b32 v[4:5], v[2:3], v[2:3] op_sel:[0,1]
.LBB132_266:                            ;   in Loop: Header=BB132_6 Depth=1
	s_or_b64 exec, exec, s[80:81]
	s_mov_b64 s[82:83], exec
.LBB132_267:                            ;   in Loop: Header=BB132_6 Depth=1
	s_or_b64 exec, exec, s[76:77]
	s_orn2_b64 s[76:77], s[82:83], exec
	v_pk_mov_b32 v[2:3], v[4:5], v[4:5] op_sel:[0,1]
.LBB132_268:                            ;   in Loop: Header=BB132_6 Depth=1
	s_or_b64 exec, exec, s[54:55]
	s_andn2_b64 s[0:1], s[8:9], exec
	s_and_b64 s[4:5], s[4:5], exec
	s_or_b64 s[8:9], s[0:1], s[4:5]
	s_andn2_b64 s[0:1], s[50:51], exec
	s_and_b64 s[4:5], s[74:75], exec
	s_or_b64 s[50:51], s[0:1], s[4:5]
	;; [unrolled: 3-line block ×3, first 2 shown]
	s_and_b64 s[4:5], s[76:77], exec
	v_pk_mov_b32 v[4:5], v[2:3], v[2:3] op_sel:[0,1]
.LBB132_269:                            ;   in Loop: Header=BB132_6 Depth=1
	s_or_b64 exec, exec, s[52:53]
	s_and_b64 s[52:53], s[8:9], exec
	s_and_b64 s[10:11], s[50:51], exec
	;; [unrolled: 1-line block ×3, first 2 shown]
	s_orn2_b64 s[4:5], s[4:5], exec
.LBB132_270:                            ;   in Loop: Header=BB132_6 Depth=1
	s_or_b64 exec, exec, s[46:47]
	s_andn2_b64 s[0:1], s[26:27], exec
	s_and_b64 s[26:27], s[52:53], exec
	s_or_b64 s[26:27], s[0:1], s[26:27]
	s_andn2_b64 s[0:1], s[42:43], exec
	s_and_b64 s[10:11], s[10:11], exec
	s_or_b64 s[42:43], s[0:1], s[10:11]
	;; [unrolled: 3-line block ×3, first 2 shown]
	s_and_b64 s[46:47], s[4:5], exec
	v_pk_mov_b32 v[2:3], v[4:5], v[4:5] op_sel:[0,1]
.LBB132_271:                            ;   in Loop: Header=BB132_6 Depth=1
	s_or_b64 exec, exec, s[44:45]
	s_and_b64 s[10:11], s[26:27], exec
	s_and_b64 s[8:9], s[42:43], exec
	;; [unrolled: 1-line block ×3, first 2 shown]
	s_orn2_b64 s[28:29], s[46:47], exec
.LBB132_272:                            ;   in Loop: Header=BB132_6 Depth=1
	s_or_b64 exec, exec, s[6:7]
	s_mov_b64 s[6:7], 0
	s_mov_b64 s[26:27], 0
	s_and_saveexec_b64 s[0:1], s[28:29]
	s_xor_b64 s[28:29], exec, s[0:1]
; %bb.273:                              ;   in Loop: Header=BB132_6 Depth=1
	v_cmp_eq_u32_e32 vcc, 8, v6
	v_cmp_ne_u32_e64 s[6:7], 8, v6
	s_andn2_b64 s[10:11], s[10:11], exec
	s_andn2_b64 s[8:9], s[8:9], exec
	s_andn2_b64 s[4:5], s[4:5], exec
	s_and_b64 s[26:27], s[6:7], exec
	s_and_b64 s[6:7], vcc, exec
; %bb.274:                              ;   in Loop: Header=BB132_6 Depth=1
	s_or_b64 exec, exec, s[28:29]
	s_andn2_b64 s[0:1], s[20:21], exec
	s_and_b64 s[10:11], s[10:11], exec
	s_or_b64 s[20:21], s[0:1], s[10:11]
	s_andn2_b64 s[0:1], s[36:37], exec
	s_and_b64 s[8:9], s[8:9], exec
	s_or_b64 s[36:37], s[0:1], s[8:9]
	;; [unrolled: 3-line block ×3, first 2 shown]
	s_and_b64 s[26:27], s[26:27], exec
	s_and_b64 s[28:29], s[6:7], exec
.LBB132_275:                            ;   in Loop: Header=BB132_6 Depth=1
	s_or_b64 exec, exec, s[40:41]
	s_and_b64 vcc, exec, s[38:39]
	s_cbranch_vccz .LBB132_91
.LBB132_276:                            ;   in Loop: Header=BB132_6 Depth=1
	s_cmp_eq_u64 s[24:25], 1
	s_cselect_b64 s[0:1], -1, 0
	s_and_b64 s[6:7], s[0:1], s[14:15]
	s_mov_b64 s[4:5], -1
                                        ; implicit-def: $sgpr14_sgpr15
                                        ; implicit-def: $sgpr38_sgpr39
                                        ; implicit-def: $sgpr20_sgpr21
	s_and_saveexec_b64 s[8:9], s[6:7]
	s_cbranch_execz .LBB132_308
; %bb.277:                              ;   in Loop: Header=BB132_6 Depth=1
	ds_read_b64 v[2:3], v15 offset:5120
	s_waitcnt lgkmcnt(0)
	s_barrier
	v_readfirstlane_b32 s4, v2
	v_readfirstlane_b32 s5, v3
	s_mov_b64 s[10:11], exec
	v_readlane_b32 s0, v48, 28
	v_readlane_b32 s1, v48, 29
	s_and_b64 s[0:1], s[10:11], s[0:1]
	s_mov_b64 exec, s[0:1]
	s_cbranch_execz .LBB132_279
; %bb.278:                              ;   in Loop: Header=BB132_6 Depth=1
	ds_write_b8 v0, v15 offset:3072
.LBB132_279:                            ;   in Loop: Header=BB132_6 Depth=1
	s_or_b64 exec, exec, s[10:11]
	v_or_b32_e32 v38, s78, v38
	v_or_b32_e32 v37, s78, v37
	s_cmp_eq_u64 s[4:5], 0
	s_waitcnt lgkmcnt(0)
	s_barrier
	s_cbranch_scc1 .LBB132_291
; %bb.280:                              ;   in Loop: Header=BB132_6 Depth=1
	v_readlane_b32 s0, v48, 32
	s_add_u32 s0, s0, s4
	v_readlane_b32 s1, v48, 34
	s_addc_u32 s11, s1, s5
	s_mov_b32 s10, s79
	s_cmp_lg_u64 s[10:11], 0
	s_cbranch_scc0 .LBB132_335
; %bb.281:                              ;   in Loop: Header=BB132_6 Depth=1
	v_cvt_f32_u32_e32 v2, s33
	s_sub_u32 s1, 0, s33
	s_subb_u32 s10, 0, 0
	v_mac_f32_e32 v2, 0, v36
	v_rcp_f32_e32 v2, v2
	v_mul_f32_e32 v2, 0x5f7ffffc, v2
	v_mul_f32_e32 v3, 0x2f800000, v2
	v_trunc_f32_e32 v3, v3
	v_mac_f32_e32 v2, 0xcf800000, v3
	v_cvt_u32_f32_e32 v3, v3
	v_cvt_u32_f32_e32 v2, v2
	v_readfirstlane_b32 s14, v3
	v_readfirstlane_b32 s15, v2
	s_mul_i32 s20, s1, s14
	s_mul_hi_u32 s34, s1, s15
	s_mul_i32 s21, s10, s15
	s_add_i32 s20, s34, s20
	s_mul_i32 s35, s1, s15
	s_add_i32 s20, s20, s21
	s_mul_hi_u32 s34, s15, s35
	s_mul_hi_u32 s21, s15, s20
	s_mul_i32 s15, s15, s20
	s_add_u32 s15, s34, s15
	s_addc_u32 s21, 0, s21
	s_mul_hi_u32 s36, s14, s35
	s_mul_i32 s35, s14, s35
	s_add_u32 s15, s15, s35
	s_mul_hi_u32 s34, s14, s20
	s_addc_u32 s15, s21, s36
	s_addc_u32 s21, s34, 0
	s_mul_i32 s20, s14, s20
	s_add_u32 s15, s15, s20
	s_addc_u32 s20, 0, s21
	v_add_co_u32_e32 v2, vcc, s15, v2
	s_cmp_lg_u64 vcc, 0
	s_addc_u32 s14, s14, s20
	v_readfirstlane_b32 s20, v2
	s_mul_i32 s15, s1, s14
	s_mul_hi_u32 s21, s1, s20
	s_add_i32 s15, s21, s15
	s_mul_i32 s10, s10, s20
	s_add_i32 s15, s15, s10
	s_mul_i32 s1, s1, s20
	s_mul_hi_u32 s21, s14, s1
	s_mul_i32 s34, s14, s1
	s_mul_i32 s36, s20, s15
	s_mul_hi_u32 s1, s20, s1
	s_mul_hi_u32 s35, s20, s15
	s_add_u32 s1, s1, s36
	s_addc_u32 s20, 0, s35
	s_add_u32 s1, s1, s34
	s_mul_hi_u32 s10, s14, s15
	s_addc_u32 s1, s20, s21
	s_addc_u32 s10, s10, 0
	s_mul_i32 s15, s14, s15
	s_add_u32 s1, s1, s15
	s_addc_u32 s10, 0, s10
	v_add_co_u32_e32 v2, vcc, s1, v2
	s_cmp_lg_u64 vcc, 0
	s_addc_u32 s1, s14, s10
	v_readfirstlane_b32 s15, v2
	s_mul_i32 s14, s0, s1
	s_mul_hi_u32 s20, s0, s15
	s_mul_hi_u32 s10, s0, s1
	s_add_u32 s14, s20, s14
	s_addc_u32 s10, 0, s10
	s_mul_hi_u32 s21, s11, s15
	s_mul_i32 s15, s11, s15
	s_add_u32 s14, s14, s15
	s_mul_hi_u32 s20, s11, s1
	s_addc_u32 s10, s10, s21
	s_addc_u32 s14, s20, 0
	s_mul_i32 s1, s11, s1
	s_add_u32 s1, s10, s1
	s_addc_u32 s10, 0, s14
	s_mul_hi_u32 s14, s33, s1
	s_mul_i32 s1, s33, s1
	s_mul_i32 s10, s33, s10
	v_mov_b32_e32 v2, s1
	s_add_i32 s14, s14, s10
	v_sub_co_u32_e32 v2, vcc, s0, v2
	s_cmp_lg_u64 vcc, 0
	s_subb_u32 s1, s11, s14
	v_subrev_co_u32_e32 v3, vcc, s33, v2
	s_cmp_lg_u64 vcc, 0
	s_subb_u32 s10, s1, 0
	v_subrev_co_u32_e32 v4, vcc, s33, v3
	s_cmp_lg_u64 vcc, 0
	s_subb_u32 s14, s10, 0
	v_cmp_le_u32_e32 vcc, s33, v3
	s_cmp_eq_u32 s10, 0
	v_cndmask_b32_e64 v5, 0, -1, vcc
	s_cselect_b64 vcc, -1, 0
	v_cndmask_b32_e32 v5, -1, v5, vcc
	v_mov_b32_e32 v6, s10
	v_mov_b32_e32 v7, s14
	v_cmp_ne_u32_e32 vcc, 0, v5
	v_cndmask_b32_e32 v5, v6, v7, vcc
	v_cndmask_b32_e32 v4, v3, v4, vcc
	v_cmp_le_u32_e32 vcc, s33, v2
	s_cmp_eq_u32 s1, 0
	v_cndmask_b32_e64 v3, 0, -1, vcc
	s_cselect_b64 vcc, -1, 0
	v_cndmask_b32_e32 v3, -1, v3, vcc
	v_mov_b32_e32 v6, s1
	v_cmp_ne_u32_e32 vcc, 0, v3
	v_cndmask_b32_e32 v3, v6, v5, vcc
	v_cndmask_b32_e32 v2, v2, v4, vcc
	s_cbranch_execnz .LBB132_283
.LBB132_282:                            ;   in Loop: Header=BB132_6 Depth=1
	v_cvt_f32_u32_e32 v2, s33
	s_sub_i32 s1, 0, s33
	v_rcp_iflag_f32_e32 v2, v2
	v_mul_f32_e32 v2, 0x4f7ffffe, v2
	v_cvt_u32_f32_e32 v2, v2
	v_mul_lo_u32 v3, s1, v2
	v_mul_hi_u32 v3, v2, v3
	v_add_u32_e32 v2, v2, v3
	v_mul_hi_u32 v2, s0, v2
	v_mul_lo_u32 v2, v2, s33
	v_sub_u32_e32 v2, s0, v2
	v_subrev_u32_e32 v3, s33, v2
	v_cmp_le_u32_e32 vcc, s33, v2
	v_cndmask_b32_e32 v2, v2, v3, vcc
	v_subrev_u32_e32 v3, s33, v2
	v_cmp_le_u32_e32 vcc, s33, v2
	v_cndmask_b32_e32 v14, v2, v3, vcc
	v_pk_mov_b32 v[2:3], v[14:15], v[14:15] op_sel:[0,1]
.LBB132_283:                            ;   in Loop: Header=BB132_6 Depth=1
	v_mov_b32_e32 v4, s11
	v_sub_co_u32_e32 v2, vcc, s0, v2
	v_subb_co_u32_e32 v3, vcc, v4, v3, vcc
	v_cmp_gt_u64_e32 vcc, v[2:3], v[0:1]
	s_mov_b64 s[10:11], 0
                                        ; implicit-def: $vgpr39
	s_and_saveexec_b64 s[14:15], vcc
	s_cbranch_execz .LBB132_293
; %bb.284:                              ;   in Loop: Header=BB132_6 Depth=1
	v_mov_b32_e32 v6, v0
	v_pk_mov_b32 v[4:5], v[0:1], v[0:1] op_sel:[0,1]
                                        ; implicit-def: $sgpr20_sgpr21
	s_branch .LBB132_286
.LBB132_285:                            ;   in Loop: Header=BB132_286 Depth=2
	s_or_b64 exec, exec, s[34:35]
	s_waitcnt lgkmcnt(0)
	s_barrier
	ds_read_u16 v7, v15 offset:3072
	v_mov_b32_e32 v8, s86
	v_add_co_u32_e32 v4, vcc, s33, v4
	v_addc_co_u32_e32 v5, vcc, v5, v8, vcc
	s_waitcnt lgkmcnt(0)
	v_cmp_ne_u16_sdwa s[0:1], v7, v15 src0_sel:BYTE_0 src1_sel:DWORD
	v_cmp_ge_u64_e32 vcc, v[4:5], v[2:3]
	s_or_b64 s[34:35], vcc, s[0:1]
	s_and_b64 s[34:35], exec, s[34:35]
	s_or_b64 s[10:11], s[34:35], s[10:11]
	s_andn2_b64 s[20:21], s[20:21], exec
	s_and_b64 s[0:1], s[0:1], exec
	v_add_u32_e32 v6, s33, v6
	s_or_b64 s[20:21], s[20:21], s[0:1]
	s_barrier
	s_andn2_b64 exec, exec, s[10:11]
	s_cbranch_execz .LBB132_292
.LBB132_286:                            ;   Parent Loop BB132_6 Depth=1
                                        ; =>  This Inner Loop Header: Depth=2
	v_cmp_gt_u64_e32 vcc, s[4:5], v[4:5]
	v_mov_b32_e32 v7, 0
	s_and_saveexec_b64 s[34:35], vcc
	s_cbranch_execz .LBB132_288
; %bb.287:                              ;   in Loop: Header=BB132_286 Depth=2
	ds_read_u8 v7, v6
.LBB132_288:                            ;   in Loop: Header=BB132_286 Depth=2
	s_or_b64 exec, exec, s[34:35]
	s_and_saveexec_b64 s[34:35], vcc
	s_cbranch_execz .LBB132_285
; %bb.289:                              ;   in Loop: Header=BB132_286 Depth=2
	s_waitcnt lgkmcnt(0)
	v_add_u32_sdwa v8, sext(v7), s84 dst_sel:DWORD dst_unused:UNUSED_PAD src0_sel:BYTE_0 src1_sel:DWORD
	v_and_b32_e32 v8, v8, v37
	v_cmp_eq_u32_e32 vcc, v8, v38
	s_and_b64 exec, exec, vcc
	s_cbranch_execz .LBB132_285
; %bb.290:                              ;   in Loop: Header=BB132_286 Depth=2
	v_lshlrev_b16_e32 v7, 8, v7
	v_or_b32_e32 v7, 1, v7
	ds_write_b16 v15, v7 offset:3072
	s_branch .LBB132_285
.LBB132_291:                            ;   in Loop: Header=BB132_6 Depth=1
	s_mov_b64 s[14:15], -1
	s_mov_b64 s[10:11], 0
                                        ; implicit-def: $sgpr38_sgpr39
                                        ; implicit-def: $vgpr39
	s_mov_b64 s[20:21], s[14:15]
	s_cbranch_execnz .LBB132_294
	s_branch .LBB132_307
.LBB132_292:                            ;   in Loop: Header=BB132_6 Depth=1
	s_or_b64 exec, exec, s[10:11]
	v_lshrrev_b16_e32 v39, 8, v7
	s_and_b64 s[10:11], s[20:21], exec
.LBB132_293:                            ;   in Loop: Header=BB132_6 Depth=1
	s_or_b64 exec, exec, s[14:15]
	s_mov_b64 s[14:15], 0
	s_mov_b64 s[38:39], -1
	s_mov_b64 s[20:21], s[14:15]
	s_branch .LBB132_307
.LBB132_294:                            ;   in Loop: Header=BB132_6 Depth=1
	v_readlane_b32 s20, v48, 35
	v_readlane_b32 s21, v48, 36
	s_mov_b32 s20, s79
	s_cmp_lg_u64 s[20:21], 0
	v_writelane_b32 v48, s20, 35
	v_writelane_b32 v48, s21, 36
	s_cbranch_scc0 .LBB132_336
; %bb.295:                              ;   in Loop: Header=BB132_6 Depth=1
	v_cvt_f32_u32_e32 v2, s33
	s_sub_u32 s0, 0, s33
	s_subb_u32 s1, 0, 0
	v_mac_f32_e32 v2, 0, v36
	v_rcp_f32_e32 v2, v2
	v_mul_f32_e32 v2, 0x5f7ffffc, v2
	v_mul_f32_e32 v3, 0x2f800000, v2
	v_trunc_f32_e32 v3, v3
	v_mac_f32_e32 v2, 0xcf800000, v3
	v_cvt_u32_f32_e32 v3, v3
	v_cvt_u32_f32_e32 v2, v2
	v_readfirstlane_b32 s4, v3
	v_readfirstlane_b32 s5, v2
	s_mul_i32 s10, s0, s4
	s_mul_hi_u32 s14, s0, s5
	s_mul_i32 s11, s1, s5
	s_add_i32 s10, s14, s10
	s_mul_i32 s15, s0, s5
	s_add_i32 s10, s10, s11
	s_mul_hi_u32 s14, s5, s15
	s_mul_hi_u32 s11, s5, s10
	s_mul_i32 s5, s5, s10
	s_add_u32 s5, s14, s5
	s_addc_u32 s11, 0, s11
	s_mul_hi_u32 s20, s4, s15
	s_mul_i32 s15, s4, s15
	s_add_u32 s5, s5, s15
	s_mul_hi_u32 s14, s4, s10
	s_addc_u32 s5, s11, s20
	s_addc_u32 s11, s14, 0
	s_mul_i32 s10, s4, s10
	s_add_u32 s5, s5, s10
	s_addc_u32 s10, 0, s11
	v_add_co_u32_e32 v2, vcc, s5, v2
	s_cmp_lg_u64 vcc, 0
	s_addc_u32 s4, s4, s10
	v_readfirstlane_b32 s10, v2
	s_mul_i32 s5, s0, s4
	s_mul_hi_u32 s11, s0, s10
	s_add_i32 s5, s11, s5
	s_mul_i32 s1, s1, s10
	s_add_i32 s5, s5, s1
	s_mul_i32 s0, s0, s10
	s_mul_hi_u32 s11, s4, s0
	s_mul_i32 s14, s4, s0
	s_mul_i32 s20, s10, s5
	s_mul_hi_u32 s0, s10, s0
	s_mul_hi_u32 s15, s10, s5
	s_add_u32 s0, s0, s20
	s_addc_u32 s10, 0, s15
	s_add_u32 s0, s0, s14
	s_mul_hi_u32 s1, s4, s5
	s_addc_u32 s0, s10, s11
	s_addc_u32 s1, s1, 0
	s_mul_i32 s5, s4, s5
	s_add_u32 s0, s0, s5
	s_addc_u32 s1, 0, s1
	v_add_co_u32_e32 v2, vcc, s0, v2
	s_cmp_lg_u64 vcc, 0
	s_addc_u32 s0, s4, s1
	v_readlane_b32 s14, v48, 33
	v_readfirstlane_b32 s5, v2
	s_mul_i32 s4, s14, s0
	s_mul_hi_u32 s10, s14, s5
	s_mul_hi_u32 s1, s14, s0
	s_add_u32 s4, s10, s4
	s_addc_u32 s1, 0, s1
	s_mul_hi_u32 s11, s21, s5
	s_mul_i32 s5, s21, s5
	s_add_u32 s4, s4, s5
	s_mul_hi_u32 s10, s21, s0
	s_addc_u32 s1, s1, s11
	s_addc_u32 s4, s10, 0
	s_mul_i32 s0, s21, s0
	s_add_u32 s0, s1, s0
	s_addc_u32 s1, 0, s4
	s_mul_hi_u32 s4, s33, s0
	s_mul_i32 s0, s33, s0
	s_mul_i32 s1, s33, s1
	v_mov_b32_e32 v2, s0
	s_add_i32 s4, s4, s1
	v_sub_co_u32_e32 v2, vcc, s14, v2
	s_cmp_lg_u64 vcc, 0
	s_subb_u32 s0, s21, s4
	v_subrev_co_u32_e32 v3, vcc, s33, v2
	s_cmp_lg_u64 vcc, 0
	s_subb_u32 s1, s0, 0
	v_subrev_co_u32_e32 v4, vcc, s33, v3
	s_cmp_lg_u64 vcc, 0
	s_subb_u32 s4, s1, 0
	v_cmp_le_u32_e32 vcc, s33, v3
	s_cmp_eq_u32 s1, 0
	v_cndmask_b32_e64 v5, 0, -1, vcc
	s_cselect_b64 vcc, -1, 0
	v_cndmask_b32_e32 v5, -1, v5, vcc
	v_mov_b32_e32 v6, s1
	v_mov_b32_e32 v7, s4
	v_cmp_ne_u32_e32 vcc, 0, v5
	v_cndmask_b32_e32 v5, v6, v7, vcc
	v_cndmask_b32_e32 v4, v3, v4, vcc
	v_cmp_le_u32_e32 vcc, s33, v2
	s_cmp_eq_u32 s0, 0
	v_cndmask_b32_e64 v3, 0, -1, vcc
	s_cselect_b64 vcc, -1, 0
	v_cndmask_b32_e32 v3, -1, v3, vcc
	v_mov_b32_e32 v6, s0
	v_cmp_ne_u32_e32 vcc, 0, v3
	v_cndmask_b32_e32 v3, v6, v5, vcc
	v_cndmask_b32_e32 v2, v2, v4, vcc
	s_cbranch_execnz .LBB132_297
.LBB132_296:                            ;   in Loop: Header=BB132_6 Depth=1
	v_cvt_f32_u32_e32 v2, s33
	s_sub_i32 s0, 0, s33
	v_rcp_iflag_f32_e32 v2, v2
	v_mul_f32_e32 v2, 0x4f7ffffe, v2
	v_cvt_u32_f32_e32 v2, v2
	v_mul_lo_u32 v3, s0, v2
	v_mul_hi_u32 v3, v2, v3
	v_add_u32_e32 v2, v2, v3
	v_readlane_b32 s0, v48, 33
	v_mul_hi_u32 v2, s0, v2
	v_mul_lo_u32 v2, v2, s33
	v_sub_u32_e32 v2, s0, v2
	v_subrev_u32_e32 v3, s33, v2
	v_cmp_le_u32_e32 vcc, s33, v2
	v_cndmask_b32_e32 v2, v2, v3, vcc
	v_subrev_u32_e32 v3, s33, v2
	v_cmp_le_u32_e32 vcc, s33, v2
	v_cndmask_b32_e32 v14, v2, v3, vcc
	v_pk_mov_b32 v[2:3], v[14:15], v[14:15] op_sel:[0,1]
.LBB132_297:                            ;   in Loop: Header=BB132_6 Depth=1
	v_readlane_b32 s0, v48, 35
	v_readlane_b32 s1, v48, 36
	;; [unrolled: 1-line block ×3, first 2 shown]
	v_mov_b32_e32 v4, s1
	v_sub_co_u32_e32 v2, vcc, s0, v2
	v_subb_co_u32_e32 v3, vcc, v4, v3, vcc
	v_cmp_gt_u64_e32 vcc, v[2:3], v[0:1]
	s_mov_b64 s[10:11], 0
                                        ; implicit-def: $vgpr39
	s_and_saveexec_b64 s[4:5], vcc
	s_cbranch_execz .LBB132_306
; %bb.298:                              ;   in Loop: Header=BB132_6 Depth=1
	v_pk_mov_b32 v[4:5], v[12:13], v[12:13] op_sel:[0,1]
	v_pk_mov_b32 v[6:7], v[0:1], v[0:1] op_sel:[0,1]
                                        ; implicit-def: $sgpr14_sgpr15
	s_branch .LBB132_300
.LBB132_299:                            ;   in Loop: Header=BB132_300 Depth=2
	s_or_b64 exec, exec, s[20:21]
	s_waitcnt lgkmcnt(0)
	s_barrier
	s_waitcnt vmcnt(0)
	ds_read_u16 v8, v15 offset:3072
	v_mov_b32_e32 v9, s86
	v_add_co_u32_e32 v6, vcc, s33, v6
	v_addc_co_u32_e32 v7, vcc, v7, v9, vcc
	s_waitcnt lgkmcnt(0)
	v_cmp_ne_u16_sdwa s[0:1], v8, v15 src0_sel:BYTE_0 src1_sel:DWORD
	v_cmp_ge_u64_e32 vcc, v[6:7], v[2:3]
	s_or_b64 s[20:21], vcc, s[0:1]
	s_and_b64 s[20:21], exec, s[20:21]
	s_mul_i32 s34, s62, s33
	s_or_b64 s[10:11], s[20:21], s[10:11]
	v_mov_b32_e32 v9, s87
	v_add_co_u32_e32 v4, vcc, s34, v4
	s_andn2_b64 s[14:15], s[14:15], exec
	s_and_b64 s[0:1], s[0:1], exec
	v_addc_co_u32_e32 v5, vcc, v5, v9, vcc
	s_or_b64 s[14:15], s[14:15], s[0:1]
	s_barrier
	s_andn2_b64 exec, exec, s[10:11]
	s_cbranch_execz .LBB132_305
.LBB132_300:                            ;   Parent Loop BB132_6 Depth=1
                                        ; =>  This Inner Loop Header: Depth=2
	v_cmp_gt_u64_e32 vcc, s[56:57], v[6:7]
	v_mov_b32_e32 v8, 0
	s_and_saveexec_b64 s[20:21], vcc
	s_cbranch_execz .LBB132_302
; %bb.301:                              ;   in Loop: Header=BB132_300 Depth=2
	global_load_ubyte v8, v[4:5], off
.LBB132_302:                            ;   in Loop: Header=BB132_300 Depth=2
	s_or_b64 exec, exec, s[20:21]
	s_and_saveexec_b64 s[20:21], vcc
	s_cbranch_execz .LBB132_299
; %bb.303:                              ;   in Loop: Header=BB132_300 Depth=2
	s_waitcnt vmcnt(0)
	v_add_u32_sdwa v9, sext(v8), s84 dst_sel:DWORD dst_unused:UNUSED_PAD src0_sel:BYTE_0 src1_sel:DWORD
	v_and_b32_e32 v9, v9, v37
	v_cmp_eq_u32_e32 vcc, v9, v38
	s_and_b64 exec, exec, vcc
	s_cbranch_execz .LBB132_299
; %bb.304:                              ;   in Loop: Header=BB132_300 Depth=2
	v_lshlrev_b16_e32 v8, 8, v8
	v_or_b32_e32 v8, 1, v8
	ds_write_b16 v15, v8 offset:3072
	s_branch .LBB132_299
.LBB132_305:                            ;   in Loop: Header=BB132_6 Depth=1
	s_or_b64 exec, exec, s[10:11]
	v_lshrrev_b16_e32 v39, 8, v8
	s_and_b64 s[10:11], s[14:15], exec
.LBB132_306:                            ;   in Loop: Header=BB132_6 Depth=1
	s_or_b64 exec, exec, s[4:5]
	s_mov_b64 s[38:39], 0
	s_mov_b64 s[14:15], -1
	s_mov_b64 s[20:21], 0
.LBB132_307:                            ;   in Loop: Header=BB132_6 Depth=1
	s_orn2_b64 s[4:5], s[10:11], exec
.LBB132_308:                            ;   in Loop: Header=BB132_6 Depth=1
	s_or_b64 exec, exec, s[8:9]
                                        ; implicit-def: $vgpr6
                                        ; implicit-def: $vgpr2_vgpr3
                                        ; implicit-def: $vgpr28
                                        ; implicit-def: $vgpr29
                                        ; implicit-def: $vgpr30
	s_and_saveexec_b64 s[34:35], s[4:5]
	s_cbranch_execz .LBB132_471
; %bb.309:                              ;   in Loop: Header=BB132_6 Depth=1
	v_mov_b32_e32 v2, 1
	s_xor_b64 s[0:1], s[6:7], -1
	s_mov_b64 s[6:7], 0
	v_mov_b32_e32 v3, 0
	v_mov_b32_e32 v6, 1
	s_and_saveexec_b64 s[4:5], s[0:1]
	s_cbranch_execz .LBB132_319
; %bb.310:                              ;   in Loop: Header=BB132_6 Depth=1
	v_cmp_ge_u64_e32 vcc, s[24:25], v[26:27]
                                        ; implicit-def: $sgpr0
                                        ; implicit-def: $sgpr6_sgpr7
	s_and_saveexec_b64 s[8:9], vcc
	s_xor_b64 s[8:9], exec, s[8:9]
	s_cbranch_execz .LBB132_316
; %bb.311:                              ;   in Loop: Header=BB132_6 Depth=1
	ds_read_b64 v[2:3], v15 offset:5120
	s_waitcnt lgkmcnt(0)
	v_cmp_ne_u64_e32 vcc, 0, v[2:3]
	s_cbranch_vccnz .LBB132_315
; %bb.312:                              ;   in Loop: Header=BB132_6 Depth=1
	s_mov_b64 s[6:7], exec
	v_readlane_b32 s0, v48, 8
	v_readlane_b32 s1, v48, 9
	s_and_b64 s[0:1], s[6:7], s[0:1]
	s_mov_b64 exec, s[0:1]
	s_cbranch_execz .LBB132_314
; %bb.313:                              ;   in Loop: Header=BB132_6 Depth=1
	v_pk_mov_b32 v[2:3], s[24:25], s[24:25] op_sel:[0,1]
	ds_write_b64 v15, v[2:3] offset:5128
.LBB132_314:                            ;   in Loop: Header=BB132_6 Depth=1
	s_or_b64 exec, exec, s[6:7]
	s_waitcnt lgkmcnt(0)
	s_barrier
.LBB132_315:                            ;   in Loop: Header=BB132_6 Depth=1
	v_or_b32_e32 v38, s78, v38
	v_or_b32_e32 v37, s78, v37
	s_mov_b64 s[6:7], 0
	s_mov_b32 s0, 5
.LBB132_316:                            ;   in Loop: Header=BB132_6 Depth=1
	s_or_saveexec_b64 s[8:9], s[8:9]
	v_mov_b32_e32 v6, s0
	s_xor_b64 exec, exec, s[8:9]
; %bb.317:                              ;   in Loop: Header=BB132_6 Depth=1
	v_mov_b32_e32 v2, s25
	v_subrev_co_u32_e32 v26, vcc, s24, v26
	v_subb_co_u32_e32 v27, vcc, v27, v2, vcc
	v_mov_b32_e32 v6, 0
	s_or_b64 s[6:7], s[6:7], exec
; %bb.318:                              ;   in Loop: Header=BB132_6 Depth=1
	s_or_b64 exec, exec, s[8:9]
	s_and_b64 s[6:7], s[6:7], exec
	v_pk_mov_b32 v[2:3], v[26:27], v[26:27] op_sel:[0,1]
.LBB132_319:                            ;   in Loop: Header=BB132_6 Depth=1
	s_or_b64 exec, exec, s[4:5]
	s_mov_b64 s[24:25], -1
                                        ; implicit-def: $sgpr4_sgpr5
                                        ; implicit-def: $sgpr8_sgpr9
                                        ; implicit-def: $sgpr10_sgpr11
	s_and_saveexec_b64 s[0:1], s[6:7]
	s_xor_b64 s[6:7], exec, s[0:1]
	s_cbranch_execz .LBB132_468
; %bb.320:                              ;   in Loop: Header=BB132_6 Depth=1
	s_cmp_eq_u64 s[22:23], 1
	s_cselect_b64 s[0:1], -1, 0
	v_cmp_eq_u64_e32 vcc, 1, v[2:3]
	s_and_b64 s[8:9], s[0:1], vcc
	s_mov_b64 s[4:5], -1
                                        ; implicit-def: $sgpr24_sgpr25
                                        ; implicit-def: $sgpr36_sgpr37
                                        ; implicit-def: $sgpr40_sgpr41
	s_and_saveexec_b64 s[42:43], s[8:9]
	s_cbranch_execz .LBB132_354
; %bb.321:                              ;   in Loop: Header=BB132_6 Depth=1
	ds_read_b64 v[4:5], v15 offset:5120
	s_waitcnt lgkmcnt(0)
	s_barrier
	v_readfirstlane_b32 s4, v4
	v_readfirstlane_b32 s5, v5
	s_mov_b64 s[10:11], exec
	v_readlane_b32 s0, v48, 28
	v_readlane_b32 s1, v48, 29
	s_and_b64 s[0:1], s[10:11], s[0:1]
	s_mov_b64 exec, s[0:1]
	s_cbranch_execz .LBB132_323
; %bb.322:                              ;   in Loop: Header=BB132_6 Depth=1
	ds_write_b8 v0, v15 offset:3072
.LBB132_323:                            ;   in Loop: Header=BB132_6 Depth=1
	s_or_b64 exec, exec, s[10:11]
	v_and_b32_e32 v4, s92, v38
	v_lshl_or_b32 v38, 2, s93, v4
	v_or_b32_e32 v37, s78, v37
	s_cmp_eq_u64 s[4:5], 0
	s_waitcnt lgkmcnt(0)
	s_barrier
	s_cbranch_scc1 .LBB132_337
; %bb.324:                              ;   in Loop: Header=BB132_6 Depth=1
	v_readlane_b32 s0, v48, 32
	s_add_u32 s0, s0, s4
	v_readlane_b32 s1, v48, 34
	s_addc_u32 s11, s1, s5
	s_mov_b32 s10, s79
	s_cmp_lg_u64 s[10:11], 0
	s_cbranch_scc0 .LBB132_381
; %bb.325:                              ;   in Loop: Header=BB132_6 Depth=1
	v_cvt_f32_u32_e32 v4, s33
	s_sub_u32 s1, 0, s33
	s_subb_u32 s10, 0, 0
	v_mac_f32_e32 v4, 0, v36
	v_rcp_f32_e32 v4, v4
	v_mul_f32_e32 v4, 0x5f7ffffc, v4
	v_mul_f32_e32 v5, 0x2f800000, v4
	v_trunc_f32_e32 v5, v5
	v_mac_f32_e32 v4, 0xcf800000, v5
	v_cvt_u32_f32_e32 v5, v5
	v_cvt_u32_f32_e32 v4, v4
	v_readfirstlane_b32 s24, v5
	v_readfirstlane_b32 s25, v4
	s_mul_i32 s36, s1, s24
	s_mul_hi_u32 s40, s1, s25
	s_mul_i32 s37, s10, s25
	s_add_i32 s36, s40, s36
	s_mul_i32 s41, s1, s25
	s_add_i32 s36, s36, s37
	s_mul_hi_u32 s40, s25, s41
	s_mul_hi_u32 s37, s25, s36
	s_mul_i32 s25, s25, s36
	s_add_u32 s25, s40, s25
	s_addc_u32 s37, 0, s37
	s_mul_hi_u32 s44, s24, s41
	s_mul_i32 s41, s24, s41
	s_add_u32 s25, s25, s41
	s_mul_hi_u32 s40, s24, s36
	s_addc_u32 s25, s37, s44
	s_addc_u32 s37, s40, 0
	s_mul_i32 s36, s24, s36
	s_add_u32 s25, s25, s36
	s_addc_u32 s36, 0, s37
	v_add_co_u32_e32 v4, vcc, s25, v4
	s_cmp_lg_u64 vcc, 0
	s_addc_u32 s24, s24, s36
	v_readfirstlane_b32 s36, v4
	s_mul_i32 s25, s1, s24
	s_mul_hi_u32 s37, s1, s36
	s_add_i32 s25, s37, s25
	s_mul_i32 s10, s10, s36
	s_add_i32 s25, s25, s10
	s_mul_i32 s1, s1, s36
	s_mul_hi_u32 s37, s24, s1
	s_mul_i32 s40, s24, s1
	s_mul_i32 s44, s36, s25
	s_mul_hi_u32 s1, s36, s1
	s_mul_hi_u32 s41, s36, s25
	s_add_u32 s1, s1, s44
	s_addc_u32 s36, 0, s41
	s_add_u32 s1, s1, s40
	s_mul_hi_u32 s10, s24, s25
	s_addc_u32 s1, s36, s37
	s_addc_u32 s10, s10, 0
	s_mul_i32 s25, s24, s25
	s_add_u32 s1, s1, s25
	s_addc_u32 s10, 0, s10
	v_add_co_u32_e32 v4, vcc, s1, v4
	s_cmp_lg_u64 vcc, 0
	s_addc_u32 s1, s24, s10
	v_readfirstlane_b32 s25, v4
	s_mul_i32 s24, s0, s1
	s_mul_hi_u32 s36, s0, s25
	s_mul_hi_u32 s10, s0, s1
	s_add_u32 s24, s36, s24
	s_addc_u32 s10, 0, s10
	s_mul_hi_u32 s37, s11, s25
	s_mul_i32 s25, s11, s25
	s_add_u32 s24, s24, s25
	s_mul_hi_u32 s36, s11, s1
	s_addc_u32 s10, s10, s37
	s_addc_u32 s24, s36, 0
	s_mul_i32 s1, s11, s1
	s_add_u32 s1, s10, s1
	s_addc_u32 s10, 0, s24
	s_mul_hi_u32 s24, s33, s1
	s_mul_i32 s1, s33, s1
	s_mul_i32 s10, s33, s10
	v_mov_b32_e32 v4, s1
	s_add_i32 s24, s24, s10
	v_sub_co_u32_e32 v4, vcc, s0, v4
	s_cmp_lg_u64 vcc, 0
	s_subb_u32 s1, s11, s24
	v_subrev_co_u32_e32 v5, vcc, s33, v4
	s_cmp_lg_u64 vcc, 0
	s_subb_u32 s10, s1, 0
	v_subrev_co_u32_e32 v6, vcc, s33, v5
	s_cmp_lg_u64 vcc, 0
	s_subb_u32 s24, s10, 0
	v_cmp_le_u32_e32 vcc, s33, v5
	s_cmp_eq_u32 s10, 0
	v_cndmask_b32_e64 v7, 0, -1, vcc
	s_cselect_b64 vcc, -1, 0
	v_cndmask_b32_e32 v7, -1, v7, vcc
	v_mov_b32_e32 v8, s10
	v_mov_b32_e32 v9, s24
	v_cmp_ne_u32_e32 vcc, 0, v7
	v_cndmask_b32_e32 v7, v8, v9, vcc
	v_cndmask_b32_e32 v6, v5, v6, vcc
	v_cmp_le_u32_e32 vcc, s33, v4
	s_cmp_eq_u32 s1, 0
	v_cndmask_b32_e64 v5, 0, -1, vcc
	s_cselect_b64 vcc, -1, 0
	v_cndmask_b32_e32 v5, -1, v5, vcc
	v_mov_b32_e32 v8, s1
	v_cmp_ne_u32_e32 vcc, 0, v5
	v_cndmask_b32_e32 v5, v8, v7, vcc
	v_cndmask_b32_e32 v4, v4, v6, vcc
	s_cbranch_execnz .LBB132_327
.LBB132_326:                            ;   in Loop: Header=BB132_6 Depth=1
	v_cvt_f32_u32_e32 v4, s33
	s_sub_i32 s1, 0, s33
	v_rcp_iflag_f32_e32 v4, v4
	v_mul_f32_e32 v4, 0x4f7ffffe, v4
	v_cvt_u32_f32_e32 v4, v4
	v_mul_lo_u32 v5, s1, v4
	v_mul_hi_u32 v5, v4, v5
	v_add_u32_e32 v4, v4, v5
	v_mul_hi_u32 v4, s0, v4
	v_mul_lo_u32 v4, v4, s33
	v_sub_u32_e32 v4, s0, v4
	v_subrev_u32_e32 v5, s33, v4
	v_cmp_le_u32_e32 vcc, s33, v4
	v_cndmask_b32_e32 v4, v4, v5, vcc
	v_subrev_u32_e32 v5, s33, v4
	v_cmp_le_u32_e32 vcc, s33, v4
	v_cndmask_b32_e32 v14, v4, v5, vcc
	v_pk_mov_b32 v[4:5], v[14:15], v[14:15] op_sel:[0,1]
.LBB132_327:                            ;   in Loop: Header=BB132_6 Depth=1
	v_mov_b32_e32 v6, s11
	v_sub_co_u32_e32 v4, vcc, s0, v4
	v_subb_co_u32_e32 v5, vcc, v6, v5, vcc
	v_cmp_gt_u64_e32 vcc, v[4:5], v[0:1]
	s_mov_b64 s[10:11], 0
                                        ; implicit-def: $vgpr39
	s_and_saveexec_b64 s[24:25], vcc
	s_cbranch_execz .LBB132_339
; %bb.328:                              ;   in Loop: Header=BB132_6 Depth=1
	v_mov_b32_e32 v8, v0
	v_pk_mov_b32 v[6:7], v[0:1], v[0:1] op_sel:[0,1]
                                        ; implicit-def: $sgpr36_sgpr37
	s_branch .LBB132_330
.LBB132_329:                            ;   in Loop: Header=BB132_330 Depth=2
	s_or_b64 exec, exec, s[40:41]
	s_waitcnt lgkmcnt(0)
	s_barrier
	ds_read_u16 v9, v15 offset:3072
	v_mov_b32_e32 v14, s86
	v_add_co_u32_e32 v6, vcc, s33, v6
	v_addc_co_u32_e32 v7, vcc, v7, v14, vcc
	s_waitcnt lgkmcnt(0)
	v_cmp_ne_u16_sdwa s[0:1], v9, v15 src0_sel:BYTE_0 src1_sel:DWORD
	v_cmp_ge_u64_e32 vcc, v[6:7], v[4:5]
	s_or_b64 s[40:41], vcc, s[0:1]
	s_and_b64 s[40:41], exec, s[40:41]
	s_or_b64 s[10:11], s[40:41], s[10:11]
	s_andn2_b64 s[36:37], s[36:37], exec
	s_and_b64 s[0:1], s[0:1], exec
	v_add_u32_e32 v8, s33, v8
	s_or_b64 s[36:37], s[36:37], s[0:1]
	s_barrier
	s_andn2_b64 exec, exec, s[10:11]
	s_cbranch_execz .LBB132_338
.LBB132_330:                            ;   Parent Loop BB132_6 Depth=1
                                        ; =>  This Inner Loop Header: Depth=2
	v_cmp_gt_u64_e32 vcc, s[4:5], v[6:7]
	v_mov_b32_e32 v9, 0
	s_and_saveexec_b64 s[40:41], vcc
	s_cbranch_execz .LBB132_332
; %bb.331:                              ;   in Loop: Header=BB132_330 Depth=2
	ds_read_u8 v9, v8
.LBB132_332:                            ;   in Loop: Header=BB132_330 Depth=2
	s_or_b64 exec, exec, s[40:41]
	s_and_saveexec_b64 s[40:41], vcc
	s_cbranch_execz .LBB132_329
; %bb.333:                              ;   in Loop: Header=BB132_330 Depth=2
	s_waitcnt lgkmcnt(0)
	v_add_u32_sdwa v14, sext(v9), s84 dst_sel:DWORD dst_unused:UNUSED_PAD src0_sel:BYTE_0 src1_sel:DWORD
	v_and_b32_e32 v14, v14, v37
	v_cmp_eq_u32_e32 vcc, v14, v38
	s_and_b64 exec, exec, vcc
	s_cbranch_execz .LBB132_329
; %bb.334:                              ;   in Loop: Header=BB132_330 Depth=2
	v_lshlrev_b16_e32 v9, 8, v9
	v_or_b32_e32 v9, 1, v9
	ds_write_b16 v15, v9 offset:3072
	s_branch .LBB132_329
.LBB132_335:                            ;   in Loop: Header=BB132_6 Depth=1
                                        ; implicit-def: $vgpr2_vgpr3
	s_branch .LBB132_282
.LBB132_336:                            ;   in Loop: Header=BB132_6 Depth=1
                                        ; implicit-def: $vgpr2_vgpr3
	s_branch .LBB132_296
.LBB132_337:                            ;   in Loop: Header=BB132_6 Depth=1
	s_mov_b64 s[24:25], -1
	s_mov_b64 s[10:11], 0
                                        ; implicit-def: $sgpr36_sgpr37
                                        ; implicit-def: $vgpr39
	s_mov_b64 s[40:41], s[24:25]
	s_cbranch_execnz .LBB132_340
	s_branch .LBB132_353
.LBB132_338:                            ;   in Loop: Header=BB132_6 Depth=1
	s_or_b64 exec, exec, s[10:11]
	v_lshrrev_b16_e32 v39, 8, v9
	s_and_b64 s[10:11], s[36:37], exec
.LBB132_339:                            ;   in Loop: Header=BB132_6 Depth=1
	s_or_b64 exec, exec, s[24:25]
	s_mov_b64 s[24:25], 0
	s_mov_b64 s[36:37], -1
	s_mov_b64 s[40:41], s[24:25]
	s_branch .LBB132_353
.LBB132_340:                            ;   in Loop: Header=BB132_6 Depth=1
	v_readlane_b32 s36, v48, 35
	v_readlane_b32 s37, v48, 36
	s_mov_b32 s36, s79
	s_cmp_lg_u64 s[36:37], 0
	v_writelane_b32 v48, s36, 35
	v_writelane_b32 v48, s37, 36
	s_cbranch_scc0 .LBB132_382
; %bb.341:                              ;   in Loop: Header=BB132_6 Depth=1
	v_cvt_f32_u32_e32 v4, s33
	s_sub_u32 s0, 0, s33
	s_subb_u32 s1, 0, 0
	v_mac_f32_e32 v4, 0, v36
	v_rcp_f32_e32 v4, v4
	v_mul_f32_e32 v4, 0x5f7ffffc, v4
	v_mul_f32_e32 v5, 0x2f800000, v4
	v_trunc_f32_e32 v5, v5
	v_mac_f32_e32 v4, 0xcf800000, v5
	v_cvt_u32_f32_e32 v5, v5
	v_cvt_u32_f32_e32 v4, v4
	v_readfirstlane_b32 s4, v5
	v_readfirstlane_b32 s5, v4
	s_mul_i32 s10, s0, s4
	s_mul_hi_u32 s24, s0, s5
	s_mul_i32 s11, s1, s5
	s_add_i32 s10, s24, s10
	s_mul_i32 s25, s0, s5
	s_add_i32 s10, s10, s11
	s_mul_hi_u32 s24, s5, s25
	s_mul_hi_u32 s11, s5, s10
	s_mul_i32 s5, s5, s10
	s_add_u32 s5, s24, s5
	s_addc_u32 s11, 0, s11
	s_mul_hi_u32 s36, s4, s25
	s_mul_i32 s25, s4, s25
	s_add_u32 s5, s5, s25
	s_mul_hi_u32 s24, s4, s10
	s_addc_u32 s5, s11, s36
	s_addc_u32 s11, s24, 0
	s_mul_i32 s10, s4, s10
	s_add_u32 s5, s5, s10
	s_addc_u32 s10, 0, s11
	v_add_co_u32_e32 v4, vcc, s5, v4
	s_cmp_lg_u64 vcc, 0
	s_addc_u32 s4, s4, s10
	v_readfirstlane_b32 s10, v4
	s_mul_i32 s5, s0, s4
	s_mul_hi_u32 s11, s0, s10
	s_add_i32 s5, s11, s5
	s_mul_i32 s1, s1, s10
	s_add_i32 s5, s5, s1
	s_mul_i32 s0, s0, s10
	s_mul_hi_u32 s11, s4, s0
	s_mul_i32 s24, s4, s0
	s_mul_i32 s36, s10, s5
	s_mul_hi_u32 s0, s10, s0
	s_mul_hi_u32 s25, s10, s5
	s_add_u32 s0, s0, s36
	s_addc_u32 s10, 0, s25
	s_add_u32 s0, s0, s24
	s_mul_hi_u32 s1, s4, s5
	s_addc_u32 s0, s10, s11
	s_addc_u32 s1, s1, 0
	s_mul_i32 s5, s4, s5
	s_add_u32 s0, s0, s5
	s_addc_u32 s1, 0, s1
	v_add_co_u32_e32 v4, vcc, s0, v4
	s_cmp_lg_u64 vcc, 0
	s_addc_u32 s0, s4, s1
	v_readlane_b32 s24, v48, 33
	v_readfirstlane_b32 s5, v4
	s_mul_i32 s4, s24, s0
	s_mul_hi_u32 s10, s24, s5
	s_mul_hi_u32 s1, s24, s0
	s_add_u32 s4, s10, s4
	s_addc_u32 s1, 0, s1
	s_mul_hi_u32 s11, s37, s5
	s_mul_i32 s5, s37, s5
	s_add_u32 s4, s4, s5
	s_mul_hi_u32 s10, s37, s0
	s_addc_u32 s1, s1, s11
	s_addc_u32 s4, s10, 0
	s_mul_i32 s0, s37, s0
	s_add_u32 s0, s1, s0
	s_addc_u32 s1, 0, s4
	s_mul_hi_u32 s4, s33, s0
	s_mul_i32 s0, s33, s0
	s_mul_i32 s1, s33, s1
	v_mov_b32_e32 v4, s0
	s_add_i32 s4, s4, s1
	v_sub_co_u32_e32 v4, vcc, s24, v4
	s_cmp_lg_u64 vcc, 0
	s_subb_u32 s0, s37, s4
	v_subrev_co_u32_e32 v5, vcc, s33, v4
	s_cmp_lg_u64 vcc, 0
	s_subb_u32 s1, s0, 0
	v_subrev_co_u32_e32 v6, vcc, s33, v5
	s_cmp_lg_u64 vcc, 0
	s_subb_u32 s4, s1, 0
	v_cmp_le_u32_e32 vcc, s33, v5
	s_cmp_eq_u32 s1, 0
	v_cndmask_b32_e64 v7, 0, -1, vcc
	s_cselect_b64 vcc, -1, 0
	v_cndmask_b32_e32 v7, -1, v7, vcc
	v_mov_b32_e32 v8, s1
	v_mov_b32_e32 v9, s4
	v_cmp_ne_u32_e32 vcc, 0, v7
	v_cndmask_b32_e32 v7, v8, v9, vcc
	v_cndmask_b32_e32 v6, v5, v6, vcc
	v_cmp_le_u32_e32 vcc, s33, v4
	s_cmp_eq_u32 s0, 0
	v_cndmask_b32_e64 v5, 0, -1, vcc
	s_cselect_b64 vcc, -1, 0
	v_cndmask_b32_e32 v5, -1, v5, vcc
	v_mov_b32_e32 v8, s0
	v_cmp_ne_u32_e32 vcc, 0, v5
	v_cndmask_b32_e32 v5, v8, v7, vcc
	v_cndmask_b32_e32 v4, v4, v6, vcc
	s_cbranch_execnz .LBB132_343
.LBB132_342:                            ;   in Loop: Header=BB132_6 Depth=1
	v_cvt_f32_u32_e32 v4, s33
	s_sub_i32 s0, 0, s33
	v_rcp_iflag_f32_e32 v4, v4
	v_mul_f32_e32 v4, 0x4f7ffffe, v4
	v_cvt_u32_f32_e32 v4, v4
	v_mul_lo_u32 v5, s0, v4
	v_mul_hi_u32 v5, v4, v5
	v_add_u32_e32 v4, v4, v5
	v_readlane_b32 s0, v48, 33
	v_mul_hi_u32 v4, s0, v4
	v_mul_lo_u32 v4, v4, s33
	v_sub_u32_e32 v4, s0, v4
	v_subrev_u32_e32 v5, s33, v4
	v_cmp_le_u32_e32 vcc, s33, v4
	v_cndmask_b32_e32 v4, v4, v5, vcc
	v_subrev_u32_e32 v5, s33, v4
	v_cmp_le_u32_e32 vcc, s33, v4
	v_cndmask_b32_e32 v14, v4, v5, vcc
	v_pk_mov_b32 v[4:5], v[14:15], v[14:15] op_sel:[0,1]
.LBB132_343:                            ;   in Loop: Header=BB132_6 Depth=1
	v_readlane_b32 s0, v48, 35
	v_readlane_b32 s1, v48, 36
	;; [unrolled: 1-line block ×3, first 2 shown]
	v_mov_b32_e32 v6, s1
	v_sub_co_u32_e32 v4, vcc, s0, v4
	v_subb_co_u32_e32 v5, vcc, v6, v5, vcc
	v_cmp_gt_u64_e32 vcc, v[4:5], v[0:1]
	s_mov_b64 s[10:11], 0
                                        ; implicit-def: $vgpr39
	s_and_saveexec_b64 s[4:5], vcc
	s_cbranch_execz .LBB132_352
; %bb.344:                              ;   in Loop: Header=BB132_6 Depth=1
	v_pk_mov_b32 v[6:7], v[12:13], v[12:13] op_sel:[0,1]
	v_pk_mov_b32 v[8:9], v[0:1], v[0:1] op_sel:[0,1]
                                        ; implicit-def: $sgpr24_sgpr25
	s_branch .LBB132_346
.LBB132_345:                            ;   in Loop: Header=BB132_346 Depth=2
	s_or_b64 exec, exec, s[36:37]
	s_waitcnt lgkmcnt(0)
	s_barrier
	s_waitcnt vmcnt(0)
	ds_read_u16 v14, v15 offset:3072
	v_mov_b32_e32 v26, s86
	v_add_co_u32_e32 v8, vcc, s33, v8
	v_addc_co_u32_e32 v9, vcc, v9, v26, vcc
	s_waitcnt lgkmcnt(0)
	v_cmp_ne_u16_sdwa s[0:1], v14, v15 src0_sel:BYTE_0 src1_sel:DWORD
	v_cmp_ge_u64_e32 vcc, v[8:9], v[4:5]
	s_or_b64 s[36:37], vcc, s[0:1]
	s_and_b64 s[36:37], exec, s[36:37]
	s_mul_i32 s40, s62, s33
	s_or_b64 s[10:11], s[36:37], s[10:11]
	v_mov_b32_e32 v26, s87
	v_add_co_u32_e32 v6, vcc, s40, v6
	s_andn2_b64 s[24:25], s[24:25], exec
	s_and_b64 s[0:1], s[0:1], exec
	v_addc_co_u32_e32 v7, vcc, v7, v26, vcc
	s_or_b64 s[24:25], s[24:25], s[0:1]
	s_barrier
	s_andn2_b64 exec, exec, s[10:11]
	s_cbranch_execz .LBB132_351
.LBB132_346:                            ;   Parent Loop BB132_6 Depth=1
                                        ; =>  This Inner Loop Header: Depth=2
	v_cmp_gt_u64_e32 vcc, s[56:57], v[8:9]
	v_mov_b32_e32 v14, 0
	s_and_saveexec_b64 s[36:37], vcc
	s_cbranch_execz .LBB132_348
; %bb.347:                              ;   in Loop: Header=BB132_346 Depth=2
	global_load_ubyte v14, v[6:7], off
.LBB132_348:                            ;   in Loop: Header=BB132_346 Depth=2
	s_or_b64 exec, exec, s[36:37]
	s_and_saveexec_b64 s[36:37], vcc
	s_cbranch_execz .LBB132_345
; %bb.349:                              ;   in Loop: Header=BB132_346 Depth=2
	s_waitcnt vmcnt(0)
	v_add_u32_sdwa v26, sext(v14), s84 dst_sel:DWORD dst_unused:UNUSED_PAD src0_sel:BYTE_0 src1_sel:DWORD
	v_and_b32_e32 v26, v26, v37
	v_cmp_eq_u32_e32 vcc, v26, v38
	s_and_b64 exec, exec, vcc
	s_cbranch_execz .LBB132_345
; %bb.350:                              ;   in Loop: Header=BB132_346 Depth=2
	v_lshlrev_b16_e32 v14, 8, v14
	v_or_b32_e32 v14, 1, v14
	ds_write_b16 v15, v14 offset:3072
	s_branch .LBB132_345
.LBB132_351:                            ;   in Loop: Header=BB132_6 Depth=1
	s_or_b64 exec, exec, s[10:11]
	v_lshrrev_b16_e32 v39, 8, v14
	s_and_b64 s[10:11], s[24:25], exec
.LBB132_352:                            ;   in Loop: Header=BB132_6 Depth=1
	s_or_b64 exec, exec, s[4:5]
	s_mov_b64 s[36:37], 0
	s_mov_b64 s[24:25], -1
	s_mov_b64 s[40:41], 0
.LBB132_353:                            ;   in Loop: Header=BB132_6 Depth=1
	s_orn2_b64 s[4:5], s[10:11], exec
.LBB132_354:                            ;   in Loop: Header=BB132_6 Depth=1
	s_or_b64 exec, exec, s[42:43]
	s_mov_b64 s[44:45], 0
                                        ; implicit-def: $vgpr6
	s_and_saveexec_b64 s[42:43], s[4:5]
	s_cbranch_execz .LBB132_467
; %bb.355:                              ;   in Loop: Header=BB132_6 Depth=1
	v_mov_b32_e32 v4, 1
	s_xor_b64 s[0:1], s[8:9], -1
	v_mov_b32_e32 v5, 0
	v_mov_b32_e32 v6, 1
	s_and_saveexec_b64 s[4:5], s[0:1]
	s_cbranch_execz .LBB132_365
; %bb.356:                              ;   in Loop: Header=BB132_6 Depth=1
	v_cmp_ge_u64_e32 vcc, s[22:23], v[2:3]
                                        ; implicit-def: $sgpr0
                                        ; implicit-def: $sgpr8_sgpr9
	s_and_saveexec_b64 s[10:11], vcc
	s_xor_b64 s[10:11], exec, s[10:11]
	s_cbranch_execz .LBB132_362
; %bb.357:                              ;   in Loop: Header=BB132_6 Depth=1
	ds_read_b64 v[4:5], v15 offset:5120
	s_waitcnt lgkmcnt(0)
	v_cmp_ne_u64_e32 vcc, 0, v[4:5]
	s_cbranch_vccnz .LBB132_361
; %bb.358:                              ;   in Loop: Header=BB132_6 Depth=1
	s_mov_b64 s[8:9], exec
	v_readlane_b32 s0, v48, 8
	v_readlane_b32 s1, v48, 9
	s_and_b64 s[0:1], s[8:9], s[0:1]
	s_mov_b64 exec, s[0:1]
	s_cbranch_execz .LBB132_360
; %bb.359:                              ;   in Loop: Header=BB132_6 Depth=1
	v_pk_mov_b32 v[4:5], s[22:23], s[22:23] op_sel:[0,1]
	ds_write_b64 v15, v[4:5] offset:5128
.LBB132_360:                            ;   in Loop: Header=BB132_6 Depth=1
	s_or_b64 exec, exec, s[8:9]
	s_waitcnt lgkmcnt(0)
	s_barrier
.LBB132_361:                            ;   in Loop: Header=BB132_6 Depth=1
	v_and_b32_e32 v4, s92, v38
	v_lshl_or_b32 v38, 2, s93, v4
	v_or_b32_e32 v37, s78, v37
	s_mov_b64 s[8:9], 0
	s_mov_b32 s0, 5
.LBB132_362:                            ;   in Loop: Header=BB132_6 Depth=1
	s_or_saveexec_b64 s[10:11], s[10:11]
	v_mov_b32_e32 v6, s0
	s_xor_b64 exec, exec, s[10:11]
; %bb.363:                              ;   in Loop: Header=BB132_6 Depth=1
	v_mov_b32_e32 v4, s23
	v_subrev_co_u32_e32 v2, vcc, s22, v2
	v_subb_co_u32_e32 v3, vcc, v3, v4, vcc
	v_mov_b32_e32 v6, 0
	s_or_b64 s[8:9], s[8:9], exec
; %bb.364:                              ;   in Loop: Header=BB132_6 Depth=1
	s_or_b64 exec, exec, s[10:11]
	s_and_b64 s[44:45], s[8:9], exec
	v_pk_mov_b32 v[4:5], v[2:3], v[2:3] op_sel:[0,1]
.LBB132_365:                            ;   in Loop: Header=BB132_6 Depth=1
	s_or_b64 exec, exec, s[4:5]
	s_mov_b64 s[4:5], -1
                                        ; implicit-def: $sgpr8_sgpr9
                                        ; implicit-def: $sgpr10_sgpr11
                                        ; implicit-def: $sgpr48_sgpr49
	s_and_saveexec_b64 s[22:23], s[44:45]
	s_cbranch_execz .LBB132_466
; %bb.366:                              ;   in Loop: Header=BB132_6 Depth=1
	s_cmp_eq_u64 s[18:19], 1
	s_cselect_b64 s[0:1], -1, 0
	v_cmp_eq_u64_e32 vcc, 1, v[4:5]
	s_and_b64 s[50:51], s[0:1], vcc
	s_mov_b64 s[10:11], -1
                                        ; implicit-def: $sgpr8_sgpr9
                                        ; implicit-def: $sgpr44_sgpr45
                                        ; implicit-def: $sgpr46_sgpr47
	s_and_saveexec_b64 s[48:49], s[50:51]
	s_cbranch_execz .LBB132_400
; %bb.367:                              ;   in Loop: Header=BB132_6 Depth=1
	ds_read_b64 v[2:3], v15 offset:5120
	s_waitcnt lgkmcnt(0)
	s_barrier
	v_readfirstlane_b32 s4, v2
	v_readfirstlane_b32 s5, v3
	s_mov_b64 s[8:9], exec
	v_readlane_b32 s0, v48, 28
	v_readlane_b32 s1, v48, 29
	s_and_b64 s[0:1], s[8:9], s[0:1]
	s_mov_b64 exec, s[0:1]
	s_cbranch_execz .LBB132_369
; %bb.368:                              ;   in Loop: Header=BB132_6 Depth=1
	ds_write_b8 v0, v15 offset:3072
.LBB132_369:                            ;   in Loop: Header=BB132_6 Depth=1
	s_or_b64 exec, exec, s[8:9]
	v_and_b32_e32 v2, s92, v38
	v_lshl_or_b32 v38, 1, s93, v2
	v_or_b32_e32 v37, s78, v37
	s_cmp_eq_u64 s[4:5], 0
	s_waitcnt lgkmcnt(0)
	s_barrier
	s_cbranch_scc1 .LBB132_383
; %bb.370:                              ;   in Loop: Header=BB132_6 Depth=1
	v_readlane_b32 s0, v48, 32
	s_add_u32 s0, s0, s4
	v_readlane_b32 s1, v48, 34
	s_addc_u32 s9, s1, s5
	s_mov_b32 s8, s79
	s_cmp_lg_u64 s[8:9], 0
	s_cbranch_scc0 .LBB132_418
; %bb.371:                              ;   in Loop: Header=BB132_6 Depth=1
	v_cvt_f32_u32_e32 v2, s33
	s_sub_u32 s1, 0, s33
	s_subb_u32 s8, 0, 0
	v_mac_f32_e32 v2, 0, v36
	v_rcp_f32_e32 v2, v2
	v_mul_f32_e32 v2, 0x5f7ffffc, v2
	v_mul_f32_e32 v3, 0x2f800000, v2
	v_trunc_f32_e32 v3, v3
	v_mac_f32_e32 v2, 0xcf800000, v3
	v_cvt_u32_f32_e32 v3, v3
	v_cvt_u32_f32_e32 v2, v2
	v_readfirstlane_b32 s10, v3
	v_readfirstlane_b32 s11, v2
	s_mul_i32 s44, s1, s10
	s_mul_hi_u32 s46, s1, s11
	s_mul_i32 s45, s8, s11
	s_add_i32 s44, s46, s44
	s_mul_i32 s47, s1, s11
	s_add_i32 s44, s44, s45
	s_mul_hi_u32 s46, s11, s47
	s_mul_hi_u32 s45, s11, s44
	s_mul_i32 s11, s11, s44
	s_add_u32 s11, s46, s11
	s_addc_u32 s45, 0, s45
	s_mul_hi_u32 s52, s10, s47
	s_mul_i32 s47, s10, s47
	s_add_u32 s11, s11, s47
	s_mul_hi_u32 s46, s10, s44
	s_addc_u32 s11, s45, s52
	s_addc_u32 s45, s46, 0
	s_mul_i32 s44, s10, s44
	s_add_u32 s11, s11, s44
	s_addc_u32 s44, 0, s45
	v_add_co_u32_e32 v2, vcc, s11, v2
	s_cmp_lg_u64 vcc, 0
	s_addc_u32 s10, s10, s44
	v_readfirstlane_b32 s44, v2
	s_mul_i32 s11, s1, s10
	s_mul_hi_u32 s45, s1, s44
	s_add_i32 s11, s45, s11
	s_mul_i32 s8, s8, s44
	s_add_i32 s11, s11, s8
	s_mul_i32 s1, s1, s44
	s_mul_hi_u32 s45, s10, s1
	s_mul_i32 s46, s10, s1
	s_mul_i32 s52, s44, s11
	s_mul_hi_u32 s1, s44, s1
	s_mul_hi_u32 s47, s44, s11
	s_add_u32 s1, s1, s52
	s_addc_u32 s44, 0, s47
	s_add_u32 s1, s1, s46
	s_mul_hi_u32 s8, s10, s11
	s_addc_u32 s1, s44, s45
	s_addc_u32 s8, s8, 0
	s_mul_i32 s11, s10, s11
	s_add_u32 s1, s1, s11
	s_addc_u32 s8, 0, s8
	v_add_co_u32_e32 v2, vcc, s1, v2
	s_cmp_lg_u64 vcc, 0
	s_addc_u32 s1, s10, s8
	v_readfirstlane_b32 s11, v2
	s_mul_i32 s10, s0, s1
	s_mul_hi_u32 s44, s0, s11
	s_mul_hi_u32 s8, s0, s1
	s_add_u32 s10, s44, s10
	s_addc_u32 s8, 0, s8
	s_mul_hi_u32 s45, s9, s11
	s_mul_i32 s11, s9, s11
	s_add_u32 s10, s10, s11
	s_mul_hi_u32 s44, s9, s1
	s_addc_u32 s8, s8, s45
	s_addc_u32 s10, s44, 0
	s_mul_i32 s1, s9, s1
	s_add_u32 s1, s8, s1
	s_addc_u32 s8, 0, s10
	s_mul_hi_u32 s10, s33, s1
	s_mul_i32 s1, s33, s1
	s_mul_i32 s8, s33, s8
	v_mov_b32_e32 v2, s1
	s_add_i32 s10, s10, s8
	v_sub_co_u32_e32 v2, vcc, s0, v2
	s_cmp_lg_u64 vcc, 0
	s_subb_u32 s1, s9, s10
	v_subrev_co_u32_e32 v3, vcc, s33, v2
	s_cmp_lg_u64 vcc, 0
	s_subb_u32 s8, s1, 0
	v_subrev_co_u32_e32 v6, vcc, s33, v3
	s_cmp_lg_u64 vcc, 0
	s_subb_u32 s10, s8, 0
	v_cmp_le_u32_e32 vcc, s33, v3
	s_cmp_eq_u32 s8, 0
	v_cndmask_b32_e64 v7, 0, -1, vcc
	s_cselect_b64 vcc, -1, 0
	v_cndmask_b32_e32 v7, -1, v7, vcc
	v_mov_b32_e32 v8, s8
	v_mov_b32_e32 v9, s10
	v_cmp_ne_u32_e32 vcc, 0, v7
	v_cndmask_b32_e32 v7, v8, v9, vcc
	v_cndmask_b32_e32 v6, v3, v6, vcc
	v_cmp_le_u32_e32 vcc, s33, v2
	s_cmp_eq_u32 s1, 0
	v_cndmask_b32_e64 v3, 0, -1, vcc
	s_cselect_b64 vcc, -1, 0
	v_cndmask_b32_e32 v3, -1, v3, vcc
	v_mov_b32_e32 v8, s1
	v_cmp_ne_u32_e32 vcc, 0, v3
	v_cndmask_b32_e32 v3, v8, v7, vcc
	v_cndmask_b32_e32 v2, v2, v6, vcc
	s_cbranch_execnz .LBB132_373
.LBB132_372:                            ;   in Loop: Header=BB132_6 Depth=1
	v_cvt_f32_u32_e32 v2, s33
	s_sub_i32 s1, 0, s33
	v_rcp_iflag_f32_e32 v2, v2
	v_mul_f32_e32 v2, 0x4f7ffffe, v2
	v_cvt_u32_f32_e32 v2, v2
	v_mul_lo_u32 v3, s1, v2
	v_mul_hi_u32 v3, v2, v3
	v_add_u32_e32 v2, v2, v3
	v_mul_hi_u32 v2, s0, v2
	v_mul_lo_u32 v2, v2, s33
	v_sub_u32_e32 v2, s0, v2
	v_subrev_u32_e32 v3, s33, v2
	v_cmp_le_u32_e32 vcc, s33, v2
	v_cndmask_b32_e32 v2, v2, v3, vcc
	v_subrev_u32_e32 v3, s33, v2
	v_cmp_le_u32_e32 vcc, s33, v2
	v_cndmask_b32_e32 v14, v2, v3, vcc
	v_pk_mov_b32 v[2:3], v[14:15], v[14:15] op_sel:[0,1]
.LBB132_373:                            ;   in Loop: Header=BB132_6 Depth=1
	v_mov_b32_e32 v6, s9
	v_sub_co_u32_e32 v2, vcc, s0, v2
	v_subb_co_u32_e32 v3, vcc, v6, v3, vcc
	v_cmp_gt_u64_e32 vcc, v[2:3], v[0:1]
	s_mov_b64 s[10:11], 0
                                        ; implicit-def: $vgpr39
	s_and_saveexec_b64 s[8:9], vcc
	s_cbranch_execz .LBB132_385
; %bb.374:                              ;   in Loop: Header=BB132_6 Depth=1
	v_mov_b32_e32 v8, v0
	v_pk_mov_b32 v[6:7], v[0:1], v[0:1] op_sel:[0,1]
                                        ; implicit-def: $sgpr44_sgpr45
	s_branch .LBB132_376
.LBB132_375:                            ;   in Loop: Header=BB132_376 Depth=2
	s_or_b64 exec, exec, s[46:47]
	s_waitcnt lgkmcnt(0)
	s_barrier
	ds_read_u16 v9, v15 offset:3072
	v_mov_b32_e32 v14, s86
	v_add_co_u32_e32 v6, vcc, s33, v6
	v_addc_co_u32_e32 v7, vcc, v7, v14, vcc
	s_waitcnt lgkmcnt(0)
	v_cmp_ne_u16_sdwa s[0:1], v9, v15 src0_sel:BYTE_0 src1_sel:DWORD
	v_cmp_ge_u64_e32 vcc, v[6:7], v[2:3]
	s_or_b64 s[46:47], vcc, s[0:1]
	s_and_b64 s[46:47], exec, s[46:47]
	s_or_b64 s[10:11], s[46:47], s[10:11]
	s_andn2_b64 s[44:45], s[44:45], exec
	s_and_b64 s[0:1], s[0:1], exec
	v_add_u32_e32 v8, s33, v8
	s_or_b64 s[44:45], s[44:45], s[0:1]
	s_barrier
	s_andn2_b64 exec, exec, s[10:11]
	s_cbranch_execz .LBB132_384
.LBB132_376:                            ;   Parent Loop BB132_6 Depth=1
                                        ; =>  This Inner Loop Header: Depth=2
	v_cmp_gt_u64_e32 vcc, s[4:5], v[6:7]
	v_mov_b32_e32 v9, 0
	s_and_saveexec_b64 s[46:47], vcc
	s_cbranch_execz .LBB132_378
; %bb.377:                              ;   in Loop: Header=BB132_376 Depth=2
	ds_read_u8 v9, v8
.LBB132_378:                            ;   in Loop: Header=BB132_376 Depth=2
	s_or_b64 exec, exec, s[46:47]
	s_and_saveexec_b64 s[46:47], vcc
	s_cbranch_execz .LBB132_375
; %bb.379:                              ;   in Loop: Header=BB132_376 Depth=2
	s_waitcnt lgkmcnt(0)
	v_add_u32_sdwa v14, sext(v9), s84 dst_sel:DWORD dst_unused:UNUSED_PAD src0_sel:BYTE_0 src1_sel:DWORD
	v_and_b32_e32 v14, v14, v37
	v_cmp_eq_u32_e32 vcc, v14, v38
	s_and_b64 exec, exec, vcc
	s_cbranch_execz .LBB132_375
; %bb.380:                              ;   in Loop: Header=BB132_376 Depth=2
	v_lshlrev_b16_e32 v9, 8, v9
	v_or_b32_e32 v9, 1, v9
	ds_write_b16 v15, v9 offset:3072
	s_branch .LBB132_375
.LBB132_381:                            ;   in Loop: Header=BB132_6 Depth=1
                                        ; implicit-def: $vgpr4_vgpr5
	s_branch .LBB132_326
.LBB132_382:                            ;   in Loop: Header=BB132_6 Depth=1
                                        ; implicit-def: $vgpr4_vgpr5
	s_branch .LBB132_342
.LBB132_383:                            ;   in Loop: Header=BB132_6 Depth=1
	s_mov_b64 s[8:9], -1
	s_mov_b64 s[10:11], 0
                                        ; implicit-def: $sgpr44_sgpr45
                                        ; implicit-def: $vgpr39
	s_mov_b64 s[46:47], s[8:9]
	s_cbranch_execnz .LBB132_386
	s_branch .LBB132_399
.LBB132_384:                            ;   in Loop: Header=BB132_6 Depth=1
	s_or_b64 exec, exec, s[10:11]
	v_lshrrev_b16_e32 v39, 8, v9
	s_and_b64 s[10:11], s[44:45], exec
.LBB132_385:                            ;   in Loop: Header=BB132_6 Depth=1
	s_or_b64 exec, exec, s[8:9]
	s_mov_b64 s[8:9], 0
	s_mov_b64 s[44:45], -1
	s_mov_b64 s[46:47], s[8:9]
	s_branch .LBB132_399
.LBB132_386:                            ;   in Loop: Header=BB132_6 Depth=1
	v_readlane_b32 s44, v48, 35
	v_readlane_b32 s45, v48, 36
	s_mov_b32 s44, s79
	s_cmp_lg_u64 s[44:45], 0
	v_writelane_b32 v48, s44, 35
	v_writelane_b32 v48, s45, 36
	s_cbranch_scc0 .LBB132_419
; %bb.387:                              ;   in Loop: Header=BB132_6 Depth=1
	v_cvt_f32_u32_e32 v2, s33
	s_sub_u32 s0, 0, s33
	s_subb_u32 s1, 0, 0
	v_mac_f32_e32 v2, 0, v36
	v_rcp_f32_e32 v2, v2
	v_mul_f32_e32 v2, 0x5f7ffffc, v2
	v_mul_f32_e32 v3, 0x2f800000, v2
	v_trunc_f32_e32 v3, v3
	v_mac_f32_e32 v2, 0xcf800000, v3
	v_cvt_u32_f32_e32 v3, v3
	v_cvt_u32_f32_e32 v2, v2
	v_readfirstlane_b32 s4, v3
	v_readfirstlane_b32 s5, v2
	s_mul_i32 s8, s0, s4
	s_mul_hi_u32 s10, s0, s5
	s_mul_i32 s9, s1, s5
	s_add_i32 s8, s10, s8
	s_mul_i32 s11, s0, s5
	s_add_i32 s8, s8, s9
	s_mul_hi_u32 s10, s5, s11
	s_mul_hi_u32 s9, s5, s8
	s_mul_i32 s5, s5, s8
	s_add_u32 s5, s10, s5
	s_addc_u32 s9, 0, s9
	s_mul_hi_u32 s44, s4, s11
	s_mul_i32 s11, s4, s11
	s_add_u32 s5, s5, s11
	s_mul_hi_u32 s10, s4, s8
	s_addc_u32 s5, s9, s44
	s_addc_u32 s9, s10, 0
	s_mul_i32 s8, s4, s8
	s_add_u32 s5, s5, s8
	s_addc_u32 s8, 0, s9
	v_add_co_u32_e32 v2, vcc, s5, v2
	s_cmp_lg_u64 vcc, 0
	s_addc_u32 s4, s4, s8
	v_readfirstlane_b32 s8, v2
	s_mul_i32 s5, s0, s4
	s_mul_hi_u32 s9, s0, s8
	s_add_i32 s5, s9, s5
	s_mul_i32 s1, s1, s8
	s_add_i32 s5, s5, s1
	s_mul_i32 s0, s0, s8
	s_mul_hi_u32 s9, s4, s0
	s_mul_i32 s10, s4, s0
	s_mul_i32 s44, s8, s5
	s_mul_hi_u32 s0, s8, s0
	s_mul_hi_u32 s11, s8, s5
	s_add_u32 s0, s0, s44
	s_addc_u32 s8, 0, s11
	s_add_u32 s0, s0, s10
	s_mul_hi_u32 s1, s4, s5
	s_addc_u32 s0, s8, s9
	s_addc_u32 s1, s1, 0
	s_mul_i32 s5, s4, s5
	s_add_u32 s0, s0, s5
	s_addc_u32 s1, 0, s1
	v_add_co_u32_e32 v2, vcc, s0, v2
	s_cmp_lg_u64 vcc, 0
	s_addc_u32 s0, s4, s1
	v_readlane_b32 s10, v48, 33
	v_readfirstlane_b32 s5, v2
	s_mul_i32 s4, s10, s0
	s_mul_hi_u32 s8, s10, s5
	s_mul_hi_u32 s1, s10, s0
	s_add_u32 s4, s8, s4
	s_addc_u32 s1, 0, s1
	s_mul_hi_u32 s9, s45, s5
	s_mul_i32 s5, s45, s5
	s_add_u32 s4, s4, s5
	s_mul_hi_u32 s8, s45, s0
	s_addc_u32 s1, s1, s9
	s_addc_u32 s4, s8, 0
	s_mul_i32 s0, s45, s0
	s_add_u32 s0, s1, s0
	s_addc_u32 s1, 0, s4
	s_mul_hi_u32 s4, s33, s0
	s_mul_i32 s0, s33, s0
	s_mul_i32 s1, s33, s1
	v_mov_b32_e32 v2, s0
	s_add_i32 s4, s4, s1
	v_sub_co_u32_e32 v2, vcc, s10, v2
	s_cmp_lg_u64 vcc, 0
	s_subb_u32 s0, s45, s4
	v_subrev_co_u32_e32 v3, vcc, s33, v2
	s_cmp_lg_u64 vcc, 0
	s_subb_u32 s1, s0, 0
	v_subrev_co_u32_e32 v6, vcc, s33, v3
	s_cmp_lg_u64 vcc, 0
	s_subb_u32 s4, s1, 0
	v_cmp_le_u32_e32 vcc, s33, v3
	s_cmp_eq_u32 s1, 0
	v_cndmask_b32_e64 v7, 0, -1, vcc
	s_cselect_b64 vcc, -1, 0
	v_cndmask_b32_e32 v7, -1, v7, vcc
	v_mov_b32_e32 v8, s1
	v_mov_b32_e32 v9, s4
	v_cmp_ne_u32_e32 vcc, 0, v7
	v_cndmask_b32_e32 v7, v8, v9, vcc
	v_cndmask_b32_e32 v6, v3, v6, vcc
	v_cmp_le_u32_e32 vcc, s33, v2
	s_cmp_eq_u32 s0, 0
	v_cndmask_b32_e64 v3, 0, -1, vcc
	s_cselect_b64 vcc, -1, 0
	v_cndmask_b32_e32 v3, -1, v3, vcc
	v_mov_b32_e32 v8, s0
	v_cmp_ne_u32_e32 vcc, 0, v3
	v_cndmask_b32_e32 v3, v8, v7, vcc
	v_cndmask_b32_e32 v2, v2, v6, vcc
	s_cbranch_execnz .LBB132_389
.LBB132_388:                            ;   in Loop: Header=BB132_6 Depth=1
	v_cvt_f32_u32_e32 v2, s33
	s_sub_i32 s0, 0, s33
	v_rcp_iflag_f32_e32 v2, v2
	v_mul_f32_e32 v2, 0x4f7ffffe, v2
	v_cvt_u32_f32_e32 v2, v2
	v_mul_lo_u32 v3, s0, v2
	v_mul_hi_u32 v3, v2, v3
	v_add_u32_e32 v2, v2, v3
	v_readlane_b32 s0, v48, 33
	v_mul_hi_u32 v2, s0, v2
	v_mul_lo_u32 v2, v2, s33
	v_sub_u32_e32 v2, s0, v2
	v_subrev_u32_e32 v3, s33, v2
	v_cmp_le_u32_e32 vcc, s33, v2
	v_cndmask_b32_e32 v2, v2, v3, vcc
	v_subrev_u32_e32 v3, s33, v2
	v_cmp_le_u32_e32 vcc, s33, v2
	v_cndmask_b32_e32 v14, v2, v3, vcc
	v_pk_mov_b32 v[2:3], v[14:15], v[14:15] op_sel:[0,1]
.LBB132_389:                            ;   in Loop: Header=BB132_6 Depth=1
	v_readlane_b32 s0, v48, 35
	v_readlane_b32 s1, v48, 36
	;; [unrolled: 1-line block ×3, first 2 shown]
	v_mov_b32_e32 v6, s1
	v_sub_co_u32_e32 v2, vcc, s0, v2
	v_subb_co_u32_e32 v3, vcc, v6, v3, vcc
	v_cmp_gt_u64_e32 vcc, v[2:3], v[0:1]
	s_mov_b64 s[10:11], 0
                                        ; implicit-def: $vgpr39
	s_and_saveexec_b64 s[4:5], vcc
	s_cbranch_execz .LBB132_398
; %bb.390:                              ;   in Loop: Header=BB132_6 Depth=1
	s_mov_b64 s[8:9], 0
	v_pk_mov_b32 v[6:7], v[12:13], v[12:13] op_sel:[0,1]
	v_pk_mov_b32 v[8:9], v[0:1], v[0:1] op_sel:[0,1]
                                        ; implicit-def: $sgpr10_sgpr11
	s_branch .LBB132_392
.LBB132_391:                            ;   in Loop: Header=BB132_392 Depth=2
	s_or_b64 exec, exec, s[44:45]
	s_waitcnt lgkmcnt(0)
	s_barrier
	s_waitcnt vmcnt(0)
	ds_read_u16 v14, v15 offset:3072
	v_mov_b32_e32 v26, s86
	v_add_co_u32_e32 v8, vcc, s33, v8
	v_addc_co_u32_e32 v9, vcc, v9, v26, vcc
	s_waitcnt lgkmcnt(0)
	v_cmp_ne_u16_sdwa s[0:1], v14, v15 src0_sel:BYTE_0 src1_sel:DWORD
	v_cmp_ge_u64_e32 vcc, v[8:9], v[2:3]
	s_or_b64 s[44:45], vcc, s[0:1]
	s_and_b64 s[44:45], exec, s[44:45]
	s_mul_i32 s46, s62, s33
	s_or_b64 s[8:9], s[44:45], s[8:9]
	v_mov_b32_e32 v26, s87
	v_add_co_u32_e32 v6, vcc, s46, v6
	s_andn2_b64 s[10:11], s[10:11], exec
	s_and_b64 s[0:1], s[0:1], exec
	v_addc_co_u32_e32 v7, vcc, v7, v26, vcc
	s_or_b64 s[10:11], s[10:11], s[0:1]
	s_barrier
	s_andn2_b64 exec, exec, s[8:9]
	s_cbranch_execz .LBB132_397
.LBB132_392:                            ;   Parent Loop BB132_6 Depth=1
                                        ; =>  This Inner Loop Header: Depth=2
	v_cmp_gt_u64_e32 vcc, s[56:57], v[8:9]
	v_mov_b32_e32 v14, 0
	s_and_saveexec_b64 s[44:45], vcc
	s_cbranch_execz .LBB132_394
; %bb.393:                              ;   in Loop: Header=BB132_392 Depth=2
	global_load_ubyte v14, v[6:7], off
.LBB132_394:                            ;   in Loop: Header=BB132_392 Depth=2
	s_or_b64 exec, exec, s[44:45]
	s_and_saveexec_b64 s[44:45], vcc
	s_cbranch_execz .LBB132_391
; %bb.395:                              ;   in Loop: Header=BB132_392 Depth=2
	s_waitcnt vmcnt(0)
	v_add_u32_sdwa v26, sext(v14), s84 dst_sel:DWORD dst_unused:UNUSED_PAD src0_sel:BYTE_0 src1_sel:DWORD
	v_and_b32_e32 v26, v26, v37
	v_cmp_eq_u32_e32 vcc, v26, v38
	s_and_b64 exec, exec, vcc
	s_cbranch_execz .LBB132_391
; %bb.396:                              ;   in Loop: Header=BB132_392 Depth=2
	v_lshlrev_b16_e32 v14, 8, v14
	v_or_b32_e32 v14, 1, v14
	ds_write_b16 v15, v14 offset:3072
	s_branch .LBB132_391
.LBB132_397:                            ;   in Loop: Header=BB132_6 Depth=1
	s_or_b64 exec, exec, s[8:9]
	v_lshrrev_b16_e32 v39, 8, v14
	s_and_b64 s[10:11], s[10:11], exec
.LBB132_398:                            ;   in Loop: Header=BB132_6 Depth=1
	s_or_b64 exec, exec, s[4:5]
	s_mov_b64 s[44:45], 0
	s_mov_b64 s[8:9], -1
	s_mov_b64 s[46:47], 0
.LBB132_399:                            ;   in Loop: Header=BB132_6 Depth=1
	s_orn2_b64 s[10:11], s[10:11], exec
.LBB132_400:                            ;   in Loop: Header=BB132_6 Depth=1
	s_or_b64 exec, exec, s[48:49]
	s_mov_b64 s[4:5], 0
                                        ; implicit-def: $vgpr6
	s_and_saveexec_b64 s[48:49], s[10:11]
	s_cbranch_execz .LBB132_465
; %bb.401:                              ;   in Loop: Header=BB132_6 Depth=1
	v_mov_b32_e32 v2, 1
	s_xor_b64 s[0:1], s[50:51], -1
	s_mov_b64 s[52:53], 0
	v_mov_b32_e32 v3, 0
	v_mov_b32_e32 v6, 1
	s_and_saveexec_b64 s[4:5], s[0:1]
	s_cbranch_execz .LBB132_411
; %bb.402:                              ;   in Loop: Header=BB132_6 Depth=1
	v_cmp_ge_u64_e32 vcc, s[18:19], v[4:5]
                                        ; implicit-def: $sgpr0
                                        ; implicit-def: $sgpr10_sgpr11
	s_and_saveexec_b64 s[50:51], vcc
	s_xor_b64 s[50:51], exec, s[50:51]
	s_cbranch_execz .LBB132_408
; %bb.403:                              ;   in Loop: Header=BB132_6 Depth=1
	ds_read_b64 v[2:3], v15 offset:5120
	s_waitcnt lgkmcnt(0)
	v_cmp_ne_u64_e32 vcc, 0, v[2:3]
	s_cbranch_vccnz .LBB132_407
; %bb.404:                              ;   in Loop: Header=BB132_6 Depth=1
	s_mov_b64 s[10:11], exec
	v_readlane_b32 s0, v48, 8
	v_readlane_b32 s1, v48, 9
	s_and_b64 s[0:1], s[10:11], s[0:1]
	s_mov_b64 exec, s[0:1]
	s_cbranch_execz .LBB132_406
; %bb.405:                              ;   in Loop: Header=BB132_6 Depth=1
	v_pk_mov_b32 v[2:3], s[18:19], s[18:19] op_sel:[0,1]
	ds_write_b64 v15, v[2:3] offset:5128
.LBB132_406:                            ;   in Loop: Header=BB132_6 Depth=1
	s_or_b64 exec, exec, s[10:11]
	s_waitcnt lgkmcnt(0)
	s_barrier
.LBB132_407:                            ;   in Loop: Header=BB132_6 Depth=1
	v_and_b32_e32 v2, s92, v38
	v_lshl_or_b32 v38, 1, s93, v2
	v_or_b32_e32 v37, s78, v37
	s_mov_b64 s[10:11], 0
	s_mov_b32 s0, 5
.LBB132_408:                            ;   in Loop: Header=BB132_6 Depth=1
	s_or_saveexec_b64 s[50:51], s[50:51]
	v_mov_b32_e32 v6, s0
	s_xor_b64 exec, exec, s[50:51]
; %bb.409:                              ;   in Loop: Header=BB132_6 Depth=1
	v_mov_b32_e32 v2, s19
	v_subrev_co_u32_e32 v4, vcc, s18, v4
	v_subb_co_u32_e32 v5, vcc, v5, v2, vcc
	v_mov_b32_e32 v6, 0
	s_or_b64 s[10:11], s[10:11], exec
; %bb.410:                              ;   in Loop: Header=BB132_6 Depth=1
	s_or_b64 exec, exec, s[50:51]
	s_and_b64 s[52:53], s[10:11], exec
	v_pk_mov_b32 v[2:3], v[4:5], v[4:5] op_sel:[0,1]
.LBB132_411:                            ;   in Loop: Header=BB132_6 Depth=1
	s_or_b64 exec, exec, s[4:5]
	s_mov_b64 s[50:51], -1
                                        ; implicit-def: $sgpr4_sgpr5
                                        ; implicit-def: $sgpr10_sgpr11
                                        ; implicit-def: $sgpr54_sgpr55
	s_and_saveexec_b64 s[18:19], s[52:53]
	s_cbranch_execz .LBB132_464
; %bb.412:                              ;   in Loop: Header=BB132_6 Depth=1
	s_cmp_eq_u64 s[16:17], 1
	s_cselect_b64 s[0:1], -1, 0
	v_cmp_eq_u64_e32 vcc, 1, v[2:3]
	s_and_b64 s[50:51], s[0:1], vcc
	s_mov_b64 s[74:75], -1
                                        ; implicit-def: $sgpr4_sgpr5
                                        ; implicit-def: $sgpr10_sgpr11
                                        ; implicit-def: $sgpr54_sgpr55
	s_and_saveexec_b64 s[52:53], s[50:51]
	s_cbranch_execz .LBB132_451
; %bb.413:                              ;   in Loop: Header=BB132_6 Depth=1
	ds_read_b64 v[4:5], v15 offset:5120
	s_waitcnt lgkmcnt(0)
	s_barrier
	v_readfirstlane_b32 s4, v4
	v_readfirstlane_b32 s5, v5
	s_mov_b64 s[10:11], exec
	v_readlane_b32 s0, v48, 28
	v_readlane_b32 s1, v48, 29
	s_and_b64 s[0:1], s[10:11], s[0:1]
	s_mov_b64 exec, s[0:1]
	s_cbranch_execz .LBB132_415
; %bb.414:                              ;   in Loop: Header=BB132_6 Depth=1
	ds_write_b8 v0, v15 offset:3072
.LBB132_415:                            ;   in Loop: Header=BB132_6 Depth=1
	s_or_b64 exec, exec, s[10:11]
	v_and_b32_e32 v38, s92, v38
	v_or_b32_e32 v37, s78, v37
	s_cmp_eq_u64 s[4:5], 0
	s_waitcnt lgkmcnt(0)
	s_barrier
	s_cbranch_scc1 .LBB132_420
; %bb.416:                              ;   in Loop: Header=BB132_6 Depth=1
	v_readlane_b32 s0, v48, 32
	s_add_u32 s0, s0, s4
	v_readlane_b32 s1, v48, 34
	s_addc_u32 s11, s1, s5
	s_mov_b32 s10, s79
	s_cmp_lg_u64 s[10:11], 0
	s_cbranch_scc0 .LBB132_421
; %bb.417:                              ;   in Loop: Header=BB132_6 Depth=1
	v_cvt_f32_u32_e32 v4, s33
	s_sub_u32 s1, 0, s33
	s_subb_u32 s10, 0, 0
	v_mac_f32_e32 v4, 0, v36
	v_rcp_f32_e32 v4, v4
	v_mul_f32_e32 v4, 0x5f7ffffc, v4
	v_mul_f32_e32 v5, 0x2f800000, v4
	v_trunc_f32_e32 v5, v5
	v_mac_f32_e32 v4, 0xcf800000, v5
	v_cvt_u32_f32_e32 v5, v5
	v_cvt_u32_f32_e32 v4, v4
	v_readfirstlane_b32 s54, v5
	v_readfirstlane_b32 s55, v4
	s_mul_i32 s70, s1, s54
	s_mul_hi_u32 s74, s1, s55
	s_mul_i32 s71, s10, s55
	s_add_i32 s70, s74, s70
	s_mul_i32 s75, s1, s55
	s_add_i32 s70, s70, s71
	s_mul_hi_u32 s74, s55, s75
	s_mul_hi_u32 s71, s55, s70
	s_mul_i32 s55, s55, s70
	s_add_u32 s55, s74, s55
	s_addc_u32 s71, 0, s71
	s_mul_hi_u32 s76, s54, s75
	s_mul_i32 s75, s54, s75
	s_add_u32 s55, s55, s75
	s_mul_hi_u32 s74, s54, s70
	s_addc_u32 s55, s71, s76
	s_addc_u32 s71, s74, 0
	s_mul_i32 s70, s54, s70
	s_add_u32 s55, s55, s70
	s_addc_u32 s70, 0, s71
	v_add_co_u32_e32 v4, vcc, s55, v4
	s_cmp_lg_u64 vcc, 0
	s_addc_u32 s54, s54, s70
	v_readfirstlane_b32 s70, v4
	s_mul_i32 s55, s1, s54
	s_mul_hi_u32 s71, s1, s70
	s_add_i32 s55, s71, s55
	s_mul_i32 s10, s10, s70
	s_add_i32 s55, s55, s10
	s_mul_i32 s1, s1, s70
	s_mul_hi_u32 s71, s54, s1
	s_mul_i32 s74, s54, s1
	s_mul_i32 s76, s70, s55
	s_mul_hi_u32 s1, s70, s1
	s_mul_hi_u32 s75, s70, s55
	s_add_u32 s1, s1, s76
	s_addc_u32 s70, 0, s75
	s_add_u32 s1, s1, s74
	s_mul_hi_u32 s10, s54, s55
	s_addc_u32 s1, s70, s71
	s_addc_u32 s10, s10, 0
	s_mul_i32 s55, s54, s55
	s_add_u32 s1, s1, s55
	s_addc_u32 s10, 0, s10
	v_add_co_u32_e32 v4, vcc, s1, v4
	s_cmp_lg_u64 vcc, 0
	s_addc_u32 s1, s54, s10
	v_readfirstlane_b32 s55, v4
	s_mul_i32 s54, s0, s1
	s_mul_hi_u32 s70, s0, s55
	s_mul_hi_u32 s10, s0, s1
	s_add_u32 s54, s70, s54
	s_addc_u32 s10, 0, s10
	s_mul_hi_u32 s71, s11, s55
	s_mul_i32 s55, s11, s55
	s_add_u32 s54, s54, s55
	s_mul_hi_u32 s70, s11, s1
	s_addc_u32 s10, s10, s71
	s_addc_u32 s54, s70, 0
	s_mul_i32 s1, s11, s1
	s_add_u32 s1, s10, s1
	s_addc_u32 s10, 0, s54
	s_mul_hi_u32 s54, s33, s1
	s_mul_i32 s1, s33, s1
	s_mul_i32 s10, s33, s10
	v_mov_b32_e32 v4, s1
	s_add_i32 s54, s54, s10
	v_sub_co_u32_e32 v4, vcc, s0, v4
	s_cmp_lg_u64 vcc, 0
	s_subb_u32 s1, s11, s54
	v_subrev_co_u32_e32 v5, vcc, s33, v4
	s_cmp_lg_u64 vcc, 0
	s_subb_u32 s10, s1, 0
	v_subrev_co_u32_e32 v6, vcc, s33, v5
	s_cmp_lg_u64 vcc, 0
	s_subb_u32 s54, s10, 0
	v_cmp_le_u32_e32 vcc, s33, v5
	s_cmp_eq_u32 s10, 0
	v_cndmask_b32_e64 v7, 0, -1, vcc
	s_cselect_b64 vcc, -1, 0
	v_cndmask_b32_e32 v7, -1, v7, vcc
	v_mov_b32_e32 v8, s10
	v_mov_b32_e32 v9, s54
	v_cmp_ne_u32_e32 vcc, 0, v7
	v_cndmask_b32_e32 v7, v8, v9, vcc
	v_cndmask_b32_e32 v6, v5, v6, vcc
	v_cmp_le_u32_e32 vcc, s33, v4
	s_cmp_eq_u32 s1, 0
	v_cndmask_b32_e64 v5, 0, -1, vcc
	s_cselect_b64 vcc, -1, 0
	v_cndmask_b32_e32 v5, -1, v5, vcc
	v_mov_b32_e32 v8, s1
	v_cmp_ne_u32_e32 vcc, 0, v5
	v_cndmask_b32_e32 v5, v8, v7, vcc
	v_cndmask_b32_e32 v4, v4, v6, vcc
	s_mov_b64 s[54:55], 0
	s_branch .LBB132_422
.LBB132_418:                            ;   in Loop: Header=BB132_6 Depth=1
                                        ; implicit-def: $vgpr2_vgpr3
	s_andn2_b64 vcc, exec, s[10:11]
	s_cbranch_vccz .LBB132_372
	s_branch .LBB132_373
.LBB132_419:                            ;   in Loop: Header=BB132_6 Depth=1
                                        ; implicit-def: $vgpr2_vgpr3
	s_branch .LBB132_388
.LBB132_420:                            ;   in Loop: Header=BB132_6 Depth=1
	s_mov_b64 s[4:5], -1
	s_mov_b64 s[74:75], 0
                                        ; implicit-def: $sgpr10_sgpr11
                                        ; implicit-def: $vgpr39
	s_branch .LBB132_434
.LBB132_421:                            ;   in Loop: Header=BB132_6 Depth=1
	s_mov_b64 s[54:55], -1
                                        ; implicit-def: $vgpr4_vgpr5
.LBB132_422:                            ;   in Loop: Header=BB132_6 Depth=1
	s_andn2_b64 vcc, exec, s[54:55]
	s_cbranch_vccnz .LBB132_424
; %bb.423:                              ;   in Loop: Header=BB132_6 Depth=1
	v_cvt_f32_u32_e32 v4, s33
	s_sub_i32 s1, 0, s33
	v_rcp_iflag_f32_e32 v4, v4
	v_mul_f32_e32 v4, 0x4f7ffffe, v4
	v_cvt_u32_f32_e32 v4, v4
	v_mul_lo_u32 v5, s1, v4
	v_mul_hi_u32 v5, v4, v5
	v_add_u32_e32 v4, v4, v5
	v_mul_hi_u32 v4, s0, v4
	v_mul_lo_u32 v4, v4, s33
	v_sub_u32_e32 v4, s0, v4
	v_subrev_u32_e32 v5, s33, v4
	v_cmp_le_u32_e32 vcc, s33, v4
	v_cndmask_b32_e32 v4, v4, v5, vcc
	v_subrev_u32_e32 v5, s33, v4
	v_cmp_le_u32_e32 vcc, s33, v4
	v_cndmask_b32_e32 v14, v4, v5, vcc
	v_pk_mov_b32 v[4:5], v[14:15], v[14:15] op_sel:[0,1]
.LBB132_424:                            ;   in Loop: Header=BB132_6 Depth=1
	v_mov_b32_e32 v6, s11
	v_sub_co_u32_e32 v4, vcc, s0, v4
	v_subb_co_u32_e32 v5, vcc, v6, v5, vcc
	v_cmp_gt_u64_e32 vcc, v[4:5], v[0:1]
	s_mov_b64 s[74:75], 0
                                        ; implicit-def: $vgpr39
	s_and_saveexec_b64 s[10:11], vcc
	s_cbranch_execz .LBB132_433
; %bb.425:                              ;   in Loop: Header=BB132_6 Depth=1
	s_mov_b64 s[54:55], 0
	v_mov_b32_e32 v8, v0
	v_pk_mov_b32 v[6:7], v[0:1], v[0:1] op_sel:[0,1]
                                        ; implicit-def: $sgpr74_sgpr75
	s_branch .LBB132_427
.LBB132_426:                            ;   in Loop: Header=BB132_427 Depth=2
	s_or_b64 exec, exec, s[76:77]
	s_waitcnt lgkmcnt(0)
	s_barrier
	ds_read_u16 v9, v15 offset:3072
	v_mov_b32_e32 v14, s86
	v_add_co_u32_e32 v6, vcc, s33, v6
	v_addc_co_u32_e32 v7, vcc, v7, v14, vcc
	s_waitcnt lgkmcnt(0)
	v_cmp_ne_u16_sdwa s[0:1], v9, v15 src0_sel:BYTE_0 src1_sel:DWORD
	v_cmp_ge_u64_e32 vcc, v[6:7], v[4:5]
	s_or_b64 s[70:71], vcc, s[0:1]
	s_and_b64 s[70:71], exec, s[70:71]
	s_or_b64 s[54:55], s[70:71], s[54:55]
	s_andn2_b64 s[70:71], s[74:75], exec
	s_and_b64 s[0:1], s[0:1], exec
	v_add_u32_e32 v8, s33, v8
	s_or_b64 s[74:75], s[70:71], s[0:1]
	s_barrier
	s_andn2_b64 exec, exec, s[54:55]
	s_cbranch_execz .LBB132_432
.LBB132_427:                            ;   Parent Loop BB132_6 Depth=1
                                        ; =>  This Inner Loop Header: Depth=2
	v_cmp_gt_u64_e32 vcc, s[4:5], v[6:7]
	v_mov_b32_e32 v9, 0
	s_and_saveexec_b64 s[76:77], vcc
	s_cbranch_execz .LBB132_429
; %bb.428:                              ;   in Loop: Header=BB132_427 Depth=2
	ds_read_u8 v9, v8
.LBB132_429:                            ;   in Loop: Header=BB132_427 Depth=2
	s_or_b64 exec, exec, s[76:77]
	s_and_saveexec_b64 s[76:77], vcc
	s_cbranch_execz .LBB132_426
; %bb.430:                              ;   in Loop: Header=BB132_427 Depth=2
	s_waitcnt lgkmcnt(0)
	v_add_u32_sdwa v14, sext(v9), s84 dst_sel:DWORD dst_unused:UNUSED_PAD src0_sel:BYTE_0 src1_sel:DWORD
	v_and_b32_e32 v14, v14, v37
	v_cmp_eq_u32_e32 vcc, v14, v38
	s_and_b64 exec, exec, vcc
	s_cbranch_execz .LBB132_426
; %bb.431:                              ;   in Loop: Header=BB132_427 Depth=2
	v_lshlrev_b16_e32 v9, 8, v9
	v_or_b32_e32 v9, 1, v9
	ds_write_b16 v15, v9 offset:3072
	s_branch .LBB132_426
.LBB132_432:                            ;   in Loop: Header=BB132_6 Depth=1
	s_or_b64 exec, exec, s[54:55]
	v_lshrrev_b16_e32 v39, 8, v9
	s_and_b64 s[74:75], s[74:75], exec
.LBB132_433:                            ;   in Loop: Header=BB132_6 Depth=1
	s_or_b64 exec, exec, s[10:11]
	s_mov_b64 s[4:5], 0
	s_mov_b64 s[10:11], -1
.LBB132_434:                            ;   in Loop: Header=BB132_6 Depth=1
	s_and_b64 vcc, exec, s[4:5]
	s_mov_b64 s[54:55], s[4:5]
	s_cbranch_vccz .LBB132_450
; %bb.435:                              ;   in Loop: Header=BB132_6 Depth=1
	v_readlane_b32 s70, v48, 35
	v_readlane_b32 s71, v48, 36
	s_mov_b32 s70, s79
	s_cmp_lg_u64 s[70:71], 0
	v_writelane_b32 v48, s70, 35
	v_writelane_b32 v48, s71, 36
	s_cbranch_scc0 .LBB132_437
; %bb.436:                              ;   in Loop: Header=BB132_6 Depth=1
	v_cvt_f32_u32_e32 v4, s33
	s_sub_u32 s0, 0, s33
	s_subb_u32 s1, 0, 0
	v_mac_f32_e32 v4, 0, v36
	v_rcp_f32_e32 v4, v4
	v_mul_f32_e32 v4, 0x5f7ffffc, v4
	v_mul_f32_e32 v5, 0x2f800000, v4
	v_trunc_f32_e32 v5, v5
	v_mac_f32_e32 v4, 0xcf800000, v5
	v_cvt_u32_f32_e32 v5, v5
	v_cvt_u32_f32_e32 v4, v4
	v_readfirstlane_b32 s4, v5
	v_readfirstlane_b32 s5, v4
	s_mul_i32 s10, s0, s4
	s_mul_hi_u32 s54, s0, s5
	s_mul_i32 s11, s1, s5
	s_add_i32 s10, s54, s10
	s_mul_i32 s55, s0, s5
	s_add_i32 s10, s10, s11
	s_mul_hi_u32 s54, s5, s55
	s_mul_hi_u32 s11, s5, s10
	s_mul_i32 s5, s5, s10
	s_add_u32 s5, s54, s5
	s_addc_u32 s11, 0, s11
	s_mul_hi_u32 s70, s4, s55
	s_mul_i32 s55, s4, s55
	s_add_u32 s5, s5, s55
	s_mul_hi_u32 s54, s4, s10
	s_addc_u32 s5, s11, s70
	s_addc_u32 s11, s54, 0
	s_mul_i32 s10, s4, s10
	s_add_u32 s5, s5, s10
	s_addc_u32 s10, 0, s11
	v_add_co_u32_e32 v4, vcc, s5, v4
	s_cmp_lg_u64 vcc, 0
	s_addc_u32 s4, s4, s10
	v_readfirstlane_b32 s10, v4
	s_mul_i32 s5, s0, s4
	s_mul_hi_u32 s11, s0, s10
	s_add_i32 s5, s11, s5
	s_mul_i32 s1, s1, s10
	s_add_i32 s5, s5, s1
	s_mul_i32 s0, s0, s10
	s_mul_hi_u32 s11, s4, s0
	s_mul_i32 s54, s4, s0
	s_mul_i32 s70, s10, s5
	s_mul_hi_u32 s0, s10, s0
	s_mul_hi_u32 s55, s10, s5
	s_add_u32 s0, s0, s70
	s_addc_u32 s10, 0, s55
	s_add_u32 s0, s0, s54
	s_mul_hi_u32 s1, s4, s5
	s_addc_u32 s0, s10, s11
	s_addc_u32 s1, s1, 0
	s_mul_i32 s5, s4, s5
	s_add_u32 s0, s0, s5
	s_addc_u32 s1, 0, s1
	v_add_co_u32_e32 v4, vcc, s0, v4
	s_cmp_lg_u64 vcc, 0
	s_addc_u32 s0, s4, s1
	v_readlane_b32 s54, v48, 33
	v_readfirstlane_b32 s5, v4
	s_mul_i32 s4, s54, s0
	s_mul_hi_u32 s10, s54, s5
	s_mul_hi_u32 s1, s54, s0
	s_add_u32 s4, s10, s4
	s_addc_u32 s1, 0, s1
	s_mul_hi_u32 s11, s71, s5
	s_mul_i32 s5, s71, s5
	s_add_u32 s4, s4, s5
	s_mul_hi_u32 s10, s71, s0
	s_addc_u32 s1, s1, s11
	s_addc_u32 s4, s10, 0
	s_mul_i32 s0, s71, s0
	s_add_u32 s0, s1, s0
	s_addc_u32 s1, 0, s4
	s_mul_hi_u32 s4, s33, s0
	s_mul_i32 s0, s33, s0
	s_mul_i32 s1, s33, s1
	v_mov_b32_e32 v4, s0
	s_add_i32 s4, s4, s1
	v_sub_co_u32_e32 v4, vcc, s54, v4
	s_cmp_lg_u64 vcc, 0
	s_subb_u32 s0, s71, s4
	v_subrev_co_u32_e32 v5, vcc, s33, v4
	s_cmp_lg_u64 vcc, 0
	s_subb_u32 s1, s0, 0
	v_subrev_co_u32_e32 v6, vcc, s33, v5
	s_cmp_lg_u64 vcc, 0
	s_subb_u32 s4, s1, 0
	v_cmp_le_u32_e32 vcc, s33, v5
	s_cmp_eq_u32 s1, 0
	v_cndmask_b32_e64 v7, 0, -1, vcc
	s_cselect_b64 vcc, -1, 0
	v_cndmask_b32_e32 v7, -1, v7, vcc
	v_mov_b32_e32 v8, s1
	v_mov_b32_e32 v9, s4
	v_cmp_ne_u32_e32 vcc, 0, v7
	v_cndmask_b32_e32 v7, v8, v9, vcc
	v_cndmask_b32_e32 v6, v5, v6, vcc
	v_cmp_le_u32_e32 vcc, s33, v4
	s_cmp_eq_u32 s0, 0
	v_cndmask_b32_e64 v5, 0, -1, vcc
	s_cselect_b64 vcc, -1, 0
	v_cndmask_b32_e32 v5, -1, v5, vcc
	v_mov_b32_e32 v8, s0
	v_cmp_ne_u32_e32 vcc, 0, v5
	v_cndmask_b32_e32 v5, v8, v7, vcc
	v_cndmask_b32_e32 v4, v4, v6, vcc
	s_mov_b64 s[4:5], 0
	s_branch .LBB132_438
.LBB132_437:                            ;   in Loop: Header=BB132_6 Depth=1
	s_mov_b64 s[4:5], -1
                                        ; implicit-def: $vgpr4_vgpr5
.LBB132_438:                            ;   in Loop: Header=BB132_6 Depth=1
	s_andn2_b64 vcc, exec, s[4:5]
	s_cbranch_vccnz .LBB132_440
; %bb.439:                              ;   in Loop: Header=BB132_6 Depth=1
	v_cvt_f32_u32_e32 v4, s33
	s_sub_i32 s0, 0, s33
	v_rcp_iflag_f32_e32 v4, v4
	v_mul_f32_e32 v4, 0x4f7ffffe, v4
	v_cvt_u32_f32_e32 v4, v4
	v_mul_lo_u32 v5, s0, v4
	v_mul_hi_u32 v5, v4, v5
	v_add_u32_e32 v4, v4, v5
	v_readlane_b32 s0, v48, 33
	v_mul_hi_u32 v4, s0, v4
	v_mul_lo_u32 v4, v4, s33
	v_sub_u32_e32 v4, s0, v4
	v_subrev_u32_e32 v5, s33, v4
	v_cmp_le_u32_e32 vcc, s33, v4
	v_cndmask_b32_e32 v4, v4, v5, vcc
	v_subrev_u32_e32 v5, s33, v4
	v_cmp_le_u32_e32 vcc, s33, v4
	v_cndmask_b32_e32 v14, v4, v5, vcc
	v_pk_mov_b32 v[4:5], v[14:15], v[14:15] op_sel:[0,1]
.LBB132_440:                            ;   in Loop: Header=BB132_6 Depth=1
	v_readlane_b32 s0, v48, 35
	v_readlane_b32 s1, v48, 36
	;; [unrolled: 1-line block ×3, first 2 shown]
	v_mov_b32_e32 v6, s1
	v_sub_co_u32_e32 v4, vcc, s0, v4
	v_subb_co_u32_e32 v5, vcc, v6, v5, vcc
	v_cmp_gt_u64_e32 vcc, v[4:5], v[0:1]
	s_mov_b64 s[74:75], 0
                                        ; implicit-def: $vgpr39
	s_and_saveexec_b64 s[4:5], vcc
	s_cbranch_execz .LBB132_449
; %bb.441:                              ;   in Loop: Header=BB132_6 Depth=1
	s_mov_b64 s[10:11], 0
	v_pk_mov_b32 v[6:7], v[12:13], v[12:13] op_sel:[0,1]
	v_pk_mov_b32 v[8:9], v[0:1], v[0:1] op_sel:[0,1]
                                        ; implicit-def: $sgpr54_sgpr55
	s_branch .LBB132_443
.LBB132_442:                            ;   in Loop: Header=BB132_443 Depth=2
	s_or_b64 exec, exec, s[74:75]
	s_waitcnt lgkmcnt(0)
	s_barrier
	s_waitcnt vmcnt(0)
	ds_read_u16 v14, v15 offset:3072
	v_mov_b32_e32 v26, s86
	v_add_co_u32_e32 v8, vcc, s33, v8
	v_addc_co_u32_e32 v9, vcc, v9, v26, vcc
	s_waitcnt lgkmcnt(0)
	v_cmp_ne_u16_sdwa s[0:1], v14, v15 src0_sel:BYTE_0 src1_sel:DWORD
	v_cmp_ge_u64_e32 vcc, v[8:9], v[4:5]
	s_or_b64 s[70:71], vcc, s[0:1]
	s_and_b64 s[70:71], exec, s[70:71]
	s_mul_i32 s74, s62, s33
	s_or_b64 s[10:11], s[70:71], s[10:11]
	v_mov_b32_e32 v26, s87
	v_add_co_u32_e32 v6, vcc, s74, v6
	s_andn2_b64 s[54:55], s[54:55], exec
	s_and_b64 s[0:1], s[0:1], exec
	v_addc_co_u32_e32 v7, vcc, v7, v26, vcc
	s_or_b64 s[54:55], s[54:55], s[0:1]
	s_barrier
	s_andn2_b64 exec, exec, s[10:11]
	s_cbranch_execz .LBB132_448
.LBB132_443:                            ;   Parent Loop BB132_6 Depth=1
                                        ; =>  This Inner Loop Header: Depth=2
	v_cmp_gt_u64_e32 vcc, s[56:57], v[8:9]
	v_mov_b32_e32 v14, 0
	s_and_saveexec_b64 s[74:75], vcc
	s_cbranch_execz .LBB132_445
; %bb.444:                              ;   in Loop: Header=BB132_443 Depth=2
	global_load_ubyte v14, v[6:7], off
.LBB132_445:                            ;   in Loop: Header=BB132_443 Depth=2
	s_or_b64 exec, exec, s[74:75]
	s_and_saveexec_b64 s[74:75], vcc
	s_cbranch_execz .LBB132_442
; %bb.446:                              ;   in Loop: Header=BB132_443 Depth=2
	s_waitcnt vmcnt(0)
	v_add_u32_sdwa v26, sext(v14), s84 dst_sel:DWORD dst_unused:UNUSED_PAD src0_sel:BYTE_0 src1_sel:DWORD
	v_and_b32_e32 v26, v26, v37
	v_cmp_eq_u32_e32 vcc, v26, v38
	s_and_b64 exec, exec, vcc
	s_cbranch_execz .LBB132_442
; %bb.447:                              ;   in Loop: Header=BB132_443 Depth=2
	v_lshlrev_b16_e32 v14, 8, v14
	v_or_b32_e32 v14, 1, v14
	ds_write_b16 v15, v14 offset:3072
	s_branch .LBB132_442
.LBB132_448:                            ;   in Loop: Header=BB132_6 Depth=1
	s_or_b64 exec, exec, s[10:11]
	v_lshrrev_b16_e32 v39, 8, v14
	s_and_b64 s[74:75], s[54:55], exec
.LBB132_449:                            ;   in Loop: Header=BB132_6 Depth=1
	s_or_b64 exec, exec, s[4:5]
	s_mov_b64 s[10:11], 0
	s_mov_b64 s[4:5], -1
	s_mov_b64 s[54:55], 0
.LBB132_450:                            ;   in Loop: Header=BB132_6 Depth=1
	s_orn2_b64 s[74:75], s[74:75], exec
.LBB132_451:                            ;   in Loop: Header=BB132_6 Depth=1
	s_or_b64 exec, exec, s[52:53]
	s_mov_b64 s[76:77], 0
                                        ; implicit-def: $vgpr6
                                        ; implicit-def: $vgpr4_vgpr5
	s_and_saveexec_b64 s[52:53], s[74:75]
	s_cbranch_execz .LBB132_463
; %bb.452:                              ;   in Loop: Header=BB132_6 Depth=1
	v_mov_b32_e32 v4, 1
	s_xor_b64 s[0:1], s[50:51], -1
	v_mov_b32_e32 v6, 1
	v_mov_b32_e32 v5, 0
	s_and_saveexec_b64 s[50:51], s[0:1]
	s_cbranch_execz .LBB132_462
; %bb.453:                              ;   in Loop: Header=BB132_6 Depth=1
	v_cmp_ge_u64_e32 vcc, s[16:17], v[2:3]
                                        ; implicit-def: $sgpr0
	s_and_saveexec_b64 s[70:71], vcc
	s_xor_b64 s[74:75], exec, s[70:71]
	s_cbranch_execz .LBB132_459
; %bb.454:                              ;   in Loop: Header=BB132_6 Depth=1
	ds_read_b64 v[4:5], v15 offset:5120
	s_waitcnt lgkmcnt(0)
	v_cmp_ne_u64_e32 vcc, 0, v[4:5]
	s_cbranch_vccnz .LBB132_458
; %bb.455:                              ;   in Loop: Header=BB132_6 Depth=1
	s_mov_b64 s[76:77], exec
	v_readlane_b32 s0, v48, 8
	v_readlane_b32 s1, v48, 9
	s_and_b64 s[0:1], s[76:77], s[0:1]
	s_mov_b64 exec, s[0:1]
	s_cbranch_execz .LBB132_457
; %bb.456:                              ;   in Loop: Header=BB132_6 Depth=1
	v_pk_mov_b32 v[4:5], s[16:17], s[16:17] op_sel:[0,1]
	ds_write_b64 v15, v[4:5] offset:5128
.LBB132_457:                            ;   in Loop: Header=BB132_6 Depth=1
	s_or_b64 exec, exec, s[76:77]
	s_waitcnt lgkmcnt(0)
	s_barrier
.LBB132_458:                            ;   in Loop: Header=BB132_6 Depth=1
	v_and_b32_e32 v38, s92, v38
	v_or_b32_e32 v37, s78, v37
	s_mov_b32 s0, 5
.LBB132_459:                            ;   in Loop: Header=BB132_6 Depth=1
	s_or_saveexec_b64 s[74:75], s[74:75]
	v_mov_b32_e32 v6, s0
	s_xor_b64 exec, exec, s[74:75]
; %bb.460:                              ;   in Loop: Header=BB132_6 Depth=1
	v_mov_b32_e32 v4, s17
	v_subrev_co_u32_e32 v2, vcc, s16, v2
	v_subb_co_u32_e32 v3, vcc, v3, v4, vcc
	v_mov_b32_e32 v6, 5
; %bb.461:                              ;   in Loop: Header=BB132_6 Depth=1
	s_or_b64 exec, exec, s[74:75]
	v_pk_mov_b32 v[4:5], v[2:3], v[2:3] op_sel:[0,1]
.LBB132_462:                            ;   in Loop: Header=BB132_6 Depth=1
	s_or_b64 exec, exec, s[50:51]
	s_mov_b64 s[76:77], exec
.LBB132_463:                            ;   in Loop: Header=BB132_6 Depth=1
	s_or_b64 exec, exec, s[52:53]
	s_orn2_b64 s[50:51], s[76:77], exec
	v_pk_mov_b32 v[2:3], v[4:5], v[4:5] op_sel:[0,1]
.LBB132_464:                            ;   in Loop: Header=BB132_6 Depth=1
	s_or_b64 exec, exec, s[18:19]
	s_andn2_b64 s[0:1], s[8:9], exec
	s_and_b64 s[4:5], s[4:5], exec
	s_or_b64 s[8:9], s[0:1], s[4:5]
	s_andn2_b64 s[0:1], s[44:45], exec
	s_and_b64 s[4:5], s[10:11], exec
	s_or_b64 s[44:45], s[0:1], s[4:5]
	;; [unrolled: 3-line block ×3, first 2 shown]
	s_and_b64 s[4:5], s[50:51], exec
	v_pk_mov_b32 v[4:5], v[2:3], v[2:3] op_sel:[0,1]
.LBB132_465:                            ;   in Loop: Header=BB132_6 Depth=1
	s_or_b64 exec, exec, s[48:49]
	s_and_b64 s[48:49], s[8:9], exec
	s_and_b64 s[10:11], s[44:45], exec
	s_and_b64 s[8:9], s[46:47], exec
	s_orn2_b64 s[4:5], s[4:5], exec
.LBB132_466:                            ;   in Loop: Header=BB132_6 Depth=1
	s_or_b64 exec, exec, s[22:23]
	s_andn2_b64 s[0:1], s[24:25], exec
	s_and_b64 s[16:17], s[48:49], exec
	s_or_b64 s[24:25], s[0:1], s[16:17]
	s_andn2_b64 s[0:1], s[36:37], exec
	s_and_b64 s[10:11], s[10:11], exec
	s_or_b64 s[36:37], s[0:1], s[10:11]
	;; [unrolled: 3-line block ×3, first 2 shown]
	s_and_b64 s[44:45], s[4:5], exec
	v_pk_mov_b32 v[2:3], v[4:5], v[4:5] op_sel:[0,1]
.LBB132_467:                            ;   in Loop: Header=BB132_6 Depth=1
	s_or_b64 exec, exec, s[42:43]
	s_and_b64 s[10:11], s[24:25], exec
	s_and_b64 s[8:9], s[36:37], exec
	;; [unrolled: 1-line block ×3, first 2 shown]
	s_orn2_b64 s[24:25], s[44:45], exec
.LBB132_468:                            ;   in Loop: Header=BB132_6 Depth=1
	s_or_b64 exec, exec, s[6:7]
	s_mov_b64 s[6:7], s[28:29]
	s_mov_b64 s[16:17], s[26:27]
	s_and_saveexec_b64 s[18:19], s[24:25]
; %bb.469:                              ;   in Loop: Header=BB132_6 Depth=1
	v_cmp_ne_u32_e64 s[6:7], 5, v6
	v_cmp_eq_u32_e32 vcc, 5, v6
	s_andn2_b64 s[0:1], s[26:27], exec
	s_and_b64 s[6:7], s[6:7], exec
	s_or_b64 s[16:17], s[0:1], s[6:7]
	s_andn2_b64 s[0:1], s[28:29], exec
	s_and_b64 s[6:7], vcc, exec
	s_andn2_b64 s[10:11], s[10:11], exec
	s_andn2_b64 s[8:9], s[8:9], exec
	;; [unrolled: 1-line block ×3, first 2 shown]
	s_or_b64 s[6:7], s[0:1], s[6:7]
; %bb.470:                              ;   in Loop: Header=BB132_6 Depth=1
	s_or_b64 exec, exec, s[18:19]
	s_andn2_b64 s[0:1], s[14:15], exec
	s_and_b64 s[10:11], s[10:11], exec
	s_or_b64 s[14:15], s[0:1], s[10:11]
	s_andn2_b64 s[0:1], s[38:39], exec
	s_and_b64 s[8:9], s[8:9], exec
	s_or_b64 s[38:39], s[0:1], s[8:9]
	;; [unrolled: 3-line block ×5, first 2 shown]
	v_mov_b32_e32 v28, v38
	v_mov_b32_e32 v29, v37
	;; [unrolled: 1-line block ×3, first 2 shown]
.LBB132_471:                            ;   in Loop: Header=BB132_6 Depth=1
	s_or_b64 exec, exec, s[34:35]
	s_mov_b64 s[36:37], s[20:21]
	s_mov_b64 s[34:35], s[20:21]
	s_and_saveexec_b64 s[4:5], s[28:29]
.LBB132_472:                            ;   in Loop: Header=BB132_6 Depth=1
	v_mov_b32_e32 v6, 0
	s_andn2_b64 s[20:21], s[20:21], exec
	s_andn2_b64 s[14:15], s[14:15], exec
	;; [unrolled: 1-line block ×5, first 2 shown]
	s_or_b64 s[26:27], s[26:27], exec
.LBB132_473:                            ;   in Loop: Header=BB132_6 Depth=1
	s_or_b64 exec, exec, s[4:5]
	s_andn2_b64 s[0:1], s[30:31], exec
	s_and_b64 s[4:5], s[20:21], exec
	s_or_b64 s[30:31], s[0:1], s[4:5]
	s_andn2_b64 s[0:1], s[64:65], exec
	s_and_b64 s[4:5], s[14:15], exec
	s_or_b64 s[64:65], s[0:1], s[4:5]
	;; [unrolled: 3-line block ×4, first 2 shown]
	v_readlane_b32 s0, v48, 49
	v_readlane_b32 s1, v48, 50
	s_andn2_b64 s[0:1], s[0:1], exec
	s_and_b64 s[4:5], s[34:35], exec
	s_mov_b64 s[6:7], -1
	s_or_b64 s[22:23], s[0:1], s[4:5]
                                        ; implicit-def: $vgpr37
                                        ; implicit-def: $vgpr38
                                        ; implicit-def: $vgpr26_vgpr27
                                        ; implicit-def: $vgpr39
	s_and_saveexec_b64 s[0:1], s[26:27]
	s_xor_b64 s[4:5], exec, s[0:1]
	s_cbranch_execz .LBB132_5
; %bb.474:                              ;   in Loop: Header=BB132_6 Depth=1
	v_cmp_eq_u32_e32 vcc, 0, v6
	s_mov_b64 s[8:9], -1
	s_and_saveexec_b64 s[10:11], vcc
	s_cbranch_execz .LBB132_4
; %bb.475:                              ;   in Loop: Header=BB132_6 Depth=1
	v_readlane_b32 s0, v48, 48
	s_xor_b32 s0, s0, 1
	v_writelane_b32 v48, s0, 48
	v_readlane_b32 s0, v48, 39
	s_add_i32 s14, s0, -2
	s_cmp_eq_u32 s0, 0
	s_cselect_b64 s[0:1], -1, 0
	s_xor_b64 s[8:9], exec, -1
	s_orn2_b64 s[6:7], s[0:1], exec
	v_writelane_b32 v48, s14, 39
	s_branch .LBB132_4
.LBB132_476:
	s_or_b64 exec, exec, s[94:95]
	s_xor_b64 s[4:5], s[2:3], -1
	s_xor_b64 s[14:15], s[60:61], -1
	s_xor_b64 s[12:13], s[68:69], -1
	s_xor_b64 s[0:1], s[66:67], -1
	s_xor_b64 s[2:3], s[72:73], -1
	s_mov_b64 s[8:9], 0
	s_and_saveexec_b64 s[6:7], s[0:1]
	s_xor_b64 s[6:7], exec, s[6:7]
	s_cbranch_execnz .LBB132_481
; %bb.477:
	s_andn2_saveexec_b64 s[0:1], s[6:7]
	s_cbranch_execnz .LBB132_500
.LBB132_478:
	s_or_b64 exec, exec, s[0:1]
	s_and_saveexec_b64 s[0:1], s[8:9]
.LBB132_479:
	; divergent unreachable
.LBB132_480:
	s_endpgm
.LBB132_481:
	s_mov_b64 s[10:11], 0
	s_and_saveexec_b64 s[0:1], s[12:13]
	s_xor_b64 s[8:9], exec, s[0:1]
	s_cbranch_execz .LBB132_498
; %bb.482:
	s_mov_b64 s[12:13], 0
	s_and_saveexec_b64 s[0:1], s[14:15]
	s_xor_b64 s[10:11], exec, s[0:1]
	s_cbranch_execz .LBB132_496
; %bb.483:
	s_mov_b64 s[14:15], 0
	s_and_saveexec_b64 s[0:1], s[4:5]
	s_xor_b64 s[12:13], exec, s[0:1]
	s_cbranch_execz .LBB132_494
; %bb.484:
	s_and_saveexec_b64 s[0:1], s[2:3]
	s_xor_b64 s[2:3], exec, s[0:1]
; %bb.485:
	v_xor_b32_e32 v30, 0xffffff80, v28
; %bb.486:
	s_or_b64 exec, exec, s[2:3]
	s_mov_b64 s[2:3], exec
	v_readlane_b32 s4, v48, 10
	v_readlane_b32 s5, v48, 11
	s_load_dwordx2 s[38:39], s[4:5], 0x0
	v_readlane_b32 s0, v48, 8
	v_readlane_b32 s1, v48, 9
	;; [unrolled: 1-line block ×3, first 2 shown]
	s_and_b64 s[0:1], s[2:3], s[0:1]
	v_readlane_b32 s41, v48, 17
	v_readlane_b32 s16, v48, 12
	;; [unrolled: 1-line block ×3, first 2 shown]
	s_mov_b64 exec, s[0:1]
	s_cbranch_execz .LBB132_488
; %bb.487:
	v_mov_b32_e32 v2, 0
	v_mov_b32_e32 v3, v2
	ds_write_b64 v2, v[2:3] offset:5136
.LBB132_488:
	s_or_b64 exec, exec, s[2:3]
	v_mov_b32_e32 v20, 0
	s_waitcnt lgkmcnt(0)
	s_barrier
	s_mov_b64 s[2:3], exec
	v_readlane_b32 s0, v48, 26
	v_readlane_b32 s1, v48, 27
	s_and_b64 s[0:1], s[2:3], s[0:1]
	s_mov_b64 exec, s[0:1]
	s_cbranch_execz .LBB132_490
; %bb.489:
	global_load_ubyte v20, v[12:13], off
.LBB132_490:
	s_or_b64 exec, exec, s[2:3]
	v_readlane_b32 s18, v48, 4
	s_add_u32 s0, s56, 63
	v_readlane_b32 s19, v48, 5
	s_addc_u32 s15, s57, 0
	s_and_b32 s14, s0, 0xffffffc0
	s_mul_i32 s0, s19, s16
	s_mul_hi_u32 s1, s18, s16
	s_mul_i32 s3, s18, s16
	v_readlane_b32 s18, v48, 0
	v_readlane_b32 s19, v48, 1
	s_add_i32 s2, s1, s0
	s_mul_i32 s0, s19, s16
	s_mul_hi_u32 s1, s18, s16
	s_add_i32 s1, s1, s0
	s_mul_i32 s0, s18, s16
	v_readlane_b32 s16, v48, 6
	s_load_dwordx2 s[18:19], s[4:5], 0x368
	s_load_dwordx2 s[20:21], s[4:5], 0x510
	v_readlane_b32 s17, v48, 7
	s_add_u32 s16, s16, s3
	s_addc_u32 s17, s17, s2
	s_lshl_b64 s[0:1], s[0:1], 3
	v_readlane_b32 s2, v48, 2
	v_readlane_b32 s3, v48, 3
	s_add_u32 s48, s2, s0
	s_addc_u32 s49, s3, s1
	v_cmp_gt_u64_e32 vcc, s[14:15], v[0:1]
	s_mov_b64 s[24:25], -1
	s_mov_b64 s[2:3], 0
	v_add_u32_e32 v18, s33, v0
	s_mov_b64 s[4:5], 0
	s_and_saveexec_b64 s[22:23], vcc
	s_cbranch_execnz .LBB132_501
; %bb.491:
	s_or_b64 exec, exec, s[22:23]
	s_and_saveexec_b64 s[22:23], s[24:25]
	s_cbranch_execnz .LBB132_516
.LBB132_492:
	s_or_b64 exec, exec, s[22:23]
	s_and_saveexec_b64 s[0:1], s[4:5]
	s_xor_b64 s[0:1], exec, s[0:1]
	s_cbranch_execnz .LBB132_538
.LBB132_493:
	s_or_b64 exec, exec, s[0:1]
	s_and_b64 s[14:15], s[2:3], exec
.LBB132_494:
	s_andn2_saveexec_b64 s[0:1], s[12:13]
	s_cbranch_execnz .LBB132_541
.LBB132_495:
	s_or_b64 exec, exec, s[0:1]
	s_and_b64 s[12:13], s[14:15], exec
.LBB132_496:
	s_andn2_saveexec_b64 s[0:1], s[10:11]
	s_cbranch_execnz .LBB132_540
.LBB132_497:
	s_or_b64 exec, exec, s[0:1]
	s_and_b64 s[10:11], s[12:13], exec
.LBB132_498:
	s_andn2_saveexec_b64 s[0:1], s[8:9]
	s_cbranch_execnz .LBB132_539
.LBB132_499:
	s_or_b64 exec, exec, s[0:1]
	s_and_b64 s[8:9], s[10:11], exec
	s_andn2_saveexec_b64 s[0:1], s[6:7]
	s_cbranch_execz .LBB132_478
.LBB132_500:
	s_or_b64 s[8:9], s[8:9], exec
	s_trap 2
	s_or_b64 exec, exec, s[0:1]
	s_and_saveexec_b64 s[0:1], s[8:9]
	s_cbranch_execnz .LBB132_479
	s_branch .LBB132_480
.LBB132_501:
	v_readlane_b32 s1, v48, 14
	s_add_u32 s4, s38, s1
	v_readlane_b32 s1, v48, 15
	s_addc_u32 s5, s39, s1
	v_pk_mov_b32 v[2:3], s[4:5], s[4:5] op_sel:[0,1]
	v_mad_u64_u32 v[2:3], s[4:5], s62, v18, v[2:3]
	v_mov_b32_e32 v4, v3
	s_movk_i32 s0, 0x80
	v_mad_u64_u32 v[4:5], s[4:5], s63, v18, v[4:5]
	v_add_u32_sdwa v19, sext(v30), s0 dst_sel:DWORD dst_unused:UNUSED_PAD src0_sel:BYTE_0 src1_sel:DWORD
	v_mov_b32_e32 v3, v4
	s_mov_b64 s[24:25], 0
	v_mov_b32_e32 v21, s86
	v_mov_b32_e32 v5, 0
	v_pk_mov_b32 v[14:15], v[0:1], v[0:1] op_sel:[0,1]
                                        ; implicit-def: $sgpr26_sgpr27
                                        ; implicit-def: $vgpr8_vgpr9
	s_branch .LBB132_503
.LBB132_502:                            ;   in Loop: Header=BB132_503 Depth=1
	s_or_b64 exec, exec, s[28:29]
	s_xor_b64 s[28:29], s[34:35], -1
	s_and_b64 s[4:5], exec, s[4:5]
	s_or_b64 s[24:25], s[4:5], s[24:25]
	s_andn2_b64 s[4:5], s[26:27], exec
	s_and_b64 s[26:27], s[28:29], exec
	s_or_b64 s[26:27], s[4:5], s[26:27]
	v_mov_b32_e32 v20, v22
	v_pk_mov_b32 v[14:15], v[6:7], v[6:7] op_sel:[0,1]
	s_andn2_b64 exec, exec, s[24:25]
	s_cbranch_execz .LBB132_515
.LBB132_503:                            ; =>This Inner Loop Header: Depth=1
	v_add_co_u32_e32 v6, vcc, s33, v14
	v_addc_co_u32_e32 v7, vcc, v15, v21, vcc
	v_cmp_gt_u64_e32 vcc, s[56:57], v[6:7]
	v_mov_b32_e32 v22, 0
	s_and_saveexec_b64 s[4:5], vcc
	s_cbranch_execz .LBB132_505
; %bb.504:                              ;   in Loop: Header=BB132_503 Depth=1
	global_load_ubyte v22, v[2:3], off
.LBB132_505:                            ;   in Loop: Header=BB132_503 Depth=1
	s_or_b64 exec, exec, s[4:5]
	s_waitcnt vmcnt(0)
	v_add_u32_sdwa v4, sext(v20), s0 dst_sel:DWORD dst_unused:UNUSED_PAD src0_sel:BYTE_0 src1_sel:DWORD
	v_cmp_gt_u32_e64 s[4:5], v4, v19
	v_cndmask_b32_e64 v16, 0, 1, s[4:5]
	v_cmp_lt_u32_e64 s[4:5], v4, v19
	v_cndmask_b32_e64 v4, 0, 1, s[4:5]
	v_cndmask_b32_e64 v4, v4, v16, s[40:41]
	v_and_b32_e32 v4, 1, v4
	v_cmp_gt_u64_e32 vcc, s[56:57], v[14:15]
	v_cmp_eq_u32_e64 s[4:5], 1, v4
	s_and_b64 s[28:29], vcc, s[4:5]
	v_cndmask_b32_e64 v4, 0, 1, s[28:29]
	v_cmp_ne_u32_e32 vcc, 0, v4
	s_cmp_lg_u64 vcc, 0
	v_readlane_b32 s30, v48, 20
	s_cselect_b64 s[4:5], -1, 0
	v_readlane_b32 s31, v48, 21
	s_and_b64 s[4:5], s[30:31], s[4:5]
	s_and_saveexec_b64 s[30:31], s[4:5]
	s_cbranch_execz .LBB132_509
; %bb.506:                              ;   in Loop: Header=BB132_503 Depth=1
	s_mov_b64 s[36:37], exec
	v_mbcnt_lo_u32_b32 v4, s36, 0
	v_mbcnt_hi_u32_b32 v16, s37, v4
	s_bcnt1_i32_b64 s1, vcc
	v_cmp_eq_u32_e64 s[4:5], 0, v16
                                        ; implicit-def: $vgpr8_vgpr9
	s_and_saveexec_b64 s[34:35], s[4:5]
	s_cbranch_execz .LBB132_508
; %bb.507:                              ;   in Loop: Header=BB132_503 Depth=1
	s_bcnt1_i32_b64 s4, s[36:37]
	s_mul_i32 s4, s1, s4
	v_mov_b32_e32 v4, s4
	s_waitcnt lgkmcnt(0)
	ds_add_rtn_u64 v[8:9], v5, v[4:5] offset:5136
.LBB132_508:                            ;   in Loop: Header=BB132_503 Depth=1
	s_or_b64 exec, exec, s[34:35]
	s_waitcnt lgkmcnt(0)
	v_readfirstlane_b32 s4, v9
	v_readfirstlane_b32 s5, v8
	v_mov_b32_e32 v8, s5
	v_mov_b32_e32 v9, s4
	v_mad_u64_u32 v[8:9], s[4:5], s1, v16, v[8:9]
.LBB132_509:                            ;   in Loop: Header=BB132_503 Depth=1
	s_or_b64 exec, exec, s[30:31]
	s_waitcnt lgkmcnt(0)
	ds_bpermute_b32 v8, v32, v8
	ds_bpermute_b32 v9, v32, v9
	s_mov_b64 s[4:5], -1
	s_mov_b64 s[36:37], -1
                                        ; implicit-def: $sgpr34_sgpr35
	s_and_saveexec_b64 s[30:31], s[28:29]
	s_cbranch_execz .LBB132_513
; %bb.510:                              ;   in Loop: Header=BB132_503 Depth=1
	v_and_b32_e32 v16, vcc_lo, v10
	v_and_b32_e32 v4, vcc_hi, v11
	v_bcnt_u32_b32 v16, v16, 0
	v_bcnt_u32_b32 v4, v4, v16
	s_waitcnt lgkmcnt(0)
	v_add_co_u32_e32 v16, vcc, v8, v4
	v_addc_co_u32_e32 v17, vcc, 0, v9, vcc
	v_cmp_gt_u64_e32 vcc, s[58:59], v[16:17]
	s_mov_b64 s[28:29], 0
	s_and_saveexec_b64 s[34:35], vcc
	s_cbranch_execz .LBB132_512
; %bb.511:                              ;   in Loop: Header=BB132_503 Depth=1
	v_mul_lo_u32 v4, v17, s20
	v_mul_lo_u32 v23, v16, s21
	v_mad_u64_u32 v[24:25], s[36:37], v16, s20, 0
	v_pk_mov_b32 v[26:27], s[16:17], s[16:17] op_sel:[0,1]
	v_add3_u32 v25, v25, v23, v4
	v_mad_u64_u32 v[26:27], s[36:37], v16, s18, v[26:27]
	v_mul_lo_u32 v4, v16, s19
	v_mul_lo_u32 v16, v17, s18
	v_add3_u32 v27, v16, v27, v4
	v_lshlrev_b64 v[16:17], 3, v[24:25]
	v_mov_b32_e32 v4, s49
	v_add_co_u32_e32 v16, vcc, s48, v16
	s_mov_b64 s[28:29], exec
	v_addc_co_u32_e32 v17, vcc, v4, v17, vcc
	global_store_byte v[26:27], v20, off
	global_store_dwordx2 v[16:17], v[14:15], off
.LBB132_512:                            ;   in Loop: Header=BB132_503 Depth=1
	s_or_b64 exec, exec, s[34:35]
	s_mov_b64 s[34:35], -1
	s_orn2_b64 s[36:37], s[28:29], exec
.LBB132_513:                            ;   in Loop: Header=BB132_503 Depth=1
	s_or_b64 exec, exec, s[30:31]
	s_and_saveexec_b64 s[28:29], s[36:37]
	s_cbranch_execz .LBB132_502
; %bb.514:                              ;   in Loop: Header=BB132_503 Depth=1
	s_mul_i32 s1, s62, s33
	v_mov_b32_e32 v4, s87
	v_add_co_u32_e32 v2, vcc, s1, v2
	v_addc_co_u32_e32 v3, vcc, v3, v4, vcc
	v_cmp_le_u64_e32 vcc, s[14:15], v[6:7]
	s_andn2_b64 s[34:35], s[34:35], exec
	s_orn2_b64 s[4:5], vcc, exec
	s_branch .LBB132_502
.LBB132_515:
	s_or_b64 exec, exec, s[24:25]
	s_mov_b64 s[4:5], exec
	s_orn2_b64 s[24:25], s[26:27], exec
	s_or_b64 exec, exec, s[22:23]
	s_and_saveexec_b64 s[22:23], s[24:25]
	s_cbranch_execz .LBB132_492
.LBB132_516:
	v_mov_b32_e32 v3, 0
	v_mov_b32_e32 v14, 0
	s_waitcnt lgkmcnt(0)
	s_barrier
	s_mov_b64 s[2:3], exec
	v_readlane_b32 s0, v48, 26
	v_readlane_b32 s1, v48, 27
	s_and_b64 s[0:1], s[2:3], s[0:1]
	s_mov_b64 exec, s[0:1]
	s_cbranch_execz .LBB132_518
; %bb.517:
	global_load_ubyte v14, v[12:13], off
.LBB132_518:
	s_or_b64 exec, exec, s[2:3]
	v_readlane_b32 s0, v48, 14
	s_add_u32 s0, s38, s0
	v_readlane_b32 s1, v48, 15
	s_addc_u32 s1, s39, s1
	v_pk_mov_b32 v[4:5], s[0:1], s[0:1] op_sel:[0,1]
	v_mad_u64_u32 v[4:5], s[0:1], s62, v18, v[4:5]
	v_mov_b32_e32 v2, v5
	v_mad_u64_u32 v[6:7], s[0:1], s63, v18, v[2:3]
	v_mov_b32_e32 v5, v6
	s_mov_b64 s[24:25], 0
                                        ; implicit-def: $sgpr26_sgpr27
                                        ; implicit-def: $sgpr28_sgpr29
                                        ; implicit-def: $sgpr30_sgpr31
                                        ; implicit-def: $vgpr6_vgpr7
	s_branch .LBB132_521
.LBB132_519:                            ;   in Loop: Header=BB132_521 Depth=1
	s_or_b64 exec, exec, s[38:39]
	s_andn2_b64 s[0:1], s[30:31], exec
	s_and_b64 s[30:31], s[42:43], exec
	s_or_b64 s[30:31], s[0:1], s[30:31]
	s_andn2_b64 s[0:1], s[28:29], exec
	s_and_b64 s[2:3], s[2:3], exec
	s_or_b64 s[28:29], s[0:1], s[2:3]
	v_pk_mov_b32 v[0:1], v[8:9], v[8:9] op_sel:[0,1]
.LBB132_520:                            ;   in Loop: Header=BB132_521 Depth=1
	s_or_b64 exec, exec, s[34:35]
	s_xor_b64 s[0:1], s[30:31], -1
	s_and_b64 s[2:3], exec, s[28:29]
	s_or_b64 s[24:25], s[2:3], s[24:25]
	s_andn2_b64 s[2:3], s[26:27], exec
	s_and_b64 s[0:1], s[0:1], exec
	s_or_b64 s[26:27], s[2:3], s[0:1]
	s_andn2_b64 exec, exec, s[24:25]
	s_cbranch_execz .LBB132_536
.LBB132_521:                            ; =>This Inner Loop Header: Depth=1
	v_cmp_gt_u64_e32 vcc, s[14:15], v[0:1]
	s_or_b64 s[30:31], s[30:31], exec
	s_or_b64 s[28:29], s[28:29], exec
	s_and_saveexec_b64 s[34:35], vcc
	s_cbranch_execz .LBB132_520
; %bb.522:                              ;   in Loop: Header=BB132_521 Depth=1
	v_mov_b32_e32 v2, s86
	v_add_co_u32_e32 v8, vcc, s33, v0
	v_addc_co_u32_e32 v9, vcc, v1, v2, vcc
	v_cmp_gt_u64_e32 vcc, s[56:57], v[8:9]
	v_mov_b32_e32 v15, 0
	s_and_saveexec_b64 s[2:3], vcc
	s_cbranch_execz .LBB132_524
; %bb.523:                              ;   in Loop: Header=BB132_521 Depth=1
	global_load_ubyte v15, v[4:5], off
.LBB132_524:                            ;   in Loop: Header=BB132_521 Depth=1
	s_or_b64 exec, exec, s[2:3]
	s_waitcnt vmcnt(0)
	v_and_b32_e32 v2, 0xff, v14
	v_cmp_gt_u64_e32 vcc, s[56:57], v[0:1]
	v_cmp_eq_u16_sdwa s[0:1], v2, v30 src0_sel:DWORD src1_sel:BYTE_0
	s_and_b64 s[38:39], vcc, s[0:1]
	v_cndmask_b32_e64 v2, 0, 1, s[38:39]
	v_cmp_ne_u32_e32 vcc, 0, v2
	s_cmp_lg_u64 vcc, 0
	v_readlane_b32 s2, v48, 20
	s_cselect_b64 s[0:1], -1, 0
	v_readlane_b32 s3, v48, 21
	s_and_b64 s[0:1], s[2:3], s[0:1]
	s_and_saveexec_b64 s[36:37], s[0:1]
	s_cbranch_execz .LBB132_528
; %bb.525:                              ;   in Loop: Header=BB132_521 Depth=1
	s_mov_b64 s[42:43], exec
	v_mbcnt_lo_u32_b32 v2, s42, 0
	v_mbcnt_hi_u32_b32 v12, s43, v2
	s_bcnt1_i32_b64 s0, vcc
	v_cmp_eq_u32_e64 s[2:3], 0, v12
                                        ; implicit-def: $vgpr6_vgpr7
	s_and_saveexec_b64 s[40:41], s[2:3]
	s_cbranch_execz .LBB132_527
; %bb.526:                              ;   in Loop: Header=BB132_521 Depth=1
	s_bcnt1_i32_b64 s1, s[42:43]
	s_mul_i32 s1, s0, s1
	v_mov_b32_e32 v2, s1
	ds_add_rtn_u64 v[6:7], v3, v[2:3] offset:5136
.LBB132_527:                            ;   in Loop: Header=BB132_521 Depth=1
	s_or_b64 exec, exec, s[40:41]
	s_waitcnt lgkmcnt(0)
	v_readfirstlane_b32 s1, v7
	v_readfirstlane_b32 s2, v6
	v_mov_b32_e32 v6, s2
	v_mov_b32_e32 v7, s1
	v_mad_u64_u32 v[6:7], s[0:1], s0, v12, v[6:7]
.LBB132_528:                            ;   in Loop: Header=BB132_521 Depth=1
	s_or_b64 exec, exec, s[36:37]
	ds_bpermute_b32 v6, v32, v6
	ds_bpermute_b32 v7, v32, v7
	s_cmp_eq_u64 vcc, 0
	s_cselect_b64 s[0:1], -1, 0
	s_mov_b64 s[40:41], -1
	s_mov_b64 s[42:43], -1
	s_waitcnt lgkmcnt(0)
	v_cmp_gt_u64_e64 s[2:3], s[58:59], v[6:7]
	s_or_b64 s[36:37], s[0:1], s[2:3]
	v_cndmask_b32_e64 v14, v14, v15, s[36:37]
	s_and_b64 s[0:1], s[38:39], s[36:37]
	s_mov_b64 s[2:3], -1
	s_and_saveexec_b64 s[38:39], s[0:1]
	s_cbranch_execz .LBB132_534
; %bb.529:                              ;   in Loop: Header=BB132_521 Depth=1
	v_and_b32_e32 v12, vcc_lo, v10
	v_and_b32_e32 v2, vcc_hi, v11
	v_bcnt_u32_b32 v12, v12, 0
	v_bcnt_u32_b32 v2, v2, v12
	v_mov_b32_e32 v13, s59
	v_sub_co_u32_e32 v12, vcc, s58, v6
	v_subb_co_u32_e32 v13, vcc, v13, v7, vcc
	v_cmp_le_u64_e64 s[40:41], v[12:13], v[2:3]
	v_cmp_gt_u64_e32 vcc, v[12:13], v[2:3]
	s_mov_b64 s[44:45], -1
	s_and_saveexec_b64 s[42:43], vcc
	s_cbranch_execz .LBB132_533
; %bb.530:                              ;   in Loop: Header=BB132_521 Depth=1
	v_add_co_u32_e32 v12, vcc, v6, v2
	v_addc_co_u32_e32 v13, vcc, 0, v7, vcc
	v_cmp_gt_u64_e32 vcc, s[58:59], v[12:13]
	s_mov_b64 s[46:47], s[40:41]
	s_and_saveexec_b64 s[44:45], vcc
	s_cbranch_execz .LBB132_532
; %bb.531:                              ;   in Loop: Header=BB132_521 Depth=1
	v_mul_lo_u32 v2, v13, s20
	v_mul_lo_u32 v14, v12, s21
	v_mad_u64_u32 v[16:17], s[0:1], v12, s20, 0
	v_pk_mov_b32 v[18:19], s[16:17], s[16:17] op_sel:[0,1]
	v_add3_u32 v17, v17, v14, v2
	v_mad_u64_u32 v[18:19], s[0:1], v12, s18, v[18:19]
	v_mul_lo_u32 v2, v12, s19
	v_mul_lo_u32 v12, v13, s18
	v_add3_u32 v19, v12, v19, v2
	v_lshlrev_b64 v[12:13], 3, v[16:17]
	v_mov_b32_e32 v2, s49
	v_add_co_u32_e32 v12, vcc, s48, v12
	v_addc_co_u32_e32 v13, vcc, v2, v13, vcc
	s_or_b64 s[46:47], s[40:41], exec
	global_store_byte v[18:19], v30, off
	global_store_dwordx2 v[12:13], v[0:1], off
.LBB132_532:                            ;   in Loop: Header=BB132_521 Depth=1
	s_or_b64 exec, exec, s[44:45]
	s_andn2_b64 s[0:1], s[40:41], exec
	s_and_b64 s[40:41], s[46:47], exec
	s_xor_b64 s[44:45], exec, -1
	s_or_b64 s[40:41], s[0:1], s[40:41]
.LBB132_533:                            ;   in Loop: Header=BB132_521 Depth=1
	s_or_b64 exec, exec, s[42:43]
	s_orn2_b64 s[42:43], s[44:45], exec
	s_or_b64 s[36:37], s[36:37], exec
	s_orn2_b64 s[40:41], s[40:41], exec
	v_mov_b32_e32 v14, v15
.LBB132_534:                            ;   in Loop: Header=BB132_521 Depth=1
	s_or_b64 exec, exec, s[38:39]
	s_and_saveexec_b64 s[38:39], s[40:41]
	s_cbranch_execz .LBB132_519
; %bb.535:                              ;   in Loop: Header=BB132_521 Depth=1
	v_readlane_b32 s2, v48, 47
	s_xor_b64 s[0:1], s[36:37], -1
	v_mov_b32_e32 v0, s87
	v_add_co_u32_e32 v4, vcc, s2, v4
	v_addc_co_u32_e32 v5, vcc, v5, v0, vcc
	s_or_b64 s[42:43], s[42:43], exec
	s_orn2_b64 s[2:3], s[0:1], exec
	s_branch .LBB132_519
.LBB132_536:
	s_or_b64 exec, exec, s[24:25]
	s_mov_b64 s[0:1], 0
	s_and_saveexec_b64 s[2:3], s[26:27]
	s_xor_b64 s[2:3], exec, s[2:3]
	s_cbranch_execnz .LBB132_542
.LBB132_537:
	s_or_b64 exec, exec, s[2:3]
	s_and_b64 s[2:3], s[0:1], exec
	s_andn2_b64 s[4:5], s[4:5], exec
	s_or_b64 exec, exec, s[22:23]
	s_and_saveexec_b64 s[0:1], s[4:5]
	s_xor_b64 s[0:1], exec, s[0:1]
	s_cbranch_execz .LBB132_493
.LBB132_538:
	s_or_b64 s[2:3], s[2:3], exec
	s_trap 2
	s_branch .LBB132_493
.LBB132_539:
	s_or_b64 s[10:11], s[10:11], exec
	s_trap 2
	s_branch .LBB132_499
.LBB132_540:
	s_or_b64 s[12:13], s[12:13], exec
	s_trap 2
	s_branch .LBB132_497
.LBB132_541:
	s_trap 2
	s_or_b64 s[14:15], s[14:15], exec
	s_branch .LBB132_495
.LBB132_542:
	s_mov_b64 s[0:1], exec
	s_trap 2
	s_branch .LBB132_537
	.section	.rodata,"a",@progbits
	.p2align	6, 0x0
	.amdhsa_kernel _ZN2at6native6sbtopk10gatherTopKIamLi1ELb0EEEvNS_4cuda6detail10TensorInfoIKT_T0_EES8_S8_bS8_S8_NS5_IS6_S8_EES8_NS5_IlS8_EES8_PS6_
		.amdhsa_group_segment_fixed_size 5152
		.amdhsa_private_segment_fixed_size 0
		.amdhsa_kernarg_size 1568
		.amdhsa_user_sgpr_count 6
		.amdhsa_user_sgpr_private_segment_buffer 1
		.amdhsa_user_sgpr_dispatch_ptr 0
		.amdhsa_user_sgpr_queue_ptr 0
		.amdhsa_user_sgpr_kernarg_segment_ptr 1
		.amdhsa_user_sgpr_dispatch_id 0
		.amdhsa_user_sgpr_flat_scratch_init 0
		.amdhsa_user_sgpr_kernarg_preload_length 0
		.amdhsa_user_sgpr_kernarg_preload_offset 0
		.amdhsa_user_sgpr_private_segment_size 0
		.amdhsa_uses_dynamic_stack 0
		.amdhsa_system_sgpr_private_segment_wavefront_offset 0
		.amdhsa_system_sgpr_workgroup_id_x 1
		.amdhsa_system_sgpr_workgroup_id_y 1
		.amdhsa_system_sgpr_workgroup_id_z 1
		.amdhsa_system_sgpr_workgroup_info 0
		.amdhsa_system_vgpr_workitem_id 0
		.amdhsa_next_free_vgpr 49
		.amdhsa_next_free_sgpr 96
		.amdhsa_accum_offset 52
		.amdhsa_reserve_vcc 1
		.amdhsa_reserve_flat_scratch 0
		.amdhsa_float_round_mode_32 0
		.amdhsa_float_round_mode_16_64 0
		.amdhsa_float_denorm_mode_32 3
		.amdhsa_float_denorm_mode_16_64 3
		.amdhsa_dx10_clamp 1
		.amdhsa_ieee_mode 1
		.amdhsa_fp16_overflow 0
		.amdhsa_tg_split 0
		.amdhsa_exception_fp_ieee_invalid_op 0
		.amdhsa_exception_fp_denorm_src 0
		.amdhsa_exception_fp_ieee_div_zero 0
		.amdhsa_exception_fp_ieee_overflow 0
		.amdhsa_exception_fp_ieee_underflow 0
		.amdhsa_exception_fp_ieee_inexact 0
		.amdhsa_exception_int_div_zero 0
	.end_amdhsa_kernel
	.section	.text._ZN2at6native6sbtopk10gatherTopKIamLi1ELb0EEEvNS_4cuda6detail10TensorInfoIKT_T0_EES8_S8_bS8_S8_NS5_IS6_S8_EES8_NS5_IlS8_EES8_PS6_,"axG",@progbits,_ZN2at6native6sbtopk10gatherTopKIamLi1ELb0EEEvNS_4cuda6detail10TensorInfoIKT_T0_EES8_S8_bS8_S8_NS5_IS6_S8_EES8_NS5_IlS8_EES8_PS6_,comdat
.Lfunc_end132:
	.size	_ZN2at6native6sbtopk10gatherTopKIamLi1ELb0EEEvNS_4cuda6detail10TensorInfoIKT_T0_EES8_S8_bS8_S8_NS5_IS6_S8_EES8_NS5_IlS8_EES8_PS6_, .Lfunc_end132-_ZN2at6native6sbtopk10gatherTopKIamLi1ELb0EEEvNS_4cuda6detail10TensorInfoIKT_T0_EES8_S8_bS8_S8_NS5_IS6_S8_EES8_NS5_IlS8_EES8_PS6_
                                        ; -- End function
	.section	.AMDGPU.csdata,"",@progbits
; Kernel info:
; codeLenInByte = 26360
; NumSgprs: 100
; NumVgprs: 49
; NumAgprs: 0
; TotalNumVgprs: 49
; ScratchSize: 0
; MemoryBound: 0
; FloatMode: 240
; IeeeMode: 1
; LDSByteSize: 5152 bytes/workgroup (compile time only)
; SGPRBlocks: 12
; VGPRBlocks: 6
; NumSGPRsForWavesPerEU: 100
; NumVGPRsForWavesPerEU: 49
; AccumOffset: 52
; Occupancy: 8
; WaveLimiterHint : 1
; COMPUTE_PGM_RSRC2:SCRATCH_EN: 0
; COMPUTE_PGM_RSRC2:USER_SGPR: 6
; COMPUTE_PGM_RSRC2:TRAP_HANDLER: 0
; COMPUTE_PGM_RSRC2:TGID_X_EN: 1
; COMPUTE_PGM_RSRC2:TGID_Y_EN: 1
; COMPUTE_PGM_RSRC2:TGID_Z_EN: 1
; COMPUTE_PGM_RSRC2:TIDIG_COMP_CNT: 0
; COMPUTE_PGM_RSRC3_GFX90A:ACCUM_OFFSET: 12
; COMPUTE_PGM_RSRC3_GFX90A:TG_SPLIT: 0
	.section	.text._ZN2at6native6mbtopk23computeBlockDigitCountsIamjLi2EEEvNS_4cuda6detail10TensorInfoIKT_T0_EEjPjjS8_iijT1_PSB_Ps,"axG",@progbits,_ZN2at6native6mbtopk23computeBlockDigitCountsIamjLi2EEEvNS_4cuda6detail10TensorInfoIKT_T0_EEjPjjS8_iijT1_PSB_Ps,comdat
	.protected	_ZN2at6native6mbtopk23computeBlockDigitCountsIamjLi2EEEvNS_4cuda6detail10TensorInfoIKT_T0_EEjPjjS8_iijT1_PSB_Ps ; -- Begin function _ZN2at6native6mbtopk23computeBlockDigitCountsIamjLi2EEEvNS_4cuda6detail10TensorInfoIKT_T0_EEjPjjS8_iijT1_PSB_Ps
	.globl	_ZN2at6native6mbtopk23computeBlockDigitCountsIamjLi2EEEvNS_4cuda6detail10TensorInfoIKT_T0_EEjPjjS8_iijT1_PSB_Ps
	.p2align	8
	.type	_ZN2at6native6mbtopk23computeBlockDigitCountsIamjLi2EEEvNS_4cuda6detail10TensorInfoIKT_T0_EEjPjjS8_iijT1_PSB_Ps,@function
_ZN2at6native6mbtopk23computeBlockDigitCountsIamjLi2EEEvNS_4cuda6detail10TensorInfoIKT_T0_EEjPjjS8_iijT1_PSB_Ps: ; @_ZN2at6native6mbtopk23computeBlockDigitCountsIamjLi2EEEvNS_4cuda6detail10TensorInfoIKT_T0_EEjPjjS8_iijT1_PSB_Ps
; %bb.0:
	s_load_dwordx4 s[12:15], s[4:5], 0x1c0
	s_load_dword s2, s[4:5], 0x1b0
	s_load_dwordx2 s[0:1], s[4:5], 0x1e0
	s_waitcnt lgkmcnt(0)
	v_cvt_f32_u32_e32 v1, s14
	s_sub_i32 s3, 0, s14
	s_mul_i32 s1, s1, s8
	s_add_i32 s1, s1, s7
	v_rcp_iflag_f32_e32 v1, v1
	s_mul_i32 s18, s1, s0
	s_add_i32 s18, s18, s6
	s_mov_b32 s7, 0
	v_mul_f32_e32 v1, 0x4f7ffffe, v1
	v_cvt_u32_f32_e32 v1, v1
	v_readfirstlane_b32 s0, v1
	s_mul_i32 s3, s3, s0
	s_mul_hi_u32 s1, s0, s3
	s_add_i32 s0, s0, s1
	s_mul_hi_u32 s0, s18, s0
	s_mul_i32 s1, s0, s14
	s_sub_i32 s1, s18, s1
	s_add_i32 s3, s0, 1
	s_sub_i32 s6, s1, s14
	s_cmp_ge_u32 s1, s14
	s_cselect_b32 s0, s3, s0
	s_cselect_b32 s1, s6, s1
	s_add_i32 s3, s0, 1
	s_cmp_ge_u32 s1, s14
	s_cselect_b32 s6, s3, s0
	s_cmp_ge_u32 s6, s2
	s_cbranch_scc1 .LBB133_25
; %bb.1:
	s_load_dwordx4 s[0:3], s[4:5], 0x1d0
	s_load_dwordx2 s[8:9], s[4:5], 0x10
	s_lshl_b64 s[10:11], s[6:7], 2
	s_waitcnt lgkmcnt(0)
	s_add_u32 s0, s0, s10
	v_pk_mov_b32 v[2:3], s[8:9], s[8:9] op_sel:[0,1]
	v_cmp_lt_u64_e32 vcc, s[6:7], v[2:3]
	s_addc_u32 s1, s1, s11
	s_mov_b64 s[10:11], 0
	s_cbranch_vccnz .LBB133_3
; %bb.2:
	v_cvt_f32_u32_e32 v1, s8
	s_sub_i32 s7, 0, s8
	v_rcp_iflag_f32_e32 v1, v1
	v_mul_f32_e32 v1, 0x4f7ffffe, v1
	v_cvt_u32_f32_e32 v1, v1
	v_readfirstlane_b32 s10, v1
	s_mul_i32 s7, s7, s10
	s_mul_hi_u32 s7, s10, s7
	s_add_i32 s10, s10, s7
	s_mul_hi_u32 s7, s6, s10
	s_mul_i32 s11, s7, s8
	s_sub_i32 s11, s6, s11
	s_add_i32 s10, s7, 1
	s_sub_i32 s16, s11, s8
	s_cmp_ge_u32 s11, s8
	s_cselect_b32 s7, s10, s7
	s_cselect_b32 s11, s16, s11
	s_add_i32 s10, s7, 1
	s_cmp_ge_u32 s11, s8
	s_cselect_b32 s10, s10, s7
.LBB133_3:
	s_movk_i32 s7, 0x100
	v_cmp_gt_u32_e32 vcc, s7, v0
	v_lshlrev_b32_e32 v1, 2, v0
	s_and_saveexec_b64 s[16:17], vcc
	s_cbranch_execz .LBB133_5
; %bb.4:
	v_mov_b32_e32 v2, 0
	ds_write_b32 v1, v2
.LBB133_5:
	s_or_b64 exec, exec, s[16:17]
	s_load_dword s11, s[4:5], 0x1a0
	s_mul_i32 s7, s6, s14
	s_sub_i32 s7, s18, s7
	s_add_i32 s16, s7, 1
	s_mul_i32 s7, s13, s7
	s_lshl_b32 s17, s7, 8
	s_waitcnt lgkmcnt(0)
	s_sub_i32 s7, s11, s17
	s_add_u32 s7, s7, 0xff
	s_addc_u32 s19, 0, 0
	v_mov_b32_e32 v2, s7
	v_alignbit_b32 v2, s19, v2, 8
	s_cmp_lt_u32 s16, s14
	v_readfirstlane_b32 s7, v2
	s_cselect_b32 s14, s13, s7
	s_cmp_lt_i32 s14, 1
	s_mov_b32 s16, 0
	s_barrier
	s_cbranch_scc1 .LBB133_21
; %bb.6:
	s_load_dwordx2 s[24:25], s[4:5], 0x0
	s_load_dwordx4 s[20:23], s[4:5], 0xd0
	s_load_dword s13, s[0:1], 0x0
	s_mul_i32 s0, s10, s9
	s_mul_hi_u32 s1, s10, s8
	s_add_i32 s1, s1, s0
	s_mul_i32 s0, s10, s8
	s_sub_u32 s0, s6, s0
	s_subb_u32 s1, 0, s1
	s_waitcnt lgkmcnt(0)
	s_mul_i32 s6, s0, s23
	s_mul_hi_u32 s7, s0, s22
	s_add_i32 s6, s7, s6
	s_mul_i32 s1, s1, s22
	s_add_i32 s1, s6, s1
	s_mul_i32 s6, s10, s21
	s_mul_hi_u32 s7, s10, s20
	s_add_i32 s7, s7, s6
	s_mul_i32 s6, s10, s20
	s_add_u32 s6, s24, s6
	s_load_dwordx2 s[4:5], s[4:5], 0x1b8
	s_mul_i32 s0, s0, s22
	s_addc_u32 s7, s25, s7
	s_add_u32 s6, s6, s0
	s_addc_u32 s7, s7, s1
	s_and_b32 s10, s12, 0xff
	s_cmp_eq_u32 s14, 1
	v_add_u32_e32 v2, s17, v0
	s_cbranch_scc1 .LBB133_16
; %bb.7:
	s_and_b32 s12, s14, 0x7ffffffe
	v_mov_b32_e32 v3, 1
	v_mov_b32_e32 v4, v2
	s_branch .LBB133_9
.LBB133_8:                              ;   in Loop: Header=BB133_9 Depth=1
	s_or_b64 exec, exec, s[8:9]
	s_add_i32 s16, s16, 2
	s_cmp_eq_u32 s12, s16
	v_add_u32_e32 v4, 0x200, v4
	s_cbranch_scc1 .LBB133_15
.LBB133_9:                              ; =>This Inner Loop Header: Depth=1
	v_cmp_gt_u32_e64 s[0:1], s11, v4
	s_and_saveexec_b64 s[8:9], s[0:1]
	s_cbranch_execz .LBB133_12
; %bb.10:                               ;   in Loop: Header=BB133_9 Depth=1
	v_pk_mov_b32 v[6:7], s[6:7], s[6:7] op_sel:[0,1]
	s_waitcnt lgkmcnt(0)
	v_mad_u64_u32 v[6:7], s[0:1], v4, s4, v[6:7]
	v_mov_b32_e32 v8, v7
	v_mad_u64_u32 v[8:9], s[0:1], v4, s5, v[8:9]
	v_mov_b32_e32 v7, v8
	global_load_sbyte v5, v[6:7], off
	s_waitcnt vmcnt(0)
	v_add_u32_e32 v5, 0x80, v5
	v_xor_b32_e32 v6, s13, v5
	v_and_b32_e32 v6, s15, v6
	v_cmp_eq_u32_e64 s[0:1], 0, v6
	s_and_b64 exec, exec, s[0:1]
	s_cbranch_execz .LBB133_12
; %bb.11:                               ;   in Loop: Header=BB133_9 Depth=1
	v_lshrrev_b32_e32 v5, s10, v5
	v_lshlrev_b32_e32 v5, 2, v5
	ds_add_u32 v5, v3
.LBB133_12:                             ;   in Loop: Header=BB133_9 Depth=1
	s_or_b64 exec, exec, s[8:9]
	v_add_u32_e32 v5, 0x100, v4
	v_cmp_gt_u32_e64 s[0:1], s11, v5
	s_and_saveexec_b64 s[8:9], s[0:1]
	s_cbranch_execz .LBB133_8
; %bb.13:                               ;   in Loop: Header=BB133_9 Depth=1
	v_pk_mov_b32 v[6:7], s[6:7], s[6:7] op_sel:[0,1]
	s_waitcnt lgkmcnt(0)
	v_mad_u64_u32 v[6:7], s[0:1], v5, s4, v[6:7]
	v_mov_b32_e32 v8, v7
	v_mad_u64_u32 v[8:9], s[0:1], v5, s5, v[8:9]
	v_mov_b32_e32 v7, v8
	global_load_sbyte v5, v[6:7], off
	s_waitcnt vmcnt(0)
	v_add_u32_e32 v5, 0x80, v5
	v_xor_b32_e32 v6, s13, v5
	v_and_b32_e32 v6, s15, v6
	v_cmp_eq_u32_e64 s[0:1], 0, v6
	s_and_b64 exec, exec, s[0:1]
	s_cbranch_execz .LBB133_8
; %bb.14:                               ;   in Loop: Header=BB133_9 Depth=1
	v_lshrrev_b32_e32 v5, s10, v5
	v_lshlrev_b32_e32 v5, 2, v5
	ds_add_u32 v5, v3
	s_branch .LBB133_8
.LBB133_15:
	s_lshl_b32 s16, s12, 8
.LBB133_16:
	s_bitcmp0_b32 s14, 0
	s_cbranch_scc1 .LBB133_21
; %bb.17:
	v_add_u32_e32 v2, s16, v2
	v_cmp_gt_u32_e64 s[0:1], s11, v2
	s_and_saveexec_b64 s[8:9], s[0:1]
	s_cbranch_execz .LBB133_20
; %bb.18:
	v_pk_mov_b32 v[4:5], s[6:7], s[6:7] op_sel:[0,1]
	s_waitcnt lgkmcnt(0)
	v_mad_u64_u32 v[4:5], s[0:1], v2, s4, v[4:5]
	v_mov_b32_e32 v6, v5
	v_mad_u64_u32 v[2:3], s[0:1], v2, s5, v[6:7]
	v_mov_b32_e32 v5, v2
	global_load_sbyte v2, v[4:5], off
	s_waitcnt vmcnt(0)
	v_add_u32_e32 v2, 0x80, v2
	v_xor_b32_e32 v3, s13, v2
	v_and_b32_e32 v3, s15, v3
	v_cmp_eq_u32_e64 s[0:1], 0, v3
	s_and_b64 exec, exec, s[0:1]
	s_cbranch_execz .LBB133_20
; %bb.19:
	v_lshrrev_b32_e32 v2, s10, v2
	v_lshlrev_b32_e32 v2, 2, v2
	v_mov_b32_e32 v3, 1
	ds_add_u32 v2, v3
.LBB133_20:
	s_or_b64 exec, exec, s[8:9]
.LBB133_21:
	v_mov_b32_e32 v2, 0
	s_waitcnt lgkmcnt(0)
	s_barrier
	s_and_saveexec_b64 s[0:1], vcc
	s_cbranch_execz .LBB133_23
; %bb.22:
	ds_read_b32 v2, v1
.LBB133_23:
	s_or_b64 exec, exec, s[0:1]
	s_and_saveexec_b64 s[0:1], vcc
	s_cbranch_execz .LBB133_25
; %bb.24:
	v_lshl_or_b32 v0, s18, 8, v0
	v_mov_b32_e32 v1, 0
	v_lshlrev_b64 v[0:1], 1, v[0:1]
	v_mov_b32_e32 v3, s3
	v_add_co_u32_e32 v0, vcc, s2, v0
	v_addc_co_u32_e32 v1, vcc, v3, v1, vcc
	s_waitcnt lgkmcnt(0)
	global_store_short v[0:1], v2, off
.LBB133_25:
	s_endpgm
	.section	.rodata,"a",@progbits
	.p2align	6, 0x0
	.amdhsa_kernel _ZN2at6native6mbtopk23computeBlockDigitCountsIamjLi2EEEvNS_4cuda6detail10TensorInfoIKT_T0_EEjPjjS8_iijT1_PSB_Ps
		.amdhsa_group_segment_fixed_size 1024
		.amdhsa_private_segment_fixed_size 0
		.amdhsa_kernarg_size 736
		.amdhsa_user_sgpr_count 6
		.amdhsa_user_sgpr_private_segment_buffer 1
		.amdhsa_user_sgpr_dispatch_ptr 0
		.amdhsa_user_sgpr_queue_ptr 0
		.amdhsa_user_sgpr_kernarg_segment_ptr 1
		.amdhsa_user_sgpr_dispatch_id 0
		.amdhsa_user_sgpr_flat_scratch_init 0
		.amdhsa_user_sgpr_kernarg_preload_length 0
		.amdhsa_user_sgpr_kernarg_preload_offset 0
		.amdhsa_user_sgpr_private_segment_size 0
		.amdhsa_uses_dynamic_stack 0
		.amdhsa_system_sgpr_private_segment_wavefront_offset 0
		.amdhsa_system_sgpr_workgroup_id_x 1
		.amdhsa_system_sgpr_workgroup_id_y 1
		.amdhsa_system_sgpr_workgroup_id_z 1
		.amdhsa_system_sgpr_workgroup_info 0
		.amdhsa_system_vgpr_workitem_id 0
		.amdhsa_next_free_vgpr 10
		.amdhsa_next_free_sgpr 26
		.amdhsa_accum_offset 12
		.amdhsa_reserve_vcc 1
		.amdhsa_reserve_flat_scratch 0
		.amdhsa_float_round_mode_32 0
		.amdhsa_float_round_mode_16_64 0
		.amdhsa_float_denorm_mode_32 3
		.amdhsa_float_denorm_mode_16_64 3
		.amdhsa_dx10_clamp 1
		.amdhsa_ieee_mode 1
		.amdhsa_fp16_overflow 0
		.amdhsa_tg_split 0
		.amdhsa_exception_fp_ieee_invalid_op 0
		.amdhsa_exception_fp_denorm_src 0
		.amdhsa_exception_fp_ieee_div_zero 0
		.amdhsa_exception_fp_ieee_overflow 0
		.amdhsa_exception_fp_ieee_underflow 0
		.amdhsa_exception_fp_ieee_inexact 0
		.amdhsa_exception_int_div_zero 0
	.end_amdhsa_kernel
	.section	.text._ZN2at6native6mbtopk23computeBlockDigitCountsIamjLi2EEEvNS_4cuda6detail10TensorInfoIKT_T0_EEjPjjS8_iijT1_PSB_Ps,"axG",@progbits,_ZN2at6native6mbtopk23computeBlockDigitCountsIamjLi2EEEvNS_4cuda6detail10TensorInfoIKT_T0_EEjPjjS8_iijT1_PSB_Ps,comdat
.Lfunc_end133:
	.size	_ZN2at6native6mbtopk23computeBlockDigitCountsIamjLi2EEEvNS_4cuda6detail10TensorInfoIKT_T0_EEjPjjS8_iijT1_PSB_Ps, .Lfunc_end133-_ZN2at6native6mbtopk23computeBlockDigitCountsIamjLi2EEEvNS_4cuda6detail10TensorInfoIKT_T0_EEjPjjS8_iijT1_PSB_Ps
                                        ; -- End function
	.section	.AMDGPU.csdata,"",@progbits
; Kernel info:
; codeLenInByte = 1044
; NumSgprs: 30
; NumVgprs: 10
; NumAgprs: 0
; TotalNumVgprs: 10
; ScratchSize: 0
; MemoryBound: 0
; FloatMode: 240
; IeeeMode: 1
; LDSByteSize: 1024 bytes/workgroup (compile time only)
; SGPRBlocks: 3
; VGPRBlocks: 1
; NumSGPRsForWavesPerEU: 30
; NumVGPRsForWavesPerEU: 10
; AccumOffset: 12
; Occupancy: 8
; WaveLimiterHint : 1
; COMPUTE_PGM_RSRC2:SCRATCH_EN: 0
; COMPUTE_PGM_RSRC2:USER_SGPR: 6
; COMPUTE_PGM_RSRC2:TRAP_HANDLER: 0
; COMPUTE_PGM_RSRC2:TGID_X_EN: 1
; COMPUTE_PGM_RSRC2:TGID_Y_EN: 1
; COMPUTE_PGM_RSRC2:TGID_Z_EN: 1
; COMPUTE_PGM_RSRC2:TIDIG_COMP_CNT: 0
; COMPUTE_PGM_RSRC3_GFX90A:ACCUM_OFFSET: 2
; COMPUTE_PGM_RSRC3_GFX90A:TG_SPLIT: 0
	.section	.text._ZN2at6native6mbtopk10gatherTopKIamLi2EEEvNS_4cuda6detail10TensorInfoIKT_T0_EES8_S8_bjS8_NS5_IS6_S8_EES8_NS5_IlS8_EES8_jjPS6_PjSD_j,"axG",@progbits,_ZN2at6native6mbtopk10gatherTopKIamLi2EEEvNS_4cuda6detail10TensorInfoIKT_T0_EES8_S8_bjS8_NS5_IS6_S8_EES8_NS5_IlS8_EES8_jjPS6_PjSD_j,comdat
	.protected	_ZN2at6native6mbtopk10gatherTopKIamLi2EEEvNS_4cuda6detail10TensorInfoIKT_T0_EES8_S8_bjS8_NS5_IS6_S8_EES8_NS5_IlS8_EES8_jjPS6_PjSD_j ; -- Begin function _ZN2at6native6mbtopk10gatherTopKIamLi2EEEvNS_4cuda6detail10TensorInfoIKT_T0_EES8_S8_bjS8_NS5_IS6_S8_EES8_NS5_IlS8_EES8_jjPS6_PjSD_j
	.globl	_ZN2at6native6mbtopk10gatherTopKIamLi2EEEvNS_4cuda6detail10TensorInfoIKT_T0_EES8_S8_bjS8_NS5_IS6_S8_EES8_NS5_IlS8_EES8_jjPS6_PjSD_j
	.p2align	8
	.type	_ZN2at6native6mbtopk10gatherTopKIamLi2EEEvNS_4cuda6detail10TensorInfoIKT_T0_EES8_S8_bjS8_NS5_IS6_S8_EES8_NS5_IlS8_EES8_jjPS6_PjSD_j,@function
_ZN2at6native6mbtopk10gatherTopKIamLi2EEEvNS_4cuda6detail10TensorInfoIKT_T0_EES8_S8_bjS8_NS5_IS6_S8_EES8_NS5_IlS8_EES8_jjPS6_PjSD_j: ; @_ZN2at6native6mbtopk10gatherTopKIamLi2EEEvNS_4cuda6detail10TensorInfoIKT_T0_EES8_S8_bjS8_NS5_IS6_S8_EES8_NS5_IlS8_EES8_jjPS6_PjSD_j
; %bb.0:
	s_load_dwordx2 s[0:1], s[4:5], 0x538
	s_load_dword s2, s[4:5], 0x530
	s_waitcnt lgkmcnt(0)
	s_mul_i32 s1, s1, s8
	s_add_i32 s1, s1, s7
	s_mul_i32 s0, s1, s0
	s_add_i32 s0, s0, s6
	s_cmp_ge_u32 s0, s2
	s_cbranch_scc1 .LBB134_48
; %bb.1:
	s_load_dwordx2 s[34:35], s[4:5], 0x510
	s_load_dwordx2 s[38:39], s[4:5], 0x1d0
	s_load_dwordx4 s[8:11], s[4:5], 0x1a0
	s_load_dwordx2 s[36:37], s[4:5], 0x10
	s_mov_b32 s7, 0
	s_waitcnt lgkmcnt(0)
	v_cvt_f32_u32_e32 v1, s35
	s_sub_i32 s2, 0, s35
	s_lshl_b32 s1, s34, 8
	v_rcp_iflag_f32_e32 v1, v1
	v_mul_f32_e32 v1, 0x4f7ffffe, v1
	v_cvt_u32_f32_e32 v1, v1
	v_readfirstlane_b32 s3, v1
	s_mul_i32 s2, s2, s3
	s_mul_hi_u32 s2, s3, s2
	s_add_i32 s3, s3, s2
	s_mul_hi_u32 s2, s0, s3
	s_mul_i32 s3, s2, s35
	s_sub_i32 s3, s0, s3
	s_add_i32 s6, s2, 1
	s_sub_i32 s12, s3, s35
	s_cmp_ge_u32 s3, s35
	s_cselect_b32 s2, s6, s2
	s_cselect_b32 s3, s12, s3
	s_add_i32 s6, s2, 1
	s_cmp_ge_u32 s3, s35
	s_cselect_b32 s6, s6, s2
	s_mul_i32 s20, s6, s35
	s_sub_i32 s28, s0, s20
	s_add_i32 s0, s28, 1
	s_cmp_lt_u32 s0, s35
	s_mul_i32 s33, s28, s1
	s_cbranch_scc1 .LBB134_3
; %bb.2:
	s_sub_u32 s0, s8, s33
	s_subb_u32 s1, s9, 0
	s_add_u32 s0, s0, 0xff
	s_addc_u32 s1, s1, 0
	s_ashr_i32 s2, s1, 31
	s_lshr_b32 s2, s2, 24
	s_add_u32 s0, s0, s2
	s_addc_u32 s1, s1, 0
	v_mov_b32_e32 v1, s0
	v_alignbit_b32 v1, s1, v1, 8
	v_readfirstlane_b32 s34, v1
.LBB134_3:
	s_load_dwordx2 s[40:41], s[4:5], 0x378
	v_pk_mov_b32 v[2:3], s[36:37], s[36:37] op_sel:[0,1]
	v_cmp_lt_u64_e32 vcc, s[6:7], v[2:3]
	s_mov_b64 s[44:45], 0
	s_mov_b64 s[42:43], 0
	s_cbranch_vccnz .LBB134_5
; %bb.4:
	v_cvt_f32_u32_e32 v1, s36
	s_sub_i32 s0, 0, s36
	v_rcp_iflag_f32_e32 v1, v1
	v_mul_f32_e32 v1, 0x4f7ffffe, v1
	v_cvt_u32_f32_e32 v1, v1
	v_readfirstlane_b32 s1, v1
	s_mul_i32 s0, s0, s1
	s_mul_hi_u32 s0, s1, s0
	s_add_i32 s1, s1, s0
	s_mul_hi_u32 s0, s6, s1
	s_mul_i32 s2, s0, s36
	s_sub_i32 s2, s6, s2
	s_add_i32 s1, s0, 1
	s_sub_i32 s3, s2, s36
	s_cmp_ge_u32 s2, s36
	s_cselect_b32 s0, s1, s0
	s_cselect_b32 s2, s3, s2
	s_add_i32 s1, s0, 1
	s_cmp_ge_u32 s2, s36
	s_cselect_b32 s42, s1, s0
.LBB134_5:
	v_pk_mov_b32 v[2:3], s[38:39], s[38:39] op_sel:[0,1]
	v_cmp_lt_u64_e32 vcc, s[6:7], v[2:3]
	s_cbranch_vccnz .LBB134_7
; %bb.6:
	v_cvt_f32_u32_e32 v1, s38
	s_sub_i32 s0, 0, s38
	v_rcp_iflag_f32_e32 v1, v1
	v_mul_f32_e32 v1, 0x4f7ffffe, v1
	v_cvt_u32_f32_e32 v1, v1
	v_readfirstlane_b32 s1, v1
	s_mul_i32 s0, s0, s1
	s_mul_hi_u32 s0, s1, s0
	s_add_i32 s1, s1, s0
	s_mul_hi_u32 s0, s6, s1
	s_mul_i32 s2, s0, s38
	s_sub_i32 s2, s6, s2
	s_add_i32 s1, s0, 1
	s_sub_i32 s3, s2, s38
	s_cmp_ge_u32 s2, s38
	s_cselect_b32 s0, s1, s0
	s_cselect_b32 s2, s3, s2
	s_add_i32 s1, s0, 1
	s_cmp_ge_u32 s2, s38
	s_cselect_b32 s44, s1, s0
.LBB134_7:
	s_waitcnt lgkmcnt(0)
	v_pk_mov_b32 v[2:3], s[40:41], s[40:41] op_sel:[0,1]
	v_cmp_lt_u64_e32 vcc, s[6:7], v[2:3]
	s_mov_b64 s[46:47], 0
	s_cbranch_vccnz .LBB134_9
; %bb.8:
	v_cvt_f32_u32_e32 v1, s40
	s_sub_i32 s0, 0, s40
	v_rcp_iflag_f32_e32 v1, v1
	v_mul_f32_e32 v1, 0x4f7ffffe, v1
	v_cvt_u32_f32_e32 v1, v1
	v_readfirstlane_b32 s1, v1
	s_mul_i32 s0, s0, s1
	s_mul_hi_u32 s0, s1, s0
	s_add_i32 s1, s1, s0
	s_mul_hi_u32 s0, s6, s1
	s_mul_i32 s2, s0, s40
	s_sub_i32 s2, s6, s2
	s_add_i32 s1, s0, 1
	s_sub_i32 s3, s2, s40
	s_cmp_ge_u32 s2, s40
	s_cselect_b32 s0, s1, s0
	s_cselect_b32 s2, s3, s2
	s_add_i32 s1, s0, 1
	s_cmp_ge_u32 s2, s40
	s_cselect_b32 s46, s1, s0
.LBB134_9:
	s_load_dwordx4 s[12:15], s[4:5], 0x518
	s_load_dwordx2 s[48:49], s[4:5], 0x0
	v_mov_b32_e32 v1, 0
	s_mov_b32 s21, 0
	v_cmp_eq_u32_e64 s[2:3], 0, v0
	s_waitcnt lgkmcnt(0)
	s_add_u32 s0, s12, s6
	s_addc_u32 s1, s13, 0
	global_load_ubyte v5, v1, s[0:1]
	v_cmp_ne_u32_e64 s[0:1], 0, v0
	s_and_saveexec_b64 s[12:13], s[2:3]
	s_cbranch_execz .LBB134_25
; %bb.10:
	s_load_dwordx2 s[22:23], s[4:5], 0x528
	s_lshl_b64 s[24:25], s[20:21], 2
	s_add_u32 s16, s14, s24
	s_addc_u32 s17, s15, s25
	s_mov_b32 s20, 0
	s_waitcnt lgkmcnt(0)
	s_add_u32 s18, s22, s24
	s_addc_u32 s19, s23, s25
	s_cmp_lt_u32 s35, 4
	s_cbranch_scc1 .LBB134_22
; %bb.11:
	s_mov_b32 s29, 0
.LBB134_12:                             ; =>This Inner Loop Header: Depth=1
	s_add_u32 s16, s14, s24
	s_addc_u32 s17, s15, s25
	s_load_dwordx4 s[16:19], s[16:17], 0x0
	s_add_u32 s26, s22, s24
	s_addc_u32 s27, s23, s25
	s_cmp_ge_u32 s29, s28
	s_cbranch_scc0 .LBB134_19
; %bb.13:                               ;   in Loop: Header=BB134_12 Depth=1
	s_add_i32 s30, s29, 1
	s_cmp_ge_u32 s30, s28
	s_cbranch_scc0 .LBB134_20
.LBB134_14:                             ;   in Loop: Header=BB134_12 Depth=1
	s_add_i32 s30, s30, 1
	s_cmp_ge_u32 s30, s28
	s_cbranch_scc0 .LBB134_21
.LBB134_15:                             ;   in Loop: Header=BB134_12 Depth=1
	s_add_i32 s30, s30, 1
	s_cmp_ge_u32 s30, s28
	s_cbranch_scc1 .LBB134_17
.LBB134_16:                             ;   in Loop: Header=BB134_12 Depth=1
	s_load_dword s26, s[26:27], 0xc
	s_waitcnt lgkmcnt(0)
	s_add_i32 s21, s21, s19
	s_add_i32 s7, s26, s7
.LBB134_17:                             ;   in Loop: Header=BB134_12 Depth=1
	s_waitcnt lgkmcnt(0)
	s_add_i32 s16, s16, s20
	s_add_i32 s16, s16, s17
	;; [unrolled: 1-line block ×4, first 2 shown]
	s_add_u32 s14, s14, 16
	s_addc_u32 s15, s15, 0
	s_add_u32 s22, s22, 16
	s_addc_u32 s23, s23, 0
	s_add_i32 s27, s30, 4
	s_add_u32 s18, s22, s24
	s_addc_u32 s19, s23, s25
	s_add_u32 s16, s14, s24
	s_addc_u32 s17, s15, s25
	s_add_i32 s26, s30, 1
	s_cmp_ge_u32 s27, s35
	s_cbranch_scc1 .LBB134_23
; %bb.18:                               ;   in Loop: Header=BB134_12 Depth=1
	s_mov_b32 s29, s26
	s_branch .LBB134_12
.LBB134_19:                             ;   in Loop: Header=BB134_12 Depth=1
	s_load_dword s30, s[26:27], 0x0
	s_waitcnt lgkmcnt(0)
	s_add_i32 s21, s16, s21
	s_add_i32 s7, s30, s7
	;; [unrolled: 1-line block ×3, first 2 shown]
	s_cmp_ge_u32 s30, s28
	s_cbranch_scc1 .LBB134_14
.LBB134_20:                             ;   in Loop: Header=BB134_12 Depth=1
	s_load_dword s31, s[26:27], 0x4
	s_waitcnt lgkmcnt(0)
	s_add_i32 s21, s21, s17
	s_add_i32 s7, s31, s7
	;; [unrolled: 1-line block ×3, first 2 shown]
	s_cmp_ge_u32 s30, s28
	s_cbranch_scc1 .LBB134_15
.LBB134_21:                             ;   in Loop: Header=BB134_12 Depth=1
	s_load_dword s31, s[26:27], 0x8
	s_waitcnt lgkmcnt(0)
	s_add_i32 s21, s21, s18
	s_add_i32 s7, s31, s7
	;; [unrolled: 1-line block ×3, first 2 shown]
	s_cmp_ge_u32 s30, s28
	s_cbranch_scc0 .LBB134_16
	s_branch .LBB134_17
.LBB134_22:
	s_mov_b32 s14, 0
	s_cmp_ge_u32 s14, s35
	s_cbranch_scc0 .LBB134_46
	s_branch .LBB134_24
.LBB134_23:
	s_add_i32 s14, s29, 4
	s_cmp_ge_u32 s14, s35
	s_cbranch_scc0 .LBB134_46
.LBB134_24:
	v_mov_b32_e32 v2, s7
	v_mov_b32_e32 v3, s20
	;; [unrolled: 1-line block ×4, first 2 shown]
	ds_write_b96 v1, v[2:4] offset:1056
.LBB134_25:
	s_or_b64 exec, exec, s[12:13]
	s_load_dwordx4 s[12:15], s[4:5], 0x1b8
	s_load_dwordx4 s[24:27], s[4:5], 0xd0
	;; [unrolled: 1-line block ×5, first 2 shown]
	s_cmp_eq_u32 s34, 0
	s_waitcnt lgkmcnt(0)
	s_barrier
	s_cbranch_scc1 .LBB134_48
; %bb.26:
	s_mul_i32 s7, s44, s39
	s_mul_hi_u32 s35, s44, s38
	s_add_i32 s35, s35, s7
	s_mul_i32 s7, s44, s38
	s_sub_u32 s7, s6, s7
	s_subb_u32 s35, 0, s35
	s_mul_i32 s31, s7, s31
	s_mul_hi_u32 s38, s7, s30
	s_add_i32 s31, s38, s31
	s_mul_i32 s35, s35, s30
	s_mul_i32 s30, s7, s30
	;; [unrolled: 1-line block ×3, first 2 shown]
	s_mul_hi_u32 s29, s44, s28
	s_add_i32 s31, s31, s35
	s_add_i32 s29, s29, s7
	s_mul_i32 s7, s42, s37
	s_mul_hi_u32 s35, s42, s36
	s_add_i32 s35, s35, s7
	s_mul_i32 s7, s42, s36
	s_sub_u32 s7, s6, s7
	s_subb_u32 s35, 0, s35
	s_mul_i32 s27, s7, s27
	s_mul_hi_u32 s36, s7, s26
	s_add_i32 s27, s36, s27
	s_mul_i32 s35, s35, s26
	s_mul_i32 s26, s7, s26
	;; [unrolled: 1-line block ×3, first 2 shown]
	s_mul_hi_u32 s25, s42, s24
	s_add_i32 s27, s27, s35
	s_add_i32 s25, s25, s7
	s_mul_i32 s7, s46, s41
	s_mul_hi_u32 s35, s46, s40
	s_add_i32 s35, s35, s7
	s_mul_i32 s7, s46, s40
	s_sub_u32 s6, s6, s7
	s_subb_u32 s7, 0, s35
	s_mul_i32 s23, s6, s23
	s_mul_hi_u32 s35, s6, s22
	s_add_i32 s23, s35, s23
	s_mul_i32 s7, s7, s22
	s_mul_i32 s6, s6, s22
	;; [unrolled: 1-line block ×3, first 2 shown]
	s_mul_hi_u32 s22, s46, s20
	s_mul_i32 s24, s42, s24
	s_add_i32 s7, s23, s7
	s_add_i32 s23, s22, s21
	s_mul_i32 s22, s46, s20
	s_add_u32 s20, s48, s24
	s_addc_u32 s21, s49, s25
	s_add_u32 s20, s20, s26
	s_mul_i32 s28, s44, s28
	s_addc_u32 s21, s21, s27
	s_add_u32 s14, s14, s28
	v_mov_b32_e32 v1, 0
	s_addc_u32 s15, s15, s29
	ds_read_b96 v[2:4], v1 offset:1056
	s_add_u32 s14, s14, s30
	s_addc_u32 s15, s15, s31
	s_lshl_b64 s[22:23], s[22:23], 3
	s_add_u32 s18, s18, s22
	s_addc_u32 s19, s19, s23
	s_lshl_b64 s[6:7], s[6:7], 3
	s_add_u32 s24, s18, s6
	s_load_dword s6, s[4:5], 0x1b0
	s_waitcnt lgkmcnt(0)
	v_add_u32_e32 v2, v2, v3
	v_lshrrev_b32_e32 v3, 5, v0
	v_add_lshl_u32 v9, v3, v0, 2
	v_lshlrev_b32_e32 v3, 2, v0
	v_lshrrev_b32_e32 v6, 3, v0
	s_addc_u32 s25, s19, s7
	s_load_dwordx2 s[18:19], s[4:5], 0x508
	v_add_lshl_u32 v10, v6, v3, 2
	v_add_u32_e32 v3, -1, v0
	v_lshrrev_b32_e32 v6, 5, v3
	v_add_lshl_u32 v11, v6, v3, 2
	v_mbcnt_lo_u32_b32 v3, -1, 0
	s_movk_i32 s26, 0x80
	s_bitcmp1_b32 s6, 0
	v_mbcnt_hi_u32_b32 v12, -1, v3
	s_waitcnt vmcnt(0)
	v_add_u32_sdwa v8, sext(v5), s26 dst_sel:DWORD dst_unused:UNUSED_PAD src0_sel:BYTE_0 src1_sel:DWORD
	s_cselect_b64 s[4:5], -1, 0
	v_cmp_gt_u32_e64 s[6:7], 64, v0
	v_add_u32_e32 v0, s33, v0
	v_and_b32_e32 v13, 15, v12
	v_bfe_i32 v14, v12, 4, 1
	v_add_u32_e32 v15, -1, v12
	v_and_b32_e32 v16, 64, v12
                                        ; implicit-def: $vgpr17
	s_branch .LBB134_29
.LBB134_27:                             ;   in Loop: Header=BB134_29 Depth=1
	s_or_b64 exec, exec, s[22:23]
	v_add_u32_e32 v2, v3, v2
.LBB134_28:                             ;   in Loop: Header=BB134_29 Depth=1
	s_add_i32 s34, s34, -1
	v_add_u32_e32 v4, v18, v4
	s_cmp_lg_u32 s34, 0
	v_add_u32_e32 v0, 0x100, v0
	s_cbranch_scc0 .LBB134_48
.LBB134_29:                             ; =>This Inner Loop Header: Depth=1
	v_cmp_gt_u64_e32 vcc, s[8:9], v[0:1]
	v_mov_b32_e32 v3, v1
	v_mov_b32_e32 v6, v1
	s_and_saveexec_b64 s[22:23], vcc
	s_cbranch_execz .LBB134_31
; %bb.30:                               ;   in Loop: Header=BB134_29 Depth=1
	v_pk_mov_b32 v[6:7], s[20:21], s[20:21] op_sel:[0,1]
	v_mad_u64_u32 v[6:7], s[28:29], v0, s12, v[6:7]
	v_mov_b32_e32 v18, v7
	v_mad_u64_u32 v[18:19], s[28:29], v0, s13, v[18:19]
	v_mov_b32_e32 v7, v18
	global_load_ubyte v17, v[6:7], off
	s_waitcnt vmcnt(0)
	v_add_u32_sdwa v3, sext(v17), s26 dst_sel:DWORD dst_unused:UNUSED_PAD src0_sel:BYTE_0 src1_sel:DWORD
	v_cmp_gt_u32_e32 vcc, v3, v8
	v_cndmask_b32_e64 v6, 0, 1, vcc
	v_cmp_lt_u32_e32 vcc, v3, v8
	v_cndmask_b32_e64 v3, 0, 1, vcc
	v_cndmask_b32_e64 v3, v3, v6, s[4:5]
	v_cmp_eq_u16_sdwa s[28:29], v17, v5 src0_sel:DWORD src1_sel:BYTE_0
	v_and_b32_e32 v3, 1, v3
	v_cndmask_b32_e64 v6, 0, 1, s[28:29]
.LBB134_31:                             ;   in Loop: Header=BB134_29 Depth=1
	s_or_b64 exec, exec, s[22:23]
	ds_write_b32 v9, v3
	s_waitcnt lgkmcnt(0)
	s_barrier
	s_and_saveexec_b64 s[22:23], s[6:7]
	s_cbranch_execz .LBB134_33
; %bb.32:                               ;   in Loop: Header=BB134_29 Depth=1
	ds_read2_b32 v[18:19], v10 offset1:1
	ds_read2_b32 v[20:21], v10 offset0:2 offset1:3
	v_cmp_ne_u32_e32 vcc, 0, v13
	; wave barrier
	s_waitcnt lgkmcnt(1)
	v_add_u32_e32 v7, v19, v18
	s_waitcnt lgkmcnt(0)
	v_add3_u32 v7, v7, v20, v21
	s_nop 1
	v_mov_b32_dpp v19, v7 row_shr:1 row_mask:0xf bank_mask:0xf
	v_cndmask_b32_e32 v19, 0, v19, vcc
	v_add_u32_e32 v7, v19, v7
	v_cmp_lt_u32_e32 vcc, 1, v13
	s_nop 0
	v_mov_b32_dpp v19, v7 row_shr:2 row_mask:0xf bank_mask:0xf
	v_cndmask_b32_e32 v19, 0, v19, vcc
	v_add_u32_e32 v7, v7, v19
	v_cmp_lt_u32_e32 vcc, 3, v13
	;; [unrolled: 5-line block ×4, first 2 shown]
	s_nop 0
	v_mov_b32_dpp v19, v7 row_bcast:15 row_mask:0xf bank_mask:0xf
	v_and_b32_e32 v19, v14, v19
	v_add_u32_e32 v7, v7, v19
	s_nop 1
	v_mov_b32_dpp v19, v7 row_bcast:31 row_mask:0xf bank_mask:0xf
	v_cndmask_b32_e32 v19, 0, v19, vcc
	v_cmp_lt_i32_e32 vcc, v15, v16
	v_add_u32_e32 v7, v7, v19
	v_cndmask_b32_e32 v19, v15, v12, vcc
	v_lshlrev_b32_e32 v19, 2, v19
	ds_bpermute_b32 v7, v19, v7
	s_waitcnt lgkmcnt(0)
	v_add_u32_e32 v7, v7, v18
	v_cndmask_b32_e64 v7, v7, v3, s[2:3]
	ds_write_b32 v10, v7
	; wave barrier
	ds_read2_b32 v[18:19], v10 offset0:1 offset1:2
	ds_read_b32 v20, v10 offset:12
	s_waitcnt lgkmcnt(1)
	v_add_u32_e32 v7, v18, v7
	v_add_u32_e32 v18, v19, v7
	ds_write2_b32 v10, v7, v18 offset0:1 offset1:2
	s_waitcnt lgkmcnt(1)
	v_add_u32_e32 v7, v20, v18
	ds_write_b32 v10, v7 offset:12
.LBB134_33:                             ;   in Loop: Header=BB134_29 Depth=1
	s_or_b64 exec, exec, s[22:23]
	v_mov_b32_e32 v7, 0
	s_waitcnt lgkmcnt(0)
	s_barrier
	s_and_saveexec_b64 s[22:23], s[0:1]
	s_cbranch_execz .LBB134_35
; %bb.34:                               ;   in Loop: Header=BB134_29 Depth=1
	ds_read_b32 v7, v11
.LBB134_35:                             ;   in Loop: Header=BB134_29 Depth=1
	s_or_b64 exec, exec, s[22:23]
	ds_read_b32 v18, v1 offset:1048
	v_cmp_ne_u32_e32 vcc, 0, v3
	s_waitcnt lgkmcnt(0)
	s_barrier
	s_and_saveexec_b64 s[22:23], vcc
	s_cbranch_execz .LBB134_37
; %bb.36:                               ;   in Loop: Header=BB134_29 Depth=1
	v_add_u32_e32 v3, v7, v4
	v_pk_mov_b32 v[20:21], s[14:15], s[14:15] op_sel:[0,1]
	v_mad_u64_u32 v[20:21], s[28:29], v3, s16, v[20:21]
	v_mov_b32_e32 v22, v21
	v_mad_u64_u32 v[22:23], s[28:29], v3, s17, v[22:23]
	v_mov_b32_e32 v21, v22
	global_store_byte v[20:21], v17, off
	v_mad_u64_u32 v[20:21], s[28:29], v3, s18, 0
	v_mov_b32_e32 v22, v21
	v_mad_u64_u32 v[22:23], s[28:29], v3, s19, v[22:23]
	v_mov_b32_e32 v21, v22
	v_lshlrev_b64 v[20:21], 3, v[20:21]
	v_mov_b32_e32 v3, s25
	v_add_co_u32_e32 v20, vcc, s24, v20
	v_addc_co_u32_e32 v21, vcc, v3, v21, vcc
	global_store_dwordx2 v[20:21], v[0:1], off
.LBB134_37:                             ;   in Loop: Header=BB134_29 Depth=1
	s_or_b64 exec, exec, s[22:23]
	v_mov_b32_e32 v3, v1
	v_cmp_le_u64_e32 vcc, s[10:11], v[2:3]
	s_cbranch_vccnz .LBB134_28
; %bb.38:                               ;   in Loop: Header=BB134_29 Depth=1
	ds_write_b32 v9, v6
	s_waitcnt lgkmcnt(0)
	s_barrier
	s_and_saveexec_b64 s[22:23], s[6:7]
	s_cbranch_execz .LBB134_40
; %bb.39:                               ;   in Loop: Header=BB134_29 Depth=1
	ds_read2_b32 v[20:21], v10 offset1:1
	ds_read2_b32 v[22:23], v10 offset0:2 offset1:3
	v_cmp_ne_u32_e32 vcc, 0, v13
	; wave barrier
	s_waitcnt lgkmcnt(1)
	v_add_u32_e32 v3, v21, v20
	s_waitcnt lgkmcnt(0)
	v_add3_u32 v3, v3, v22, v23
	s_nop 1
	v_mov_b32_dpp v7, v3 row_shr:1 row_mask:0xf bank_mask:0xf
	v_cndmask_b32_e32 v7, 0, v7, vcc
	v_add_u32_e32 v3, v7, v3
	v_cmp_lt_u32_e32 vcc, 1, v13
	s_nop 0
	v_mov_b32_dpp v7, v3 row_shr:2 row_mask:0xf bank_mask:0xf
	v_cndmask_b32_e32 v7, 0, v7, vcc
	v_add_u32_e32 v3, v3, v7
	v_cmp_lt_u32_e32 vcc, 3, v13
	;; [unrolled: 5-line block ×4, first 2 shown]
	s_nop 0
	v_mov_b32_dpp v7, v3 row_bcast:15 row_mask:0xf bank_mask:0xf
	v_and_b32_e32 v7, v14, v7
	v_add_u32_e32 v3, v3, v7
	s_nop 1
	v_mov_b32_dpp v7, v3 row_bcast:31 row_mask:0xf bank_mask:0xf
	v_cndmask_b32_e32 v7, 0, v7, vcc
	v_cmp_lt_i32_e32 vcc, v15, v16
	v_add_u32_e32 v3, v3, v7
	v_cndmask_b32_e32 v7, v15, v12, vcc
	v_lshlrev_b32_e32 v7, 2, v7
	ds_bpermute_b32 v3, v7, v3
	s_waitcnt lgkmcnt(0)
	v_add_u32_e32 v3, v3, v20
	v_cndmask_b32_e64 v3, v3, v6, s[2:3]
	ds_write_b32 v10, v3
	; wave barrier
	ds_read2_b32 v[20:21], v10 offset0:1 offset1:2
	ds_read_b32 v7, v10 offset:12
	s_waitcnt lgkmcnt(1)
	v_add_u32_e32 v3, v20, v3
	v_add_u32_e32 v19, v21, v3
	ds_write2_b32 v10, v3, v19 offset0:1 offset1:2
	s_waitcnt lgkmcnt(1)
	v_add_u32_e32 v3, v7, v19
	ds_write_b32 v10, v3 offset:12
.LBB134_40:                             ;   in Loop: Header=BB134_29 Depth=1
	s_or_b64 exec, exec, s[22:23]
	v_mov_b32_e32 v7, 0
	s_waitcnt lgkmcnt(0)
	s_barrier
	s_and_saveexec_b64 s[22:23], s[0:1]
	s_cbranch_execz .LBB134_42
; %bb.41:                               ;   in Loop: Header=BB134_29 Depth=1
	ds_read_b32 v7, v11
.LBB134_42:                             ;   in Loop: Header=BB134_29 Depth=1
	s_or_b64 exec, exec, s[22:23]
	ds_read_b32 v3, v1 offset:1048
	v_cmp_ne_u32_e32 vcc, 0, v6
	s_waitcnt lgkmcnt(0)
	s_barrier
	s_and_saveexec_b64 s[22:23], vcc
	s_cbranch_execz .LBB134_27
; %bb.43:                               ;   in Loop: Header=BB134_29 Depth=1
	v_add_u32_e32 v6, v7, v2
	v_mov_b32_e32 v7, v1
	v_cmp_gt_u64_e32 vcc, s[10:11], v[6:7]
	s_and_b64 exec, exec, vcc
	s_cbranch_execz .LBB134_27
; %bb.44:                               ;   in Loop: Header=BB134_29 Depth=1
	v_pk_mov_b32 v[20:21], s[14:15], s[14:15] op_sel:[0,1]
	v_mad_u64_u32 v[20:21], s[28:29], v6, s16, v[20:21]
	v_mov_b32_e32 v22, v21
	v_mad_u64_u32 v[22:23], s[28:29], v6, s17, v[22:23]
	v_mov_b32_e32 v21, v22
	global_store_byte v[20:21], v17, off
	v_mad_u64_u32 v[20:21], s[28:29], v6, s18, 0
	v_mov_b32_e32 v22, v21
	v_mad_u64_u32 v[6:7], s[28:29], v6, s19, v[22:23]
	v_mov_b32_e32 v21, v6
	v_lshlrev_b64 v[6:7], 3, v[20:21]
	v_mov_b32_e32 v19, s25
	v_add_co_u32_e32 v6, vcc, s24, v6
	v_addc_co_u32_e32 v7, vcc, v19, v7, vcc
	global_store_dwordx2 v[6:7], v[0:1], off
	s_branch .LBB134_27
.LBB134_45:                             ;   in Loop: Header=BB134_46 Depth=1
	s_add_u32 s16, s16, 4
	s_addc_u32 s17, s17, 0
	s_waitcnt lgkmcnt(0)
	s_add_i32 s20, s15, s20
	s_add_u32 s18, s18, 4
	s_addc_u32 s19, s19, 0
	s_add_i32 s14, s14, 1
	s_cmp_lt_u32 s14, s35
	s_cbranch_scc0 .LBB134_24
.LBB134_46:                             ; =>This Inner Loop Header: Depth=1
	s_load_dword s15, s[16:17], 0x0
	s_cmp_ge_u32 s14, s28
	s_cbranch_scc1 .LBB134_45
; %bb.47:                               ;   in Loop: Header=BB134_46 Depth=1
	s_load_dword s22, s[18:19], 0x0
	s_waitcnt lgkmcnt(0)
	s_add_i32 s21, s15, s21
	s_add_i32 s7, s22, s7
	s_branch .LBB134_45
.LBB134_48:
	s_endpgm
	.section	.rodata,"a",@progbits
	.p2align	6, 0x0
	.amdhsa_kernel _ZN2at6native6mbtopk10gatherTopKIamLi2EEEvNS_4cuda6detail10TensorInfoIKT_T0_EES8_S8_bjS8_NS5_IS6_S8_EES8_NS5_IlS8_EES8_jjPS6_PjSD_j
		.amdhsa_group_segment_fixed_size 1068
		.amdhsa_private_segment_fixed_size 0
		.amdhsa_kernarg_size 1592
		.amdhsa_user_sgpr_count 6
		.amdhsa_user_sgpr_private_segment_buffer 1
		.amdhsa_user_sgpr_dispatch_ptr 0
		.amdhsa_user_sgpr_queue_ptr 0
		.amdhsa_user_sgpr_kernarg_segment_ptr 1
		.amdhsa_user_sgpr_dispatch_id 0
		.amdhsa_user_sgpr_flat_scratch_init 0
		.amdhsa_user_sgpr_kernarg_preload_length 0
		.amdhsa_user_sgpr_kernarg_preload_offset 0
		.amdhsa_user_sgpr_private_segment_size 0
		.amdhsa_uses_dynamic_stack 0
		.amdhsa_system_sgpr_private_segment_wavefront_offset 0
		.amdhsa_system_sgpr_workgroup_id_x 1
		.amdhsa_system_sgpr_workgroup_id_y 1
		.amdhsa_system_sgpr_workgroup_id_z 1
		.amdhsa_system_sgpr_workgroup_info 0
		.amdhsa_system_vgpr_workitem_id 0
		.amdhsa_next_free_vgpr 24
		.amdhsa_next_free_sgpr 50
		.amdhsa_accum_offset 24
		.amdhsa_reserve_vcc 1
		.amdhsa_reserve_flat_scratch 0
		.amdhsa_float_round_mode_32 0
		.amdhsa_float_round_mode_16_64 0
		.amdhsa_float_denorm_mode_32 3
		.amdhsa_float_denorm_mode_16_64 3
		.amdhsa_dx10_clamp 1
		.amdhsa_ieee_mode 1
		.amdhsa_fp16_overflow 0
		.amdhsa_tg_split 0
		.amdhsa_exception_fp_ieee_invalid_op 0
		.amdhsa_exception_fp_denorm_src 0
		.amdhsa_exception_fp_ieee_div_zero 0
		.amdhsa_exception_fp_ieee_overflow 0
		.amdhsa_exception_fp_ieee_underflow 0
		.amdhsa_exception_fp_ieee_inexact 0
		.amdhsa_exception_int_div_zero 0
	.end_amdhsa_kernel
	.section	.text._ZN2at6native6mbtopk10gatherTopKIamLi2EEEvNS_4cuda6detail10TensorInfoIKT_T0_EES8_S8_bjS8_NS5_IS6_S8_EES8_NS5_IlS8_EES8_jjPS6_PjSD_j,"axG",@progbits,_ZN2at6native6mbtopk10gatherTopKIamLi2EEEvNS_4cuda6detail10TensorInfoIKT_T0_EES8_S8_bjS8_NS5_IS6_S8_EES8_NS5_IlS8_EES8_jjPS6_PjSD_j,comdat
.Lfunc_end134:
	.size	_ZN2at6native6mbtopk10gatherTopKIamLi2EEEvNS_4cuda6detail10TensorInfoIKT_T0_EES8_S8_bjS8_NS5_IS6_S8_EES8_NS5_IlS8_EES8_jjPS6_PjSD_j, .Lfunc_end134-_ZN2at6native6mbtopk10gatherTopKIamLi2EEEvNS_4cuda6detail10TensorInfoIKT_T0_EES8_S8_bjS8_NS5_IS6_S8_EES8_NS5_IlS8_EES8_jjPS6_PjSD_j
                                        ; -- End function
	.section	.AMDGPU.csdata,"",@progbits
; Kernel info:
; codeLenInByte = 2656
; NumSgprs: 54
; NumVgprs: 24
; NumAgprs: 0
; TotalNumVgprs: 24
; ScratchSize: 0
; MemoryBound: 0
; FloatMode: 240
; IeeeMode: 1
; LDSByteSize: 1068 bytes/workgroup (compile time only)
; SGPRBlocks: 6
; VGPRBlocks: 2
; NumSGPRsForWavesPerEU: 54
; NumVGPRsForWavesPerEU: 24
; AccumOffset: 24
; Occupancy: 8
; WaveLimiterHint : 1
; COMPUTE_PGM_RSRC2:SCRATCH_EN: 0
; COMPUTE_PGM_RSRC2:USER_SGPR: 6
; COMPUTE_PGM_RSRC2:TRAP_HANDLER: 0
; COMPUTE_PGM_RSRC2:TGID_X_EN: 1
; COMPUTE_PGM_RSRC2:TGID_Y_EN: 1
; COMPUTE_PGM_RSRC2:TGID_Z_EN: 1
; COMPUTE_PGM_RSRC2:TIDIG_COMP_CNT: 0
; COMPUTE_PGM_RSRC3_GFX90A:ACCUM_OFFSET: 5
; COMPUTE_PGM_RSRC3_GFX90A:TG_SPLIT: 0
	.section	.text._ZN2at6native6sbtopk10gatherTopKIamLi2ELb0EEEvNS_4cuda6detail10TensorInfoIKT_T0_EES8_S8_bS8_S8_NS5_IS6_S8_EES8_NS5_IlS8_EES8_PS6_,"axG",@progbits,_ZN2at6native6sbtopk10gatherTopKIamLi2ELb0EEEvNS_4cuda6detail10TensorInfoIKT_T0_EES8_S8_bS8_S8_NS5_IS6_S8_EES8_NS5_IlS8_EES8_PS6_,comdat
	.protected	_ZN2at6native6sbtopk10gatherTopKIamLi2ELb0EEEvNS_4cuda6detail10TensorInfoIKT_T0_EES8_S8_bS8_S8_NS5_IS6_S8_EES8_NS5_IlS8_EES8_PS6_ ; -- Begin function _ZN2at6native6sbtopk10gatherTopKIamLi2ELb0EEEvNS_4cuda6detail10TensorInfoIKT_T0_EES8_S8_bS8_S8_NS5_IS6_S8_EES8_NS5_IlS8_EES8_PS6_
	.globl	_ZN2at6native6sbtopk10gatherTopKIamLi2ELb0EEEvNS_4cuda6detail10TensorInfoIKT_T0_EES8_S8_bS8_S8_NS5_IS6_S8_EES8_NS5_IlS8_EES8_PS6_
	.p2align	8
	.type	_ZN2at6native6sbtopk10gatherTopKIamLi2ELb0EEEvNS_4cuda6detail10TensorInfoIKT_T0_EES8_S8_bS8_S8_NS5_IS6_S8_EES8_NS5_IlS8_EES8_PS6_,@function
_ZN2at6native6sbtopk10gatherTopKIamLi2ELb0EEEvNS_4cuda6detail10TensorInfoIKT_T0_EES8_S8_bS8_S8_NS5_IS6_S8_EES8_NS5_IlS8_EES8_PS6_: ; @_ZN2at6native6sbtopk10gatherTopKIamLi2ELb0EEEvNS_4cuda6detail10TensorInfoIKT_T0_EES8_S8_bS8_S8_NS5_IS6_S8_EES8_NS5_IlS8_EES8_PS6_
; %bb.0:
	s_load_dwordx4 s[56:59], s[4:5], 0x1b8
	s_load_dwordx2 s[12:13], s[4:5], 0x520
	s_add_u32 s20, s4, 0x520
	s_addc_u32 s21, s5, 0
	s_mov_b32 s23, 0
	s_waitcnt lgkmcnt(0)
	v_mov_b32_e32 v2, s56
	s_mul_i32 s0, s13, s8
	s_add_i32 s0, s0, s7
	s_mul_i32 s0, s0, s12
	v_mov_b32_e32 v3, s57
	s_add_i32 s22, s0, s6
	v_cmp_ge_u64_e32 vcc, s[22:23], v[2:3]
	s_cbranch_vccnz .LBB135_486
; %bb.1:
	s_load_dwordx2 s[8:9], s[4:5], 0x10
	s_load_dwordx2 s[16:17], s[4:5], 0x380
	;; [unrolled: 1-line block ×3, first 2 shown]
	s_mov_b64 s[0:1], 0
                                        ; implicit-def: $vgpr42 : SGPR spill to VGPR lane
	s_mov_b64 s[10:11], 0
	s_waitcnt lgkmcnt(0)
	v_pk_mov_b32 v[2:3], s[8:9], s[8:9] op_sel:[0,1]
	v_cmp_lt_u64_e32 vcc, s[22:23], v[2:3]
	v_writelane_b32 v42, s0, 0
	v_writelane_b32 v42, s1, 1
	s_cbranch_vccnz .LBB135_3
; %bb.2:
	v_cvt_f32_u32_e32 v1, s8
	s_sub_i32 s0, 0, s8
	v_rcp_iflag_f32_e32 v1, v1
	v_mul_f32_e32 v1, 0x4f7ffffe, v1
	v_cvt_u32_f32_e32 v1, v1
	v_readfirstlane_b32 s1, v1
	s_mul_i32 s0, s0, s1
	s_mul_hi_u32 s0, s1, s0
	s_add_i32 s1, s1, s0
	s_mul_hi_u32 s0, s22, s1
	s_mul_i32 s2, s0, s8
	s_sub_i32 s2, s22, s2
	s_add_i32 s1, s0, 1
	s_sub_i32 s3, s2, s8
	s_cmp_ge_u32 s2, s8
	s_cselect_b32 s0, s1, s0
	s_cselect_b32 s2, s3, s2
	s_add_i32 s1, s0, 1
	s_cmp_ge_u32 s2, s8
	s_cselect_b32 s10, s1, s0
.LBB135_3:
	v_pk_mov_b32 v[2:3], s[14:15], s[14:15] op_sel:[0,1]
	v_cmp_lt_u64_e32 vcc, s[22:23], v[2:3]
	s_cbranch_vccnz .LBB135_5
; %bb.4:
	v_cvt_f32_u32_e32 v1, s14
	s_sub_i32 s0, 0, s14
	v_rcp_iflag_f32_e32 v1, v1
	v_mul_f32_e32 v1, 0x4f7ffffe, v1
	v_cvt_u32_f32_e32 v1, v1
	v_readfirstlane_b32 s1, v1
	s_mul_i32 s0, s0, s1
	s_mul_hi_u32 s0, s1, s0
	s_add_i32 s1, s1, s0
	s_mul_hi_u32 s0, s22, s1
	s_mul_i32 s2, s0, s14
	s_sub_i32 s2, s22, s2
	s_add_i32 s1, s0, 1
	s_sub_i32 s3, s2, s14
	s_cmp_ge_u32 s2, s14
	s_cselect_b32 s0, s1, s0
	s_cselect_b32 s2, s3, s2
	s_add_i32 s1, s0, 1
	s_cmp_ge_u32 s2, s14
	s_cselect_b32 s0, s1, s0
	v_writelane_b32 v42, s0, 0
	v_writelane_b32 v42, s1, 1
.LBB135_5:
	v_writelane_b32 v42, s14, 2
	v_writelane_b32 v42, s15, 3
	s_load_dwordx2 s[14:15], s[4:5], 0x0
	v_pk_mov_b32 v[2:3], s[16:17], s[16:17] op_sel:[0,1]
	v_cmp_lt_u64_e32 vcc, s[22:23], v[2:3]
	s_mov_b64 s[0:1], 0
	v_writelane_b32 v42, s0, 4
	v_writelane_b32 v42, s1, 5
	s_cbranch_vccnz .LBB135_7
; %bb.6:
	v_cvt_f32_u32_e32 v1, s16
	s_sub_i32 s0, 0, s16
	v_rcp_iflag_f32_e32 v1, v1
	v_mul_f32_e32 v1, 0x4f7ffffe, v1
	v_cvt_u32_f32_e32 v1, v1
	v_readfirstlane_b32 s1, v1
	s_mul_i32 s0, s0, s1
	s_mul_hi_u32 s0, s1, s0
	s_add_i32 s1, s1, s0
	s_mul_hi_u32 s0, s22, s1
	s_mul_i32 s2, s0, s16
	s_sub_i32 s2, s22, s2
	s_add_i32 s1, s0, 1
	s_sub_i32 s3, s2, s16
	s_cmp_ge_u32 s2, s16
	s_cselect_b32 s0, s1, s0
	s_cselect_b32 s2, s3, s2
	s_add_i32 s1, s0, 1
	s_cmp_ge_u32 s2, s16
	s_cselect_b32 s0, s1, s0
	v_writelane_b32 v42, s0, 4
	v_writelane_b32 v42, s1, 5
.LBB135_7:
	s_load_dwordx2 s[0:1], s[4:5], 0x370
	v_writelane_b32 v42, s16, 6
	v_writelane_b32 v42, s17, 7
	s_mov_b32 s87, 0
	v_cmp_eq_u32_e64 s[18:19], 0, v0
	s_waitcnt lgkmcnt(0)
	v_writelane_b32 v42, s0, 8
	v_writelane_b32 v42, s1, 9
	s_load_dwordx2 s[0:1], s[4:5], 0x1c8
	s_waitcnt lgkmcnt(0)
	v_writelane_b32 v42, s0, 10
	v_writelane_b32 v42, s1, 11
	s_load_dwordx4 s[0:3], s[4:5], 0xd0
	s_load_dwordx4 s[60:63], s[4:5], 0x1a0
	s_mov_b64 s[16:17], exec
	v_writelane_b32 v42, s18, 12
	v_writelane_b32 v42, s19, 13
	s_and_b64 s[18:19], s[16:17], s[18:19]
	s_mov_b64 exec, s[18:19]
	s_cbranch_execz .LBB135_9
; %bb.8:
	v_mov_b32_e32 v2, 0
	s_waitcnt lgkmcnt(0)
	v_mov_b32_e32 v4, s60
	v_mov_b32_e32 v5, s61
	;; [unrolled: 1-line block ×3, first 2 shown]
	ds_write_b32 v2, v2 offset:5144
	ds_write_b128 v2, v[2:5] offset:5120
.LBB135_9:
	s_or_b64 exec, exec, s[16:17]
	s_mul_i32 s7, s10, s9
	s_mul_hi_u32 s9, s10, s8
	s_add_i32 s9, s9, s7
	s_mul_i32 s7, s10, s8
	s_mov_b32 s8, s22
	v_writelane_b32 v42, s8, 14
	s_sub_u32 s7, s22, s7
	v_writelane_b32 v42, s9, 15
	s_subb_u32 s8, 0, s9
	s_waitcnt lgkmcnt(0)
	s_mul_i32 s3, s7, s3
	s_mul_hi_u32 s9, s7, s2
	s_add_i32 s3, s9, s3
	s_mul_i32 s8, s8, s2
	s_add_i32 s3, s3, s8
	s_mul_i32 s7, s7, s2
	s_mul_i32 s1, s10, s1
	s_mul_hi_u32 s2, s10, s0
	s_mul_i32 s0, s10, s0
	s_load_dwordx4 s[8:11], s[4:5], 0x298
	s_add_i32 s2, s2, s1
	s_load_dword s1, s[4:5], 0x1b0
	s_add_u32 s0, s14, s0
	s_addc_u32 s2, s15, s2
	s_waitcnt lgkmcnt(0)
	v_writelane_b32 v42, s8, 16
	s_add_u32 s56, s0, s7
	v_writelane_b32 v42, s9, 17
	s_addc_u32 s57, s2, s3
	v_writelane_b32 v42, s10, 18
	s_bitcmp1_b32 s1, 0
	v_writelane_b32 v42, s11, 19
	s_cselect_b64 s[0:1], -1, 0
	v_writelane_b32 v42, s0, 20
	v_mbcnt_lo_u32_b32 v1, -1, 0
	v_writelane_b32 v42, s1, 21
	s_xor_b64 s[0:1], s[0:1], -1
	v_mbcnt_hi_u32_b32 v27, -1, v1
	v_writelane_b32 v42, s0, 22
	v_cmp_gt_u32_e32 vcc, 64, v0
	v_cmp_gt_i32_e64 s[10:11], 4, v27
	v_writelane_b32 v42, s1, 23
	s_and_b64 s[2:3], vcc, s[10:11]
	v_mov_b32_e32 v2, 0xc00
	v_writelane_b32 v42, s2, 24
	v_mov_b32_e32 v3, 0
	v_writelane_b32 v42, s3, 25
	v_cmp_gt_u64_e64 s[2:3], s[60:61], v[2:3]
	v_writelane_b32 v42, s2, 26
	v_pk_mov_b32 v[16:17], s[56:57], s[56:57] op_sel:[0,1]
	v_writelane_b32 v42, s3, 27
	v_mad_u64_u32 v[12:13], s[2:3], v0, s58, v[16:17]
	v_mov_b32_e32 v15, 0
	v_mov_b32_e32 v2, v13
	;; [unrolled: 1-line block ×3, first 2 shown]
	v_mad_u64_u32 v[2:3], s[2:3], v0, s59, v[2:3]
	v_cmp_gt_u64_e64 s[2:3], s[60:61], v[0:1]
	v_writelane_b32 v42, s2, 28
	v_writelane_b32 v42, s3, 29
	v_cmp_gt_u32_e64 s[2:3], 2, v0
	v_writelane_b32 v42, s2, 30
	s_barrier
	v_writelane_b32 v42, s3, 31
	s_load_dword s2, s[20:21], 0xc
	v_mov_b32_e32 v13, v2
	v_lshrrev_b32_e32 v2, 4, v0
	v_and_b32_e32 v28, 60, v2
	v_lshlrev_b32_e32 v2, 2, v27
	s_waitcnt lgkmcnt(0)
	s_and_b32 s33, s2, 0xffff
	s_bfe_u32 s3, s2, 0xa0006
	v_cmp_gt_u16_e64 s[8:9], s2, 63
	v_writelane_b32 v42, s8, 32
	s_add_u32 s2, s33, -1
	v_writelane_b32 v42, s9, 33
	s_addc_u32 s7, 0, -1
	v_writelane_b32 v42, s2, 34
	s_add_u32 s2, s2, s60
	s_addc_u32 s95, s7, s61
	s_cmp_lt_u32 s6, s12
	v_writelane_b32 v42, s2, 35
	s_cselect_b32 s2, 12, 18
	s_add_u32 s6, s20, s2
	v_writelane_b32 v42, s7, 36
	s_addc_u32 s7, s21, 0
	v_writelane_b32 v42, s6, 37
	v_writelane_b32 v42, s7, 38
	s_add_i32 s2, s3, -1
	s_bfe_u32 s6, s33, 0x30006
	s_cmp_gt_u32 s2, 6
	s_cselect_b64 s[8:9], -1, 0
	v_writelane_b32 v42, s8, 39
	s_and_b32 s82, s3, 0x3f8
	v_writelane_b32 v42, s9, 40
	s_cmp_lg_u32 s6, 0
	v_writelane_b32 v42, s6, 41
	s_cselect_b64 s[2:3], -1, 0
	v_writelane_b32 v42, s2, 42
	v_writelane_b32 v42, s3, 43
	;; [unrolled: 1-line block ×4, first 2 shown]
	s_load_dwordx4 s[4:7], s[4:5], 0x440
	v_and_b32_e32 v26, 0x100, v2
	v_lshlrev_b64 v[2:3], v27, -1
	v_not_b32_e32 v10, v2
	v_mov_b32_e32 v2, 0xc00
	s_waitcnt lgkmcnt(0)
	v_writelane_b32 v42, s4, 46
	v_writelane_b32 v42, s5, 47
	v_writelane_b32 v42, s6, 48
	v_cmp_eq_u32_e64 s[0:1], 0, v27
	v_lshlrev_b32_e32 v18, 2, v0
	v_mov_b32_e32 v19, v15
	v_not_b32_e32 v11, v3
	s_mov_b32 s90, s87
	s_mov_b32 s83, 6
	v_lshl_or_b32 v29, v27, 3, v2
	s_mov_b64 s[66:67], 0
	v_pk_mov_b32 v[20:21], s[62:63], s[62:63] op_sel:[0,1]
	s_movk_i32 s91, 0x80
	v_mov_b32_e32 v30, 0x4f800000
	v_writelane_b32 v42, s7, 49
	v_mov_b32_e32 v33, 0
	s_mov_b32 s4, 0
	v_mov_b32_e32 v32, 0
	v_mov_b32_e32 v31, 0
                                        ; implicit-def: $sgpr68_sgpr69
                                        ; implicit-def: $sgpr78_sgpr79
                                        ; implicit-def: $sgpr74_sgpr75
                                        ; implicit-def: $sgpr76_sgpr77
                                        ; implicit-def: $sgpr80_sgpr81
                                        ; implicit-def: $sgpr2_sgpr3
                                        ; implicit-def: $sgpr70_sgpr71
                                        ; implicit-def: $sgpr84_sgpr85
                                        ; implicit-def: $sgpr64_sgpr65
	v_writelane_b32 v42, s4, 50
                                        ; implicit-def: $sgpr30_sgpr31
	s_branch .LBB135_12
.LBB135_10:                             ;   in Loop: Header=BB135_12 Depth=1
	s_or_b64 exec, exec, s[10:11]
	s_andn2_b64 s[10:11], s[30:31], exec
	s_and_b64 s[8:9], s[8:9], exec
	s_or_b64 s[30:31], s[10:11], s[8:9]
	s_andn2_b64 s[64:65], s[64:65], exec
	s_andn2_b64 s[84:85], s[84:85], exec
	;; [unrolled: 1-line block ×4, first 2 shown]
	s_orn2_b64 s[6:7], s[6:7], exec
	v_mov_b32_e32 v31, v9
	v_mov_b32_e32 v32, v8
	v_pk_mov_b32 v[20:21], v[2:3], v[2:3] op_sel:[0,1]
	v_mov_b32_e32 v33, v22
.LBB135_11:                             ;   in Loop: Header=BB135_12 Depth=1
	s_or_b64 exec, exec, s[4:5]
	s_and_b64 s[4:5], exec, s[6:7]
	s_or_b64 s[66:67], s[4:5], s[66:67]
	s_andn2_b64 s[4:5], s[80:81], exec
	s_and_b64 s[6:7], s[30:31], exec
	s_or_b64 s[80:81], s[4:5], s[6:7]
	s_andn2_b64 s[4:5], s[76:77], exec
	s_and_b64 s[6:7], s[64:65], exec
	;; [unrolled: 3-line block ×5, first 2 shown]
	s_or_b64 s[68:69], s[4:5], s[6:7]
	s_andn2_b64 exec, exec, s[66:67]
	s_cbranch_execz .LBB135_482
.LBB135_12:                             ; =>This Loop Header: Depth=1
                                        ;     Child Loop BB135_17 Depth 2
                                        ;     Child Loop BB135_32 Depth 2
                                        ;     Child Loop BB135_59 Depth 2
                                        ;     Child Loop BB135_63 Depth 2
                                        ;     Child Loop BB135_45 Depth 2
                                        ;     Child Loop BB135_52 Depth 2
                                        ;     Child Loop BB135_72 Depth 2
                                        ;     Child Loop BB135_78 Depth 2
                                        ;     Child Loop BB135_110 Depth 2
                                        ;     Child Loop BB135_91 Depth 2
                                        ;     Child Loop BB135_156 Depth 2
                                        ;     Child Loop BB135_140 Depth 2
                                        ;     Child Loop BB135_202 Depth 2
                                        ;     Child Loop BB135_186 Depth 2
                                        ;     Child Loop BB135_237 Depth 2
                                        ;     Child Loop BB135_253 Depth 2
                                        ;     Child Loop BB135_306 Depth 2
                                        ;     Child Loop BB135_292 Depth 2
                                        ;     Child Loop BB135_352 Depth 2
                                        ;     Child Loop BB135_336 Depth 2
                                        ;     Child Loop BB135_398 Depth 2
                                        ;     Child Loop BB135_382 Depth 2
                                        ;     Child Loop BB135_433 Depth 2
                                        ;     Child Loop BB135_449 Depth 2
	ds_read_b128 v[2:5], v15 offset:5120
	s_waitcnt lgkmcnt(0)
	v_readfirstlane_b32 s9, v3
	v_readfirstlane_b32 s8, v2
	s_cmp_lg_u64 s[8:9], 0
	s_cbranch_scc1 .LBB135_39
; %bb.13:                               ;   in Loop: Header=BB135_12 Depth=1
	v_readlane_b32 s4, v42, 26
	v_readlane_b32 s5, v42, 27
	s_and_b64 vcc, exec, s[4:5]
	s_cbranch_vccz .LBB135_25
; %bb.14:                               ;   in Loop: Header=BB135_12 Depth=1
	s_mov_b64 s[4:5], 0xc01
	v_cmp_gt_u64_e32 vcc, s[4:5], v[4:5]
	s_mov_b64 s[8:9], 0
	s_mov_b64 s[4:5], 0
	s_cbranch_vccz .LBB135_26
; %bb.15:                               ;   in Loop: Header=BB135_12 Depth=1
	v_readlane_b32 s4, v42, 37
	v_readlane_b32 s5, v42, 38
	global_load_ubyte v5, v[12:13], off
	v_pk_mov_b32 v[2:3], v[0:1], v[0:1] op_sel:[0,1]
	s_nop 2
	global_load_ushort v4, v15, s[4:5]
	s_mov_b64 s[4:5], 0
	s_branch .LBB135_17
.LBB135_16:                             ;   in Loop: Header=BB135_17 Depth=2
	s_or_b64 exec, exec, s[6:7]
	s_waitcnt vmcnt(0)
	v_mov_b32_e32 v5, v6
	s_andn2_b64 exec, exec, s[4:5]
	s_cbranch_execz .LBB135_98
.LBB135_17:                             ;   Parent Loop BB135_12 Depth=1
                                        ; =>  This Inner Loop Header: Depth=2
	s_waitcnt vmcnt(0)
	v_add_co_u32_sdwa v2, vcc, v2, v4 dst_sel:DWORD dst_unused:UNUSED_PAD src0_sel:DWORD src1_sel:WORD_0
	v_addc_co_u32_e32 v3, vcc, 0, v3, vcc
	v_cmp_gt_u64_e64 s[6:7], s[60:61], v[2:3]
	v_cmp_le_u64_e32 vcc, s[60:61], v[2:3]
	s_waitcnt lgkmcnt(0)
	v_mov_b32_e32 v7, 0
	v_mov_b32_e32 v6, 0
	s_and_saveexec_b64 s[10:11], s[6:7]
	s_cbranch_execz .LBB135_19
; %bb.18:                               ;   in Loop: Header=BB135_17 Depth=2
	v_mad_u64_u32 v[8:9], s[6:7], v2, s58, v[16:17]
	v_mul_lo_u32 v6, v2, s59
	v_mul_lo_u32 v14, v3, s58
	v_add3_u32 v9, v14, v9, v6
	global_load_ubyte v6, v[8:9], off
.LBB135_19:                             ;   in Loop: Header=BB135_17 Depth=2
	s_or_b64 exec, exec, s[10:11]
	v_add_u32_sdwa v8, sext(v5), s91 dst_sel:DWORD dst_unused:UNUSED_PAD src0_sel:BYTE_0 src1_sel:DWORD
	v_and_b32_e32 v8, v8, v31
	v_cmp_eq_u32_e64 s[14:15], v8, v32
	s_cmp_lg_u64 s[14:15], 0
	s_cselect_b64 s[6:7], -1, 0
	s_and_b64 s[6:7], s[0:1], s[6:7]
	s_and_saveexec_b64 s[10:11], s[6:7]
	s_cbranch_execz .LBB135_23
; %bb.20:                               ;   in Loop: Header=BB135_17 Depth=2
	s_mov_b64 s[16:17], exec
	v_mbcnt_lo_u32_b32 v7, s16, 0
	v_mbcnt_hi_u32_b32 v7, s17, v7
	s_bcnt1_i32_b64 s18, s[14:15]
	v_cmp_eq_u32_e64 s[6:7], 0, v7
                                        ; implicit-def: $vgpr8
	s_and_saveexec_b64 s[12:13], s[6:7]
	s_cbranch_execz .LBB135_22
; %bb.21:                               ;   in Loop: Header=BB135_17 Depth=2
	s_bcnt1_i32_b64 s6, s[16:17]
	s_mul_i32 s6, s18, s6
	v_mov_b32_e32 v8, s6
	ds_add_rtn_u32 v8, v15, v8 offset:5144
.LBB135_22:                             ;   in Loop: Header=BB135_17 Depth=2
	s_or_b64 exec, exec, s[12:13]
	s_waitcnt lgkmcnt(0)
	v_readfirstlane_b32 s6, v8
	v_mov_b32_e32 v8, s6
	v_mad_u32_u24 v7, s18, v7, v8
.LBB135_23:                             ;   in Loop: Header=BB135_17 Depth=2
	s_or_b64 exec, exec, s[10:11]
	ds_bpermute_b32 v7, v26, v7
	s_and_b64 s[6:7], exec, vcc
	s_or_b64 s[4:5], s[6:7], s[4:5]
	s_and_saveexec_b64 s[6:7], s[14:15]
	s_cbranch_execz .LBB135_16
; %bb.24:                               ;   in Loop: Header=BB135_17 Depth=2
	v_and_b32_e32 v9, s14, v10
	v_and_b32_e32 v8, s15, v11
	v_bcnt_u32_b32 v9, v9, 0
	v_bcnt_u32_b32 v8, v8, v9
	s_waitcnt lgkmcnt(0)
	v_add_u32_e32 v7, v7, v8
	ds_write_b8 v7, v5
	s_branch .LBB135_16
.LBB135_25:                             ;   in Loop: Header=BB135_12 Depth=1
	s_mov_b64 s[8:9], -1
	s_mov_b64 s[4:5], 0
.LBB135_26:                             ;   in Loop: Header=BB135_12 Depth=1
	s_and_b64 vcc, exec, s[8:9]
	s_cbranch_vccz .LBB135_37
.LBB135_27:                             ;   in Loop: Header=BB135_12 Depth=1
	v_mov_b32_e32 v4, 0
	s_mov_b64 s[4:5], exec
	v_readlane_b32 s6, v42, 28
	v_readlane_b32 s7, v42, 29
	s_and_b64 s[6:7], s[4:5], s[6:7]
	s_mov_b64 exec, s[6:7]
	s_cbranch_execz .LBB135_29
; %bb.28:                               ;   in Loop: Header=BB135_12 Depth=1
	global_load_ubyte v4, v[12:13], off
.LBB135_29:                             ;   in Loop: Header=BB135_12 Depth=1
	s_or_b64 exec, exec, s[4:5]
	s_mov_b64 s[4:5], exec
	v_readlane_b32 s6, v42, 28
	v_readlane_b32 s7, v42, 29
	s_and_b64 s[6:7], s[4:5], s[6:7]
	s_mov_b64 exec, s[6:7]
	s_cbranch_execz .LBB135_34
; %bb.30:                               ;   in Loop: Header=BB135_12 Depth=1
	v_readlane_b32 s6, v42, 37
	v_readlane_b32 s7, v42, 38
	s_mov_b64 s[8:9], 0
	v_mov_b32_e32 v5, v0
	s_nop 2
	global_load_ushort v2, v15, s[6:7]
	s_waitcnt vmcnt(0)
	v_and_b32_e32 v6, 0xffff, v2
	v_pk_mov_b32 v[2:3], v[0:1], v[0:1] op_sel:[0,1]
	s_branch .LBB135_32
.LBB135_31:                             ;   in Loop: Header=BB135_32 Depth=2
	s_or_b64 exec, exec, s[10:11]
	s_and_b64 s[6:7], exec, vcc
	s_or_b64 s[8:9], s[6:7], s[8:9]
	ds_write_b8 v5, v4
	v_add_u32_e32 v5, v5, v6
	s_waitcnt vmcnt(0)
	v_mov_b32_e32 v4, v7
	s_andn2_b64 exec, exec, s[8:9]
	s_cbranch_execz .LBB135_34
.LBB135_32:                             ;   Parent Loop BB135_12 Depth=1
                                        ; =>  This Inner Loop Header: Depth=2
	v_add_co_u32_e32 v2, vcc, v2, v6
	v_addc_co_u32_e32 v3, vcc, 0, v3, vcc
	v_cmp_gt_u64_e64 s[6:7], s[60:61], v[2:3]
	v_cmp_le_u64_e32 vcc, s[60:61], v[2:3]
	v_mov_b32_e32 v7, 0
	s_and_saveexec_b64 s[10:11], s[6:7]
	s_cbranch_execz .LBB135_31
; %bb.33:                               ;   in Loop: Header=BB135_32 Depth=2
	v_pk_mov_b32 v[8:9], s[56:57], s[56:57] op_sel:[0,1]
	v_mad_u64_u32 v[8:9], s[6:7], v2, s58, v[8:9]
	v_mul_lo_u32 v7, v2, s59
	v_mul_lo_u32 v14, v3, s58
	v_add3_u32 v9, v14, v9, v7
	global_load_ubyte v7, v[8:9], off
	s_branch .LBB135_31
.LBB135_34:                             ;   in Loop: Header=BB135_12 Depth=1
	s_or_b64 exec, exec, s[4:5]
	s_waitcnt lgkmcnt(0)
	s_barrier
	s_mov_b64 s[4:5], exec
	v_readlane_b32 s6, v42, 12
	v_readlane_b32 s7, v42, 13
	s_and_b64 s[6:7], s[4:5], s[6:7]
	s_mov_b64 exec, s[6:7]
	s_cbranch_execz .LBB135_36
; %bb.35:                               ;   in Loop: Header=BB135_12 Depth=1
	v_pk_mov_b32 v[2:3], s[60:61], s[60:61] op_sel:[0,1]
	ds_write_b64 v15, v[2:3] offset:5120
.LBB135_36:                             ;   in Loop: Header=BB135_12 Depth=1
	s_or_b64 exec, exec, s[4:5]
	s_mov_b64 s[4:5], -1
	s_waitcnt lgkmcnt(0)
	s_barrier
                                        ; implicit-def: $sgpr8_sgpr9
.LBB135_37:                             ;   in Loop: Header=BB135_12 Depth=1
	s_and_b64 vcc, exec, s[4:5]
	s_cbranch_vccz .LBB135_39
; %bb.38:                               ;   in Loop: Header=BB135_12 Depth=1
	ds_read_b64 v[2:3], v15 offset:5120
	s_waitcnt lgkmcnt(0)
	v_readfirstlane_b32 s8, v2
.LBB135_39:                             ;   in Loop: Header=BB135_12 Depth=1
	s_cmp_lt_i32 s8, 1
	s_cbranch_scc0 .LBB135_54
; %bb.40:                               ;   in Loop: Header=BB135_12 Depth=1
	v_readlane_b32 s4, v42, 37
	v_readlane_b32 s5, v42, 38
	s_nop 4
	global_load_ushort v34, v15, s[4:5]
	s_mov_b32 s4, s87
	s_waitcnt vmcnt(0)
	v_readfirstlane_b32 s5, v34
	s_and_b32 s5, 0xffff, s5
	s_lshl_b32 s9, s5, 2
	s_mov_b32 s5, s61
	s_cmp_lg_u64 s[4:5], 0
	s_cbranch_scc0 .LBB135_74
; %bb.41:                               ;   in Loop: Header=BB135_12 Depth=1
	v_cvt_f32_u32_e32 v2, s9
	s_sub_u32 s4, 0, s9
	s_subb_u32 s5, 0, 0
	v_mac_f32_e32 v2, 0, v30
	v_rcp_f32_e32 v2, v2
	v_mul_f32_e32 v2, 0x5f7ffffc, v2
	v_mul_f32_e32 v3, 0x2f800000, v2
	v_trunc_f32_e32 v3, v3
	v_mac_f32_e32 v2, 0xcf800000, v3
	v_cvt_u32_f32_e32 v3, v3
	v_cvt_u32_f32_e32 v2, v2
	v_readfirstlane_b32 s6, v3
	v_readfirstlane_b32 s7, v2
	s_mul_i32 s10, s4, s6
	s_mul_hi_u32 s12, s4, s7
	s_mul_i32 s11, s5, s7
	s_add_i32 s10, s12, s10
	s_mul_i32 s13, s4, s7
	s_add_i32 s10, s10, s11
	s_mul_hi_u32 s12, s7, s13
	s_mul_hi_u32 s11, s7, s10
	s_mul_i32 s7, s7, s10
	s_add_u32 s7, s12, s7
	s_addc_u32 s11, 0, s11
	s_mul_hi_u32 s14, s6, s13
	s_mul_i32 s13, s6, s13
	s_add_u32 s7, s7, s13
	s_mul_hi_u32 s12, s6, s10
	s_addc_u32 s7, s11, s14
	s_addc_u32 s11, s12, 0
	s_mul_i32 s10, s6, s10
	s_add_u32 s7, s7, s10
	s_addc_u32 s10, 0, s11
	v_add_co_u32_e32 v2, vcc, s7, v2
	s_cmp_lg_u64 vcc, 0
	s_addc_u32 s6, s6, s10
	v_readfirstlane_b32 s10, v2
	s_mul_i32 s7, s4, s6
	s_mul_hi_u32 s11, s4, s10
	s_add_i32 s7, s11, s7
	s_mul_i32 s5, s5, s10
	s_add_i32 s7, s7, s5
	s_mul_i32 s4, s4, s10
	s_mul_hi_u32 s11, s6, s4
	s_mul_i32 s12, s6, s4
	s_mul_i32 s14, s10, s7
	s_mul_hi_u32 s4, s10, s4
	s_mul_hi_u32 s13, s10, s7
	s_add_u32 s4, s4, s14
	s_addc_u32 s10, 0, s13
	s_add_u32 s4, s4, s12
	s_mul_hi_u32 s5, s6, s7
	s_addc_u32 s4, s10, s11
	s_addc_u32 s5, s5, 0
	s_mul_i32 s7, s6, s7
	s_add_u32 s4, s4, s7
	s_addc_u32 s5, 0, s5
	v_add_co_u32_e32 v2, vcc, s4, v2
	s_cmp_lg_u64 vcc, 0
	s_addc_u32 s4, s6, s5
	v_readfirstlane_b32 s7, v2
	s_mul_i32 s6, s60, s4
	s_mul_hi_u32 s10, s60, s7
	s_mul_hi_u32 s5, s60, s4
	s_add_u32 s6, s10, s6
	s_addc_u32 s5, 0, s5
	s_mul_hi_u32 s11, s61, s7
	s_mul_i32 s7, s61, s7
	s_add_u32 s6, s6, s7
	s_mul_hi_u32 s10, s61, s4
	s_addc_u32 s5, s5, s11
	s_addc_u32 s6, s10, 0
	s_mul_i32 s4, s61, s4
	s_add_u32 s4, s5, s4
	s_addc_u32 s5, 0, s6
	s_mul_hi_u32 s6, s9, s4
	s_mul_i32 s4, s9, s4
	s_mul_i32 s5, s9, s5
	v_mov_b32_e32 v2, s4
	s_add_i32 s6, s6, s5
	v_sub_co_u32_e32 v2, vcc, s60, v2
	s_cmp_lg_u64 vcc, 0
	s_subb_u32 s4, s61, s6
	v_subrev_co_u32_e32 v3, vcc, s9, v2
	s_cmp_lg_u64 vcc, 0
	s_subb_u32 s5, s4, 0
	v_subrev_co_u32_e32 v4, vcc, s9, v3
	s_cmp_lg_u64 vcc, 0
	s_subb_u32 s6, s5, 0
	v_cmp_le_u32_e32 vcc, s9, v3
	s_cmp_eq_u32 s5, 0
	v_cndmask_b32_e64 v5, 0, -1, vcc
	s_cselect_b64 vcc, -1, 0
	v_cndmask_b32_e32 v5, -1, v5, vcc
	v_mov_b32_e32 v6, s5
	v_mov_b32_e32 v7, s6
	v_cmp_ne_u32_e32 vcc, 0, v5
	v_cndmask_b32_e32 v5, v6, v7, vcc
	v_cndmask_b32_e32 v4, v3, v4, vcc
	v_cmp_le_u32_e32 vcc, s9, v2
	s_cmp_eq_u32 s4, 0
	v_cndmask_b32_e64 v3, 0, -1, vcc
	s_cselect_b64 vcc, -1, 0
	v_cndmask_b32_e32 v3, -1, v3, vcc
	v_mov_b32_e32 v6, s4
	v_cmp_ne_u32_e32 vcc, 0, v3
	v_cndmask_b32_e32 v3, v6, v5, vcc
	v_cndmask_b32_e32 v2, v2, v4, vcc
	s_cbranch_execnz .LBB135_43
.LBB135_42:                             ;   in Loop: Header=BB135_12 Depth=1
	v_cvt_f32_u32_e32 v2, s9
	s_sub_i32 s4, 0, s9
	v_rcp_iflag_f32_e32 v2, v2
	v_mul_f32_e32 v2, 0x4f7ffffe, v2
	v_cvt_u32_f32_e32 v2, v2
	v_mul_lo_u32 v3, s4, v2
	v_mul_hi_u32 v3, v2, v3
	v_add_u32_e32 v2, v2, v3
	v_mul_hi_u32 v2, s60, v2
	v_mul_lo_u32 v2, v2, s9
	v_sub_u32_e32 v2, s60, v2
	v_subrev_u32_e32 v3, s9, v2
	v_cmp_le_u32_e32 vcc, s9, v2
	v_cndmask_b32_e32 v2, v2, v3, vcc
	v_subrev_u32_e32 v3, s9, v2
	v_cmp_le_u32_e32 vcc, s9, v2
	v_cndmask_b32_e32 v14, v2, v3, vcc
	v_pk_mov_b32 v[2:3], v[14:15], v[14:15] op_sel:[0,1]
.LBB135_43:                             ;   in Loop: Header=BB135_12 Depth=1
	v_mov_b32_e32 v4, s61
	v_sub_co_u32_e32 v22, vcc, s60, v2
	v_subb_co_u32_e32 v23, vcc, v4, v3, vcc
	v_pk_mov_b32 v[2:3], 0, 0
	v_cmp_gt_u64_e32 vcc, v[22:23], v[18:19]
	s_mov_b64 s[10:11], 0
	v_pk_mov_b32 v[4:5], v[2:3], v[2:3] op_sel:[0,1]
	v_pk_mov_b32 v[6:7], v[2:3], v[2:3] op_sel:[0,1]
	;; [unrolled: 1-line block ×3, first 2 shown]
	s_and_saveexec_b64 s[54:55], vcc
	s_cbranch_execz .LBB135_47
; %bb.44:                               ;   in Loop: Header=BB135_12 Depth=1
	s_and_b32 s86, s83, 0xfe
	s_mov_b64 s[72:73], 0
	s_mov_b64 s[92:93], 0
	s_mov_b64 s[12:13], 0
	s_mov_b64 s[4:5], 0
	v_pk_mov_b32 v[24:25], v[18:19], v[18:19] op_sel:[0,1]
.LBB135_45:                             ;   Parent Loop BB135_12 Depth=1
                                        ; =>  This Inner Loop Header: Depth=2
	v_pk_mov_b32 v[2:3], s[56:57], s[56:57] op_sel:[0,1]
	v_mul_lo_u32 v4, v24, s59
	v_mul_lo_u32 v5, v25, s58
	v_mad_u64_u32 v[2:3], s[6:7], v24, s58, v[2:3]
	v_mov_b32_e32 v6, s59
	v_add3_u32 v3, v5, v3, v4
	v_add_co_u32_e64 v4, s[6:7], s58, v2
	v_addc_co_u32_e64 v5, s[6:7], v3, v6, s[6:7]
	v_mov_b32_e32 v7, s59
	global_load_sbyte v9, v[2:3], off
	global_load_sbyte v6, v[4:5], off
	v_add_co_u32_e64 v2, s[6:7], s58, v4
	v_addc_co_u32_e64 v3, s[6:7], v5, v7, s[6:7]
	v_mov_b32_e32 v8, s59
	v_add_co_u32_e64 v4, s[6:7], s58, v2
	global_load_sbyte v2, v[2:3], off
	v_addc_co_u32_e64 v5, s[6:7], v3, v8, s[6:7]
	global_load_sbyte v3, v[4:5], off
	v_add_co_u32_e32 v24, vcc, s9, v24
	v_addc_co_u32_e32 v25, vcc, 0, v25, vcc
	v_cmp_ge_u64_e32 vcc, v[24:25], v[22:23]
	s_waitcnt vmcnt(3)
	v_add_u32_e32 v4, 0x80, v9
	s_waitcnt vmcnt(2)
	v_add_u32_e32 v5, 0x80, v6
	v_and_b32_e32 v6, v4, v31
	v_bfe_u32 v4, v4, s86, 2
	v_cmp_eq_u32_e64 s[14:15], v6, v32
	v_and_b32_e32 v6, v5, v31
	v_bfe_u32 v5, v5, s86, 2
	v_cmp_eq_u32_e64 s[6:7], 0, v4
	v_cmp_eq_u32_e64 s[16:17], v6, v32
	s_waitcnt vmcnt(1)
	v_add_u32_e32 v2, 0x80, v2
	v_cmp_eq_u32_e64 s[26:27], 0, v5
	s_and_b64 s[6:7], s[14:15], s[6:7]
	v_cmp_eq_u32_e64 s[34:35], 1, v4
	v_cmp_eq_u32_e64 s[36:37], 2, v4
	;; [unrolled: 1-line block ×3, first 2 shown]
	s_waitcnt vmcnt(0)
	v_add_u32_e32 v3, 0x80, v3
	v_and_b32_e32 v4, v2, v31
	v_bfe_u32 v2, v2, s86, 2
	v_cmp_eq_u32_e64 s[38:39], 1, v5
	v_cmp_eq_u32_e64 s[40:41], 2, v5
	;; [unrolled: 1-line block ×3, first 2 shown]
	v_cndmask_b32_e64 v5, 0, 1, s[6:7]
	s_and_b64 s[26:27], s[16:17], s[26:27]
	v_cmp_eq_u32_e64 s[22:23], v4, v32
	v_and_b32_e32 v4, v3, v31
	v_bfe_u32 v3, v3, s86, 2
	v_cmp_eq_u32_e64 s[6:7], 0, v2
	v_cmp_eq_u32_e64 s[42:43], 1, v2
	;; [unrolled: 1-line block ×4, first 2 shown]
	v_cmp_ne_u32_e64 s[46:47], 0, v5
	v_cndmask_b32_e64 v2, 0, 1, s[26:27]
	v_cmp_eq_u32_e64 s[26:27], v4, v32
	v_cmp_eq_u32_e64 s[48:49], 0, v3
	s_bcnt1_i32_b64 s88, s[46:47]
	v_cmp_ne_u32_e64 s[46:47], 0, v2
	s_and_b64 s[6:7], s[22:23], s[6:7]
	v_cndmask_b32_e64 v2, 0, 1, s[6:7]
	s_bcnt1_i32_b64 s89, s[46:47]
	s_and_b64 s[46:47], s[26:27], s[48:49]
	v_cmp_ne_u32_e64 s[6:7], 0, v2
	v_cndmask_b32_e64 v2, 0, 1, s[46:47]
	s_bcnt1_i32_b64 s46, s[6:7]
	v_cmp_ne_u32_e64 s[6:7], 0, v2
	s_bcnt1_i32_b64 s6, s[6:7]
	s_add_u32 s4, s88, s4
	s_addc_u32 s5, 0, s5
	s_add_u32 s4, s4, s89
	s_addc_u32 s5, s5, 0
	s_add_u32 s4, s4, s46
	s_addc_u32 s5, s5, 0
	s_add_u32 s4, s4, s6
	s_addc_u32 s5, s5, 0
	s_and_b64 s[6:7], s[14:15], s[34:35]
	v_cndmask_b32_e64 v4, 0, 1, s[6:7]
	s_and_b64 s[6:7], s[16:17], s[38:39]
	v_cmp_eq_u32_e64 s[50:51], 1, v3
	v_cndmask_b32_e64 v5, 0, 1, s[6:7]
	s_and_b64 s[6:7], s[22:23], s[42:43]
	v_cndmask_b32_e64 v6, 0, 1, s[6:7]
	s_and_b64 s[6:7], s[26:27], s[50:51]
	v_cndmask_b32_e64 v7, 0, 1, s[6:7]
	v_cmp_ne_u32_e64 s[6:7], 0, v4
	v_cmp_ne_u32_e64 s[34:35], 0, v5
	v_cmp_ne_u32_e64 s[38:39], 0, v6
	v_cmp_ne_u32_e64 s[42:43], 0, v7
	s_bcnt1_i32_b64 s6, s[6:7]
	s_bcnt1_i32_b64 s7, s[34:35]
	s_bcnt1_i32_b64 s34, s[38:39]
	s_bcnt1_i32_b64 s35, s[42:43]
	s_add_u32 s6, s6, s12
	s_addc_u32 s12, 0, s13
	s_add_u32 s6, s6, s7
	s_addc_u32 s7, s12, 0
	s_add_u32 s6, s6, s34
	s_addc_u32 s7, s7, 0
	s_add_u32 s12, s6, s35
	s_addc_u32 s13, s7, 0
	s_and_b64 s[6:7], s[14:15], s[36:37]
	v_cndmask_b32_e64 v6, 0, 1, s[6:7]
	s_and_b64 s[6:7], s[16:17], s[40:41]
	v_cmp_eq_u32_e64 s[52:53], 2, v3
	v_cndmask_b32_e64 v7, 0, 1, s[6:7]
	s_and_b64 s[6:7], s[22:23], s[44:45]
	v_cndmask_b32_e64 v8, 0, 1, s[6:7]
	s_and_b64 s[6:7], s[26:27], s[52:53]
	v_cndmask_b32_e64 v9, 0, 1, s[6:7]
	v_cmp_ne_u32_e64 s[6:7], 0, v6
	v_cmp_ne_u32_e64 s[34:35], 0, v7
	v_cmp_ne_u32_e64 s[36:37], 0, v8
	v_cmp_ne_u32_e64 s[38:39], 0, v9
	s_bcnt1_i32_b64 s6, s[6:7]
	s_bcnt1_i32_b64 s7, s[34:35]
	s_bcnt1_i32_b64 s34, s[36:37]
	;; [unrolled: 25-line block ×3, first 2 shown]
	s_bcnt1_i32_b64 s15, s[18:19]
	s_add_u32 s6, s6, s72
	s_addc_u32 s16, 0, s73
	s_add_u32 s6, s6, s7
	s_addc_u32 s7, s16, 0
	;; [unrolled: 2-line block ×4, first 2 shown]
	v_pk_mov_b32 v[2:3], s[4:5], s[4:5] op_sel:[0,1]
	v_pk_mov_b32 v[4:5], s[12:13], s[12:13] op_sel:[0,1]
	;; [unrolled: 1-line block ×3, first 2 shown]
	s_or_b64 s[10:11], vcc, s[10:11]
	v_pk_mov_b32 v[8:9], s[72:73], s[72:73] op_sel:[0,1]
	s_andn2_b64 exec, exec, s[10:11]
	s_cbranch_execnz .LBB135_45
; %bb.46:                               ;   in Loop: Header=BB135_12 Depth=1
	s_or_b64 exec, exec, s[10:11]
.LBB135_47:                             ;   in Loop: Header=BB135_12 Depth=1
	s_or_b64 exec, exec, s[54:55]
	v_add_co_u32_e32 v22, vcc, v22, v0
	v_addc_co_u32_e32 v23, vcc, 0, v23, vcc
	v_cmp_gt_u64_e32 vcc, s[60:61], v[22:23]
	v_mov_b32_e32 v14, 0
	s_and_saveexec_b64 s[4:5], vcc
	s_cbranch_execz .LBB135_49
; %bb.48:                               ;   in Loop: Header=BB135_12 Depth=1
	v_pk_mov_b32 v[24:25], s[56:57], s[56:57] op_sel:[0,1]
	v_mad_u64_u32 v[24:25], s[6:7], v22, s58, v[24:25]
	v_mul_lo_u32 v14, v22, s59
	v_mul_lo_u32 v35, v23, s58
	v_add3_u32 v25, v35, v25, v14
	global_load_ubyte v14, v[24:25], off
.LBB135_49:                             ;   in Loop: Header=BB135_12 Depth=1
	s_or_b64 exec, exec, s[4:5]
	s_and_saveexec_b64 s[4:5], vcc
	s_cbranch_execz .LBB135_56
; %bb.50:                               ;   in Loop: Header=BB135_12 Depth=1
	s_and_b32 s9, s83, 0xfe
	s_mov_b64 s[10:11], 0
	s_branch .LBB135_52
.LBB135_51:                             ;   in Loop: Header=BB135_52 Depth=2
	s_or_b64 exec, exec, s[12:13]
	s_waitcnt vmcnt(0)
	v_add_u32_sdwa v14, sext(v14), s91 dst_sel:DWORD dst_unused:UNUSED_PAD src0_sel:BYTE_0 src1_sel:DWORD
	s_and_b64 s[6:7], exec, vcc
	v_and_b32_e32 v25, v14, v31
	v_bfe_u32 v14, v14, s9, 2
	s_or_b64 s[10:11], s[6:7], s[10:11]
	v_cmp_eq_u32_e32 vcc, v25, v32
	v_cmp_eq_u32_e64 s[6:7], 0, v14
	s_and_b64 s[6:7], vcc, s[6:7]
	v_cndmask_b32_e64 v25, 0, 1, s[6:7]
	v_cmp_ne_u32_e64 s[6:7], 0, v25
	s_bcnt1_i32_b64 s6, s[6:7]
	v_add_co_u32_e64 v2, s[6:7], s6, v2
	v_addc_co_u32_e64 v3, s[6:7], 0, v3, s[6:7]
	v_cmp_eq_u32_e64 s[6:7], 1, v14
	s_and_b64 s[6:7], vcc, s[6:7]
	v_cndmask_b32_e64 v25, 0, 1, s[6:7]
	v_cmp_ne_u32_e64 s[6:7], 0, v25
	s_bcnt1_i32_b64 s6, s[6:7]
	v_add_co_u32_e64 v4, s[6:7], s6, v4
	v_addc_co_u32_e64 v5, s[6:7], 0, v5, s[6:7]
	;; [unrolled: 7-line block ×3, first 2 shown]
	v_cmp_eq_u32_e64 s[6:7], 3, v14
	s_and_b64 s[6:7], vcc, s[6:7]
	v_cndmask_b32_e64 v14, 0, 1, s[6:7]
	v_cmp_ne_u32_e32 vcc, 0, v14
	s_bcnt1_i32_b64 s6, vcc
	v_add_co_u32_e32 v8, vcc, s6, v8
	v_addc_co_u32_e32 v9, vcc, 0, v9, vcc
	v_mov_b32_e32 v14, v24
	s_andn2_b64 exec, exec, s[10:11]
	s_cbranch_execz .LBB135_55
.LBB135_52:                             ;   Parent Loop BB135_12 Depth=1
                                        ; =>  This Inner Loop Header: Depth=2
	v_add_co_u32_sdwa v22, vcc, v22, v34 dst_sel:DWORD dst_unused:UNUSED_PAD src0_sel:DWORD src1_sel:WORD_0
	v_addc_co_u32_e32 v23, vcc, 0, v23, vcc
	v_cmp_gt_u64_e64 s[6:7], s[60:61], v[22:23]
	v_cmp_le_u64_e32 vcc, s[60:61], v[22:23]
	v_mov_b32_e32 v24, 0
	s_and_saveexec_b64 s[12:13], s[6:7]
	s_cbranch_execz .LBB135_51
; %bb.53:                               ;   in Loop: Header=BB135_52 Depth=2
	v_pk_mov_b32 v[24:25], s[56:57], s[56:57] op_sel:[0,1]
	v_mad_u64_u32 v[24:25], s[6:7], v22, s58, v[24:25]
	v_mul_lo_u32 v35, v22, s59
	v_mul_lo_u32 v36, v23, s58
	v_add3_u32 v25, v36, v25, v35
	global_load_ubyte v24, v[24:25], off
	s_branch .LBB135_51
.LBB135_54:                             ;   in Loop: Header=BB135_12 Depth=1
                                        ; implicit-def: $vgpr8_vgpr9
                                        ; implicit-def: $vgpr4_vgpr5
	s_cbranch_execnz .LBB135_57
	s_branch .LBB135_66
.LBB135_55:                             ;   in Loop: Header=BB135_12 Depth=1
	s_or_b64 exec, exec, s[10:11]
.LBB135_56:                             ;   in Loop: Header=BB135_12 Depth=1
	s_or_b64 exec, exec, s[4:5]
	s_branch .LBB135_66
.LBB135_57:                             ;   in Loop: Header=BB135_12 Depth=1
	v_readlane_b32 s4, v42, 37
	v_readlane_b32 s5, v42, 38
	s_mov_b64 s[10:11], 0
	s_nop 3
	global_load_ushort v14, v15, s[4:5]
	s_waitcnt vmcnt(0)
	v_readfirstlane_b32 s4, v14
	s_and_b32 s4, 0xffff, s4
	s_lshl_b32 s9, s4, 2
	v_cvt_f32_u32_e32 v2, s9
	s_sub_i32 s4, 0, s9
	v_rcp_iflag_f32_e32 v4, v2
	v_pk_mov_b32 v[2:3], 0, 0
	v_pk_mov_b32 v[6:7], v[2:3], v[2:3] op_sel:[0,1]
	v_mul_f32_e32 v4, 0x4f7ffffe, v4
	v_cvt_u32_f32_e32 v8, v4
	v_pk_mov_b32 v[4:5], v[2:3], v[2:3] op_sel:[0,1]
	v_readfirstlane_b32 s5, v8
	s_mul_i32 s4, s4, s5
	s_mul_hi_u32 s4, s5, s4
	s_add_i32 s5, s5, s4
	s_mul_hi_u32 s4, s8, s5
	s_mul_i32 s4, s4, s9
	s_sub_i32 s4, s8, s4
	s_sub_i32 s5, s4, s9
	s_cmp_ge_u32 s4, s9
	s_cselect_b32 s4, s5, s4
	s_sub_i32 s5, s4, s9
	s_cmp_ge_u32 s4, s9
	s_cselect_b32 s4, s5, s4
	s_sub_i32 s86, s8, s4
	v_cmp_gt_u32_e32 vcc, s86, v18
	v_pk_mov_b32 v[8:9], v[2:3], v[2:3] op_sel:[0,1]
	s_and_saveexec_b64 s[4:5], vcc
	s_cbranch_execz .LBB135_61
; %bb.58:                               ;   in Loop: Header=BB135_12 Depth=1
	s_and_b32 s94, s83, 0xfe
	v_mov_b32_e32 v24, v18
	s_mov_b64 s[12:13], 0
	s_mov_b64 s[72:73], 0
	;; [unrolled: 1-line block ×4, first 2 shown]
	v_pk_mov_b32 v[22:23], v[18:19], v[18:19] op_sel:[0,1]
.LBB135_59:                             ;   Parent Loop BB135_12 Depth=1
                                        ; =>  This Inner Loop Header: Depth=2
	ds_read_b32 v2, v24
	v_add_co_u32_e32 v22, vcc, s9, v22
	v_addc_co_u32_e32 v23, vcc, 0, v23, vcc
	s_waitcnt lgkmcnt(0)
	v_add_u32_sdwa v3, sext(v2), s91 dst_sel:DWORD dst_unused:UNUSED_PAD src0_sel:BYTE_0 src1_sel:DWORD
	v_add_u32_sdwa v4, sext(v2), s91 dst_sel:DWORD dst_unused:UNUSED_PAD src0_sel:BYTE_1 src1_sel:DWORD
	v_and_b32_e32 v6, v3, v31
	v_bfe_u32 v3, v3, s94, 2
	v_add_u32_sdwa v5, sext(v2), s91 dst_sel:DWORD dst_unused:UNUSED_PAD src0_sel:BYTE_2 src1_sel:DWORD
	v_add_u32_sdwa v2, sext(v2), s91 dst_sel:DWORD dst_unused:UNUSED_PAD src0_sel:BYTE_3 src1_sel:DWORD
	v_and_b32_e32 v7, v4, v31
	v_bfe_u32 v4, v4, s94, 2
	v_cmp_eq_u32_e64 s[20:21], v6, v32
	v_cmp_eq_u32_e64 s[6:7], 0, v3
	v_and_b32_e32 v8, v5, v31
	v_and_b32_e32 v9, v2, v31
	v_bfe_u32 v5, v5, s94, 2
	v_bfe_u32 v2, v2, s94, 2
	v_cmp_eq_u32_e64 s[18:19], v7, v32
	v_cmp_eq_u32_e64 s[34:35], 0, v4
	s_and_b64 s[6:7], s[20:21], s[6:7]
	v_cmp_eq_u32_e64 s[16:17], v8, v32
	v_cmp_eq_u32_e64 s[36:37], 0, v5
	;; [unrolled: 1-line block ×6, first 2 shown]
	v_cndmask_b32_e64 v2, 0, 1, s[6:7]
	s_and_b64 s[6:7], s[18:19], s[34:35]
	v_cmp_eq_u32_e64 s[14:15], v9, v32
	v_cmp_eq_u32_e64 s[40:41], 1, v3
	v_cmp_eq_u32_e64 s[48:49], 2, v3
	v_cmp_eq_u32_e64 s[28:29], 3, v3
	v_cndmask_b32_e64 v3, 0, 1, s[6:7]
	s_and_b64 s[6:7], s[16:17], s[36:37]
	v_cmp_eq_u32_e64 s[42:43], 1, v4
	v_cmp_eq_u32_e64 s[50:51], 2, v4
	v_cmp_eq_u32_e64 s[26:27], 3, v4
	v_cndmask_b32_e64 v4, 0, 1, s[6:7]
	s_and_b64 s[6:7], s[14:15], s[38:39]
	v_cmp_eq_u32_e64 s[44:45], 1, v5
	v_cmp_eq_u32_e64 s[52:53], 2, v5
	;; [unrolled: 1-line block ×3, first 2 shown]
	v_cndmask_b32_e64 v5, 0, 1, s[6:7]
	v_cmp_ne_u32_e64 s[6:7], 0, v2
	v_cmp_ne_u32_e64 s[34:35], 0, v3
	v_cmp_ne_u32_e64 s[36:37], 0, v4
	v_cmp_ne_u32_e64 s[38:39], 0, v5
	s_bcnt1_i32_b64 s6, s[6:7]
	s_bcnt1_i32_b64 s7, s[34:35]
	s_bcnt1_i32_b64 s34, s[36:37]
	s_bcnt1_i32_b64 s35, s[38:39]
	s_add_u32 s6, s6, s88
	s_addc_u32 s36, 0, s89
	s_add_u32 s6, s6, s7
	s_addc_u32 s7, s36, 0
	s_add_u32 s6, s6, s34
	s_addc_u32 s7, s7, 0
	s_add_u32 s88, s6, s35
	s_addc_u32 s89, s7, 0
	s_and_b64 s[6:7], s[20:21], s[40:41]
	v_cndmask_b32_e64 v4, 0, 1, s[6:7]
	s_and_b64 s[6:7], s[18:19], s[42:43]
	v_cndmask_b32_e64 v5, 0, 1, s[6:7]
	s_and_b64 s[6:7], s[16:17], s[44:45]
	v_cndmask_b32_e64 v6, 0, 1, s[6:7]
	s_and_b64 s[6:7], s[14:15], s[46:47]
	v_cndmask_b32_e64 v7, 0, 1, s[6:7]
	v_cmp_ne_u32_e64 s[6:7], 0, v4
	v_cmp_ne_u32_e64 s[34:35], 0, v5
	v_cmp_ne_u32_e64 s[36:37], 0, v6
	v_cmp_ne_u32_e64 s[38:39], 0, v7
	s_bcnt1_i32_b64 s6, s[6:7]
	s_bcnt1_i32_b64 s7, s[34:35]
	s_bcnt1_i32_b64 s34, s[36:37]
	s_bcnt1_i32_b64 s35, s[38:39]
	s_add_u32 s6, s6, s92
	s_addc_u32 s36, 0, s93
	s_add_u32 s6, s6, s7
	s_addc_u32 s7, s36, 0
	s_add_u32 s6, s6, s34
	s_addc_u32 s7, s7, 0
	s_add_u32 s92, s6, s35
	s_addc_u32 s93, s7, 0
	s_and_b64 s[6:7], s[20:21], s[48:49]
	v_cndmask_b32_e64 v6, 0, 1, s[6:7]
	s_and_b64 s[6:7], s[18:19], s[50:51]
	v_cndmask_b32_e64 v7, 0, 1, s[6:7]
	s_and_b64 s[6:7], s[16:17], s[52:53]
	v_cndmask_b32_e64 v8, 0, 1, s[6:7]
	s_and_b64 s[6:7], s[14:15], s[54:55]
	;; [unrolled: 24-line block ×3, first 2 shown]
	v_cndmask_b32_e64 v34, 0, 1, s[6:7]
	v_cmp_ne_u32_e64 s[6:7], 0, v8
	v_cmp_ne_u32_e64 s[14:15], 0, v9
	;; [unrolled: 1-line block ×4, first 2 shown]
	s_bcnt1_i32_b64 s6, s[6:7]
	s_bcnt1_i32_b64 s7, s[14:15]
	;; [unrolled: 1-line block ×4, first 2 shown]
	s_add_u32 s6, s6, s12
	s_addc_u32 s12, 0, s13
	s_add_u32 s6, s6, s7
	s_addc_u32 s7, s12, 0
	s_add_u32 s6, s6, s14
	s_addc_u32 s7, s7, 0
	s_add_u32 s12, s6, s15
	v_cmp_le_u64_e32 vcc, s[86:87], v[22:23]
	s_addc_u32 s13, s7, 0
	v_add_u32_e32 v24, s9, v24
	v_pk_mov_b32 v[2:3], s[88:89], s[88:89] op_sel:[0,1]
	v_pk_mov_b32 v[4:5], s[92:93], s[92:93] op_sel:[0,1]
	;; [unrolled: 1-line block ×3, first 2 shown]
	s_or_b64 s[10:11], vcc, s[10:11]
	v_pk_mov_b32 v[8:9], s[12:13], s[12:13] op_sel:[0,1]
	s_andn2_b64 exec, exec, s[10:11]
	s_cbranch_execnz .LBB135_59
; %bb.60:                               ;   in Loop: Header=BB135_12 Depth=1
	s_or_b64 exec, exec, s[10:11]
.LBB135_61:                             ;   in Loop: Header=BB135_12 Depth=1
	s_or_b64 exec, exec, s[4:5]
	v_and_b32_e32 v24, 0xffff, v14
	v_add_u32_e32 v14, s86, v0
	v_cmp_gt_u32_e32 vcc, s8, v14
	s_and_saveexec_b64 s[4:5], vcc
	s_cbranch_execz .LBB135_65
; %bb.62:                               ;   in Loop: Header=BB135_12 Depth=1
	s_and_b32 s86, s8, 0x7fffffff
	s_and_b32 s10, s83, 0xfe
	s_mov_b64 s[8:9], 0
	v_pk_mov_b32 v[22:23], v[14:15], v[14:15] op_sel:[0,1]
.LBB135_63:                             ;   Parent Loop BB135_12 Depth=1
                                        ; =>  This Inner Loop Header: Depth=2
	ds_read_i8 v25, v14
	v_add_co_u32_e32 v22, vcc, v22, v24
	v_addc_co_u32_e32 v23, vcc, 0, v23, vcc
	s_waitcnt lgkmcnt(0)
	v_add_u32_e32 v25, 0x80, v25
	v_and_b32_e32 v34, v25, v31
	v_bfe_u32 v25, v25, s10, 2
	v_cmp_eq_u32_e64 s[6:7], v34, v32
	v_cmp_eq_u32_e64 s[14:15], 0, v25
	;; [unrolled: 1-line block ×3, first 2 shown]
	s_and_b64 s[12:13], s[6:7], s[14:15]
	v_cmp_eq_u32_e64 s[18:19], 2, v25
	v_cmp_eq_u32_e64 s[20:21], 3, v25
	v_cndmask_b32_e64 v25, 0, 1, s[12:13]
	s_and_b64 s[12:13], s[6:7], s[16:17]
	v_cndmask_b32_e64 v34, 0, 1, s[12:13]
	s_and_b64 s[12:13], s[6:7], s[18:19]
	s_and_b64 s[6:7], s[6:7], s[20:21]
	v_cndmask_b32_e64 v35, 0, 1, s[12:13]
	v_cndmask_b32_e64 v36, 0, 1, s[6:7]
	v_cmp_ne_u32_e64 s[6:7], 0, v25
	v_cmp_ne_u32_e64 s[14:15], 0, v34
	;; [unrolled: 1-line block ×4, first 2 shown]
	v_cmp_le_u64_e32 vcc, s[86:87], v[22:23]
	s_bcnt1_i32_b64 s6, s[6:7]
	s_bcnt1_i32_b64 s7, s[14:15]
	;; [unrolled: 1-line block ×4, first 2 shown]
	s_or_b64 s[8:9], vcc, s[8:9]
	v_add_co_u32_e32 v2, vcc, s6, v2
	v_addc_co_u32_e32 v3, vcc, 0, v3, vcc
	v_add_co_u32_e32 v4, vcc, s7, v4
	v_addc_co_u32_e32 v5, vcc, 0, v5, vcc
	;; [unrolled: 2-line block ×3, first 2 shown]
	v_add_co_u32_e32 v8, vcc, s12, v8
	v_add_u32_e32 v14, v14, v24
	v_addc_co_u32_e32 v9, vcc, 0, v9, vcc
	s_andn2_b64 exec, exec, s[8:9]
	s_cbranch_execnz .LBB135_63
; %bb.64:                               ;   in Loop: Header=BB135_12 Depth=1
	s_or_b64 exec, exec, s[8:9]
.LBB135_65:                             ;   in Loop: Header=BB135_12 Depth=1
	s_or_b64 exec, exec, s[4:5]
.LBB135_66:                             ;   in Loop: Header=BB135_12 Depth=1
	v_readlane_b32 s4, v42, 50
	s_lshl_b32 s6, s4, 6
	s_and_saveexec_b64 s[4:5], s[0:1]
	s_cbranch_execz .LBB135_68
; %bb.67:                               ;   in Loop: Header=BB135_12 Depth=1
	s_waitcnt vmcnt(0)
	v_or_b32_e32 v14, s6, v28
	v_lshlrev_b32_e32 v14, 3, v14
	ds_write_b128 v14, v[2:5] offset:3072
	ds_write_b128 v14, v[6:9] offset:3088
.LBB135_68:                             ;   in Loop: Header=BB135_12 Depth=1
	s_or_b64 exec, exec, s[4:5]
	s_waitcnt lgkmcnt(0)
	s_barrier
	s_mov_b64 s[4:5], exec
	v_readlane_b32 s8, v42, 24
	v_readlane_b32 s9, v42, 25
	s_and_b64 s[8:9], s[4:5], s[8:9]
	s_mov_b64 exec, s[8:9]
	s_cbranch_execz .LBB135_80
; %bb.69:                               ;   in Loop: Header=BB135_12 Depth=1
	v_readlane_b32 s8, v42, 32
	v_readlane_b32 s9, v42, 33
	s_andn2_b64 vcc, exec, s[8:9]
	v_pk_mov_b32 v[2:3], 0, 0
	s_cbranch_vccnz .LBB135_79
; %bb.70:                               ;   in Loop: Header=BB135_12 Depth=1
	v_readlane_b32 s8, v42, 39
	v_readlane_b32 s9, v42, 40
	s_andn2_b64 vcc, exec, s[8:9]
	s_cbranch_vccnz .LBB135_75
; %bb.71:                               ;   in Loop: Header=BB135_12 Depth=1
	v_readlane_b32 s7, v42, 50
	s_waitcnt vmcnt(0)
	v_lshl_add_u32 v4, s7, 9, v29
	s_mov_b32 s7, 0
	v_pk_mov_b32 v[2:3], 0, 0
.LBB135_72:                             ;   Parent Loop BB135_12 Depth=1
                                        ; =>  This Inner Loop Header: Depth=2
	ds_read2_b64 v[6:9], v4 offset1:4
	ds_read2_b64 v[22:25], v4 offset0:8 offset1:12
	ds_read2_b64 v[34:37], v4 offset0:16 offset1:20
	;; [unrolled: 1-line block ×3, first 2 shown]
	s_add_i32 s7, s7, 8
	s_waitcnt lgkmcnt(3)
	v_add_co_u32_e32 v2, vcc, v6, v2
	v_addc_co_u32_e32 v3, vcc, v7, v3, vcc
	v_add_co_u32_e32 v2, vcc, v8, v2
	v_addc_co_u32_e32 v3, vcc, v9, v3, vcc
	s_waitcnt lgkmcnt(2)
	v_add_co_u32_e32 v2, vcc, v22, v2
	v_addc_co_u32_e32 v3, vcc, v23, v3, vcc
	v_add_co_u32_e32 v2, vcc, v24, v2
	v_addc_co_u32_e32 v3, vcc, v25, v3, vcc
	;; [unrolled: 5-line block ×3, first 2 shown]
	s_waitcnt lgkmcnt(0)
	v_add_co_u32_e32 v2, vcc, v38, v2
	v_addc_co_u32_e32 v3, vcc, v39, v3, vcc
	v_add_co_u32_e32 v2, vcc, v40, v2
	v_add_u32_e32 v4, 0x100, v4
	s_cmp_eq_u32 s82, s7
	v_addc_co_u32_e32 v3, vcc, v41, v3, vcc
	s_cbranch_scc0 .LBB135_72
; %bb.73:                               ;   in Loop: Header=BB135_12 Depth=1
	s_mov_b32 s7, s82
	s_branch .LBB135_76
.LBB135_74:                             ;   in Loop: Header=BB135_12 Depth=1
                                        ; implicit-def: $vgpr2_vgpr3
	s_branch .LBB135_42
.LBB135_75:                             ;   in Loop: Header=BB135_12 Depth=1
	s_mov_b32 s7, 0
	v_pk_mov_b32 v[2:3], 0, 0
.LBB135_76:                             ;   in Loop: Header=BB135_12 Depth=1
	v_readlane_b32 s8, v42, 42
	v_readlane_b32 s9, v42, 43
	s_andn2_b64 vcc, exec, s[8:9]
	s_cbranch_vccnz .LBB135_79
; %bb.77:                               ;   in Loop: Header=BB135_12 Depth=1
	v_readlane_b32 s8, v42, 50
	s_lshl_b32 s8, s8, 9
	s_lshl_b32 s7, s7, 5
	s_add_i32 s8, s8, s7
	s_waitcnt vmcnt(0)
	v_add_u32_e32 v4, s8, v29
	v_readlane_b32 s7, v42, 41
.LBB135_78:                             ;   Parent Loop BB135_12 Depth=1
                                        ; =>  This Inner Loop Header: Depth=2
	ds_read_b64 v[6:7], v4
	s_add_i32 s7, s7, -1
	v_add_u32_e32 v4, 32, v4
	s_cmp_lg_u32 s7, 0
	s_waitcnt lgkmcnt(0)
	v_add_co_u32_e32 v2, vcc, v6, v2
	v_addc_co_u32_e32 v3, vcc, v7, v3, vcc
	s_cbranch_scc1 .LBB135_78
.LBB135_79:                             ;   in Loop: Header=BB135_12 Depth=1
	s_waitcnt vmcnt(0)
	v_add_lshl_u32 v4, s6, v27, 3
	ds_write_b64 v4, v[2:3] offset:3072
.LBB135_80:                             ;   in Loop: Header=BB135_12 Depth=1
	s_or_b64 exec, exec, s[4:5]
	s_lshl_b32 s4, s6, 3
	v_mov_b32_e32 v6, s4
	s_waitcnt lgkmcnt(0)
	s_barrier
	s_waitcnt vmcnt(0)
	ds_read_b128 v[2:5], v6 offset:3072
	ds_read_b128 v[6:9], v6 offset:3088
	s_and_b32 s47, s83, 0xfe
	v_readlane_b32 s4, v42, 22
	s_lshl_b32 s86, 3, s47
	v_readlane_b32 s5, v42, 23
	s_waitcnt lgkmcnt(1)
	v_readfirstlane_b32 s17, v3
	v_readfirstlane_b32 s16, v2
	;; [unrolled: 1-line block ×4, first 2 shown]
	s_waitcnt lgkmcnt(0)
	v_readfirstlane_b32 s23, v7
	v_readfirstlane_b32 s22, v6
	;; [unrolled: 1-line block ×4, first 2 shown]
	s_not_b32 s46, s86
	s_andn2_b64 vcc, exec, s[4:5]
	v_cmp_eq_u64_e64 s[14:15], 1, v[20:21]
	s_cbranch_vccnz .LBB135_96
; %bb.81:                               ;   in Loop: Header=BB135_12 Depth=1
	s_cmp_eq_u64 s[16:17], 1
	s_cselect_b64 s[4:5], -1, 0
	s_and_b64 s[6:7], s[4:5], s[14:15]
	s_mov_b64 s[4:5], -1
	v_mov_b32_e32 v8, v32
	v_mov_b32_e32 v9, v31
	;; [unrolled: 1-line block ×3, first 2 shown]
                                        ; implicit-def: $sgpr20_sgpr21
                                        ; implicit-def: $sgpr36_sgpr37
                                        ; implicit-def: $sgpr34_sgpr35
	s_and_saveexec_b64 s[8:9], s[6:7]
	s_cbranch_execz .LBB135_118
; %bb.82:                               ;   in Loop: Header=BB135_12 Depth=1
	ds_read_b64 v[2:3], v15 offset:5120
	s_waitcnt lgkmcnt(0)
	s_barrier
	v_readfirstlane_b32 s4, v2
	v_readfirstlane_b32 s5, v3
	s_mov_b64 s[10:11], exec
	v_readlane_b32 s12, v42, 30
	v_readlane_b32 s13, v42, 31
	s_and_b64 s[12:13], s[10:11], s[12:13]
	s_mov_b64 exec, s[12:13]
	s_cbranch_execz .LBB135_84
; %bb.83:                               ;   in Loop: Header=BB135_12 Depth=1
	ds_write_b8 v0, v15 offset:3072
.LBB135_84:                             ;   in Loop: Header=BB135_12 Depth=1
	s_or_b64 exec, exec, s[10:11]
	v_and_b32_e32 v8, s46, v32
	v_or_b32_e32 v9, s86, v31
	s_cmp_eq_u64 s[4:5], 0
	s_waitcnt lgkmcnt(0)
	s_barrier
	s_cbranch_scc1 .LBB135_101
; %bb.85:                               ;   in Loop: Header=BB135_12 Depth=1
	v_readlane_b32 s10, v42, 34
	s_add_u32 s20, s10, s4
	v_readlane_b32 s10, v42, 36
	s_addc_u32 s11, s10, s5
	s_mov_b32 s10, s87
	s_cmp_lg_u64 s[10:11], 0
	s_cbranch_scc0 .LBB135_145
; %bb.86:                               ;   in Loop: Header=BB135_12 Depth=1
	v_cvt_f32_u32_e32 v2, s33
	s_sub_u32 s10, 0, s33
	s_subb_u32 s12, 0, 0
	v_mac_f32_e32 v2, 0, v30
	v_rcp_f32_e32 v2, v2
	v_mul_f32_e32 v2, 0x5f7ffffc, v2
	v_mul_f32_e32 v3, 0x2f800000, v2
	v_trunc_f32_e32 v3, v3
	v_mac_f32_e32 v2, 0xcf800000, v3
	v_cvt_u32_f32_e32 v3, v3
	v_cvt_u32_f32_e32 v2, v2
	v_readfirstlane_b32 s13, v3
	v_readfirstlane_b32 s21, v2
	s_mul_i32 s26, s10, s13
	s_mul_hi_u32 s28, s10, s21
	s_mul_i32 s27, s12, s21
	s_add_i32 s26, s28, s26
	s_mul_i32 s29, s10, s21
	s_add_i32 s26, s26, s27
	s_mul_hi_u32 s28, s21, s29
	s_mul_hi_u32 s27, s21, s26
	s_mul_i32 s21, s21, s26
	s_add_u32 s21, s28, s21
	s_addc_u32 s27, 0, s27
	s_mul_hi_u32 s34, s13, s29
	s_mul_i32 s29, s13, s29
	s_add_u32 s21, s21, s29
	s_mul_hi_u32 s28, s13, s26
	s_addc_u32 s21, s27, s34
	s_addc_u32 s27, s28, 0
	s_mul_i32 s26, s13, s26
	s_add_u32 s21, s21, s26
	s_addc_u32 s26, 0, s27
	v_add_co_u32_e32 v2, vcc, s21, v2
	s_cmp_lg_u64 vcc, 0
	s_addc_u32 s13, s13, s26
	v_readfirstlane_b32 s26, v2
	s_mul_i32 s21, s10, s13
	s_mul_hi_u32 s27, s10, s26
	s_add_i32 s21, s27, s21
	s_mul_i32 s12, s12, s26
	s_add_i32 s21, s21, s12
	s_mul_i32 s10, s10, s26
	s_mul_hi_u32 s27, s13, s10
	s_mul_i32 s28, s13, s10
	s_mul_i32 s34, s26, s21
	s_mul_hi_u32 s10, s26, s10
	s_mul_hi_u32 s29, s26, s21
	s_add_u32 s10, s10, s34
	s_addc_u32 s26, 0, s29
	s_add_u32 s10, s10, s28
	s_mul_hi_u32 s12, s13, s21
	s_addc_u32 s10, s26, s27
	s_addc_u32 s12, s12, 0
	s_mul_i32 s21, s13, s21
	s_add_u32 s10, s10, s21
	s_addc_u32 s12, 0, s12
	v_add_co_u32_e32 v2, vcc, s10, v2
	s_cmp_lg_u64 vcc, 0
	s_addc_u32 s10, s13, s12
	v_readfirstlane_b32 s21, v2
	s_mul_i32 s13, s20, s10
	s_mul_hi_u32 s26, s20, s21
	s_mul_hi_u32 s12, s20, s10
	s_add_u32 s13, s26, s13
	s_addc_u32 s12, 0, s12
	s_mul_hi_u32 s27, s11, s21
	s_mul_i32 s21, s11, s21
	s_add_u32 s13, s13, s21
	s_mul_hi_u32 s26, s11, s10
	s_addc_u32 s12, s12, s27
	s_addc_u32 s13, s26, 0
	s_mul_i32 s10, s11, s10
	s_add_u32 s10, s12, s10
	s_addc_u32 s12, 0, s13
	s_mul_hi_u32 s13, s33, s10
	s_mul_i32 s10, s33, s10
	s_mul_i32 s12, s33, s12
	v_mov_b32_e32 v2, s10
	s_add_i32 s13, s13, s12
	v_sub_co_u32_e32 v2, vcc, s20, v2
	s_cmp_lg_u64 vcc, 0
	s_subb_u32 s10, s11, s13
	v_subrev_co_u32_e32 v3, vcc, s33, v2
	s_cmp_lg_u64 vcc, 0
	s_subb_u32 s12, s10, 0
	v_subrev_co_u32_e32 v4, vcc, s33, v3
	s_cmp_lg_u64 vcc, 0
	s_subb_u32 s13, s12, 0
	v_cmp_le_u32_e32 vcc, s33, v3
	s_cmp_eq_u32 s12, 0
	v_cndmask_b32_e64 v5, 0, -1, vcc
	s_cselect_b64 vcc, -1, 0
	v_cndmask_b32_e32 v5, -1, v5, vcc
	v_mov_b32_e32 v6, s12
	v_mov_b32_e32 v7, s13
	v_cmp_ne_u32_e32 vcc, 0, v5
	v_cndmask_b32_e32 v5, v6, v7, vcc
	v_cndmask_b32_e32 v4, v3, v4, vcc
	v_cmp_le_u32_e32 vcc, s33, v2
	s_cmp_eq_u32 s10, 0
	v_cndmask_b32_e64 v3, 0, -1, vcc
	s_cselect_b64 vcc, -1, 0
	v_cndmask_b32_e32 v3, -1, v3, vcc
	v_mov_b32_e32 v6, s10
	v_cmp_ne_u32_e32 vcc, 0, v3
	v_cndmask_b32_e32 v3, v6, v5, vcc
	v_cndmask_b32_e32 v2, v2, v4, vcc
	s_cbranch_execnz .LBB135_88
.LBB135_87:                             ;   in Loop: Header=BB135_12 Depth=1
	v_cvt_f32_u32_e32 v2, s33
	s_sub_i32 s10, 0, s33
	v_rcp_iflag_f32_e32 v2, v2
	v_mul_f32_e32 v2, 0x4f7ffffe, v2
	v_cvt_u32_f32_e32 v2, v2
	v_mul_lo_u32 v3, s10, v2
	v_mul_hi_u32 v3, v2, v3
	v_add_u32_e32 v2, v2, v3
	v_mul_hi_u32 v2, s20, v2
	v_mul_lo_u32 v2, v2, s33
	v_sub_u32_e32 v2, s20, v2
	v_subrev_u32_e32 v3, s33, v2
	v_cmp_le_u32_e32 vcc, s33, v2
	v_cndmask_b32_e32 v2, v2, v3, vcc
	v_subrev_u32_e32 v3, s33, v2
	v_cmp_le_u32_e32 vcc, s33, v2
	v_cndmask_b32_e32 v14, v2, v3, vcc
	v_pk_mov_b32 v[2:3], v[14:15], v[14:15] op_sel:[0,1]
.LBB135_88:                             ;   in Loop: Header=BB135_12 Depth=1
	v_mov_b32_e32 v4, s11
	v_sub_co_u32_e32 v2, vcc, s20, v2
	v_subb_co_u32_e32 v3, vcc, v4, v3, vcc
	v_cmp_gt_u64_e32 vcc, v[2:3], v[0:1]
	s_mov_b64 s[10:11], 0
                                        ; implicit-def: $vgpr22
	s_and_saveexec_b64 s[12:13], vcc
	s_cbranch_execz .LBB135_103
; %bb.89:                               ;   in Loop: Header=BB135_12 Depth=1
	v_mov_b32_e32 v6, v0
	v_pk_mov_b32 v[4:5], v[0:1], v[0:1] op_sel:[0,1]
                                        ; implicit-def: $sgpr20_sgpr21
	s_branch .LBB135_91
.LBB135_90:                             ;   in Loop: Header=BB135_91 Depth=2
	s_or_b64 exec, exec, s[26:27]
	s_waitcnt lgkmcnt(0)
	s_barrier
	ds_read_u16 v7, v15 offset:3072
	v_mov_b32_e32 v14, s90
	v_add_co_u32_e32 v4, vcc, s33, v4
	v_addc_co_u32_e32 v5, vcc, v5, v14, vcc
	s_waitcnt lgkmcnt(0)
	v_cmp_ne_u16_sdwa s[26:27], v7, v15 src0_sel:BYTE_0 src1_sel:DWORD
	v_cmp_ge_u64_e32 vcc, v[4:5], v[2:3]
	s_or_b64 s[28:29], vcc, s[26:27]
	s_and_b64 s[28:29], exec, s[28:29]
	s_or_b64 s[10:11], s[28:29], s[10:11]
	s_andn2_b64 s[20:21], s[20:21], exec
	s_and_b64 s[26:27], s[26:27], exec
	v_add_u32_e32 v6, s33, v6
	s_or_b64 s[20:21], s[20:21], s[26:27]
	s_barrier
	s_andn2_b64 exec, exec, s[10:11]
	s_cbranch_execz .LBB135_102
.LBB135_91:                             ;   Parent Loop BB135_12 Depth=1
                                        ; =>  This Inner Loop Header: Depth=2
	v_cmp_gt_u64_e32 vcc, s[4:5], v[4:5]
	v_mov_b32_e32 v7, 0
	s_and_saveexec_b64 s[26:27], vcc
	s_cbranch_execz .LBB135_93
; %bb.92:                               ;   in Loop: Header=BB135_91 Depth=2
	ds_read_u8 v7, v6
.LBB135_93:                             ;   in Loop: Header=BB135_91 Depth=2
	s_or_b64 exec, exec, s[26:27]
	s_and_saveexec_b64 s[26:27], vcc
	s_cbranch_execz .LBB135_90
; %bb.94:                               ;   in Loop: Header=BB135_91 Depth=2
	s_waitcnt lgkmcnt(0)
	v_add_u32_sdwa v14, sext(v7), s91 dst_sel:DWORD dst_unused:UNUSED_PAD src0_sel:BYTE_0 src1_sel:DWORD
	v_and_b32_e32 v14, v14, v9
	v_cmp_eq_u32_e32 vcc, v14, v8
	s_and_b64 exec, exec, vcc
	s_cbranch_execz .LBB135_90
; %bb.95:                               ;   in Loop: Header=BB135_91 Depth=2
	v_lshlrev_b16_e32 v7, 8, v7
	v_or_b32_e32 v7, 1, v7
	ds_write_b16 v15, v7 offset:3072
	s_branch .LBB135_90
.LBB135_96:                             ;   in Loop: Header=BB135_12 Depth=1
	s_mov_b64 s[28:29], 0
	s_mov_b64 s[26:27], 0
                                        ; implicit-def: $sgpr34_sgpr35
                                        ; implicit-def: $sgpr36_sgpr37
                                        ; implicit-def: $sgpr20_sgpr21
                                        ; implicit-def: $vgpr6
                                        ; implicit-def: $vgpr2_vgpr3
                                        ; implicit-def: $vgpr8
                                        ; implicit-def: $vgpr9
                                        ; implicit-def: $vgpr22
	s_cbranch_execnz .LBB135_282
.LBB135_97:                             ;   in Loop: Header=BB135_12 Depth=1
	s_mov_b64 s[14:15], s[20:21]
	s_mov_b64 s[38:39], s[20:21]
	s_and_saveexec_b64 s[4:5], s[28:29]
	s_cbranch_execnz .LBB135_478
	s_branch .LBB135_479
.LBB135_98:                             ;   in Loop: Header=BB135_12 Depth=1
	s_or_b64 exec, exec, s[4:5]
	s_waitcnt lgkmcnt(0)
	s_barrier
	s_mov_b64 s[4:5], exec
	v_readlane_b32 s6, v42, 12
	v_readlane_b32 s7, v42, 13
	s_and_b64 s[6:7], s[4:5], s[6:7]
	s_mov_b64 exec, s[6:7]
	s_cbranch_execz .LBB135_100
; %bb.99:                               ;   in Loop: Header=BB135_12 Depth=1
	ds_read_b32 v2, v15 offset:5144
	s_waitcnt lgkmcnt(0)
	v_ashrrev_i32_e32 v3, 31, v2
	ds_write_b64 v15, v[2:3] offset:5120
.LBB135_100:                            ;   in Loop: Header=BB135_12 Depth=1
	s_or_b64 exec, exec, s[4:5]
	s_waitcnt lgkmcnt(0)
	s_barrier
	s_mov_b64 s[4:5], -1
	s_and_b64 vcc, exec, s[8:9]
	s_cbranch_vccnz .LBB135_27
	s_branch .LBB135_37
.LBB135_101:                            ;   in Loop: Header=BB135_12 Depth=1
	s_mov_b64 s[20:21], -1
	s_mov_b64 s[10:11], 0
                                        ; implicit-def: $sgpr34_sgpr35
                                        ; implicit-def: $vgpr22
	s_mov_b64 s[36:37], s[20:21]
	s_cbranch_execnz .LBB135_104
	s_branch .LBB135_117
.LBB135_102:                            ;   in Loop: Header=BB135_12 Depth=1
	s_or_b64 exec, exec, s[10:11]
	v_lshrrev_b16_e32 v22, 8, v7
	s_and_b64 s[10:11], s[20:21], exec
.LBB135_103:                            ;   in Loop: Header=BB135_12 Depth=1
	s_or_b64 exec, exec, s[12:13]
	s_mov_b64 s[34:35], -1
	s_mov_b64 s[20:21], 0
	s_mov_b64 s[36:37], s[20:21]
	s_branch .LBB135_117
.LBB135_104:                            ;   in Loop: Header=BB135_12 Depth=1
	s_mov_b32 s94, s87
	s_cmp_lg_u64 s[94:95], 0
	s_cbranch_scc0 .LBB135_146
; %bb.105:                              ;   in Loop: Header=BB135_12 Depth=1
	v_cvt_f32_u32_e32 v2, s33
	s_sub_u32 s4, 0, s33
	s_subb_u32 s5, 0, 0
	v_mac_f32_e32 v2, 0, v30
	v_rcp_f32_e32 v2, v2
	v_mul_f32_e32 v2, 0x5f7ffffc, v2
	v_mul_f32_e32 v3, 0x2f800000, v2
	v_trunc_f32_e32 v3, v3
	v_mac_f32_e32 v2, 0xcf800000, v3
	v_cvt_u32_f32_e32 v3, v3
	v_cvt_u32_f32_e32 v2, v2
	v_readfirstlane_b32 s10, v3
	v_readfirstlane_b32 s11, v2
	s_mul_i32 s12, s4, s10
	s_mul_hi_u32 s20, s4, s11
	s_mul_i32 s13, s5, s11
	s_add_i32 s12, s20, s12
	s_mul_i32 s21, s4, s11
	s_add_i32 s12, s12, s13
	s_mul_hi_u32 s20, s11, s21
	s_mul_hi_u32 s13, s11, s12
	s_mul_i32 s11, s11, s12
	s_add_u32 s11, s20, s11
	s_addc_u32 s13, 0, s13
	s_mul_hi_u32 s26, s10, s21
	s_mul_i32 s21, s10, s21
	s_add_u32 s11, s11, s21
	s_mul_hi_u32 s20, s10, s12
	s_addc_u32 s11, s13, s26
	s_addc_u32 s13, s20, 0
	s_mul_i32 s12, s10, s12
	s_add_u32 s11, s11, s12
	s_addc_u32 s12, 0, s13
	v_add_co_u32_e32 v2, vcc, s11, v2
	s_cmp_lg_u64 vcc, 0
	s_addc_u32 s10, s10, s12
	v_readfirstlane_b32 s12, v2
	s_mul_i32 s11, s4, s10
	s_mul_hi_u32 s13, s4, s12
	s_add_i32 s11, s13, s11
	s_mul_i32 s5, s5, s12
	s_add_i32 s11, s11, s5
	s_mul_i32 s4, s4, s12
	s_mul_hi_u32 s13, s10, s4
	s_mul_i32 s20, s10, s4
	s_mul_i32 s26, s12, s11
	s_mul_hi_u32 s4, s12, s4
	s_mul_hi_u32 s21, s12, s11
	s_add_u32 s4, s4, s26
	s_addc_u32 s12, 0, s21
	s_add_u32 s4, s4, s20
	s_mul_hi_u32 s5, s10, s11
	s_addc_u32 s4, s12, s13
	s_addc_u32 s5, s5, 0
	s_mul_i32 s11, s10, s11
	s_add_u32 s4, s4, s11
	s_addc_u32 s5, 0, s5
	v_add_co_u32_e32 v2, vcc, s4, v2
	s_cmp_lg_u64 vcc, 0
	s_addc_u32 s4, s10, s5
	v_readlane_b32 s20, v42, 35
	v_readfirstlane_b32 s11, v2
	s_mul_i32 s10, s20, s4
	s_mul_hi_u32 s12, s20, s11
	s_mul_hi_u32 s5, s20, s4
	s_add_u32 s10, s12, s10
	s_addc_u32 s5, 0, s5
	s_mul_hi_u32 s13, s95, s11
	s_mul_i32 s11, s95, s11
	s_add_u32 s10, s10, s11
	s_mul_hi_u32 s12, s95, s4
	s_addc_u32 s5, s5, s13
	s_addc_u32 s10, s12, 0
	s_mul_i32 s4, s95, s4
	s_add_u32 s4, s5, s4
	s_addc_u32 s5, 0, s10
	s_mul_hi_u32 s10, s33, s4
	s_mul_i32 s4, s33, s4
	s_mul_i32 s5, s33, s5
	v_mov_b32_e32 v2, s4
	s_add_i32 s10, s10, s5
	v_sub_co_u32_e32 v2, vcc, s20, v2
	s_cmp_lg_u64 vcc, 0
	s_subb_u32 s4, s95, s10
	v_subrev_co_u32_e32 v3, vcc, s33, v2
	s_cmp_lg_u64 vcc, 0
	s_subb_u32 s5, s4, 0
	v_subrev_co_u32_e32 v4, vcc, s33, v3
	s_cmp_lg_u64 vcc, 0
	s_subb_u32 s10, s5, 0
	v_cmp_le_u32_e32 vcc, s33, v3
	s_cmp_eq_u32 s5, 0
	v_cndmask_b32_e64 v5, 0, -1, vcc
	s_cselect_b64 vcc, -1, 0
	v_cndmask_b32_e32 v5, -1, v5, vcc
	v_mov_b32_e32 v6, s5
	v_mov_b32_e32 v7, s10
	v_cmp_ne_u32_e32 vcc, 0, v5
	v_cndmask_b32_e32 v5, v6, v7, vcc
	v_cndmask_b32_e32 v4, v3, v4, vcc
	v_cmp_le_u32_e32 vcc, s33, v2
	s_cmp_eq_u32 s4, 0
	v_cndmask_b32_e64 v3, 0, -1, vcc
	s_cselect_b64 vcc, -1, 0
	v_cndmask_b32_e32 v3, -1, v3, vcc
	v_mov_b32_e32 v6, s4
	v_cmp_ne_u32_e32 vcc, 0, v3
	v_cndmask_b32_e32 v3, v6, v5, vcc
	v_cndmask_b32_e32 v2, v2, v4, vcc
	s_cbranch_execnz .LBB135_107
.LBB135_106:                            ;   in Loop: Header=BB135_12 Depth=1
	v_cvt_f32_u32_e32 v2, s33
	s_sub_i32 s4, 0, s33
	v_rcp_iflag_f32_e32 v2, v2
	v_mul_f32_e32 v2, 0x4f7ffffe, v2
	v_cvt_u32_f32_e32 v2, v2
	v_mul_lo_u32 v3, s4, v2
	v_mul_hi_u32 v3, v2, v3
	v_add_u32_e32 v2, v2, v3
	v_readlane_b32 s4, v42, 35
	v_mul_hi_u32 v2, s4, v2
	v_mul_lo_u32 v2, v2, s33
	v_sub_u32_e32 v2, s4, v2
	v_subrev_u32_e32 v3, s33, v2
	v_cmp_le_u32_e32 vcc, s33, v2
	v_cndmask_b32_e32 v2, v2, v3, vcc
	v_subrev_u32_e32 v3, s33, v2
	v_cmp_le_u32_e32 vcc, s33, v2
	v_cndmask_b32_e32 v14, v2, v3, vcc
	v_pk_mov_b32 v[2:3], v[14:15], v[14:15] op_sel:[0,1]
.LBB135_107:                            ;   in Loop: Header=BB135_12 Depth=1
	v_readlane_b32 s4, v42, 35
	v_mov_b32_e32 v4, s95
	v_sub_co_u32_e32 v2, vcc, s4, v2
	v_subb_co_u32_e32 v3, vcc, v4, v3, vcc
	v_cmp_gt_u64_e32 vcc, v[2:3], v[0:1]
	s_mov_b64 s[10:11], 0
                                        ; implicit-def: $vgpr22
	s_and_saveexec_b64 s[4:5], vcc
	s_cbranch_execz .LBB135_116
; %bb.108:                              ;   in Loop: Header=BB135_12 Depth=1
	v_pk_mov_b32 v[4:5], v[0:1], v[0:1] op_sel:[0,1]
                                        ; implicit-def: $sgpr12_sgpr13
	s_branch .LBB135_110
.LBB135_109:                            ;   in Loop: Header=BB135_110 Depth=2
	s_or_b64 exec, exec, s[20:21]
	s_waitcnt lgkmcnt(0)
	s_barrier
	s_waitcnt vmcnt(0)
	ds_read_u16 v6, v15 offset:3072
	v_mov_b32_e32 v7, s90
	v_add_co_u32_e32 v4, vcc, s33, v4
	v_addc_co_u32_e32 v5, vcc, v5, v7, vcc
	s_waitcnt lgkmcnt(0)
	v_cmp_ne_u16_sdwa s[20:21], v6, v15 src0_sel:BYTE_0 src1_sel:DWORD
	v_cmp_ge_u64_e32 vcc, v[4:5], v[2:3]
	s_or_b64 s[26:27], vcc, s[20:21]
	s_and_b64 s[26:27], exec, s[26:27]
	s_or_b64 s[10:11], s[26:27], s[10:11]
	s_andn2_b64 s[12:13], s[12:13], exec
	s_and_b64 s[20:21], s[20:21], exec
	s_or_b64 s[12:13], s[12:13], s[20:21]
	s_barrier
	s_andn2_b64 exec, exec, s[10:11]
	s_cbranch_execz .LBB135_115
.LBB135_110:                            ;   Parent Loop BB135_12 Depth=1
                                        ; =>  This Inner Loop Header: Depth=2
	v_cmp_gt_u64_e32 vcc, s[60:61], v[4:5]
	v_mov_b32_e32 v6, 0
	s_and_saveexec_b64 s[20:21], vcc
	s_cbranch_execz .LBB135_112
; %bb.111:                              ;   in Loop: Header=BB135_110 Depth=2
	v_pk_mov_b32 v[6:7], s[56:57], s[56:57] op_sel:[0,1]
	v_mad_u64_u32 v[6:7], s[26:27], v4, s58, v[6:7]
	v_mul_lo_u32 v14, v4, s59
	v_mul_lo_u32 v22, v5, s58
	v_add3_u32 v7, v22, v7, v14
	global_load_ubyte v6, v[6:7], off
.LBB135_112:                            ;   in Loop: Header=BB135_110 Depth=2
	s_or_b64 exec, exec, s[20:21]
	s_and_saveexec_b64 s[20:21], vcc
	s_cbranch_execz .LBB135_109
; %bb.113:                              ;   in Loop: Header=BB135_110 Depth=2
	s_waitcnt vmcnt(0)
	v_add_u32_sdwa v7, sext(v6), s91 dst_sel:DWORD dst_unused:UNUSED_PAD src0_sel:BYTE_0 src1_sel:DWORD
	v_and_b32_e32 v7, v7, v9
	v_cmp_eq_u32_e32 vcc, v7, v8
	s_and_b64 exec, exec, vcc
	s_cbranch_execz .LBB135_109
; %bb.114:                              ;   in Loop: Header=BB135_110 Depth=2
	v_lshlrev_b16_e32 v6, 8, v6
	v_or_b32_e32 v6, 1, v6
	ds_write_b16 v15, v6 offset:3072
	s_branch .LBB135_109
.LBB135_115:                            ;   in Loop: Header=BB135_12 Depth=1
	s_or_b64 exec, exec, s[10:11]
	v_lshrrev_b16_e32 v22, 8, v6
	s_and_b64 s[10:11], s[12:13], exec
.LBB135_116:                            ;   in Loop: Header=BB135_12 Depth=1
	s_or_b64 exec, exec, s[4:5]
	s_mov_b64 s[36:37], -1
	s_mov_b64 s[20:21], 0
	s_mov_b64 s[34:35], 0
.LBB135_117:                            ;   in Loop: Header=BB135_12 Depth=1
	s_orn2_b64 s[4:5], s[10:11], exec
.LBB135_118:                            ;   in Loop: Header=BB135_12 Depth=1
	s_or_b64 exec, exec, s[8:9]
	s_mov_b64 s[38:39], 0
	s_mov_b64 s[28:29], 0
	;; [unrolled: 1-line block ×3, first 2 shown]
                                        ; implicit-def: $vgpr6
                                        ; implicit-def: $vgpr2_vgpr3
	s_and_saveexec_b64 s[40:41], s[4:5]
	s_cbranch_execz .LBB135_281
; %bb.119:                              ;   in Loop: Header=BB135_12 Depth=1
	v_mov_b32_e32 v2, 1
	s_xor_b64 s[8:9], s[6:7], -1
	s_mov_b64 s[6:7], 0
	v_mov_b32_e32 v3, 0
	v_mov_b32_e32 v6, 1
	s_and_saveexec_b64 s[4:5], s[8:9]
	s_cbranch_execz .LBB135_129
; %bb.120:                              ;   in Loop: Header=BB135_12 Depth=1
	v_cmp_ge_u64_e32 vcc, s[16:17], v[20:21]
                                        ; implicit-def: $sgpr10
                                        ; implicit-def: $sgpr6_sgpr7
	s_and_saveexec_b64 s[8:9], vcc
	s_xor_b64 s[8:9], exec, s[8:9]
	s_cbranch_execz .LBB135_126
; %bb.121:                              ;   in Loop: Header=BB135_12 Depth=1
	ds_read_b64 v[2:3], v15 offset:5120
	s_waitcnt lgkmcnt(0)
	v_cmp_ne_u64_e32 vcc, 0, v[2:3]
	s_cbranch_vccnz .LBB135_125
; %bb.122:                              ;   in Loop: Header=BB135_12 Depth=1
	s_mov_b64 s[6:7], exec
	v_readlane_b32 s10, v42, 12
	v_readlane_b32 s11, v42, 13
	s_and_b64 s[10:11], s[6:7], s[10:11]
	s_mov_b64 exec, s[10:11]
	s_cbranch_execz .LBB135_124
; %bb.123:                              ;   in Loop: Header=BB135_12 Depth=1
	v_pk_mov_b32 v[2:3], s[16:17], s[16:17] op_sel:[0,1]
	ds_write_b64 v15, v[2:3] offset:5128
.LBB135_124:                            ;   in Loop: Header=BB135_12 Depth=1
	s_or_b64 exec, exec, s[6:7]
	s_waitcnt lgkmcnt(0)
	s_barrier
.LBB135_125:                            ;   in Loop: Header=BB135_12 Depth=1
	v_and_b32_e32 v8, s46, v8
	v_or_b32_e32 v9, s86, v9
	s_mov_b64 s[6:7], 0
	s_mov_b32 s10, 8
.LBB135_126:                            ;   in Loop: Header=BB135_12 Depth=1
	s_or_saveexec_b64 s[8:9], s[8:9]
	v_mov_b32_e32 v6, s10
	v_pk_mov_b32 v[2:3], v[20:21], v[20:21] op_sel:[0,1]
	s_xor_b64 exec, exec, s[8:9]
; %bb.127:                              ;   in Loop: Header=BB135_12 Depth=1
	v_mov_b32_e32 v3, s17
	v_subrev_co_u32_e32 v2, vcc, s16, v20
	v_subb_co_u32_e32 v3, vcc, v21, v3, vcc
	v_mov_b32_e32 v6, 0
	s_or_b64 s[6:7], s[6:7], exec
; %bb.128:                              ;   in Loop: Header=BB135_12 Depth=1
	s_or_b64 exec, exec, s[8:9]
	s_and_b64 s[6:7], s[6:7], exec
.LBB135_129:                            ;   in Loop: Header=BB135_12 Depth=1
	s_or_b64 exec, exec, s[4:5]
	s_mov_b64 s[26:27], -1
                                        ; implicit-def: $sgpr4_sgpr5
                                        ; implicit-def: $sgpr8_sgpr9
                                        ; implicit-def: $sgpr10_sgpr11
	s_and_saveexec_b64 s[12:13], s[6:7]
	s_xor_b64 s[6:7], exec, s[12:13]
	s_cbranch_execz .LBB135_278
; %bb.130:                              ;   in Loop: Header=BB135_12 Depth=1
	s_cmp_eq_u64 s[18:19], 1
	s_cselect_b64 s[4:5], -1, 0
	v_cmp_eq_u64_e32 vcc, 1, v[2:3]
	s_and_b64 s[8:9], s[4:5], vcc
	s_mov_b64 s[4:5], -1
                                        ; implicit-def: $sgpr26_sgpr27
                                        ; implicit-def: $sgpr42_sgpr43
                                        ; implicit-def: $sgpr28_sgpr29
	s_and_saveexec_b64 s[44:45], s[8:9]
	s_cbranch_execz .LBB135_164
; %bb.131:                              ;   in Loop: Header=BB135_12 Depth=1
	ds_read_b64 v[4:5], v15 offset:5120
	s_waitcnt lgkmcnt(0)
	s_barrier
	v_readfirstlane_b32 s4, v4
	v_readfirstlane_b32 s5, v5
	s_mov_b64 s[10:11], exec
	v_readlane_b32 s12, v42, 30
	v_readlane_b32 s13, v42, 31
	s_and_b64 s[12:13], s[10:11], s[12:13]
	s_mov_b64 exec, s[12:13]
	s_cbranch_execz .LBB135_133
; %bb.132:                              ;   in Loop: Header=BB135_12 Depth=1
	ds_write_b8 v0, v15 offset:3072
.LBB135_133:                            ;   in Loop: Header=BB135_12 Depth=1
	s_or_b64 exec, exec, s[10:11]
	v_and_b32_e32 v4, s46, v8
	v_lshl_or_b32 v8, 1, s47, v4
	v_or_b32_e32 v9, s86, v9
	s_cmp_eq_u64 s[4:5], 0
	s_waitcnt lgkmcnt(0)
	s_barrier
	s_cbranch_scc1 .LBB135_147
; %bb.134:                              ;   in Loop: Header=BB135_12 Depth=1
	v_readlane_b32 s10, v42, 34
	s_add_u32 s26, s10, s4
	v_readlane_b32 s10, v42, 36
	s_addc_u32 s11, s10, s5
	s_mov_b32 s10, s87
	s_cmp_lg_u64 s[10:11], 0
	s_cbranch_scc0 .LBB135_191
; %bb.135:                              ;   in Loop: Header=BB135_12 Depth=1
	v_cvt_f32_u32_e32 v4, s33
	s_sub_u32 s10, 0, s33
	s_subb_u32 s12, 0, 0
	v_mac_f32_e32 v4, 0, v30
	v_rcp_f32_e32 v4, v4
	v_mul_f32_e32 v4, 0x5f7ffffc, v4
	v_mul_f32_e32 v5, 0x2f800000, v4
	v_trunc_f32_e32 v5, v5
	v_mac_f32_e32 v4, 0xcf800000, v5
	v_cvt_u32_f32_e32 v5, v5
	v_cvt_u32_f32_e32 v4, v4
	v_readfirstlane_b32 s13, v5
	v_readfirstlane_b32 s27, v4
	s_mul_i32 s28, s10, s13
	s_mul_hi_u32 s42, s10, s27
	s_mul_i32 s29, s12, s27
	s_add_i32 s28, s42, s28
	s_mul_i32 s43, s10, s27
	s_add_i32 s28, s28, s29
	s_mul_hi_u32 s42, s27, s43
	s_mul_hi_u32 s29, s27, s28
	s_mul_i32 s27, s27, s28
	s_add_u32 s27, s42, s27
	s_addc_u32 s29, 0, s29
	s_mul_hi_u32 s48, s13, s43
	s_mul_i32 s43, s13, s43
	s_add_u32 s27, s27, s43
	s_mul_hi_u32 s42, s13, s28
	s_addc_u32 s27, s29, s48
	s_addc_u32 s29, s42, 0
	s_mul_i32 s28, s13, s28
	s_add_u32 s27, s27, s28
	s_addc_u32 s28, 0, s29
	v_add_co_u32_e32 v4, vcc, s27, v4
	s_cmp_lg_u64 vcc, 0
	s_addc_u32 s13, s13, s28
	v_readfirstlane_b32 s28, v4
	s_mul_i32 s27, s10, s13
	s_mul_hi_u32 s29, s10, s28
	s_add_i32 s27, s29, s27
	s_mul_i32 s12, s12, s28
	s_add_i32 s27, s27, s12
	s_mul_i32 s10, s10, s28
	s_mul_hi_u32 s29, s13, s10
	s_mul_i32 s42, s13, s10
	s_mul_i32 s48, s28, s27
	s_mul_hi_u32 s10, s28, s10
	s_mul_hi_u32 s43, s28, s27
	s_add_u32 s10, s10, s48
	s_addc_u32 s28, 0, s43
	s_add_u32 s10, s10, s42
	s_mul_hi_u32 s12, s13, s27
	s_addc_u32 s10, s28, s29
	s_addc_u32 s12, s12, 0
	s_mul_i32 s27, s13, s27
	s_add_u32 s10, s10, s27
	s_addc_u32 s12, 0, s12
	v_add_co_u32_e32 v4, vcc, s10, v4
	s_cmp_lg_u64 vcc, 0
	s_addc_u32 s10, s13, s12
	v_readfirstlane_b32 s27, v4
	s_mul_i32 s13, s26, s10
	s_mul_hi_u32 s28, s26, s27
	s_mul_hi_u32 s12, s26, s10
	s_add_u32 s13, s28, s13
	s_addc_u32 s12, 0, s12
	s_mul_hi_u32 s29, s11, s27
	s_mul_i32 s27, s11, s27
	s_add_u32 s13, s13, s27
	s_mul_hi_u32 s28, s11, s10
	s_addc_u32 s12, s12, s29
	s_addc_u32 s13, s28, 0
	s_mul_i32 s10, s11, s10
	s_add_u32 s10, s12, s10
	s_addc_u32 s12, 0, s13
	s_mul_hi_u32 s13, s33, s10
	s_mul_i32 s10, s33, s10
	s_mul_i32 s12, s33, s12
	v_mov_b32_e32 v4, s10
	s_add_i32 s13, s13, s12
	v_sub_co_u32_e32 v4, vcc, s26, v4
	s_cmp_lg_u64 vcc, 0
	s_subb_u32 s10, s11, s13
	v_subrev_co_u32_e32 v5, vcc, s33, v4
	s_cmp_lg_u64 vcc, 0
	s_subb_u32 s12, s10, 0
	v_subrev_co_u32_e32 v6, vcc, s33, v5
	s_cmp_lg_u64 vcc, 0
	s_subb_u32 s13, s12, 0
	v_cmp_le_u32_e32 vcc, s33, v5
	s_cmp_eq_u32 s12, 0
	v_cndmask_b32_e64 v7, 0, -1, vcc
	s_cselect_b64 vcc, -1, 0
	v_cndmask_b32_e32 v7, -1, v7, vcc
	v_mov_b32_e32 v14, s12
	v_mov_b32_e32 v22, s13
	v_cmp_ne_u32_e32 vcc, 0, v7
	v_cndmask_b32_e32 v7, v14, v22, vcc
	v_cndmask_b32_e32 v6, v5, v6, vcc
	v_cmp_le_u32_e32 vcc, s33, v4
	s_cmp_eq_u32 s10, 0
	v_cndmask_b32_e64 v5, 0, -1, vcc
	s_cselect_b64 vcc, -1, 0
	v_cndmask_b32_e32 v5, -1, v5, vcc
	v_mov_b32_e32 v14, s10
	v_cmp_ne_u32_e32 vcc, 0, v5
	v_cndmask_b32_e32 v5, v14, v7, vcc
	v_cndmask_b32_e32 v4, v4, v6, vcc
	s_cbranch_execnz .LBB135_137
.LBB135_136:                            ;   in Loop: Header=BB135_12 Depth=1
	v_cvt_f32_u32_e32 v4, s33
	s_sub_i32 s10, 0, s33
	v_rcp_iflag_f32_e32 v4, v4
	v_mul_f32_e32 v4, 0x4f7ffffe, v4
	v_cvt_u32_f32_e32 v4, v4
	v_mul_lo_u32 v5, s10, v4
	v_mul_hi_u32 v5, v4, v5
	v_add_u32_e32 v4, v4, v5
	v_mul_hi_u32 v4, s26, v4
	v_mul_lo_u32 v4, v4, s33
	v_sub_u32_e32 v4, s26, v4
	v_subrev_u32_e32 v5, s33, v4
	v_cmp_le_u32_e32 vcc, s33, v4
	v_cndmask_b32_e32 v4, v4, v5, vcc
	v_subrev_u32_e32 v5, s33, v4
	v_cmp_le_u32_e32 vcc, s33, v4
	v_cndmask_b32_e32 v14, v4, v5, vcc
	v_pk_mov_b32 v[4:5], v[14:15], v[14:15] op_sel:[0,1]
.LBB135_137:                            ;   in Loop: Header=BB135_12 Depth=1
	v_mov_b32_e32 v6, s11
	v_sub_co_u32_e32 v4, vcc, s26, v4
	v_subb_co_u32_e32 v5, vcc, v6, v5, vcc
	v_cmp_gt_u64_e32 vcc, v[4:5], v[0:1]
	s_mov_b64 s[10:11], 0
                                        ; implicit-def: $vgpr22
	s_and_saveexec_b64 s[12:13], vcc
	s_cbranch_execz .LBB135_149
; %bb.138:                              ;   in Loop: Header=BB135_12 Depth=1
	v_mov_b32_e32 v14, v0
	v_pk_mov_b32 v[6:7], v[0:1], v[0:1] op_sel:[0,1]
                                        ; implicit-def: $sgpr26_sgpr27
	s_branch .LBB135_140
.LBB135_139:                            ;   in Loop: Header=BB135_140 Depth=2
	s_or_b64 exec, exec, s[28:29]
	s_waitcnt lgkmcnt(0)
	s_barrier
	ds_read_u16 v22, v15 offset:3072
	v_mov_b32_e32 v23, s90
	v_add_co_u32_e32 v6, vcc, s33, v6
	v_addc_co_u32_e32 v7, vcc, v7, v23, vcc
	s_waitcnt lgkmcnt(0)
	v_cmp_ne_u16_sdwa s[28:29], v22, v15 src0_sel:BYTE_0 src1_sel:DWORD
	v_cmp_ge_u64_e32 vcc, v[6:7], v[4:5]
	s_or_b64 s[42:43], vcc, s[28:29]
	s_and_b64 s[42:43], exec, s[42:43]
	s_or_b64 s[10:11], s[42:43], s[10:11]
	s_andn2_b64 s[26:27], s[26:27], exec
	s_and_b64 s[28:29], s[28:29], exec
	v_add_u32_e32 v14, s33, v14
	s_or_b64 s[26:27], s[26:27], s[28:29]
	s_barrier
	s_andn2_b64 exec, exec, s[10:11]
	s_cbranch_execz .LBB135_148
.LBB135_140:                            ;   Parent Loop BB135_12 Depth=1
                                        ; =>  This Inner Loop Header: Depth=2
	v_cmp_gt_u64_e32 vcc, s[4:5], v[6:7]
	v_mov_b32_e32 v22, 0
	s_and_saveexec_b64 s[28:29], vcc
	s_cbranch_execz .LBB135_142
; %bb.141:                              ;   in Loop: Header=BB135_140 Depth=2
	ds_read_u8 v22, v14
.LBB135_142:                            ;   in Loop: Header=BB135_140 Depth=2
	s_or_b64 exec, exec, s[28:29]
	s_and_saveexec_b64 s[28:29], vcc
	s_cbranch_execz .LBB135_139
; %bb.143:                              ;   in Loop: Header=BB135_140 Depth=2
	s_waitcnt lgkmcnt(0)
	v_add_u32_sdwa v23, sext(v22), s91 dst_sel:DWORD dst_unused:UNUSED_PAD src0_sel:BYTE_0 src1_sel:DWORD
	v_and_b32_e32 v23, v23, v9
	v_cmp_eq_u32_e32 vcc, v23, v8
	s_and_b64 exec, exec, vcc
	s_cbranch_execz .LBB135_139
; %bb.144:                              ;   in Loop: Header=BB135_140 Depth=2
	v_lshlrev_b16_e32 v22, 8, v22
	v_or_b32_e32 v22, 1, v22
	ds_write_b16 v15, v22 offset:3072
	s_branch .LBB135_139
.LBB135_145:                            ;   in Loop: Header=BB135_12 Depth=1
                                        ; implicit-def: $vgpr2_vgpr3
	s_branch .LBB135_87
.LBB135_146:                            ;   in Loop: Header=BB135_12 Depth=1
                                        ; implicit-def: $vgpr2_vgpr3
	s_branch .LBB135_106
.LBB135_147:                            ;   in Loop: Header=BB135_12 Depth=1
	s_mov_b64 s[26:27], -1
	s_mov_b64 s[10:11], 0
                                        ; implicit-def: $sgpr28_sgpr29
                                        ; implicit-def: $vgpr22
	s_mov_b64 s[42:43], s[26:27]
	s_cbranch_execnz .LBB135_150
	s_branch .LBB135_163
.LBB135_148:                            ;   in Loop: Header=BB135_12 Depth=1
	s_or_b64 exec, exec, s[10:11]
	v_lshrrev_b16_e32 v22, 8, v22
	s_and_b64 s[10:11], s[26:27], exec
.LBB135_149:                            ;   in Loop: Header=BB135_12 Depth=1
	s_or_b64 exec, exec, s[12:13]
	s_mov_b64 s[28:29], -1
	s_mov_b64 s[26:27], 0
	s_mov_b64 s[42:43], s[26:27]
	s_branch .LBB135_163
.LBB135_150:                            ;   in Loop: Header=BB135_12 Depth=1
	s_mov_b32 s94, s87
	s_cmp_lg_u64 s[94:95], 0
	s_cbranch_scc0 .LBB135_192
; %bb.151:                              ;   in Loop: Header=BB135_12 Depth=1
	v_cvt_f32_u32_e32 v4, s33
	s_sub_u32 s4, 0, s33
	s_subb_u32 s5, 0, 0
	v_mac_f32_e32 v4, 0, v30
	v_rcp_f32_e32 v4, v4
	v_mul_f32_e32 v4, 0x5f7ffffc, v4
	v_mul_f32_e32 v5, 0x2f800000, v4
	v_trunc_f32_e32 v5, v5
	v_mac_f32_e32 v4, 0xcf800000, v5
	v_cvt_u32_f32_e32 v5, v5
	v_cvt_u32_f32_e32 v4, v4
	v_readfirstlane_b32 s10, v5
	v_readfirstlane_b32 s11, v4
	s_mul_i32 s12, s4, s10
	s_mul_hi_u32 s26, s4, s11
	s_mul_i32 s13, s5, s11
	s_add_i32 s12, s26, s12
	s_mul_i32 s27, s4, s11
	s_add_i32 s12, s12, s13
	s_mul_hi_u32 s26, s11, s27
	s_mul_hi_u32 s13, s11, s12
	s_mul_i32 s11, s11, s12
	s_add_u32 s11, s26, s11
	s_addc_u32 s13, 0, s13
	s_mul_hi_u32 s28, s10, s27
	s_mul_i32 s27, s10, s27
	s_add_u32 s11, s11, s27
	s_mul_hi_u32 s26, s10, s12
	s_addc_u32 s11, s13, s28
	s_addc_u32 s13, s26, 0
	s_mul_i32 s12, s10, s12
	s_add_u32 s11, s11, s12
	s_addc_u32 s12, 0, s13
	v_add_co_u32_e32 v4, vcc, s11, v4
	s_cmp_lg_u64 vcc, 0
	s_addc_u32 s10, s10, s12
	v_readfirstlane_b32 s12, v4
	s_mul_i32 s11, s4, s10
	s_mul_hi_u32 s13, s4, s12
	s_add_i32 s11, s13, s11
	s_mul_i32 s5, s5, s12
	s_add_i32 s11, s11, s5
	s_mul_i32 s4, s4, s12
	s_mul_hi_u32 s13, s10, s4
	s_mul_i32 s26, s10, s4
	s_mul_i32 s28, s12, s11
	s_mul_hi_u32 s4, s12, s4
	s_mul_hi_u32 s27, s12, s11
	s_add_u32 s4, s4, s28
	s_addc_u32 s12, 0, s27
	s_add_u32 s4, s4, s26
	s_mul_hi_u32 s5, s10, s11
	s_addc_u32 s4, s12, s13
	s_addc_u32 s5, s5, 0
	s_mul_i32 s11, s10, s11
	s_add_u32 s4, s4, s11
	s_addc_u32 s5, 0, s5
	v_add_co_u32_e32 v4, vcc, s4, v4
	s_cmp_lg_u64 vcc, 0
	s_addc_u32 s4, s10, s5
	v_readlane_b32 s26, v42, 35
	v_readfirstlane_b32 s11, v4
	s_mul_i32 s10, s26, s4
	s_mul_hi_u32 s12, s26, s11
	s_mul_hi_u32 s5, s26, s4
	s_add_u32 s10, s12, s10
	s_addc_u32 s5, 0, s5
	s_mul_hi_u32 s13, s95, s11
	s_mul_i32 s11, s95, s11
	s_add_u32 s10, s10, s11
	s_mul_hi_u32 s12, s95, s4
	s_addc_u32 s5, s5, s13
	s_addc_u32 s10, s12, 0
	s_mul_i32 s4, s95, s4
	s_add_u32 s4, s5, s4
	s_addc_u32 s5, 0, s10
	s_mul_hi_u32 s10, s33, s4
	s_mul_i32 s4, s33, s4
	s_mul_i32 s5, s33, s5
	v_mov_b32_e32 v4, s4
	s_add_i32 s10, s10, s5
	v_sub_co_u32_e32 v4, vcc, s26, v4
	s_cmp_lg_u64 vcc, 0
	s_subb_u32 s4, s95, s10
	v_subrev_co_u32_e32 v5, vcc, s33, v4
	s_cmp_lg_u64 vcc, 0
	s_subb_u32 s5, s4, 0
	v_subrev_co_u32_e32 v6, vcc, s33, v5
	s_cmp_lg_u64 vcc, 0
	s_subb_u32 s10, s5, 0
	v_cmp_le_u32_e32 vcc, s33, v5
	s_cmp_eq_u32 s5, 0
	v_cndmask_b32_e64 v7, 0, -1, vcc
	s_cselect_b64 vcc, -1, 0
	v_cndmask_b32_e32 v7, -1, v7, vcc
	v_mov_b32_e32 v14, s5
	v_mov_b32_e32 v22, s10
	v_cmp_ne_u32_e32 vcc, 0, v7
	v_cndmask_b32_e32 v7, v14, v22, vcc
	v_cndmask_b32_e32 v6, v5, v6, vcc
	v_cmp_le_u32_e32 vcc, s33, v4
	s_cmp_eq_u32 s4, 0
	v_cndmask_b32_e64 v5, 0, -1, vcc
	s_cselect_b64 vcc, -1, 0
	v_cndmask_b32_e32 v5, -1, v5, vcc
	v_mov_b32_e32 v14, s4
	v_cmp_ne_u32_e32 vcc, 0, v5
	v_cndmask_b32_e32 v5, v14, v7, vcc
	v_cndmask_b32_e32 v4, v4, v6, vcc
	s_cbranch_execnz .LBB135_153
.LBB135_152:                            ;   in Loop: Header=BB135_12 Depth=1
	v_cvt_f32_u32_e32 v4, s33
	s_sub_i32 s4, 0, s33
	v_rcp_iflag_f32_e32 v4, v4
	v_mul_f32_e32 v4, 0x4f7ffffe, v4
	v_cvt_u32_f32_e32 v4, v4
	v_mul_lo_u32 v5, s4, v4
	v_mul_hi_u32 v5, v4, v5
	v_add_u32_e32 v4, v4, v5
	v_readlane_b32 s4, v42, 35
	v_mul_hi_u32 v4, s4, v4
	v_mul_lo_u32 v4, v4, s33
	v_sub_u32_e32 v4, s4, v4
	v_subrev_u32_e32 v5, s33, v4
	v_cmp_le_u32_e32 vcc, s33, v4
	v_cndmask_b32_e32 v4, v4, v5, vcc
	v_subrev_u32_e32 v5, s33, v4
	v_cmp_le_u32_e32 vcc, s33, v4
	v_cndmask_b32_e32 v14, v4, v5, vcc
	v_pk_mov_b32 v[4:5], v[14:15], v[14:15] op_sel:[0,1]
.LBB135_153:                            ;   in Loop: Header=BB135_12 Depth=1
	v_readlane_b32 s4, v42, 35
	v_mov_b32_e32 v6, s95
	v_sub_co_u32_e32 v4, vcc, s4, v4
	v_subb_co_u32_e32 v5, vcc, v6, v5, vcc
	v_cmp_gt_u64_e32 vcc, v[4:5], v[0:1]
	s_mov_b64 s[10:11], 0
                                        ; implicit-def: $vgpr22
	s_and_saveexec_b64 s[4:5], vcc
	s_cbranch_execz .LBB135_162
; %bb.154:                              ;   in Loop: Header=BB135_12 Depth=1
	v_pk_mov_b32 v[6:7], v[0:1], v[0:1] op_sel:[0,1]
                                        ; implicit-def: $sgpr12_sgpr13
	s_branch .LBB135_156
.LBB135_155:                            ;   in Loop: Header=BB135_156 Depth=2
	s_or_b64 exec, exec, s[26:27]
	s_waitcnt lgkmcnt(0)
	s_barrier
	s_waitcnt vmcnt(0)
	ds_read_u16 v14, v15 offset:3072
	v_mov_b32_e32 v22, s90
	v_add_co_u32_e32 v6, vcc, s33, v6
	v_addc_co_u32_e32 v7, vcc, v7, v22, vcc
	s_waitcnt lgkmcnt(0)
	v_cmp_ne_u16_sdwa s[26:27], v14, v15 src0_sel:BYTE_0 src1_sel:DWORD
	v_cmp_ge_u64_e32 vcc, v[6:7], v[4:5]
	s_or_b64 s[28:29], vcc, s[26:27]
	s_and_b64 s[28:29], exec, s[28:29]
	s_or_b64 s[10:11], s[28:29], s[10:11]
	s_andn2_b64 s[12:13], s[12:13], exec
	s_and_b64 s[26:27], s[26:27], exec
	s_or_b64 s[12:13], s[12:13], s[26:27]
	s_barrier
	s_andn2_b64 exec, exec, s[10:11]
	s_cbranch_execz .LBB135_161
.LBB135_156:                            ;   Parent Loop BB135_12 Depth=1
                                        ; =>  This Inner Loop Header: Depth=2
	v_cmp_gt_u64_e32 vcc, s[60:61], v[6:7]
	v_mov_b32_e32 v14, 0
	s_and_saveexec_b64 s[26:27], vcc
	s_cbranch_execz .LBB135_158
; %bb.157:                              ;   in Loop: Header=BB135_156 Depth=2
	v_pk_mov_b32 v[22:23], s[56:57], s[56:57] op_sel:[0,1]
	v_mad_u64_u32 v[22:23], s[28:29], v6, s58, v[22:23]
	v_mul_lo_u32 v14, v6, s59
	v_mul_lo_u32 v24, v7, s58
	v_add3_u32 v23, v24, v23, v14
	global_load_ubyte v14, v[22:23], off
.LBB135_158:                            ;   in Loop: Header=BB135_156 Depth=2
	s_or_b64 exec, exec, s[26:27]
	s_and_saveexec_b64 s[26:27], vcc
	s_cbranch_execz .LBB135_155
; %bb.159:                              ;   in Loop: Header=BB135_156 Depth=2
	s_waitcnt vmcnt(0)
	v_add_u32_sdwa v22, sext(v14), s91 dst_sel:DWORD dst_unused:UNUSED_PAD src0_sel:BYTE_0 src1_sel:DWORD
	v_and_b32_e32 v22, v22, v9
	v_cmp_eq_u32_e32 vcc, v22, v8
	s_and_b64 exec, exec, vcc
	s_cbranch_execz .LBB135_155
; %bb.160:                              ;   in Loop: Header=BB135_156 Depth=2
	v_lshlrev_b16_e32 v14, 8, v14
	v_or_b32_e32 v14, 1, v14
	ds_write_b16 v15, v14 offset:3072
	s_branch .LBB135_155
.LBB135_161:                            ;   in Loop: Header=BB135_12 Depth=1
	s_or_b64 exec, exec, s[10:11]
	v_lshrrev_b16_e32 v22, 8, v14
	s_and_b64 s[10:11], s[12:13], exec
.LBB135_162:                            ;   in Loop: Header=BB135_12 Depth=1
	s_or_b64 exec, exec, s[4:5]
	s_mov_b64 s[42:43], -1
	s_mov_b64 s[26:27], 0
	s_mov_b64 s[28:29], 0
.LBB135_163:                            ;   in Loop: Header=BB135_12 Depth=1
	s_orn2_b64 s[4:5], s[10:11], exec
.LBB135_164:                            ;   in Loop: Header=BB135_12 Depth=1
	s_or_b64 exec, exec, s[44:45]
	s_mov_b64 s[12:13], 0
                                        ; implicit-def: $vgpr6
	s_and_saveexec_b64 s[44:45], s[4:5]
	s_cbranch_execz .LBB135_277
; %bb.165:                              ;   in Loop: Header=BB135_12 Depth=1
	v_mov_b32_e32 v4, 1
	s_xor_b64 s[8:9], s[8:9], -1
	s_mov_b64 s[48:49], 0
	v_mov_b32_e32 v5, 0
	v_mov_b32_e32 v6, 1
	s_and_saveexec_b64 s[4:5], s[8:9]
	s_cbranch_execz .LBB135_175
; %bb.166:                              ;   in Loop: Header=BB135_12 Depth=1
	v_cmp_ge_u64_e32 vcc, s[18:19], v[2:3]
                                        ; implicit-def: $sgpr12
                                        ; implicit-def: $sgpr8_sgpr9
	s_and_saveexec_b64 s[10:11], vcc
	s_xor_b64 s[10:11], exec, s[10:11]
	s_cbranch_execz .LBB135_172
; %bb.167:                              ;   in Loop: Header=BB135_12 Depth=1
	ds_read_b64 v[4:5], v15 offset:5120
	s_waitcnt lgkmcnt(0)
	v_cmp_ne_u64_e32 vcc, 0, v[4:5]
	s_cbranch_vccnz .LBB135_171
; %bb.168:                              ;   in Loop: Header=BB135_12 Depth=1
	s_mov_b64 s[8:9], exec
	v_readlane_b32 s12, v42, 12
	v_readlane_b32 s13, v42, 13
	s_and_b64 s[12:13], s[8:9], s[12:13]
	s_mov_b64 exec, s[12:13]
	s_cbranch_execz .LBB135_170
; %bb.169:                              ;   in Loop: Header=BB135_12 Depth=1
	v_pk_mov_b32 v[4:5], s[18:19], s[18:19] op_sel:[0,1]
	ds_write_b64 v15, v[4:5] offset:5128
.LBB135_170:                            ;   in Loop: Header=BB135_12 Depth=1
	s_or_b64 exec, exec, s[8:9]
	s_waitcnt lgkmcnt(0)
	s_barrier
.LBB135_171:                            ;   in Loop: Header=BB135_12 Depth=1
	v_and_b32_e32 v4, s46, v8
	v_lshl_or_b32 v8, 1, s47, v4
	v_or_b32_e32 v9, s86, v9
	s_mov_b64 s[8:9], 0
	s_mov_b32 s12, 8
.LBB135_172:                            ;   in Loop: Header=BB135_12 Depth=1
	s_or_saveexec_b64 s[10:11], s[10:11]
	v_mov_b32_e32 v6, s12
	s_xor_b64 exec, exec, s[10:11]
; %bb.173:                              ;   in Loop: Header=BB135_12 Depth=1
	v_mov_b32_e32 v4, s19
	v_subrev_co_u32_e32 v2, vcc, s18, v2
	v_subb_co_u32_e32 v3, vcc, v3, v4, vcc
	v_mov_b32_e32 v6, 0
	s_or_b64 s[8:9], s[8:9], exec
; %bb.174:                              ;   in Loop: Header=BB135_12 Depth=1
	s_or_b64 exec, exec, s[10:11]
	s_and_b64 s[48:49], s[8:9], exec
	v_pk_mov_b32 v[4:5], v[2:3], v[2:3] op_sel:[0,1]
.LBB135_175:                            ;   in Loop: Header=BB135_12 Depth=1
	s_or_b64 exec, exec, s[4:5]
	s_mov_b64 s[4:5], -1
                                        ; implicit-def: $sgpr8_sgpr9
                                        ; implicit-def: $sgpr10_sgpr11
                                        ; implicit-def: $sgpr12_sgpr13
	s_and_saveexec_b64 s[50:51], s[48:49]
	s_cbranch_execz .LBB135_276
; %bb.176:                              ;   in Loop: Header=BB135_12 Depth=1
	s_cmp_eq_u64 s[22:23], 1
	s_cselect_b64 s[4:5], -1, 0
	v_cmp_eq_u64_e32 vcc, 1, v[4:5]
	s_and_b64 s[54:55], s[4:5], vcc
	s_mov_b64 s[10:11], -1
                                        ; implicit-def: $sgpr8_sgpr9
                                        ; implicit-def: $sgpr48_sgpr49
                                        ; implicit-def: $vcc
	s_and_saveexec_b64 s[52:53], s[54:55]
	s_cbranch_execz .LBB135_210
; %bb.177:                              ;   in Loop: Header=BB135_12 Depth=1
	ds_read_b64 v[2:3], v15 offset:5120
	s_waitcnt lgkmcnt(0)
	s_barrier
	v_readfirstlane_b32 s4, v2
	v_readfirstlane_b32 s5, v3
	s_mov_b64 s[8:9], exec
	v_readlane_b32 s10, v42, 30
	v_readlane_b32 s11, v42, 31
	s_and_b64 s[10:11], s[8:9], s[10:11]
	s_mov_b64 exec, s[10:11]
	s_cbranch_execz .LBB135_179
; %bb.178:                              ;   in Loop: Header=BB135_12 Depth=1
	ds_write_b8 v0, v15 offset:3072
.LBB135_179:                            ;   in Loop: Header=BB135_12 Depth=1
	s_or_b64 exec, exec, s[8:9]
	v_and_b32_e32 v2, s46, v8
	v_lshl_or_b32 v8, 2, s47, v2
	v_or_b32_e32 v9, s86, v9
	s_cmp_eq_u64 s[4:5], 0
	s_waitcnt lgkmcnt(0)
	s_barrier
	s_cbranch_scc1 .LBB135_193
; %bb.180:                              ;   in Loop: Header=BB135_12 Depth=1
	v_readlane_b32 s8, v42, 34
	s_add_u32 s12, s8, s4
	v_readlane_b32 s8, v42, 36
	s_addc_u32 s9, s8, s5
	s_mov_b32 s8, s87
	s_cmp_lg_u64 s[8:9], 0
	s_cbranch_scc0 .LBB135_228
; %bb.181:                              ;   in Loop: Header=BB135_12 Depth=1
	v_cvt_f32_u32_e32 v2, s33
	s_sub_u32 s8, 0, s33
	s_subb_u32 s10, 0, 0
	v_mac_f32_e32 v2, 0, v30
	v_rcp_f32_e32 v2, v2
	v_mul_f32_e32 v2, 0x5f7ffffc, v2
	v_mul_f32_e32 v3, 0x2f800000, v2
	v_trunc_f32_e32 v3, v3
	v_mac_f32_e32 v2, 0xcf800000, v3
	v_cvt_u32_f32_e32 v3, v3
	v_cvt_u32_f32_e32 v2, v2
	v_readfirstlane_b32 s11, v3
	v_readfirstlane_b32 s13, v2
	s_mul_i32 s48, s8, s11
	s_mul_hi_u32 s72, s8, s13
	s_mul_i32 s49, s10, s13
	s_add_i32 s48, s72, s48
	s_mul_i32 s73, s8, s13
	s_add_i32 s48, s48, s49
	s_mul_hi_u32 s72, s13, s73
	s_mul_hi_u32 s49, s13, s48
	s_mul_i32 s13, s13, s48
	s_add_u32 s13, s72, s13
	s_addc_u32 s49, 0, s49
	s_mul_hi_u32 s88, s11, s73
	s_mul_i32 s73, s11, s73
	s_add_u32 s13, s13, s73
	s_mul_hi_u32 s72, s11, s48
	s_addc_u32 s13, s49, s88
	s_addc_u32 s49, s72, 0
	s_mul_i32 s48, s11, s48
	s_add_u32 s13, s13, s48
	s_addc_u32 s48, 0, s49
	v_add_co_u32_e32 v2, vcc, s13, v2
	s_cmp_lg_u64 vcc, 0
	s_addc_u32 s11, s11, s48
	v_readfirstlane_b32 s48, v2
	s_mul_i32 s13, s8, s11
	s_mul_hi_u32 s49, s8, s48
	s_add_i32 s13, s49, s13
	s_mul_i32 s10, s10, s48
	s_add_i32 s13, s13, s10
	s_mul_i32 s8, s8, s48
	s_mul_hi_u32 s49, s11, s8
	s_mul_i32 s72, s11, s8
	s_mul_i32 s88, s48, s13
	s_mul_hi_u32 s8, s48, s8
	s_mul_hi_u32 s73, s48, s13
	s_add_u32 s8, s8, s88
	s_addc_u32 s48, 0, s73
	s_add_u32 s8, s8, s72
	s_mul_hi_u32 s10, s11, s13
	s_addc_u32 s8, s48, s49
	s_addc_u32 s10, s10, 0
	s_mul_i32 s13, s11, s13
	s_add_u32 s8, s8, s13
	s_addc_u32 s10, 0, s10
	v_add_co_u32_e32 v2, vcc, s8, v2
	s_cmp_lg_u64 vcc, 0
	s_addc_u32 s8, s11, s10
	v_readfirstlane_b32 s13, v2
	s_mul_i32 s11, s12, s8
	s_mul_hi_u32 s48, s12, s13
	s_mul_hi_u32 s10, s12, s8
	s_add_u32 s11, s48, s11
	s_addc_u32 s10, 0, s10
	s_mul_hi_u32 s49, s9, s13
	s_mul_i32 s13, s9, s13
	s_add_u32 s11, s11, s13
	s_mul_hi_u32 s48, s9, s8
	s_addc_u32 s10, s10, s49
	s_addc_u32 s11, s48, 0
	s_mul_i32 s8, s9, s8
	s_add_u32 s8, s10, s8
	s_addc_u32 s10, 0, s11
	s_mul_hi_u32 s11, s33, s8
	s_mul_i32 s8, s33, s8
	s_mul_i32 s10, s33, s10
	v_mov_b32_e32 v2, s8
	s_add_i32 s11, s11, s10
	v_sub_co_u32_e32 v2, vcc, s12, v2
	s_cmp_lg_u64 vcc, 0
	s_subb_u32 s8, s9, s11
	v_subrev_co_u32_e32 v3, vcc, s33, v2
	s_cmp_lg_u64 vcc, 0
	s_subb_u32 s10, s8, 0
	v_subrev_co_u32_e32 v6, vcc, s33, v3
	s_cmp_lg_u64 vcc, 0
	s_subb_u32 s11, s10, 0
	v_cmp_le_u32_e32 vcc, s33, v3
	s_cmp_eq_u32 s10, 0
	v_cndmask_b32_e64 v7, 0, -1, vcc
	s_cselect_b64 vcc, -1, 0
	v_cndmask_b32_e32 v7, -1, v7, vcc
	v_mov_b32_e32 v14, s10
	v_mov_b32_e32 v22, s11
	v_cmp_ne_u32_e32 vcc, 0, v7
	v_cndmask_b32_e32 v7, v14, v22, vcc
	v_cndmask_b32_e32 v6, v3, v6, vcc
	v_cmp_le_u32_e32 vcc, s33, v2
	s_cmp_eq_u32 s8, 0
	v_cndmask_b32_e64 v3, 0, -1, vcc
	s_cselect_b64 vcc, -1, 0
	v_cndmask_b32_e32 v3, -1, v3, vcc
	v_mov_b32_e32 v14, s8
	v_cmp_ne_u32_e32 vcc, 0, v3
	v_cndmask_b32_e32 v3, v14, v7, vcc
	v_cndmask_b32_e32 v2, v2, v6, vcc
	s_cbranch_execnz .LBB135_183
.LBB135_182:                            ;   in Loop: Header=BB135_12 Depth=1
	v_cvt_f32_u32_e32 v2, s33
	s_sub_i32 s8, 0, s33
	v_rcp_iflag_f32_e32 v2, v2
	v_mul_f32_e32 v2, 0x4f7ffffe, v2
	v_cvt_u32_f32_e32 v2, v2
	v_mul_lo_u32 v3, s8, v2
	v_mul_hi_u32 v3, v2, v3
	v_add_u32_e32 v2, v2, v3
	v_mul_hi_u32 v2, s12, v2
	v_mul_lo_u32 v2, v2, s33
	v_sub_u32_e32 v2, s12, v2
	v_subrev_u32_e32 v3, s33, v2
	v_cmp_le_u32_e32 vcc, s33, v2
	v_cndmask_b32_e32 v2, v2, v3, vcc
	v_subrev_u32_e32 v3, s33, v2
	v_cmp_le_u32_e32 vcc, s33, v2
	v_cndmask_b32_e32 v14, v2, v3, vcc
	v_pk_mov_b32 v[2:3], v[14:15], v[14:15] op_sel:[0,1]
.LBB135_183:                            ;   in Loop: Header=BB135_12 Depth=1
	v_mov_b32_e32 v6, s9
	v_sub_co_u32_e32 v2, vcc, s12, v2
	v_subb_co_u32_e32 v3, vcc, v6, v3, vcc
	v_cmp_gt_u64_e32 vcc, v[2:3], v[0:1]
	s_mov_b64 s[10:11], 0
                                        ; implicit-def: $vgpr22
	s_and_saveexec_b64 s[8:9], vcc
	s_cbranch_execz .LBB135_195
; %bb.184:                              ;   in Loop: Header=BB135_12 Depth=1
	v_mov_b32_e32 v14, v0
	v_pk_mov_b32 v[6:7], v[0:1], v[0:1] op_sel:[0,1]
                                        ; implicit-def: $sgpr12_sgpr13
	s_branch .LBB135_186
.LBB135_185:                            ;   in Loop: Header=BB135_186 Depth=2
	s_or_b64 exec, exec, s[48:49]
	s_waitcnt lgkmcnt(0)
	s_barrier
	ds_read_u16 v22, v15 offset:3072
	v_mov_b32_e32 v23, s90
	v_add_co_u32_e32 v6, vcc, s33, v6
	v_addc_co_u32_e32 v7, vcc, v7, v23, vcc
	s_waitcnt lgkmcnt(0)
	v_cmp_ne_u16_sdwa s[48:49], v22, v15 src0_sel:BYTE_0 src1_sel:DWORD
	v_cmp_ge_u64_e32 vcc, v[6:7], v[2:3]
	s_or_b64 s[72:73], vcc, s[48:49]
	s_and_b64 s[72:73], exec, s[72:73]
	s_or_b64 s[10:11], s[72:73], s[10:11]
	s_andn2_b64 s[12:13], s[12:13], exec
	s_and_b64 s[48:49], s[48:49], exec
	v_add_u32_e32 v14, s33, v14
	s_or_b64 s[12:13], s[12:13], s[48:49]
	s_barrier
	s_andn2_b64 exec, exec, s[10:11]
	s_cbranch_execz .LBB135_194
.LBB135_186:                            ;   Parent Loop BB135_12 Depth=1
                                        ; =>  This Inner Loop Header: Depth=2
	v_cmp_gt_u64_e32 vcc, s[4:5], v[6:7]
	v_mov_b32_e32 v22, 0
	s_and_saveexec_b64 s[48:49], vcc
	s_cbranch_execz .LBB135_188
; %bb.187:                              ;   in Loop: Header=BB135_186 Depth=2
	ds_read_u8 v22, v14
.LBB135_188:                            ;   in Loop: Header=BB135_186 Depth=2
	s_or_b64 exec, exec, s[48:49]
	s_and_saveexec_b64 s[48:49], vcc
	s_cbranch_execz .LBB135_185
; %bb.189:                              ;   in Loop: Header=BB135_186 Depth=2
	s_waitcnt lgkmcnt(0)
	v_add_u32_sdwa v23, sext(v22), s91 dst_sel:DWORD dst_unused:UNUSED_PAD src0_sel:BYTE_0 src1_sel:DWORD
	v_and_b32_e32 v23, v23, v9
	v_cmp_eq_u32_e32 vcc, v23, v8
	s_and_b64 exec, exec, vcc
	s_cbranch_execz .LBB135_185
; %bb.190:                              ;   in Loop: Header=BB135_186 Depth=2
	v_lshlrev_b16_e32 v22, 8, v22
	v_or_b32_e32 v22, 1, v22
	ds_write_b16 v15, v22 offset:3072
	s_branch .LBB135_185
.LBB135_191:                            ;   in Loop: Header=BB135_12 Depth=1
                                        ; implicit-def: $vgpr4_vgpr5
	s_branch .LBB135_136
.LBB135_192:                            ;   in Loop: Header=BB135_12 Depth=1
                                        ; implicit-def: $vgpr4_vgpr5
	s_branch .LBB135_152
.LBB135_193:                            ;   in Loop: Header=BB135_12 Depth=1
	s_mov_b64 s[8:9], -1
	s_mov_b64 s[10:11], 0
                                        ; implicit-def: $sgpr4_sgpr5
                                        ; implicit-def: $vgpr22
	s_mov_b64 s[48:49], s[8:9]
	s_cbranch_execnz .LBB135_196
	s_branch .LBB135_209
.LBB135_194:                            ;   in Loop: Header=BB135_12 Depth=1
	s_or_b64 exec, exec, s[10:11]
	v_lshrrev_b16_e32 v22, 8, v22
	s_and_b64 s[10:11], s[12:13], exec
.LBB135_195:                            ;   in Loop: Header=BB135_12 Depth=1
	s_or_b64 exec, exec, s[8:9]
	s_mov_b64 s[4:5], -1
	s_mov_b64 s[8:9], 0
	s_mov_b64 s[48:49], s[8:9]
	s_branch .LBB135_209
.LBB135_196:                            ;   in Loop: Header=BB135_12 Depth=1
	s_mov_b32 s94, s87
	s_cmp_lg_u64 s[94:95], 0
	s_cbranch_scc0 .LBB135_229
; %bb.197:                              ;   in Loop: Header=BB135_12 Depth=1
	v_cvt_f32_u32_e32 v2, s33
	s_sub_u32 s4, 0, s33
	s_subb_u32 s5, 0, 0
	v_mac_f32_e32 v2, 0, v30
	v_rcp_f32_e32 v2, v2
	v_mul_f32_e32 v2, 0x5f7ffffc, v2
	v_mul_f32_e32 v3, 0x2f800000, v2
	v_trunc_f32_e32 v3, v3
	v_mac_f32_e32 v2, 0xcf800000, v3
	v_cvt_u32_f32_e32 v3, v3
	v_cvt_u32_f32_e32 v2, v2
	v_readfirstlane_b32 s8, v3
	v_readfirstlane_b32 s9, v2
	s_mul_i32 s10, s4, s8
	s_mul_hi_u32 s12, s4, s9
	s_mul_i32 s11, s5, s9
	s_add_i32 s10, s12, s10
	s_mul_i32 s13, s4, s9
	s_add_i32 s10, s10, s11
	s_mul_hi_u32 s12, s9, s13
	s_mul_hi_u32 s11, s9, s10
	s_mul_i32 s9, s9, s10
	s_add_u32 s9, s12, s9
	s_addc_u32 s11, 0, s11
	s_mul_hi_u32 s48, s8, s13
	s_mul_i32 s13, s8, s13
	s_add_u32 s9, s9, s13
	s_mul_hi_u32 s12, s8, s10
	s_addc_u32 s9, s11, s48
	s_addc_u32 s11, s12, 0
	s_mul_i32 s10, s8, s10
	s_add_u32 s9, s9, s10
	s_addc_u32 s10, 0, s11
	v_add_co_u32_e32 v2, vcc, s9, v2
	s_cmp_lg_u64 vcc, 0
	s_addc_u32 s8, s8, s10
	v_readfirstlane_b32 s10, v2
	s_mul_i32 s9, s4, s8
	s_mul_hi_u32 s11, s4, s10
	s_add_i32 s9, s11, s9
	s_mul_i32 s5, s5, s10
	s_add_i32 s9, s9, s5
	s_mul_i32 s4, s4, s10
	s_mul_hi_u32 s11, s8, s4
	s_mul_i32 s12, s8, s4
	s_mul_i32 s48, s10, s9
	s_mul_hi_u32 s4, s10, s4
	s_mul_hi_u32 s13, s10, s9
	s_add_u32 s4, s4, s48
	s_addc_u32 s10, 0, s13
	s_add_u32 s4, s4, s12
	s_mul_hi_u32 s5, s8, s9
	s_addc_u32 s4, s10, s11
	s_addc_u32 s5, s5, 0
	s_mul_i32 s9, s8, s9
	s_add_u32 s4, s4, s9
	s_addc_u32 s5, 0, s5
	v_add_co_u32_e32 v2, vcc, s4, v2
	s_cmp_lg_u64 vcc, 0
	s_addc_u32 s4, s8, s5
	v_readlane_b32 s12, v42, 35
	v_readfirstlane_b32 s9, v2
	s_mul_i32 s8, s12, s4
	s_mul_hi_u32 s10, s12, s9
	s_mul_hi_u32 s5, s12, s4
	s_add_u32 s8, s10, s8
	s_addc_u32 s5, 0, s5
	s_mul_hi_u32 s11, s95, s9
	s_mul_i32 s9, s95, s9
	s_add_u32 s8, s8, s9
	s_mul_hi_u32 s10, s95, s4
	s_addc_u32 s5, s5, s11
	s_addc_u32 s8, s10, 0
	s_mul_i32 s4, s95, s4
	s_add_u32 s4, s5, s4
	s_addc_u32 s5, 0, s8
	s_mul_hi_u32 s8, s33, s4
	s_mul_i32 s4, s33, s4
	s_mul_i32 s5, s33, s5
	v_mov_b32_e32 v2, s4
	s_add_i32 s8, s8, s5
	v_sub_co_u32_e32 v2, vcc, s12, v2
	s_cmp_lg_u64 vcc, 0
	s_subb_u32 s4, s95, s8
	v_subrev_co_u32_e32 v3, vcc, s33, v2
	s_cmp_lg_u64 vcc, 0
	s_subb_u32 s5, s4, 0
	v_subrev_co_u32_e32 v6, vcc, s33, v3
	s_cmp_lg_u64 vcc, 0
	s_subb_u32 s8, s5, 0
	v_cmp_le_u32_e32 vcc, s33, v3
	s_cmp_eq_u32 s5, 0
	v_cndmask_b32_e64 v7, 0, -1, vcc
	s_cselect_b64 vcc, -1, 0
	v_cndmask_b32_e32 v7, -1, v7, vcc
	v_mov_b32_e32 v14, s5
	v_mov_b32_e32 v22, s8
	v_cmp_ne_u32_e32 vcc, 0, v7
	v_cndmask_b32_e32 v7, v14, v22, vcc
	v_cndmask_b32_e32 v6, v3, v6, vcc
	v_cmp_le_u32_e32 vcc, s33, v2
	s_cmp_eq_u32 s4, 0
	v_cndmask_b32_e64 v3, 0, -1, vcc
	s_cselect_b64 vcc, -1, 0
	v_cndmask_b32_e32 v3, -1, v3, vcc
	v_mov_b32_e32 v14, s4
	v_cmp_ne_u32_e32 vcc, 0, v3
	v_cndmask_b32_e32 v3, v14, v7, vcc
	v_cndmask_b32_e32 v2, v2, v6, vcc
	s_cbranch_execnz .LBB135_199
.LBB135_198:                            ;   in Loop: Header=BB135_12 Depth=1
	v_cvt_f32_u32_e32 v2, s33
	s_sub_i32 s4, 0, s33
	v_rcp_iflag_f32_e32 v2, v2
	v_mul_f32_e32 v2, 0x4f7ffffe, v2
	v_cvt_u32_f32_e32 v2, v2
	v_mul_lo_u32 v3, s4, v2
	v_mul_hi_u32 v3, v2, v3
	v_add_u32_e32 v2, v2, v3
	v_readlane_b32 s4, v42, 35
	v_mul_hi_u32 v2, s4, v2
	v_mul_lo_u32 v2, v2, s33
	v_sub_u32_e32 v2, s4, v2
	v_subrev_u32_e32 v3, s33, v2
	v_cmp_le_u32_e32 vcc, s33, v2
	v_cndmask_b32_e32 v2, v2, v3, vcc
	v_subrev_u32_e32 v3, s33, v2
	v_cmp_le_u32_e32 vcc, s33, v2
	v_cndmask_b32_e32 v14, v2, v3, vcc
	v_pk_mov_b32 v[2:3], v[14:15], v[14:15] op_sel:[0,1]
.LBB135_199:                            ;   in Loop: Header=BB135_12 Depth=1
	v_readlane_b32 s4, v42, 35
	v_mov_b32_e32 v6, s95
	v_sub_co_u32_e32 v2, vcc, s4, v2
	v_subb_co_u32_e32 v3, vcc, v6, v3, vcc
	v_cmp_gt_u64_e32 vcc, v[2:3], v[0:1]
	s_mov_b64 s[10:11], 0
                                        ; implicit-def: $vgpr22
	s_and_saveexec_b64 s[4:5], vcc
	s_cbranch_execz .LBB135_208
; %bb.200:                              ;   in Loop: Header=BB135_12 Depth=1
	s_mov_b64 s[8:9], 0
	v_pk_mov_b32 v[6:7], v[0:1], v[0:1] op_sel:[0,1]
                                        ; implicit-def: $sgpr10_sgpr11
	s_branch .LBB135_202
.LBB135_201:                            ;   in Loop: Header=BB135_202 Depth=2
	s_or_b64 exec, exec, s[12:13]
	s_waitcnt lgkmcnt(0)
	s_barrier
	s_waitcnt vmcnt(0)
	ds_read_u16 v14, v15 offset:3072
	v_mov_b32_e32 v22, s90
	v_add_co_u32_e32 v6, vcc, s33, v6
	v_addc_co_u32_e32 v7, vcc, v7, v22, vcc
	s_waitcnt lgkmcnt(0)
	v_cmp_ne_u16_sdwa s[12:13], v14, v15 src0_sel:BYTE_0 src1_sel:DWORD
	v_cmp_ge_u64_e32 vcc, v[6:7], v[2:3]
	s_or_b64 s[48:49], vcc, s[12:13]
	s_and_b64 s[48:49], exec, s[48:49]
	s_or_b64 s[8:9], s[48:49], s[8:9]
	s_andn2_b64 s[10:11], s[10:11], exec
	s_and_b64 s[12:13], s[12:13], exec
	s_or_b64 s[10:11], s[10:11], s[12:13]
	s_barrier
	s_andn2_b64 exec, exec, s[8:9]
	s_cbranch_execz .LBB135_207
.LBB135_202:                            ;   Parent Loop BB135_12 Depth=1
                                        ; =>  This Inner Loop Header: Depth=2
	v_cmp_gt_u64_e32 vcc, s[60:61], v[6:7]
	v_mov_b32_e32 v14, 0
	s_and_saveexec_b64 s[12:13], vcc
	s_cbranch_execz .LBB135_204
; %bb.203:                              ;   in Loop: Header=BB135_202 Depth=2
	v_pk_mov_b32 v[22:23], s[56:57], s[56:57] op_sel:[0,1]
	v_mad_u64_u32 v[22:23], s[48:49], v6, s58, v[22:23]
	v_mul_lo_u32 v14, v6, s59
	v_mul_lo_u32 v24, v7, s58
	v_add3_u32 v23, v24, v23, v14
	global_load_ubyte v14, v[22:23], off
.LBB135_204:                            ;   in Loop: Header=BB135_202 Depth=2
	s_or_b64 exec, exec, s[12:13]
	s_and_saveexec_b64 s[12:13], vcc
	s_cbranch_execz .LBB135_201
; %bb.205:                              ;   in Loop: Header=BB135_202 Depth=2
	s_waitcnt vmcnt(0)
	v_add_u32_sdwa v22, sext(v14), s91 dst_sel:DWORD dst_unused:UNUSED_PAD src0_sel:BYTE_0 src1_sel:DWORD
	v_and_b32_e32 v22, v22, v9
	v_cmp_eq_u32_e32 vcc, v22, v8
	s_and_b64 exec, exec, vcc
	s_cbranch_execz .LBB135_201
; %bb.206:                              ;   in Loop: Header=BB135_202 Depth=2
	v_lshlrev_b16_e32 v14, 8, v14
	v_or_b32_e32 v14, 1, v14
	ds_write_b16 v15, v14 offset:3072
	s_branch .LBB135_201
.LBB135_207:                            ;   in Loop: Header=BB135_12 Depth=1
	s_or_b64 exec, exec, s[8:9]
	v_lshrrev_b16_e32 v22, 8, v14
	s_and_b64 s[10:11], s[10:11], exec
.LBB135_208:                            ;   in Loop: Header=BB135_12 Depth=1
	s_or_b64 exec, exec, s[4:5]
	s_mov_b64 s[48:49], -1
	s_mov_b64 s[8:9], 0
	s_mov_b64 s[4:5], 0
.LBB135_209:                            ;   in Loop: Header=BB135_12 Depth=1
	s_orn2_b64 s[10:11], s[10:11], exec
	s_mov_b64 vcc, s[4:5]
.LBB135_210:                            ;   in Loop: Header=BB135_12 Depth=1
	s_or_b64 exec, exec, s[52:53]
	s_mov_b64 s[4:5], 0
                                        ; implicit-def: $vgpr6
	s_and_saveexec_b64 s[52:53], s[10:11]
	s_cbranch_execz .LBB135_275
; %bb.211:                              ;   in Loop: Header=BB135_12 Depth=1
	v_mov_b32_e32 v2, 1
	s_xor_b64 s[10:11], s[54:55], -1
	s_mov_b64 s[88:89], 0
	v_mov_b32_e32 v3, 0
	v_mov_b32_e32 v6, 1
	s_and_saveexec_b64 s[4:5], s[10:11]
	s_cbranch_execz .LBB135_221
; %bb.212:                              ;   in Loop: Header=BB135_12 Depth=1
	s_mov_b64 s[92:93], vcc
	v_cmp_ge_u64_e32 vcc, s[22:23], v[4:5]
                                        ; implicit-def: $sgpr54
                                        ; implicit-def: $sgpr10_sgpr11
	s_and_saveexec_b64 s[12:13], vcc
	s_xor_b64 s[12:13], exec, s[12:13]
	s_cbranch_execz .LBB135_218
; %bb.213:                              ;   in Loop: Header=BB135_12 Depth=1
	ds_read_b64 v[2:3], v15 offset:5120
	s_waitcnt lgkmcnt(0)
	v_cmp_ne_u64_e32 vcc, 0, v[2:3]
	s_cbranch_vccnz .LBB135_217
; %bb.214:                              ;   in Loop: Header=BB135_12 Depth=1
	s_mov_b64 s[10:11], exec
	v_readlane_b32 s54, v42, 12
	v_readlane_b32 s55, v42, 13
	s_and_b64 s[54:55], s[10:11], s[54:55]
	s_mov_b64 exec, s[54:55]
	s_cbranch_execz .LBB135_216
; %bb.215:                              ;   in Loop: Header=BB135_12 Depth=1
	v_pk_mov_b32 v[2:3], s[22:23], s[22:23] op_sel:[0,1]
	ds_write_b64 v15, v[2:3] offset:5128
.LBB135_216:                            ;   in Loop: Header=BB135_12 Depth=1
	s_or_b64 exec, exec, s[10:11]
	s_waitcnt lgkmcnt(0)
	s_barrier
.LBB135_217:                            ;   in Loop: Header=BB135_12 Depth=1
	v_and_b32_e32 v2, s46, v8
	v_lshl_or_b32 v8, 2, s47, v2
	v_or_b32_e32 v9, s86, v9
	s_mov_b64 s[10:11], 0
	s_mov_b32 s54, 8
.LBB135_218:                            ;   in Loop: Header=BB135_12 Depth=1
	s_or_saveexec_b64 s[12:13], s[12:13]
	v_mov_b32_e32 v6, s54
	s_xor_b64 exec, exec, s[12:13]
; %bb.219:                              ;   in Loop: Header=BB135_12 Depth=1
	v_mov_b32_e32 v2, s23
	v_subrev_co_u32_e32 v4, vcc, s22, v4
	v_subb_co_u32_e32 v5, vcc, v5, v2, vcc
	v_mov_b32_e32 v6, 0
	s_or_b64 s[10:11], s[10:11], exec
; %bb.220:                              ;   in Loop: Header=BB135_12 Depth=1
	s_or_b64 exec, exec, s[12:13]
	s_and_b64 s[88:89], s[10:11], exec
	v_pk_mov_b32 v[2:3], v[4:5], v[4:5] op_sel:[0,1]
	s_mov_b64 vcc, s[92:93]
.LBB135_221:                            ;   in Loop: Header=BB135_12 Depth=1
	s_or_b64 exec, exec, s[4:5]
	s_mov_b64 s[72:73], -1
                                        ; implicit-def: $sgpr4_sgpr5
                                        ; implicit-def: $sgpr12_sgpr13
                                        ; implicit-def: $sgpr10_sgpr11
	s_and_saveexec_b64 s[54:55], s[88:89]
	s_cbranch_execz .LBB135_274
; %bb.222:                              ;   in Loop: Header=BB135_12 Depth=1
	v_writelane_b32 v42, vcc_lo, 51
	s_cmp_eq_u64 s[24:25], 1
	v_writelane_b32 v42, vcc_hi, 52
	s_cselect_b64 s[4:5], -1, 0
	v_cmp_eq_u64_e32 vcc, 1, v[2:3]
	s_mov_b64 s[88:89], -1
	s_and_b64 s[72:73], s[4:5], vcc
                                        ; implicit-def: $sgpr4_sgpr5
                                        ; implicit-def: $sgpr12_sgpr13
                                        ; implicit-def: $sgpr10_sgpr11
	s_mov_b64 s[92:93], exec
	v_writelane_b32 v42, s72, 53
	v_writelane_b32 v42, s73, 54
	s_and_b64 s[72:73], s[92:93], s[72:73]
	s_mov_b64 exec, s[72:73]
	s_cbranch_execz .LBB135_261
; %bb.223:                              ;   in Loop: Header=BB135_12 Depth=1
	ds_read_b64 v[4:5], v15 offset:5120
	s_waitcnt lgkmcnt(0)
	s_barrier
	v_readfirstlane_b32 s4, v4
	v_readfirstlane_b32 s5, v5
	s_mov_b64 s[10:11], exec
	v_readlane_b32 s12, v42, 30
	v_readlane_b32 s13, v42, 31
	s_and_b64 s[12:13], s[10:11], s[12:13]
	s_mov_b64 exec, s[12:13]
	s_cbranch_execz .LBB135_225
; %bb.224:                              ;   in Loop: Header=BB135_12 Depth=1
	ds_write_b8 v0, v15 offset:3072
.LBB135_225:                            ;   in Loop: Header=BB135_12 Depth=1
	s_or_b64 exec, exec, s[10:11]
	v_or_b32_e32 v8, s86, v8
	v_or_b32_e32 v9, s86, v9
	s_cmp_eq_u64 s[4:5], 0
	v_writelane_b32 v42, s92, 55
	s_waitcnt lgkmcnt(0)
	s_barrier
	v_writelane_b32 v42, s93, 56
	s_cbranch_scc1 .LBB135_230
; %bb.226:                              ;   in Loop: Header=BB135_12 Depth=1
	v_readlane_b32 s10, v42, 34
	s_add_u32 s72, s10, s4
	v_readlane_b32 s10, v42, 36
	s_addc_u32 s11, s10, s5
	s_mov_b32 s10, s87
	s_cmp_lg_u64 s[10:11], 0
	s_cbranch_scc0 .LBB135_231
; %bb.227:                              ;   in Loop: Header=BB135_12 Depth=1
	v_cvt_f32_u32_e32 v4, s33
	s_sub_u32 s10, 0, s33
	s_subb_u32 s12, 0, 0
	v_mac_f32_e32 v4, 0, v30
	v_rcp_f32_e32 v4, v4
	v_mul_f32_e32 v4, 0x5f7ffffc, v4
	v_mul_f32_e32 v5, 0x2f800000, v4
	v_trunc_f32_e32 v5, v5
	v_mac_f32_e32 v4, 0xcf800000, v5
	v_cvt_u32_f32_e32 v5, v5
	v_cvt_u32_f32_e32 v4, v4
	v_readfirstlane_b32 s13, v5
	v_readfirstlane_b32 s73, v4
	s_mul_i32 s88, s10, s13
	s_mul_hi_u32 s92, s10, s73
	s_mul_i32 s89, s12, s73
	s_add_i32 s88, s92, s88
	s_mul_i32 s93, s10, s73
	s_add_i32 s88, s88, s89
	s_mul_hi_u32 s92, s73, s93
	s_mul_hi_u32 s89, s73, s88
	s_mul_i32 s73, s73, s88
	s_add_u32 s73, s92, s73
	s_addc_u32 s89, 0, s89
	s_mul_hi_u32 s94, s13, s93
	s_mul_i32 s93, s13, s93
	s_add_u32 s73, s73, s93
	s_mul_hi_u32 s92, s13, s88
	s_addc_u32 s73, s89, s94
	s_addc_u32 s89, s92, 0
	s_mul_i32 s88, s13, s88
	s_add_u32 s73, s73, s88
	s_addc_u32 s88, 0, s89
	v_add_co_u32_e32 v4, vcc, s73, v4
	s_cmp_lg_u64 vcc, 0
	s_addc_u32 s13, s13, s88
	v_readfirstlane_b32 s88, v4
	s_mul_i32 s73, s10, s13
	s_mul_hi_u32 s89, s10, s88
	s_add_i32 s73, s89, s73
	s_mul_i32 s12, s12, s88
	s_add_i32 s73, s73, s12
	s_mul_i32 s10, s10, s88
	s_mul_hi_u32 s89, s13, s10
	s_mul_i32 s92, s13, s10
	s_mul_i32 s94, s88, s73
	s_mul_hi_u32 s10, s88, s10
	s_mul_hi_u32 s93, s88, s73
	s_add_u32 s10, s10, s94
	s_addc_u32 s88, 0, s93
	s_add_u32 s10, s10, s92
	s_mul_hi_u32 s12, s13, s73
	s_addc_u32 s10, s88, s89
	s_addc_u32 s12, s12, 0
	s_mul_i32 s73, s13, s73
	s_add_u32 s10, s10, s73
	s_addc_u32 s12, 0, s12
	v_add_co_u32_e32 v4, vcc, s10, v4
	s_cmp_lg_u64 vcc, 0
	s_addc_u32 s10, s13, s12
	v_readfirstlane_b32 s73, v4
	s_mul_i32 s13, s72, s10
	s_mul_hi_u32 s88, s72, s73
	s_mul_hi_u32 s12, s72, s10
	s_add_u32 s13, s88, s13
	s_addc_u32 s12, 0, s12
	s_mul_hi_u32 s89, s11, s73
	s_mul_i32 s73, s11, s73
	s_add_u32 s13, s13, s73
	s_mul_hi_u32 s88, s11, s10
	s_addc_u32 s12, s12, s89
	s_addc_u32 s13, s88, 0
	s_mul_i32 s10, s11, s10
	s_add_u32 s10, s12, s10
	s_addc_u32 s12, 0, s13
	s_mul_hi_u32 s13, s33, s10
	s_mul_i32 s10, s33, s10
	s_mul_i32 s12, s33, s12
	v_mov_b32_e32 v4, s10
	s_add_i32 s13, s13, s12
	v_sub_co_u32_e32 v4, vcc, s72, v4
	s_cmp_lg_u64 vcc, 0
	s_subb_u32 s10, s11, s13
	v_subrev_co_u32_e32 v5, vcc, s33, v4
	s_cmp_lg_u64 vcc, 0
	s_subb_u32 s12, s10, 0
	v_subrev_co_u32_e32 v6, vcc, s33, v5
	s_cmp_lg_u64 vcc, 0
	s_subb_u32 s13, s12, 0
	v_cmp_le_u32_e32 vcc, s33, v5
	s_cmp_eq_u32 s12, 0
	v_cndmask_b32_e64 v7, 0, -1, vcc
	s_cselect_b64 vcc, -1, 0
	v_cndmask_b32_e32 v7, -1, v7, vcc
	v_mov_b32_e32 v14, s12
	v_mov_b32_e32 v22, s13
	v_cmp_ne_u32_e32 vcc, 0, v7
	v_cndmask_b32_e32 v7, v14, v22, vcc
	v_cndmask_b32_e32 v6, v5, v6, vcc
	v_cmp_le_u32_e32 vcc, s33, v4
	s_cmp_eq_u32 s10, 0
	v_cndmask_b32_e64 v5, 0, -1, vcc
	s_cselect_b64 vcc, -1, 0
	v_cndmask_b32_e32 v5, -1, v5, vcc
	v_mov_b32_e32 v14, s10
	v_cmp_ne_u32_e32 vcc, 0, v5
	v_cndmask_b32_e32 v5, v14, v7, vcc
	v_cndmask_b32_e32 v4, v4, v6, vcc
	s_mov_b64 s[12:13], 0
	s_branch .LBB135_232
.LBB135_228:                            ;   in Loop: Header=BB135_12 Depth=1
                                        ; implicit-def: $vgpr2_vgpr3
	s_branch .LBB135_182
.LBB135_229:                            ;   in Loop: Header=BB135_12 Depth=1
                                        ; implicit-def: $vgpr2_vgpr3
	s_branch .LBB135_198
.LBB135_230:                            ;   in Loop: Header=BB135_12 Depth=1
	s_mov_b64 s[4:5], -1
	s_mov_b64 s[72:73], 0
                                        ; implicit-def: $sgpr10_sgpr11
                                        ; implicit-def: $vgpr22
	s_branch .LBB135_244
.LBB135_231:                            ;   in Loop: Header=BB135_12 Depth=1
	s_mov_b64 s[12:13], -1
                                        ; implicit-def: $vgpr4_vgpr5
.LBB135_232:                            ;   in Loop: Header=BB135_12 Depth=1
	s_andn2_b64 vcc, exec, s[12:13]
	s_cbranch_vccnz .LBB135_234
; %bb.233:                              ;   in Loop: Header=BB135_12 Depth=1
	v_cvt_f32_u32_e32 v4, s33
	s_sub_i32 s10, 0, s33
	v_rcp_iflag_f32_e32 v4, v4
	v_mul_f32_e32 v4, 0x4f7ffffe, v4
	v_cvt_u32_f32_e32 v4, v4
	v_mul_lo_u32 v5, s10, v4
	v_mul_hi_u32 v5, v4, v5
	v_add_u32_e32 v4, v4, v5
	v_mul_hi_u32 v4, s72, v4
	v_mul_lo_u32 v4, v4, s33
	v_sub_u32_e32 v4, s72, v4
	v_subrev_u32_e32 v5, s33, v4
	v_cmp_le_u32_e32 vcc, s33, v4
	v_cndmask_b32_e32 v4, v4, v5, vcc
	v_subrev_u32_e32 v5, s33, v4
	v_cmp_le_u32_e32 vcc, s33, v4
	v_cndmask_b32_e32 v14, v4, v5, vcc
	v_pk_mov_b32 v[4:5], v[14:15], v[14:15] op_sel:[0,1]
.LBB135_234:                            ;   in Loop: Header=BB135_12 Depth=1
	v_mov_b32_e32 v6, s11
	v_sub_co_u32_e32 v4, vcc, s72, v4
	v_subb_co_u32_e32 v5, vcc, v6, v5, vcc
	v_cmp_gt_u64_e32 vcc, v[4:5], v[0:1]
	s_mov_b64 s[72:73], 0
                                        ; implicit-def: $vgpr22
	s_and_saveexec_b64 s[10:11], vcc
	s_cbranch_execz .LBB135_243
; %bb.235:                              ;   in Loop: Header=BB135_12 Depth=1
	s_mov_b64 s[12:13], 0
	v_mov_b32_e32 v14, v0
	v_pk_mov_b32 v[6:7], v[0:1], v[0:1] op_sel:[0,1]
                                        ; implicit-def: $sgpr72_sgpr73
	s_branch .LBB135_237
.LBB135_236:                            ;   in Loop: Header=BB135_237 Depth=2
	s_or_b64 exec, exec, s[88:89]
	s_waitcnt lgkmcnt(0)
	s_barrier
	ds_read_u16 v22, v15 offset:3072
	v_mov_b32_e32 v23, s90
	v_add_co_u32_e32 v6, vcc, s33, v6
	v_addc_co_u32_e32 v7, vcc, v7, v23, vcc
	s_waitcnt lgkmcnt(0)
	v_cmp_ne_u16_sdwa s[88:89], v22, v15 src0_sel:BYTE_0 src1_sel:DWORD
	v_cmp_ge_u64_e32 vcc, v[6:7], v[4:5]
	s_or_b64 s[92:93], vcc, s[88:89]
	s_and_b64 s[92:93], exec, s[92:93]
	s_or_b64 s[12:13], s[92:93], s[12:13]
	s_andn2_b64 s[72:73], s[72:73], exec
	s_and_b64 s[88:89], s[88:89], exec
	v_add_u32_e32 v14, s33, v14
	s_or_b64 s[72:73], s[72:73], s[88:89]
	s_barrier
	s_andn2_b64 exec, exec, s[12:13]
	s_cbranch_execz .LBB135_242
.LBB135_237:                            ;   Parent Loop BB135_12 Depth=1
                                        ; =>  This Inner Loop Header: Depth=2
	v_cmp_gt_u64_e32 vcc, s[4:5], v[6:7]
	v_mov_b32_e32 v22, 0
	s_and_saveexec_b64 s[88:89], vcc
	s_cbranch_execz .LBB135_239
; %bb.238:                              ;   in Loop: Header=BB135_237 Depth=2
	ds_read_u8 v22, v14
.LBB135_239:                            ;   in Loop: Header=BB135_237 Depth=2
	s_or_b64 exec, exec, s[88:89]
	s_and_saveexec_b64 s[88:89], vcc
	s_cbranch_execz .LBB135_236
; %bb.240:                              ;   in Loop: Header=BB135_237 Depth=2
	s_waitcnt lgkmcnt(0)
	v_add_u32_sdwa v23, sext(v22), s91 dst_sel:DWORD dst_unused:UNUSED_PAD src0_sel:BYTE_0 src1_sel:DWORD
	v_and_b32_e32 v23, v23, v9
	v_cmp_eq_u32_e32 vcc, v23, v8
	s_and_b64 exec, exec, vcc
	s_cbranch_execz .LBB135_236
; %bb.241:                              ;   in Loop: Header=BB135_237 Depth=2
	v_lshlrev_b16_e32 v22, 8, v22
	v_or_b32_e32 v22, 1, v22
	ds_write_b16 v15, v22 offset:3072
	s_branch .LBB135_236
.LBB135_242:                            ;   in Loop: Header=BB135_12 Depth=1
	s_or_b64 exec, exec, s[12:13]
	v_lshrrev_b16_e32 v22, 8, v22
	s_and_b64 s[72:73], s[72:73], exec
.LBB135_243:                            ;   in Loop: Header=BB135_12 Depth=1
	s_or_b64 exec, exec, s[10:11]
	s_mov_b64 s[10:11], -1
	s_mov_b64 s[4:5], 0
.LBB135_244:                            ;   in Loop: Header=BB135_12 Depth=1
	s_and_b64 vcc, exec, s[4:5]
	s_mov_b64 s[12:13], s[4:5]
	s_cbranch_vccz .LBB135_260
; %bb.245:                              ;   in Loop: Header=BB135_12 Depth=1
	s_mov_b32 s94, s87
	s_cmp_lg_u64 s[94:95], 0
	s_cbranch_scc0 .LBB135_247
; %bb.246:                              ;   in Loop: Header=BB135_12 Depth=1
	v_cvt_f32_u32_e32 v4, s33
	s_sub_u32 s4, 0, s33
	s_subb_u32 s5, 0, 0
	v_mac_f32_e32 v4, 0, v30
	v_rcp_f32_e32 v4, v4
	v_mul_f32_e32 v4, 0x5f7ffffc, v4
	v_mul_f32_e32 v5, 0x2f800000, v4
	v_trunc_f32_e32 v5, v5
	v_mac_f32_e32 v4, 0xcf800000, v5
	v_cvt_u32_f32_e32 v5, v5
	v_cvt_u32_f32_e32 v4, v4
	v_readfirstlane_b32 s10, v5
	v_readfirstlane_b32 s11, v4
	s_mul_i32 s12, s4, s10
	s_mul_hi_u32 s72, s4, s11
	s_mul_i32 s13, s5, s11
	s_add_i32 s12, s72, s12
	s_mul_i32 s73, s4, s11
	s_add_i32 s12, s12, s13
	s_mul_hi_u32 s72, s11, s73
	s_mul_hi_u32 s13, s11, s12
	s_mul_i32 s11, s11, s12
	s_add_u32 s11, s72, s11
	s_addc_u32 s13, 0, s13
	s_mul_hi_u32 s88, s10, s73
	s_mul_i32 s73, s10, s73
	s_add_u32 s11, s11, s73
	s_mul_hi_u32 s72, s10, s12
	s_addc_u32 s11, s13, s88
	s_addc_u32 s13, s72, 0
	s_mul_i32 s12, s10, s12
	s_add_u32 s11, s11, s12
	s_addc_u32 s12, 0, s13
	v_add_co_u32_e32 v4, vcc, s11, v4
	s_cmp_lg_u64 vcc, 0
	s_addc_u32 s10, s10, s12
	v_readfirstlane_b32 s12, v4
	s_mul_i32 s11, s4, s10
	s_mul_hi_u32 s13, s4, s12
	s_add_i32 s11, s13, s11
	s_mul_i32 s5, s5, s12
	s_add_i32 s11, s11, s5
	s_mul_i32 s4, s4, s12
	s_mul_hi_u32 s13, s10, s4
	s_mul_i32 s72, s10, s4
	s_mul_i32 s88, s12, s11
	s_mul_hi_u32 s4, s12, s4
	s_mul_hi_u32 s73, s12, s11
	s_add_u32 s4, s4, s88
	s_addc_u32 s12, 0, s73
	s_add_u32 s4, s4, s72
	s_mul_hi_u32 s5, s10, s11
	s_addc_u32 s4, s12, s13
	s_addc_u32 s5, s5, 0
	s_mul_i32 s11, s10, s11
	s_add_u32 s4, s4, s11
	s_addc_u32 s5, 0, s5
	v_add_co_u32_e32 v4, vcc, s4, v4
	s_cmp_lg_u64 vcc, 0
	s_addc_u32 s4, s10, s5
	v_readlane_b32 s72, v42, 35
	v_readfirstlane_b32 s11, v4
	s_mul_i32 s10, s72, s4
	s_mul_hi_u32 s12, s72, s11
	s_mul_hi_u32 s5, s72, s4
	s_add_u32 s10, s12, s10
	s_addc_u32 s5, 0, s5
	s_mul_hi_u32 s13, s95, s11
	s_mul_i32 s11, s95, s11
	s_add_u32 s10, s10, s11
	s_mul_hi_u32 s12, s95, s4
	s_addc_u32 s5, s5, s13
	s_addc_u32 s10, s12, 0
	s_mul_i32 s4, s95, s4
	s_add_u32 s4, s5, s4
	s_addc_u32 s5, 0, s10
	s_mul_hi_u32 s10, s33, s4
	s_mul_i32 s4, s33, s4
	s_mul_i32 s5, s33, s5
	v_mov_b32_e32 v4, s4
	s_add_i32 s10, s10, s5
	v_sub_co_u32_e32 v4, vcc, s72, v4
	s_cmp_lg_u64 vcc, 0
	s_subb_u32 s4, s95, s10
	v_subrev_co_u32_e32 v5, vcc, s33, v4
	s_cmp_lg_u64 vcc, 0
	s_subb_u32 s5, s4, 0
	v_subrev_co_u32_e32 v6, vcc, s33, v5
	s_cmp_lg_u64 vcc, 0
	s_subb_u32 s10, s5, 0
	v_cmp_le_u32_e32 vcc, s33, v5
	s_cmp_eq_u32 s5, 0
	v_cndmask_b32_e64 v7, 0, -1, vcc
	s_cselect_b64 vcc, -1, 0
	v_cndmask_b32_e32 v7, -1, v7, vcc
	v_mov_b32_e32 v14, s5
	v_mov_b32_e32 v22, s10
	v_cmp_ne_u32_e32 vcc, 0, v7
	v_cndmask_b32_e32 v7, v14, v22, vcc
	v_cndmask_b32_e32 v6, v5, v6, vcc
	v_cmp_le_u32_e32 vcc, s33, v4
	s_cmp_eq_u32 s4, 0
	v_cndmask_b32_e64 v5, 0, -1, vcc
	s_cselect_b64 vcc, -1, 0
	v_cndmask_b32_e32 v5, -1, v5, vcc
	v_mov_b32_e32 v14, s4
	v_cmp_ne_u32_e32 vcc, 0, v5
	v_cndmask_b32_e32 v5, v14, v7, vcc
	v_cndmask_b32_e32 v4, v4, v6, vcc
	s_mov_b64 s[4:5], 0
	s_branch .LBB135_248
.LBB135_247:                            ;   in Loop: Header=BB135_12 Depth=1
	s_mov_b64 s[4:5], -1
                                        ; implicit-def: $vgpr4_vgpr5
.LBB135_248:                            ;   in Loop: Header=BB135_12 Depth=1
	s_andn2_b64 vcc, exec, s[4:5]
	s_cbranch_vccnz .LBB135_250
; %bb.249:                              ;   in Loop: Header=BB135_12 Depth=1
	v_cvt_f32_u32_e32 v4, s33
	s_sub_i32 s4, 0, s33
	v_rcp_iflag_f32_e32 v4, v4
	v_mul_f32_e32 v4, 0x4f7ffffe, v4
	v_cvt_u32_f32_e32 v4, v4
	v_mul_lo_u32 v5, s4, v4
	v_mul_hi_u32 v5, v4, v5
	v_add_u32_e32 v4, v4, v5
	v_readlane_b32 s4, v42, 35
	v_mul_hi_u32 v4, s4, v4
	v_mul_lo_u32 v4, v4, s33
	v_sub_u32_e32 v4, s4, v4
	v_subrev_u32_e32 v5, s33, v4
	v_cmp_le_u32_e32 vcc, s33, v4
	v_cndmask_b32_e32 v4, v4, v5, vcc
	v_subrev_u32_e32 v5, s33, v4
	v_cmp_le_u32_e32 vcc, s33, v4
	v_cndmask_b32_e32 v14, v4, v5, vcc
	v_pk_mov_b32 v[4:5], v[14:15], v[14:15] op_sel:[0,1]
.LBB135_250:                            ;   in Loop: Header=BB135_12 Depth=1
	v_readlane_b32 s4, v42, 35
	v_mov_b32_e32 v6, s95
	v_sub_co_u32_e32 v4, vcc, s4, v4
	v_subb_co_u32_e32 v5, vcc, v6, v5, vcc
	v_cmp_gt_u64_e32 vcc, v[4:5], v[0:1]
	s_mov_b64 s[72:73], 0
                                        ; implicit-def: $vgpr22
	s_and_saveexec_b64 s[4:5], vcc
	s_cbranch_execz .LBB135_259
; %bb.251:                              ;   in Loop: Header=BB135_12 Depth=1
	s_mov_b64 s[10:11], 0
	v_pk_mov_b32 v[6:7], v[0:1], v[0:1] op_sel:[0,1]
                                        ; implicit-def: $sgpr12_sgpr13
	s_branch .LBB135_253
.LBB135_252:                            ;   in Loop: Header=BB135_253 Depth=2
	s_or_b64 exec, exec, s[72:73]
	s_waitcnt lgkmcnt(0)
	s_barrier
	s_waitcnt vmcnt(0)
	ds_read_u16 v14, v15 offset:3072
	v_mov_b32_e32 v22, s90
	v_add_co_u32_e32 v6, vcc, s33, v6
	v_addc_co_u32_e32 v7, vcc, v7, v22, vcc
	s_waitcnt lgkmcnt(0)
	v_cmp_ne_u16_sdwa s[72:73], v14, v15 src0_sel:BYTE_0 src1_sel:DWORD
	v_cmp_ge_u64_e32 vcc, v[6:7], v[4:5]
	s_or_b64 s[88:89], vcc, s[72:73]
	s_and_b64 s[88:89], exec, s[88:89]
	s_or_b64 s[10:11], s[88:89], s[10:11]
	s_andn2_b64 s[12:13], s[12:13], exec
	s_and_b64 s[72:73], s[72:73], exec
	s_or_b64 s[12:13], s[12:13], s[72:73]
	s_barrier
	s_andn2_b64 exec, exec, s[10:11]
	s_cbranch_execz .LBB135_258
.LBB135_253:                            ;   Parent Loop BB135_12 Depth=1
                                        ; =>  This Inner Loop Header: Depth=2
	v_cmp_gt_u64_e32 vcc, s[60:61], v[6:7]
	v_mov_b32_e32 v14, 0
	s_and_saveexec_b64 s[72:73], vcc
	s_cbranch_execz .LBB135_255
; %bb.254:                              ;   in Loop: Header=BB135_253 Depth=2
	v_pk_mov_b32 v[22:23], s[56:57], s[56:57] op_sel:[0,1]
	v_mad_u64_u32 v[22:23], s[88:89], v6, s58, v[22:23]
	v_mul_lo_u32 v14, v6, s59
	v_mul_lo_u32 v24, v7, s58
	v_add3_u32 v23, v24, v23, v14
	global_load_ubyte v14, v[22:23], off
.LBB135_255:                            ;   in Loop: Header=BB135_253 Depth=2
	s_or_b64 exec, exec, s[72:73]
	s_and_saveexec_b64 s[72:73], vcc
	s_cbranch_execz .LBB135_252
; %bb.256:                              ;   in Loop: Header=BB135_253 Depth=2
	s_waitcnt vmcnt(0)
	v_add_u32_sdwa v22, sext(v14), s91 dst_sel:DWORD dst_unused:UNUSED_PAD src0_sel:BYTE_0 src1_sel:DWORD
	v_and_b32_e32 v22, v22, v9
	v_cmp_eq_u32_e32 vcc, v22, v8
	s_and_b64 exec, exec, vcc
	s_cbranch_execz .LBB135_252
; %bb.257:                              ;   in Loop: Header=BB135_253 Depth=2
	v_lshlrev_b16_e32 v14, 8, v14
	v_or_b32_e32 v14, 1, v14
	ds_write_b16 v15, v14 offset:3072
	s_branch .LBB135_252
.LBB135_258:                            ;   in Loop: Header=BB135_12 Depth=1
	s_or_b64 exec, exec, s[10:11]
	v_lshrrev_b16_e32 v22, 8, v14
	s_and_b64 s[72:73], s[12:13], exec
.LBB135_259:                            ;   in Loop: Header=BB135_12 Depth=1
	s_or_b64 exec, exec, s[4:5]
	s_mov_b64 s[12:13], -1
	s_mov_b64 s[4:5], 0
	s_mov_b64 s[10:11], 0
.LBB135_260:                            ;   in Loop: Header=BB135_12 Depth=1
	v_readlane_b32 s92, v42, 55
	s_orn2_b64 s[88:89], s[72:73], exec
	v_readlane_b32 s93, v42, 56
.LBB135_261:                            ;   in Loop: Header=BB135_12 Depth=1
	s_or_b64 exec, exec, s[92:93]
	s_mov_b64 s[92:93], 0
                                        ; implicit-def: $vgpr6
                                        ; implicit-def: $vgpr4_vgpr5
	s_and_saveexec_b64 s[72:73], s[88:89]
	v_readlane_b32 vcc_lo, v42, 51
	v_readlane_b32 vcc_hi, v42, 52
	s_cbranch_execz .LBB135_273
; %bb.262:                              ;   in Loop: Header=BB135_12 Depth=1
	v_readlane_b32 s88, v42, 53
	v_readlane_b32 s89, v42, 54
	v_mov_b32_e32 v4, 1
	s_xor_b64 s[92:93], s[88:89], -1
	v_mov_b32_e32 v6, 1
	v_mov_b32_e32 v5, 0
	s_and_saveexec_b64 s[88:89], s[92:93]
	s_cbranch_execz .LBB135_272
; %bb.263:                              ;   in Loop: Header=BB135_12 Depth=1
	v_cmp_ge_u64_e32 vcc, s[24:25], v[2:3]
                                        ; implicit-def: $sgpr94
	s_and_saveexec_b64 s[92:93], vcc
	s_xor_b64 s[92:93], exec, s[92:93]
	s_cbranch_execz .LBB135_269
; %bb.264:                              ;   in Loop: Header=BB135_12 Depth=1
	ds_read_b64 v[4:5], v15 offset:5120
	s_waitcnt lgkmcnt(0)
	v_cmp_ne_u64_e32 vcc, 0, v[4:5]
	s_cbranch_vccnz .LBB135_268
; %bb.265:                              ;   in Loop: Header=BB135_12 Depth=1
	v_writelane_b32 v42, s54, 57
	v_writelane_b32 v42, s55, 58
	s_mov_b64 s[54:55], exec
	v_writelane_b32 v42, s54, 59
	v_writelane_b32 v42, s55, 60
	v_readlane_b32 vcc_lo, v42, 12
	v_readlane_b32 s54, v42, 59
	v_readlane_b32 vcc_hi, v42, 13
	v_readlane_b32 s55, v42, 60
	s_and_b64 vcc, s[54:55], vcc
	s_mov_b64 exec, vcc
	s_cbranch_execz .LBB135_267
; %bb.266:                              ;   in Loop: Header=BB135_12 Depth=1
	v_pk_mov_b32 v[4:5], s[24:25], s[24:25] op_sel:[0,1]
	ds_write_b64 v15, v[4:5] offset:5128
.LBB135_267:                            ;   in Loop: Header=BB135_12 Depth=1
	v_readlane_b32 vcc_lo, v42, 59
	v_readlane_b32 vcc_hi, v42, 60
	s_or_b64 exec, exec, vcc
	v_readlane_b32 s54, v42, 57
	v_readlane_b32 s55, v42, 58
	s_waitcnt lgkmcnt(0)
	s_barrier
.LBB135_268:                            ;   in Loop: Header=BB135_12 Depth=1
	v_or_b32_e32 v8, s86, v8
	v_or_b32_e32 v9, s86, v9
	s_mov_b32 s94, 8
.LBB135_269:                            ;   in Loop: Header=BB135_12 Depth=1
	s_or_saveexec_b64 s[92:93], s[92:93]
	v_mov_b32_e32 v6, s94
	s_xor_b64 exec, exec, s[92:93]
; %bb.270:                              ;   in Loop: Header=BB135_12 Depth=1
	v_mov_b32_e32 v4, s25
	v_subrev_co_u32_e32 v2, vcc, s24, v2
	v_subb_co_u32_e32 v3, vcc, v3, v4, vcc
	v_mov_b32_e32 v6, 8
; %bb.271:                              ;   in Loop: Header=BB135_12 Depth=1
	s_or_b64 exec, exec, s[92:93]
	v_readlane_b32 vcc_lo, v42, 51
	v_pk_mov_b32 v[4:5], v[2:3], v[2:3] op_sel:[0,1]
	v_readlane_b32 vcc_hi, v42, 52
.LBB135_272:                            ;   in Loop: Header=BB135_12 Depth=1
	s_or_b64 exec, exec, s[88:89]
	s_mov_b64 s[92:93], exec
.LBB135_273:                            ;   in Loop: Header=BB135_12 Depth=1
	s_or_b64 exec, exec, s[72:73]
	s_orn2_b64 s[72:73], s[92:93], exec
	v_pk_mov_b32 v[2:3], v[4:5], v[4:5] op_sel:[0,1]
.LBB135_274:                            ;   in Loop: Header=BB135_12 Depth=1
	s_or_b64 exec, exec, s[54:55]
	s_andn2_b64 s[8:9], s[8:9], exec
	s_and_b64 s[4:5], s[4:5], exec
	s_or_b64 s[8:9], s[8:9], s[4:5]
	s_andn2_b64 s[4:5], s[48:49], exec
	s_and_b64 s[12:13], s[12:13], exec
	s_or_b64 s[48:49], s[4:5], s[12:13]
	s_andn2_b64 s[4:5], vcc, exec
	s_and_b64 s[10:11], s[10:11], exec
	s_or_b64 vcc, s[4:5], s[10:11]
	s_and_b64 s[4:5], s[72:73], exec
	v_pk_mov_b32 v[4:5], v[2:3], v[2:3] op_sel:[0,1]
.LBB135_275:                            ;   in Loop: Header=BB135_12 Depth=1
	s_or_b64 exec, exec, s[52:53]
	s_and_b64 s[12:13], s[8:9], exec
	s_and_b64 s[10:11], s[48:49], exec
	s_and_b64 s[8:9], vcc, exec
	s_orn2_b64 s[4:5], s[4:5], exec
.LBB135_276:                            ;   in Loop: Header=BB135_12 Depth=1
	s_or_b64 exec, exec, s[50:51]
	s_andn2_b64 s[26:27], s[26:27], exec
	s_and_b64 s[12:13], s[12:13], exec
	s_or_b64 s[26:27], s[26:27], s[12:13]
	s_andn2_b64 s[12:13], s[42:43], exec
	s_and_b64 s[10:11], s[10:11], exec
	s_or_b64 s[42:43], s[12:13], s[10:11]
	;; [unrolled: 3-line block ×3, first 2 shown]
	s_and_b64 s[12:13], s[4:5], exec
	v_pk_mov_b32 v[2:3], v[4:5], v[4:5] op_sel:[0,1]
.LBB135_277:                            ;   in Loop: Header=BB135_12 Depth=1
	s_or_b64 exec, exec, s[44:45]
	s_and_b64 s[10:11], s[26:27], exec
	s_and_b64 s[8:9], s[42:43], exec
	;; [unrolled: 1-line block ×3, first 2 shown]
	s_orn2_b64 s[26:27], s[12:13], exec
.LBB135_278:                            ;   in Loop: Header=BB135_12 Depth=1
	s_or_b64 exec, exec, s[6:7]
	s_mov_b64 s[6:7], 0
	s_mov_b64 s[12:13], 0
	s_and_saveexec_b64 s[28:29], s[26:27]
	s_xor_b64 s[26:27], exec, s[28:29]
; %bb.279:                              ;   in Loop: Header=BB135_12 Depth=1
	v_cmp_eq_u32_e32 vcc, 8, v6
	v_cmp_ne_u32_e64 s[6:7], 8, v6
	s_andn2_b64 s[10:11], s[10:11], exec
	s_andn2_b64 s[8:9], s[8:9], exec
	;; [unrolled: 1-line block ×3, first 2 shown]
	s_and_b64 s[12:13], s[6:7], exec
	s_and_b64 s[6:7], vcc, exec
; %bb.280:                              ;   in Loop: Header=BB135_12 Depth=1
	s_or_b64 exec, exec, s[26:27]
	s_andn2_b64 s[20:21], s[20:21], exec
	s_and_b64 s[10:11], s[10:11], exec
	s_or_b64 s[20:21], s[20:21], s[10:11]
	s_andn2_b64 s[10:11], s[36:37], exec
	s_and_b64 s[8:9], s[8:9], exec
	s_or_b64 s[36:37], s[10:11], s[8:9]
	;; [unrolled: 3-line block ×3, first 2 shown]
	s_and_b64 s[26:27], s[12:13], exec
	s_and_b64 s[28:29], s[6:7], exec
.LBB135_281:                            ;   in Loop: Header=BB135_12 Depth=1
	s_or_b64 exec, exec, s[40:41]
	s_and_b64 vcc, exec, s[38:39]
	s_cbranch_vccz .LBB135_97
.LBB135_282:                            ;   in Loop: Header=BB135_12 Depth=1
	s_cmp_eq_u64 s[24:25], 1
	s_cselect_b64 s[4:5], -1, 0
	s_and_b64 s[6:7], s[4:5], s[14:15]
	s_mov_b64 s[4:5], -1
                                        ; implicit-def: $sgpr14_sgpr15
                                        ; implicit-def: $sgpr38_sgpr39
                                        ; implicit-def: $sgpr20_sgpr21
	s_and_saveexec_b64 s[8:9], s[6:7]
	s_cbranch_execz .LBB135_314
; %bb.283:                              ;   in Loop: Header=BB135_12 Depth=1
	ds_read_b64 v[2:3], v15 offset:5120
	s_waitcnt lgkmcnt(0)
	s_barrier
	v_readfirstlane_b32 s4, v2
	v_readfirstlane_b32 s5, v3
	s_mov_b64 s[10:11], exec
	v_readlane_b32 s12, v42, 30
	v_readlane_b32 s13, v42, 31
	s_and_b64 s[12:13], s[10:11], s[12:13]
	s_mov_b64 exec, s[12:13]
	s_cbranch_execz .LBB135_285
; %bb.284:                              ;   in Loop: Header=BB135_12 Depth=1
	ds_write_b8 v0, v15 offset:3072
.LBB135_285:                            ;   in Loop: Header=BB135_12 Depth=1
	s_or_b64 exec, exec, s[10:11]
	v_or_b32_e32 v32, s86, v32
	v_or_b32_e32 v31, s86, v31
	s_cmp_eq_u64 s[4:5], 0
	s_waitcnt lgkmcnt(0)
	s_barrier
	s_cbranch_scc1 .LBB135_297
; %bb.286:                              ;   in Loop: Header=BB135_12 Depth=1
	v_readlane_b32 s10, v42, 34
	s_add_u32 s14, s10, s4
	v_readlane_b32 s10, v42, 36
	s_addc_u32 s11, s10, s5
	s_mov_b32 s10, s87
	s_cmp_lg_u64 s[10:11], 0
	s_cbranch_scc0 .LBB135_341
; %bb.287:                              ;   in Loop: Header=BB135_12 Depth=1
	v_cvt_f32_u32_e32 v2, s33
	s_sub_u32 s10, 0, s33
	s_subb_u32 s12, 0, 0
	v_mac_f32_e32 v2, 0, v30
	v_rcp_f32_e32 v2, v2
	v_mul_f32_e32 v2, 0x5f7ffffc, v2
	v_mul_f32_e32 v3, 0x2f800000, v2
	v_trunc_f32_e32 v3, v3
	v_mac_f32_e32 v2, 0xcf800000, v3
	v_cvt_u32_f32_e32 v3, v3
	v_cvt_u32_f32_e32 v2, v2
	v_readfirstlane_b32 s13, v3
	v_readfirstlane_b32 s15, v2
	s_mul_i32 s20, s10, s13
	s_mul_hi_u32 s34, s10, s15
	s_mul_i32 s21, s12, s15
	s_add_i32 s20, s34, s20
	s_mul_i32 s35, s10, s15
	s_add_i32 s20, s20, s21
	s_mul_hi_u32 s34, s15, s35
	s_mul_hi_u32 s21, s15, s20
	s_mul_i32 s15, s15, s20
	s_add_u32 s15, s34, s15
	s_addc_u32 s21, 0, s21
	s_mul_hi_u32 s36, s13, s35
	s_mul_i32 s35, s13, s35
	s_add_u32 s15, s15, s35
	s_mul_hi_u32 s34, s13, s20
	s_addc_u32 s15, s21, s36
	s_addc_u32 s21, s34, 0
	s_mul_i32 s20, s13, s20
	s_add_u32 s15, s15, s20
	s_addc_u32 s20, 0, s21
	v_add_co_u32_e32 v2, vcc, s15, v2
	s_cmp_lg_u64 vcc, 0
	s_addc_u32 s13, s13, s20
	v_readfirstlane_b32 s20, v2
	s_mul_i32 s15, s10, s13
	s_mul_hi_u32 s21, s10, s20
	s_add_i32 s15, s21, s15
	s_mul_i32 s12, s12, s20
	s_add_i32 s15, s15, s12
	s_mul_i32 s10, s10, s20
	s_mul_hi_u32 s21, s13, s10
	s_mul_i32 s34, s13, s10
	s_mul_i32 s36, s20, s15
	s_mul_hi_u32 s10, s20, s10
	s_mul_hi_u32 s35, s20, s15
	s_add_u32 s10, s10, s36
	s_addc_u32 s20, 0, s35
	s_add_u32 s10, s10, s34
	s_mul_hi_u32 s12, s13, s15
	s_addc_u32 s10, s20, s21
	s_addc_u32 s12, s12, 0
	s_mul_i32 s15, s13, s15
	s_add_u32 s10, s10, s15
	s_addc_u32 s12, 0, s12
	v_add_co_u32_e32 v2, vcc, s10, v2
	s_cmp_lg_u64 vcc, 0
	s_addc_u32 s10, s13, s12
	v_readfirstlane_b32 s15, v2
	s_mul_i32 s13, s14, s10
	s_mul_hi_u32 s20, s14, s15
	s_mul_hi_u32 s12, s14, s10
	s_add_u32 s13, s20, s13
	s_addc_u32 s12, 0, s12
	s_mul_hi_u32 s21, s11, s15
	s_mul_i32 s15, s11, s15
	s_add_u32 s13, s13, s15
	s_mul_hi_u32 s20, s11, s10
	s_addc_u32 s12, s12, s21
	s_addc_u32 s13, s20, 0
	s_mul_i32 s10, s11, s10
	s_add_u32 s10, s12, s10
	s_addc_u32 s12, 0, s13
	s_mul_hi_u32 s13, s33, s10
	s_mul_i32 s10, s33, s10
	s_mul_i32 s12, s33, s12
	v_mov_b32_e32 v2, s10
	s_add_i32 s13, s13, s12
	v_sub_co_u32_e32 v2, vcc, s14, v2
	s_cmp_lg_u64 vcc, 0
	s_subb_u32 s10, s11, s13
	v_subrev_co_u32_e32 v3, vcc, s33, v2
	s_cmp_lg_u64 vcc, 0
	s_subb_u32 s12, s10, 0
	v_subrev_co_u32_e32 v4, vcc, s33, v3
	s_cmp_lg_u64 vcc, 0
	s_subb_u32 s13, s12, 0
	v_cmp_le_u32_e32 vcc, s33, v3
	s_cmp_eq_u32 s12, 0
	v_cndmask_b32_e64 v5, 0, -1, vcc
	s_cselect_b64 vcc, -1, 0
	v_cndmask_b32_e32 v5, -1, v5, vcc
	v_mov_b32_e32 v6, s12
	v_mov_b32_e32 v7, s13
	v_cmp_ne_u32_e32 vcc, 0, v5
	v_cndmask_b32_e32 v5, v6, v7, vcc
	v_cndmask_b32_e32 v4, v3, v4, vcc
	v_cmp_le_u32_e32 vcc, s33, v2
	s_cmp_eq_u32 s10, 0
	v_cndmask_b32_e64 v3, 0, -1, vcc
	s_cselect_b64 vcc, -1, 0
	v_cndmask_b32_e32 v3, -1, v3, vcc
	v_mov_b32_e32 v6, s10
	v_cmp_ne_u32_e32 vcc, 0, v3
	v_cndmask_b32_e32 v3, v6, v5, vcc
	v_cndmask_b32_e32 v2, v2, v4, vcc
	s_cbranch_execnz .LBB135_289
.LBB135_288:                            ;   in Loop: Header=BB135_12 Depth=1
	v_cvt_f32_u32_e32 v2, s33
	s_sub_i32 s10, 0, s33
	v_rcp_iflag_f32_e32 v2, v2
	v_mul_f32_e32 v2, 0x4f7ffffe, v2
	v_cvt_u32_f32_e32 v2, v2
	v_mul_lo_u32 v3, s10, v2
	v_mul_hi_u32 v3, v2, v3
	v_add_u32_e32 v2, v2, v3
	v_mul_hi_u32 v2, s14, v2
	v_mul_lo_u32 v2, v2, s33
	v_sub_u32_e32 v2, s14, v2
	v_subrev_u32_e32 v3, s33, v2
	v_cmp_le_u32_e32 vcc, s33, v2
	v_cndmask_b32_e32 v2, v2, v3, vcc
	v_subrev_u32_e32 v3, s33, v2
	v_cmp_le_u32_e32 vcc, s33, v2
	v_cndmask_b32_e32 v14, v2, v3, vcc
	v_pk_mov_b32 v[2:3], v[14:15], v[14:15] op_sel:[0,1]
.LBB135_289:                            ;   in Loop: Header=BB135_12 Depth=1
	v_mov_b32_e32 v4, s11
	v_sub_co_u32_e32 v2, vcc, s14, v2
	v_subb_co_u32_e32 v3, vcc, v4, v3, vcc
	v_cmp_gt_u64_e32 vcc, v[2:3], v[0:1]
	s_mov_b64 s[10:11], 0
                                        ; implicit-def: $vgpr33
	s_and_saveexec_b64 s[12:13], vcc
	s_cbranch_execz .LBB135_299
; %bb.290:                              ;   in Loop: Header=BB135_12 Depth=1
	v_mov_b32_e32 v6, v0
	v_pk_mov_b32 v[4:5], v[0:1], v[0:1] op_sel:[0,1]
                                        ; implicit-def: $sgpr14_sgpr15
	s_branch .LBB135_292
.LBB135_291:                            ;   in Loop: Header=BB135_292 Depth=2
	s_or_b64 exec, exec, s[20:21]
	s_waitcnt lgkmcnt(0)
	s_barrier
	ds_read_u16 v7, v15 offset:3072
	v_mov_b32_e32 v8, s90
	v_add_co_u32_e32 v4, vcc, s33, v4
	v_addc_co_u32_e32 v5, vcc, v5, v8, vcc
	s_waitcnt lgkmcnt(0)
	v_cmp_ne_u16_sdwa s[20:21], v7, v15 src0_sel:BYTE_0 src1_sel:DWORD
	v_cmp_ge_u64_e32 vcc, v[4:5], v[2:3]
	s_or_b64 s[34:35], vcc, s[20:21]
	s_and_b64 s[34:35], exec, s[34:35]
	s_or_b64 s[10:11], s[34:35], s[10:11]
	s_andn2_b64 s[14:15], s[14:15], exec
	s_and_b64 s[20:21], s[20:21], exec
	v_add_u32_e32 v6, s33, v6
	s_or_b64 s[14:15], s[14:15], s[20:21]
	s_barrier
	s_andn2_b64 exec, exec, s[10:11]
	s_cbranch_execz .LBB135_298
.LBB135_292:                            ;   Parent Loop BB135_12 Depth=1
                                        ; =>  This Inner Loop Header: Depth=2
	v_cmp_gt_u64_e32 vcc, s[4:5], v[4:5]
	v_mov_b32_e32 v7, 0
	s_and_saveexec_b64 s[20:21], vcc
	s_cbranch_execz .LBB135_294
; %bb.293:                              ;   in Loop: Header=BB135_292 Depth=2
	ds_read_u8 v7, v6
.LBB135_294:                            ;   in Loop: Header=BB135_292 Depth=2
	s_or_b64 exec, exec, s[20:21]
	s_and_saveexec_b64 s[20:21], vcc
	s_cbranch_execz .LBB135_291
; %bb.295:                              ;   in Loop: Header=BB135_292 Depth=2
	s_waitcnt lgkmcnt(0)
	v_add_u32_sdwa v8, sext(v7), s91 dst_sel:DWORD dst_unused:UNUSED_PAD src0_sel:BYTE_0 src1_sel:DWORD
	v_and_b32_e32 v8, v8, v31
	v_cmp_eq_u32_e32 vcc, v8, v32
	s_and_b64 exec, exec, vcc
	s_cbranch_execz .LBB135_291
; %bb.296:                              ;   in Loop: Header=BB135_292 Depth=2
	v_lshlrev_b16_e32 v7, 8, v7
	v_or_b32_e32 v7, 1, v7
	ds_write_b16 v15, v7 offset:3072
	s_branch .LBB135_291
.LBB135_297:                            ;   in Loop: Header=BB135_12 Depth=1
	s_mov_b64 s[14:15], -1
	s_mov_b64 s[10:11], 0
                                        ; implicit-def: $sgpr38_sgpr39
                                        ; implicit-def: $vgpr33
	s_mov_b64 s[20:21], s[14:15]
	s_cbranch_execnz .LBB135_300
	s_branch .LBB135_313
.LBB135_298:                            ;   in Loop: Header=BB135_12 Depth=1
	s_or_b64 exec, exec, s[10:11]
	v_lshrrev_b16_e32 v33, 8, v7
	s_and_b64 s[10:11], s[14:15], exec
.LBB135_299:                            ;   in Loop: Header=BB135_12 Depth=1
	s_or_b64 exec, exec, s[12:13]
	s_mov_b64 s[14:15], 0
	s_mov_b64 s[38:39], -1
	s_mov_b64 s[20:21], s[14:15]
	s_branch .LBB135_313
.LBB135_300:                            ;   in Loop: Header=BB135_12 Depth=1
	s_mov_b32 s94, s87
	s_cmp_lg_u64 s[94:95], 0
	s_cbranch_scc0 .LBB135_342
; %bb.301:                              ;   in Loop: Header=BB135_12 Depth=1
	v_cvt_f32_u32_e32 v2, s33
	s_sub_u32 s4, 0, s33
	s_subb_u32 s5, 0, 0
	v_mac_f32_e32 v2, 0, v30
	v_rcp_f32_e32 v2, v2
	v_mul_f32_e32 v2, 0x5f7ffffc, v2
	v_mul_f32_e32 v3, 0x2f800000, v2
	v_trunc_f32_e32 v3, v3
	v_mac_f32_e32 v2, 0xcf800000, v3
	v_cvt_u32_f32_e32 v3, v3
	v_cvt_u32_f32_e32 v2, v2
	v_readfirstlane_b32 s10, v3
	v_readfirstlane_b32 s11, v2
	s_mul_i32 s12, s4, s10
	s_mul_hi_u32 s14, s4, s11
	s_mul_i32 s13, s5, s11
	s_add_i32 s12, s14, s12
	s_mul_i32 s15, s4, s11
	s_add_i32 s12, s12, s13
	s_mul_hi_u32 s14, s11, s15
	s_mul_hi_u32 s13, s11, s12
	s_mul_i32 s11, s11, s12
	s_add_u32 s11, s14, s11
	s_addc_u32 s13, 0, s13
	s_mul_hi_u32 s20, s10, s15
	s_mul_i32 s15, s10, s15
	s_add_u32 s11, s11, s15
	s_mul_hi_u32 s14, s10, s12
	s_addc_u32 s11, s13, s20
	s_addc_u32 s13, s14, 0
	s_mul_i32 s12, s10, s12
	s_add_u32 s11, s11, s12
	s_addc_u32 s12, 0, s13
	v_add_co_u32_e32 v2, vcc, s11, v2
	s_cmp_lg_u64 vcc, 0
	s_addc_u32 s10, s10, s12
	v_readfirstlane_b32 s12, v2
	s_mul_i32 s11, s4, s10
	s_mul_hi_u32 s13, s4, s12
	s_add_i32 s11, s13, s11
	s_mul_i32 s5, s5, s12
	s_add_i32 s11, s11, s5
	s_mul_i32 s4, s4, s12
	s_mul_hi_u32 s13, s10, s4
	s_mul_i32 s14, s10, s4
	s_mul_i32 s20, s12, s11
	s_mul_hi_u32 s4, s12, s4
	s_mul_hi_u32 s15, s12, s11
	s_add_u32 s4, s4, s20
	s_addc_u32 s12, 0, s15
	s_add_u32 s4, s4, s14
	s_mul_hi_u32 s5, s10, s11
	s_addc_u32 s4, s12, s13
	s_addc_u32 s5, s5, 0
	s_mul_i32 s11, s10, s11
	s_add_u32 s4, s4, s11
	s_addc_u32 s5, 0, s5
	v_add_co_u32_e32 v2, vcc, s4, v2
	s_cmp_lg_u64 vcc, 0
	s_addc_u32 s4, s10, s5
	v_readlane_b32 s14, v42, 35
	v_readfirstlane_b32 s11, v2
	s_mul_i32 s10, s14, s4
	s_mul_hi_u32 s12, s14, s11
	s_mul_hi_u32 s5, s14, s4
	s_add_u32 s10, s12, s10
	s_addc_u32 s5, 0, s5
	s_mul_hi_u32 s13, s95, s11
	s_mul_i32 s11, s95, s11
	s_add_u32 s10, s10, s11
	s_mul_hi_u32 s12, s95, s4
	s_addc_u32 s5, s5, s13
	s_addc_u32 s10, s12, 0
	s_mul_i32 s4, s95, s4
	s_add_u32 s4, s5, s4
	s_addc_u32 s5, 0, s10
	s_mul_hi_u32 s10, s33, s4
	s_mul_i32 s4, s33, s4
	s_mul_i32 s5, s33, s5
	v_mov_b32_e32 v2, s4
	s_add_i32 s10, s10, s5
	v_sub_co_u32_e32 v2, vcc, s14, v2
	s_cmp_lg_u64 vcc, 0
	s_subb_u32 s4, s95, s10
	v_subrev_co_u32_e32 v3, vcc, s33, v2
	s_cmp_lg_u64 vcc, 0
	s_subb_u32 s5, s4, 0
	v_subrev_co_u32_e32 v4, vcc, s33, v3
	s_cmp_lg_u64 vcc, 0
	s_subb_u32 s10, s5, 0
	v_cmp_le_u32_e32 vcc, s33, v3
	s_cmp_eq_u32 s5, 0
	v_cndmask_b32_e64 v5, 0, -1, vcc
	s_cselect_b64 vcc, -1, 0
	v_cndmask_b32_e32 v5, -1, v5, vcc
	v_mov_b32_e32 v6, s5
	v_mov_b32_e32 v7, s10
	v_cmp_ne_u32_e32 vcc, 0, v5
	v_cndmask_b32_e32 v5, v6, v7, vcc
	v_cndmask_b32_e32 v4, v3, v4, vcc
	v_cmp_le_u32_e32 vcc, s33, v2
	s_cmp_eq_u32 s4, 0
	v_cndmask_b32_e64 v3, 0, -1, vcc
	s_cselect_b64 vcc, -1, 0
	v_cndmask_b32_e32 v3, -1, v3, vcc
	v_mov_b32_e32 v6, s4
	v_cmp_ne_u32_e32 vcc, 0, v3
	v_cndmask_b32_e32 v3, v6, v5, vcc
	v_cndmask_b32_e32 v2, v2, v4, vcc
	s_cbranch_execnz .LBB135_303
.LBB135_302:                            ;   in Loop: Header=BB135_12 Depth=1
	v_cvt_f32_u32_e32 v2, s33
	s_sub_i32 s4, 0, s33
	v_rcp_iflag_f32_e32 v2, v2
	v_mul_f32_e32 v2, 0x4f7ffffe, v2
	v_cvt_u32_f32_e32 v2, v2
	v_mul_lo_u32 v3, s4, v2
	v_mul_hi_u32 v3, v2, v3
	v_add_u32_e32 v2, v2, v3
	v_readlane_b32 s4, v42, 35
	v_mul_hi_u32 v2, s4, v2
	v_mul_lo_u32 v2, v2, s33
	v_sub_u32_e32 v2, s4, v2
	v_subrev_u32_e32 v3, s33, v2
	v_cmp_le_u32_e32 vcc, s33, v2
	v_cndmask_b32_e32 v2, v2, v3, vcc
	v_subrev_u32_e32 v3, s33, v2
	v_cmp_le_u32_e32 vcc, s33, v2
	v_cndmask_b32_e32 v14, v2, v3, vcc
	v_pk_mov_b32 v[2:3], v[14:15], v[14:15] op_sel:[0,1]
.LBB135_303:                            ;   in Loop: Header=BB135_12 Depth=1
	v_readlane_b32 s4, v42, 35
	v_mov_b32_e32 v4, s95
	v_sub_co_u32_e32 v2, vcc, s4, v2
	v_subb_co_u32_e32 v3, vcc, v4, v3, vcc
	v_cmp_gt_u64_e32 vcc, v[2:3], v[0:1]
	s_mov_b64 s[10:11], 0
                                        ; implicit-def: $vgpr33
	s_and_saveexec_b64 s[4:5], vcc
	s_cbranch_execz .LBB135_312
; %bb.304:                              ;   in Loop: Header=BB135_12 Depth=1
	v_pk_mov_b32 v[4:5], v[0:1], v[0:1] op_sel:[0,1]
                                        ; implicit-def: $sgpr12_sgpr13
	s_branch .LBB135_306
.LBB135_305:                            ;   in Loop: Header=BB135_306 Depth=2
	s_or_b64 exec, exec, s[14:15]
	s_waitcnt lgkmcnt(0)
	s_barrier
	s_waitcnt vmcnt(0)
	ds_read_u16 v6, v15 offset:3072
	v_mov_b32_e32 v7, s90
	v_add_co_u32_e32 v4, vcc, s33, v4
	v_addc_co_u32_e32 v5, vcc, v5, v7, vcc
	s_waitcnt lgkmcnt(0)
	v_cmp_ne_u16_sdwa s[14:15], v6, v15 src0_sel:BYTE_0 src1_sel:DWORD
	v_cmp_ge_u64_e32 vcc, v[4:5], v[2:3]
	s_or_b64 s[20:21], vcc, s[14:15]
	s_and_b64 s[20:21], exec, s[20:21]
	s_or_b64 s[10:11], s[20:21], s[10:11]
	s_andn2_b64 s[12:13], s[12:13], exec
	s_and_b64 s[14:15], s[14:15], exec
	s_or_b64 s[12:13], s[12:13], s[14:15]
	s_barrier
	s_andn2_b64 exec, exec, s[10:11]
	s_cbranch_execz .LBB135_311
.LBB135_306:                            ;   Parent Loop BB135_12 Depth=1
                                        ; =>  This Inner Loop Header: Depth=2
	v_cmp_gt_u64_e32 vcc, s[60:61], v[4:5]
	v_mov_b32_e32 v6, 0
	s_and_saveexec_b64 s[14:15], vcc
	s_cbranch_execz .LBB135_308
; %bb.307:                              ;   in Loop: Header=BB135_306 Depth=2
	v_pk_mov_b32 v[6:7], s[56:57], s[56:57] op_sel:[0,1]
	v_mad_u64_u32 v[6:7], s[20:21], v4, s58, v[6:7]
	v_mul_lo_u32 v8, v4, s59
	v_mul_lo_u32 v9, v5, s58
	v_add3_u32 v7, v9, v7, v8
	global_load_ubyte v6, v[6:7], off
.LBB135_308:                            ;   in Loop: Header=BB135_306 Depth=2
	s_or_b64 exec, exec, s[14:15]
	s_and_saveexec_b64 s[14:15], vcc
	s_cbranch_execz .LBB135_305
; %bb.309:                              ;   in Loop: Header=BB135_306 Depth=2
	s_waitcnt vmcnt(0)
	v_add_u32_sdwa v7, sext(v6), s91 dst_sel:DWORD dst_unused:UNUSED_PAD src0_sel:BYTE_0 src1_sel:DWORD
	v_and_b32_e32 v7, v7, v31
	v_cmp_eq_u32_e32 vcc, v7, v32
	s_and_b64 exec, exec, vcc
	s_cbranch_execz .LBB135_305
; %bb.310:                              ;   in Loop: Header=BB135_306 Depth=2
	v_lshlrev_b16_e32 v6, 8, v6
	v_or_b32_e32 v6, 1, v6
	ds_write_b16 v15, v6 offset:3072
	s_branch .LBB135_305
.LBB135_311:                            ;   in Loop: Header=BB135_12 Depth=1
	s_or_b64 exec, exec, s[10:11]
	v_lshrrev_b16_e32 v33, 8, v6
	s_and_b64 s[10:11], s[12:13], exec
.LBB135_312:                            ;   in Loop: Header=BB135_12 Depth=1
	s_or_b64 exec, exec, s[4:5]
	s_mov_b64 s[38:39], 0
	s_mov_b64 s[14:15], -1
	s_mov_b64 s[20:21], 0
.LBB135_313:                            ;   in Loop: Header=BB135_12 Depth=1
	s_orn2_b64 s[4:5], s[10:11], exec
.LBB135_314:                            ;   in Loop: Header=BB135_12 Depth=1
	s_or_b64 exec, exec, s[8:9]
                                        ; implicit-def: $vgpr6
                                        ; implicit-def: $vgpr2_vgpr3
                                        ; implicit-def: $vgpr8
                                        ; implicit-def: $vgpr9
                                        ; implicit-def: $vgpr22
	s_and_saveexec_b64 s[34:35], s[4:5]
	s_cbranch_execz .LBB135_477
; %bb.315:                              ;   in Loop: Header=BB135_12 Depth=1
	v_mov_b32_e32 v2, 1
	s_xor_b64 s[8:9], s[6:7], -1
	s_mov_b64 s[6:7], 0
	v_mov_b32_e32 v3, 0
	v_mov_b32_e32 v6, 1
	s_and_saveexec_b64 s[4:5], s[8:9]
	s_cbranch_execz .LBB135_325
; %bb.316:                              ;   in Loop: Header=BB135_12 Depth=1
	v_cmp_ge_u64_e32 vcc, s[24:25], v[20:21]
                                        ; implicit-def: $sgpr10
                                        ; implicit-def: $sgpr6_sgpr7
	s_and_saveexec_b64 s[8:9], vcc
	s_xor_b64 s[8:9], exec, s[8:9]
	s_cbranch_execz .LBB135_322
; %bb.317:                              ;   in Loop: Header=BB135_12 Depth=1
	ds_read_b64 v[2:3], v15 offset:5120
	s_waitcnt lgkmcnt(0)
	v_cmp_ne_u64_e32 vcc, 0, v[2:3]
	s_cbranch_vccnz .LBB135_321
; %bb.318:                              ;   in Loop: Header=BB135_12 Depth=1
	s_mov_b64 s[6:7], exec
	v_readlane_b32 s10, v42, 12
	v_readlane_b32 s11, v42, 13
	s_and_b64 s[10:11], s[6:7], s[10:11]
	s_mov_b64 exec, s[10:11]
	s_cbranch_execz .LBB135_320
; %bb.319:                              ;   in Loop: Header=BB135_12 Depth=1
	v_pk_mov_b32 v[2:3], s[24:25], s[24:25] op_sel:[0,1]
	ds_write_b64 v15, v[2:3] offset:5128
.LBB135_320:                            ;   in Loop: Header=BB135_12 Depth=1
	s_or_b64 exec, exec, s[6:7]
	s_waitcnt lgkmcnt(0)
	s_barrier
.LBB135_321:                            ;   in Loop: Header=BB135_12 Depth=1
	v_or_b32_e32 v32, s86, v32
	v_or_b32_e32 v31, s86, v31
	s_mov_b64 s[6:7], 0
	s_mov_b32 s10, 5
.LBB135_322:                            ;   in Loop: Header=BB135_12 Depth=1
	s_or_saveexec_b64 s[8:9], s[8:9]
	v_mov_b32_e32 v6, s10
	s_xor_b64 exec, exec, s[8:9]
; %bb.323:                              ;   in Loop: Header=BB135_12 Depth=1
	v_mov_b32_e32 v2, s25
	v_subrev_co_u32_e32 v20, vcc, s24, v20
	v_subb_co_u32_e32 v21, vcc, v21, v2, vcc
	v_mov_b32_e32 v6, 0
	s_or_b64 s[6:7], s[6:7], exec
; %bb.324:                              ;   in Loop: Header=BB135_12 Depth=1
	s_or_b64 exec, exec, s[8:9]
	s_and_b64 s[6:7], s[6:7], exec
	v_pk_mov_b32 v[2:3], v[20:21], v[20:21] op_sel:[0,1]
.LBB135_325:                            ;   in Loop: Header=BB135_12 Depth=1
	s_or_b64 exec, exec, s[4:5]
	s_mov_b64 s[24:25], -1
                                        ; implicit-def: $sgpr4_sgpr5
                                        ; implicit-def: $sgpr8_sgpr9
                                        ; implicit-def: $sgpr10_sgpr11
	s_and_saveexec_b64 s[12:13], s[6:7]
	s_xor_b64 s[6:7], exec, s[12:13]
	s_cbranch_execz .LBB135_474
; %bb.326:                              ;   in Loop: Header=BB135_12 Depth=1
	s_cmp_eq_u64 s[22:23], 1
	s_cselect_b64 s[4:5], -1, 0
	v_cmp_eq_u64_e32 vcc, 1, v[2:3]
	s_and_b64 s[8:9], s[4:5], vcc
	s_mov_b64 s[4:5], -1
                                        ; implicit-def: $sgpr24_sgpr25
                                        ; implicit-def: $sgpr36_sgpr37
                                        ; implicit-def: $sgpr40_sgpr41
	s_and_saveexec_b64 s[42:43], s[8:9]
	s_cbranch_execz .LBB135_360
; %bb.327:                              ;   in Loop: Header=BB135_12 Depth=1
	ds_read_b64 v[4:5], v15 offset:5120
	s_waitcnt lgkmcnt(0)
	s_barrier
	v_readfirstlane_b32 s4, v4
	v_readfirstlane_b32 s5, v5
	s_mov_b64 s[10:11], exec
	v_readlane_b32 s12, v42, 30
	v_readlane_b32 s13, v42, 31
	s_and_b64 s[12:13], s[10:11], s[12:13]
	s_mov_b64 exec, s[12:13]
	s_cbranch_execz .LBB135_329
; %bb.328:                              ;   in Loop: Header=BB135_12 Depth=1
	ds_write_b8 v0, v15 offset:3072
.LBB135_329:                            ;   in Loop: Header=BB135_12 Depth=1
	s_or_b64 exec, exec, s[10:11]
	v_and_b32_e32 v4, s46, v32
	v_lshl_or_b32 v32, 2, s47, v4
	v_or_b32_e32 v31, s86, v31
	s_cmp_eq_u64 s[4:5], 0
	s_waitcnt lgkmcnt(0)
	s_barrier
	s_cbranch_scc1 .LBB135_343
; %bb.330:                              ;   in Loop: Header=BB135_12 Depth=1
	v_readlane_b32 s10, v42, 34
	s_add_u32 s24, s10, s4
	v_readlane_b32 s10, v42, 36
	s_addc_u32 s11, s10, s5
	s_mov_b32 s10, s87
	s_cmp_lg_u64 s[10:11], 0
	s_cbranch_scc0 .LBB135_387
; %bb.331:                              ;   in Loop: Header=BB135_12 Depth=1
	v_cvt_f32_u32_e32 v4, s33
	s_sub_u32 s10, 0, s33
	s_subb_u32 s12, 0, 0
	v_mac_f32_e32 v4, 0, v30
	v_rcp_f32_e32 v4, v4
	v_mul_f32_e32 v4, 0x5f7ffffc, v4
	v_mul_f32_e32 v5, 0x2f800000, v4
	v_trunc_f32_e32 v5, v5
	v_mac_f32_e32 v4, 0xcf800000, v5
	v_cvt_u32_f32_e32 v5, v5
	v_cvt_u32_f32_e32 v4, v4
	v_readfirstlane_b32 s13, v5
	v_readfirstlane_b32 s25, v4
	s_mul_i32 s36, s10, s13
	s_mul_hi_u32 s40, s10, s25
	s_mul_i32 s37, s12, s25
	s_add_i32 s36, s40, s36
	s_mul_i32 s41, s10, s25
	s_add_i32 s36, s36, s37
	s_mul_hi_u32 s40, s25, s41
	s_mul_hi_u32 s37, s25, s36
	s_mul_i32 s25, s25, s36
	s_add_u32 s25, s40, s25
	s_addc_u32 s37, 0, s37
	s_mul_hi_u32 s44, s13, s41
	s_mul_i32 s41, s13, s41
	s_add_u32 s25, s25, s41
	s_mul_hi_u32 s40, s13, s36
	s_addc_u32 s25, s37, s44
	s_addc_u32 s37, s40, 0
	s_mul_i32 s36, s13, s36
	s_add_u32 s25, s25, s36
	s_addc_u32 s36, 0, s37
	v_add_co_u32_e32 v4, vcc, s25, v4
	s_cmp_lg_u64 vcc, 0
	s_addc_u32 s13, s13, s36
	v_readfirstlane_b32 s36, v4
	s_mul_i32 s25, s10, s13
	s_mul_hi_u32 s37, s10, s36
	s_add_i32 s25, s37, s25
	s_mul_i32 s12, s12, s36
	s_add_i32 s25, s25, s12
	s_mul_i32 s10, s10, s36
	s_mul_hi_u32 s37, s13, s10
	s_mul_i32 s40, s13, s10
	s_mul_i32 s44, s36, s25
	s_mul_hi_u32 s10, s36, s10
	s_mul_hi_u32 s41, s36, s25
	s_add_u32 s10, s10, s44
	s_addc_u32 s36, 0, s41
	s_add_u32 s10, s10, s40
	s_mul_hi_u32 s12, s13, s25
	s_addc_u32 s10, s36, s37
	s_addc_u32 s12, s12, 0
	s_mul_i32 s25, s13, s25
	s_add_u32 s10, s10, s25
	s_addc_u32 s12, 0, s12
	v_add_co_u32_e32 v4, vcc, s10, v4
	s_cmp_lg_u64 vcc, 0
	s_addc_u32 s10, s13, s12
	v_readfirstlane_b32 s25, v4
	s_mul_i32 s13, s24, s10
	s_mul_hi_u32 s36, s24, s25
	s_mul_hi_u32 s12, s24, s10
	s_add_u32 s13, s36, s13
	s_addc_u32 s12, 0, s12
	s_mul_hi_u32 s37, s11, s25
	s_mul_i32 s25, s11, s25
	s_add_u32 s13, s13, s25
	s_mul_hi_u32 s36, s11, s10
	s_addc_u32 s12, s12, s37
	s_addc_u32 s13, s36, 0
	s_mul_i32 s10, s11, s10
	s_add_u32 s10, s12, s10
	s_addc_u32 s12, 0, s13
	s_mul_hi_u32 s13, s33, s10
	s_mul_i32 s10, s33, s10
	s_mul_i32 s12, s33, s12
	v_mov_b32_e32 v4, s10
	s_add_i32 s13, s13, s12
	v_sub_co_u32_e32 v4, vcc, s24, v4
	s_cmp_lg_u64 vcc, 0
	s_subb_u32 s10, s11, s13
	v_subrev_co_u32_e32 v5, vcc, s33, v4
	s_cmp_lg_u64 vcc, 0
	s_subb_u32 s12, s10, 0
	v_subrev_co_u32_e32 v6, vcc, s33, v5
	s_cmp_lg_u64 vcc, 0
	s_subb_u32 s13, s12, 0
	v_cmp_le_u32_e32 vcc, s33, v5
	s_cmp_eq_u32 s12, 0
	v_cndmask_b32_e64 v7, 0, -1, vcc
	s_cselect_b64 vcc, -1, 0
	v_cndmask_b32_e32 v7, -1, v7, vcc
	v_mov_b32_e32 v8, s12
	v_mov_b32_e32 v9, s13
	v_cmp_ne_u32_e32 vcc, 0, v7
	v_cndmask_b32_e32 v7, v8, v9, vcc
	v_cndmask_b32_e32 v6, v5, v6, vcc
	v_cmp_le_u32_e32 vcc, s33, v4
	s_cmp_eq_u32 s10, 0
	v_cndmask_b32_e64 v5, 0, -1, vcc
	s_cselect_b64 vcc, -1, 0
	v_cndmask_b32_e32 v5, -1, v5, vcc
	v_mov_b32_e32 v8, s10
	v_cmp_ne_u32_e32 vcc, 0, v5
	v_cndmask_b32_e32 v5, v8, v7, vcc
	v_cndmask_b32_e32 v4, v4, v6, vcc
	s_cbranch_execnz .LBB135_333
.LBB135_332:                            ;   in Loop: Header=BB135_12 Depth=1
	v_cvt_f32_u32_e32 v4, s33
	s_sub_i32 s10, 0, s33
	v_rcp_iflag_f32_e32 v4, v4
	v_mul_f32_e32 v4, 0x4f7ffffe, v4
	v_cvt_u32_f32_e32 v4, v4
	v_mul_lo_u32 v5, s10, v4
	v_mul_hi_u32 v5, v4, v5
	v_add_u32_e32 v4, v4, v5
	v_mul_hi_u32 v4, s24, v4
	v_mul_lo_u32 v4, v4, s33
	v_sub_u32_e32 v4, s24, v4
	v_subrev_u32_e32 v5, s33, v4
	v_cmp_le_u32_e32 vcc, s33, v4
	v_cndmask_b32_e32 v4, v4, v5, vcc
	v_subrev_u32_e32 v5, s33, v4
	v_cmp_le_u32_e32 vcc, s33, v4
	v_cndmask_b32_e32 v14, v4, v5, vcc
	v_pk_mov_b32 v[4:5], v[14:15], v[14:15] op_sel:[0,1]
.LBB135_333:                            ;   in Loop: Header=BB135_12 Depth=1
	v_mov_b32_e32 v6, s11
	v_sub_co_u32_e32 v4, vcc, s24, v4
	v_subb_co_u32_e32 v5, vcc, v6, v5, vcc
	v_cmp_gt_u64_e32 vcc, v[4:5], v[0:1]
	s_mov_b64 s[10:11], 0
                                        ; implicit-def: $vgpr33
	s_and_saveexec_b64 s[12:13], vcc
	s_cbranch_execz .LBB135_345
; %bb.334:                              ;   in Loop: Header=BB135_12 Depth=1
	v_mov_b32_e32 v8, v0
	v_pk_mov_b32 v[6:7], v[0:1], v[0:1] op_sel:[0,1]
                                        ; implicit-def: $sgpr24_sgpr25
	s_branch .LBB135_336
.LBB135_335:                            ;   in Loop: Header=BB135_336 Depth=2
	s_or_b64 exec, exec, s[36:37]
	s_waitcnt lgkmcnt(0)
	s_barrier
	ds_read_u16 v9, v15 offset:3072
	v_mov_b32_e32 v14, s90
	v_add_co_u32_e32 v6, vcc, s33, v6
	v_addc_co_u32_e32 v7, vcc, v7, v14, vcc
	s_waitcnt lgkmcnt(0)
	v_cmp_ne_u16_sdwa s[36:37], v9, v15 src0_sel:BYTE_0 src1_sel:DWORD
	v_cmp_ge_u64_e32 vcc, v[6:7], v[4:5]
	s_or_b64 s[40:41], vcc, s[36:37]
	s_and_b64 s[40:41], exec, s[40:41]
	s_or_b64 s[10:11], s[40:41], s[10:11]
	s_andn2_b64 s[24:25], s[24:25], exec
	s_and_b64 s[36:37], s[36:37], exec
	v_add_u32_e32 v8, s33, v8
	s_or_b64 s[24:25], s[24:25], s[36:37]
	s_barrier
	s_andn2_b64 exec, exec, s[10:11]
	s_cbranch_execz .LBB135_344
.LBB135_336:                            ;   Parent Loop BB135_12 Depth=1
                                        ; =>  This Inner Loop Header: Depth=2
	v_cmp_gt_u64_e32 vcc, s[4:5], v[6:7]
	v_mov_b32_e32 v9, 0
	s_and_saveexec_b64 s[36:37], vcc
	s_cbranch_execz .LBB135_338
; %bb.337:                              ;   in Loop: Header=BB135_336 Depth=2
	ds_read_u8 v9, v8
.LBB135_338:                            ;   in Loop: Header=BB135_336 Depth=2
	s_or_b64 exec, exec, s[36:37]
	s_and_saveexec_b64 s[36:37], vcc
	s_cbranch_execz .LBB135_335
; %bb.339:                              ;   in Loop: Header=BB135_336 Depth=2
	s_waitcnt lgkmcnt(0)
	v_add_u32_sdwa v14, sext(v9), s91 dst_sel:DWORD dst_unused:UNUSED_PAD src0_sel:BYTE_0 src1_sel:DWORD
	v_and_b32_e32 v14, v14, v31
	v_cmp_eq_u32_e32 vcc, v14, v32
	s_and_b64 exec, exec, vcc
	s_cbranch_execz .LBB135_335
; %bb.340:                              ;   in Loop: Header=BB135_336 Depth=2
	v_lshlrev_b16_e32 v9, 8, v9
	v_or_b32_e32 v9, 1, v9
	ds_write_b16 v15, v9 offset:3072
	s_branch .LBB135_335
.LBB135_341:                            ;   in Loop: Header=BB135_12 Depth=1
                                        ; implicit-def: $vgpr2_vgpr3
	s_branch .LBB135_288
.LBB135_342:                            ;   in Loop: Header=BB135_12 Depth=1
                                        ; implicit-def: $vgpr2_vgpr3
	s_branch .LBB135_302
.LBB135_343:                            ;   in Loop: Header=BB135_12 Depth=1
	s_mov_b64 s[24:25], -1
	s_mov_b64 s[10:11], 0
                                        ; implicit-def: $sgpr36_sgpr37
                                        ; implicit-def: $vgpr33
	s_mov_b64 s[40:41], s[24:25]
	s_cbranch_execnz .LBB135_346
	s_branch .LBB135_359
.LBB135_344:                            ;   in Loop: Header=BB135_12 Depth=1
	s_or_b64 exec, exec, s[10:11]
	v_lshrrev_b16_e32 v33, 8, v9
	s_and_b64 s[10:11], s[24:25], exec
.LBB135_345:                            ;   in Loop: Header=BB135_12 Depth=1
	s_or_b64 exec, exec, s[12:13]
	s_mov_b64 s[24:25], 0
	s_mov_b64 s[36:37], -1
	s_mov_b64 s[40:41], s[24:25]
	s_branch .LBB135_359
.LBB135_346:                            ;   in Loop: Header=BB135_12 Depth=1
	s_mov_b32 s94, s87
	s_cmp_lg_u64 s[94:95], 0
	s_cbranch_scc0 .LBB135_388
; %bb.347:                              ;   in Loop: Header=BB135_12 Depth=1
	v_cvt_f32_u32_e32 v4, s33
	s_sub_u32 s4, 0, s33
	s_subb_u32 s5, 0, 0
	v_mac_f32_e32 v4, 0, v30
	v_rcp_f32_e32 v4, v4
	v_mul_f32_e32 v4, 0x5f7ffffc, v4
	v_mul_f32_e32 v5, 0x2f800000, v4
	v_trunc_f32_e32 v5, v5
	v_mac_f32_e32 v4, 0xcf800000, v5
	v_cvt_u32_f32_e32 v5, v5
	v_cvt_u32_f32_e32 v4, v4
	v_readfirstlane_b32 s10, v5
	v_readfirstlane_b32 s11, v4
	s_mul_i32 s12, s4, s10
	s_mul_hi_u32 s24, s4, s11
	s_mul_i32 s13, s5, s11
	s_add_i32 s12, s24, s12
	s_mul_i32 s25, s4, s11
	s_add_i32 s12, s12, s13
	s_mul_hi_u32 s24, s11, s25
	s_mul_hi_u32 s13, s11, s12
	s_mul_i32 s11, s11, s12
	s_add_u32 s11, s24, s11
	s_addc_u32 s13, 0, s13
	s_mul_hi_u32 s36, s10, s25
	s_mul_i32 s25, s10, s25
	s_add_u32 s11, s11, s25
	s_mul_hi_u32 s24, s10, s12
	s_addc_u32 s11, s13, s36
	s_addc_u32 s13, s24, 0
	s_mul_i32 s12, s10, s12
	s_add_u32 s11, s11, s12
	s_addc_u32 s12, 0, s13
	v_add_co_u32_e32 v4, vcc, s11, v4
	s_cmp_lg_u64 vcc, 0
	s_addc_u32 s10, s10, s12
	v_readfirstlane_b32 s12, v4
	s_mul_i32 s11, s4, s10
	s_mul_hi_u32 s13, s4, s12
	s_add_i32 s11, s13, s11
	s_mul_i32 s5, s5, s12
	s_add_i32 s11, s11, s5
	s_mul_i32 s4, s4, s12
	s_mul_hi_u32 s13, s10, s4
	s_mul_i32 s24, s10, s4
	s_mul_i32 s36, s12, s11
	s_mul_hi_u32 s4, s12, s4
	s_mul_hi_u32 s25, s12, s11
	s_add_u32 s4, s4, s36
	s_addc_u32 s12, 0, s25
	s_add_u32 s4, s4, s24
	s_mul_hi_u32 s5, s10, s11
	s_addc_u32 s4, s12, s13
	s_addc_u32 s5, s5, 0
	s_mul_i32 s11, s10, s11
	s_add_u32 s4, s4, s11
	s_addc_u32 s5, 0, s5
	v_add_co_u32_e32 v4, vcc, s4, v4
	s_cmp_lg_u64 vcc, 0
	s_addc_u32 s4, s10, s5
	v_readlane_b32 s24, v42, 35
	v_readfirstlane_b32 s11, v4
	s_mul_i32 s10, s24, s4
	s_mul_hi_u32 s12, s24, s11
	s_mul_hi_u32 s5, s24, s4
	s_add_u32 s10, s12, s10
	s_addc_u32 s5, 0, s5
	s_mul_hi_u32 s13, s95, s11
	s_mul_i32 s11, s95, s11
	s_add_u32 s10, s10, s11
	s_mul_hi_u32 s12, s95, s4
	s_addc_u32 s5, s5, s13
	s_addc_u32 s10, s12, 0
	s_mul_i32 s4, s95, s4
	s_add_u32 s4, s5, s4
	s_addc_u32 s5, 0, s10
	s_mul_hi_u32 s10, s33, s4
	s_mul_i32 s4, s33, s4
	s_mul_i32 s5, s33, s5
	v_mov_b32_e32 v4, s4
	s_add_i32 s10, s10, s5
	v_sub_co_u32_e32 v4, vcc, s24, v4
	s_cmp_lg_u64 vcc, 0
	s_subb_u32 s4, s95, s10
	v_subrev_co_u32_e32 v5, vcc, s33, v4
	s_cmp_lg_u64 vcc, 0
	s_subb_u32 s5, s4, 0
	v_subrev_co_u32_e32 v6, vcc, s33, v5
	s_cmp_lg_u64 vcc, 0
	s_subb_u32 s10, s5, 0
	v_cmp_le_u32_e32 vcc, s33, v5
	s_cmp_eq_u32 s5, 0
	v_cndmask_b32_e64 v7, 0, -1, vcc
	s_cselect_b64 vcc, -1, 0
	v_cndmask_b32_e32 v7, -1, v7, vcc
	v_mov_b32_e32 v8, s5
	v_mov_b32_e32 v9, s10
	v_cmp_ne_u32_e32 vcc, 0, v7
	v_cndmask_b32_e32 v7, v8, v9, vcc
	v_cndmask_b32_e32 v6, v5, v6, vcc
	v_cmp_le_u32_e32 vcc, s33, v4
	s_cmp_eq_u32 s4, 0
	v_cndmask_b32_e64 v5, 0, -1, vcc
	s_cselect_b64 vcc, -1, 0
	v_cndmask_b32_e32 v5, -1, v5, vcc
	v_mov_b32_e32 v8, s4
	v_cmp_ne_u32_e32 vcc, 0, v5
	v_cndmask_b32_e32 v5, v8, v7, vcc
	v_cndmask_b32_e32 v4, v4, v6, vcc
	s_cbranch_execnz .LBB135_349
.LBB135_348:                            ;   in Loop: Header=BB135_12 Depth=1
	v_cvt_f32_u32_e32 v4, s33
	s_sub_i32 s4, 0, s33
	v_rcp_iflag_f32_e32 v4, v4
	v_mul_f32_e32 v4, 0x4f7ffffe, v4
	v_cvt_u32_f32_e32 v4, v4
	v_mul_lo_u32 v5, s4, v4
	v_mul_hi_u32 v5, v4, v5
	v_add_u32_e32 v4, v4, v5
	v_readlane_b32 s4, v42, 35
	v_mul_hi_u32 v4, s4, v4
	v_mul_lo_u32 v4, v4, s33
	v_sub_u32_e32 v4, s4, v4
	v_subrev_u32_e32 v5, s33, v4
	v_cmp_le_u32_e32 vcc, s33, v4
	v_cndmask_b32_e32 v4, v4, v5, vcc
	v_subrev_u32_e32 v5, s33, v4
	v_cmp_le_u32_e32 vcc, s33, v4
	v_cndmask_b32_e32 v14, v4, v5, vcc
	v_pk_mov_b32 v[4:5], v[14:15], v[14:15] op_sel:[0,1]
.LBB135_349:                            ;   in Loop: Header=BB135_12 Depth=1
	v_readlane_b32 s4, v42, 35
	v_mov_b32_e32 v6, s95
	v_sub_co_u32_e32 v4, vcc, s4, v4
	v_subb_co_u32_e32 v5, vcc, v6, v5, vcc
	v_cmp_gt_u64_e32 vcc, v[4:5], v[0:1]
	s_mov_b64 s[10:11], 0
                                        ; implicit-def: $vgpr33
	s_and_saveexec_b64 s[4:5], vcc
	s_cbranch_execz .LBB135_358
; %bb.350:                              ;   in Loop: Header=BB135_12 Depth=1
	v_pk_mov_b32 v[6:7], v[0:1], v[0:1] op_sel:[0,1]
                                        ; implicit-def: $sgpr12_sgpr13
	s_branch .LBB135_352
.LBB135_351:                            ;   in Loop: Header=BB135_352 Depth=2
	s_or_b64 exec, exec, s[24:25]
	s_waitcnt lgkmcnt(0)
	s_barrier
	s_waitcnt vmcnt(0)
	ds_read_u16 v8, v15 offset:3072
	v_mov_b32_e32 v9, s90
	v_add_co_u32_e32 v6, vcc, s33, v6
	v_addc_co_u32_e32 v7, vcc, v7, v9, vcc
	s_waitcnt lgkmcnt(0)
	v_cmp_ne_u16_sdwa s[24:25], v8, v15 src0_sel:BYTE_0 src1_sel:DWORD
	v_cmp_ge_u64_e32 vcc, v[6:7], v[4:5]
	s_or_b64 s[36:37], vcc, s[24:25]
	s_and_b64 s[36:37], exec, s[36:37]
	s_or_b64 s[10:11], s[36:37], s[10:11]
	s_andn2_b64 s[12:13], s[12:13], exec
	s_and_b64 s[24:25], s[24:25], exec
	s_or_b64 s[12:13], s[12:13], s[24:25]
	s_barrier
	s_andn2_b64 exec, exec, s[10:11]
	s_cbranch_execz .LBB135_357
.LBB135_352:                            ;   Parent Loop BB135_12 Depth=1
                                        ; =>  This Inner Loop Header: Depth=2
	v_cmp_gt_u64_e32 vcc, s[60:61], v[6:7]
	v_mov_b32_e32 v8, 0
	s_and_saveexec_b64 s[24:25], vcc
	s_cbranch_execz .LBB135_354
; %bb.353:                              ;   in Loop: Header=BB135_352 Depth=2
	v_pk_mov_b32 v[8:9], s[56:57], s[56:57] op_sel:[0,1]
	v_mad_u64_u32 v[8:9], s[36:37], v6, s58, v[8:9]
	v_mul_lo_u32 v14, v6, s59
	v_mul_lo_u32 v20, v7, s58
	v_add3_u32 v9, v20, v9, v14
	global_load_ubyte v8, v[8:9], off
.LBB135_354:                            ;   in Loop: Header=BB135_352 Depth=2
	s_or_b64 exec, exec, s[24:25]
	s_and_saveexec_b64 s[24:25], vcc
	s_cbranch_execz .LBB135_351
; %bb.355:                              ;   in Loop: Header=BB135_352 Depth=2
	s_waitcnt vmcnt(0)
	v_add_u32_sdwa v9, sext(v8), s91 dst_sel:DWORD dst_unused:UNUSED_PAD src0_sel:BYTE_0 src1_sel:DWORD
	v_and_b32_e32 v9, v9, v31
	v_cmp_eq_u32_e32 vcc, v9, v32
	s_and_b64 exec, exec, vcc
	s_cbranch_execz .LBB135_351
; %bb.356:                              ;   in Loop: Header=BB135_352 Depth=2
	v_lshlrev_b16_e32 v8, 8, v8
	v_or_b32_e32 v8, 1, v8
	ds_write_b16 v15, v8 offset:3072
	s_branch .LBB135_351
.LBB135_357:                            ;   in Loop: Header=BB135_12 Depth=1
	s_or_b64 exec, exec, s[10:11]
	v_lshrrev_b16_e32 v33, 8, v8
	s_and_b64 s[10:11], s[12:13], exec
.LBB135_358:                            ;   in Loop: Header=BB135_12 Depth=1
	s_or_b64 exec, exec, s[4:5]
	s_mov_b64 s[36:37], 0
	s_mov_b64 s[24:25], -1
	s_mov_b64 s[40:41], 0
.LBB135_359:                            ;   in Loop: Header=BB135_12 Depth=1
	s_orn2_b64 s[4:5], s[10:11], exec
.LBB135_360:                            ;   in Loop: Header=BB135_12 Depth=1
	s_or_b64 exec, exec, s[42:43]
	s_mov_b64 s[12:13], 0
                                        ; implicit-def: $vgpr6
	s_and_saveexec_b64 s[42:43], s[4:5]
	s_cbranch_execz .LBB135_473
; %bb.361:                              ;   in Loop: Header=BB135_12 Depth=1
	v_mov_b32_e32 v4, 1
	s_xor_b64 s[8:9], s[8:9], -1
	s_mov_b64 s[44:45], 0
	v_mov_b32_e32 v5, 0
	v_mov_b32_e32 v6, 1
	s_and_saveexec_b64 s[4:5], s[8:9]
	s_cbranch_execz .LBB135_371
; %bb.362:                              ;   in Loop: Header=BB135_12 Depth=1
	v_cmp_ge_u64_e32 vcc, s[22:23], v[2:3]
                                        ; implicit-def: $sgpr12
                                        ; implicit-def: $sgpr8_sgpr9
	s_and_saveexec_b64 s[10:11], vcc
	s_xor_b64 s[10:11], exec, s[10:11]
	s_cbranch_execz .LBB135_368
; %bb.363:                              ;   in Loop: Header=BB135_12 Depth=1
	ds_read_b64 v[4:5], v15 offset:5120
	s_waitcnt lgkmcnt(0)
	v_cmp_ne_u64_e32 vcc, 0, v[4:5]
	s_cbranch_vccnz .LBB135_367
; %bb.364:                              ;   in Loop: Header=BB135_12 Depth=1
	s_mov_b64 s[8:9], exec
	v_readlane_b32 s12, v42, 12
	v_readlane_b32 s13, v42, 13
	s_and_b64 s[12:13], s[8:9], s[12:13]
	s_mov_b64 exec, s[12:13]
	s_cbranch_execz .LBB135_366
; %bb.365:                              ;   in Loop: Header=BB135_12 Depth=1
	v_pk_mov_b32 v[4:5], s[22:23], s[22:23] op_sel:[0,1]
	ds_write_b64 v15, v[4:5] offset:5128
.LBB135_366:                            ;   in Loop: Header=BB135_12 Depth=1
	s_or_b64 exec, exec, s[8:9]
	s_waitcnt lgkmcnt(0)
	s_barrier
.LBB135_367:                            ;   in Loop: Header=BB135_12 Depth=1
	v_and_b32_e32 v4, s46, v32
	v_lshl_or_b32 v32, 2, s47, v4
	v_or_b32_e32 v31, s86, v31
	s_mov_b64 s[8:9], 0
	s_mov_b32 s12, 5
.LBB135_368:                            ;   in Loop: Header=BB135_12 Depth=1
	s_or_saveexec_b64 s[10:11], s[10:11]
	v_mov_b32_e32 v6, s12
	s_xor_b64 exec, exec, s[10:11]
; %bb.369:                              ;   in Loop: Header=BB135_12 Depth=1
	v_mov_b32_e32 v4, s23
	v_subrev_co_u32_e32 v2, vcc, s22, v2
	v_subb_co_u32_e32 v3, vcc, v3, v4, vcc
	v_mov_b32_e32 v6, 0
	s_or_b64 s[8:9], s[8:9], exec
; %bb.370:                              ;   in Loop: Header=BB135_12 Depth=1
	s_or_b64 exec, exec, s[10:11]
	s_and_b64 s[44:45], s[8:9], exec
	v_pk_mov_b32 v[4:5], v[2:3], v[2:3] op_sel:[0,1]
.LBB135_371:                            ;   in Loop: Header=BB135_12 Depth=1
	s_or_b64 exec, exec, s[4:5]
	s_mov_b64 s[4:5], -1
                                        ; implicit-def: $sgpr8_sgpr9
                                        ; implicit-def: $sgpr10_sgpr11
                                        ; implicit-def: $sgpr12_sgpr13
	s_and_saveexec_b64 s[22:23], s[44:45]
	s_cbranch_execz .LBB135_472
; %bb.372:                              ;   in Loop: Header=BB135_12 Depth=1
	s_cmp_eq_u64 s[18:19], 1
	s_cselect_b64 s[4:5], -1, 0
	v_cmp_eq_u64_e32 vcc, 1, v[4:5]
	s_and_b64 s[50:51], s[4:5], vcc
	s_mov_b64 s[10:11], -1
                                        ; implicit-def: $sgpr8_sgpr9
                                        ; implicit-def: $sgpr44_sgpr45
                                        ; implicit-def: $sgpr88_sgpr89
	s_and_saveexec_b64 s[48:49], s[50:51]
	s_cbranch_execz .LBB135_406
; %bb.373:                              ;   in Loop: Header=BB135_12 Depth=1
	ds_read_b64 v[2:3], v15 offset:5120
	s_waitcnt lgkmcnt(0)
	s_barrier
	v_readfirstlane_b32 s4, v2
	v_readfirstlane_b32 s5, v3
	s_mov_b64 s[8:9], exec
	v_readlane_b32 s10, v42, 30
	v_readlane_b32 s11, v42, 31
	s_and_b64 s[10:11], s[8:9], s[10:11]
	s_mov_b64 exec, s[10:11]
	s_cbranch_execz .LBB135_375
; %bb.374:                              ;   in Loop: Header=BB135_12 Depth=1
	ds_write_b8 v0, v15 offset:3072
.LBB135_375:                            ;   in Loop: Header=BB135_12 Depth=1
	s_or_b64 exec, exec, s[8:9]
	v_and_b32_e32 v2, s46, v32
	v_lshl_or_b32 v32, 1, s47, v2
	v_or_b32_e32 v31, s86, v31
	s_cmp_eq_u64 s[4:5], 0
	s_waitcnt lgkmcnt(0)
	s_barrier
	s_cbranch_scc1 .LBB135_389
; %bb.376:                              ;   in Loop: Header=BB135_12 Depth=1
	v_readlane_b32 s8, v42, 34
	s_add_u32 s12, s8, s4
	v_readlane_b32 s8, v42, 36
	s_addc_u32 s9, s8, s5
	s_mov_b32 s8, s87
	s_cmp_lg_u64 s[8:9], 0
	s_cbranch_scc0 .LBB135_424
; %bb.377:                              ;   in Loop: Header=BB135_12 Depth=1
	v_cvt_f32_u32_e32 v2, s33
	s_sub_u32 s8, 0, s33
	s_subb_u32 s10, 0, 0
	v_mac_f32_e32 v2, 0, v30
	v_rcp_f32_e32 v2, v2
	v_mul_f32_e32 v2, 0x5f7ffffc, v2
	v_mul_f32_e32 v3, 0x2f800000, v2
	v_trunc_f32_e32 v3, v3
	v_mac_f32_e32 v2, 0xcf800000, v3
	v_cvt_u32_f32_e32 v3, v3
	v_cvt_u32_f32_e32 v2, v2
	v_readfirstlane_b32 s11, v3
	v_readfirstlane_b32 s13, v2
	s_mul_i32 s44, s8, s11
	s_mul_hi_u32 s52, s8, s13
	s_mul_i32 s45, s10, s13
	s_add_i32 s44, s52, s44
	s_mul_i32 s53, s8, s13
	s_add_i32 s44, s44, s45
	s_mul_hi_u32 s52, s13, s53
	s_mul_hi_u32 s45, s13, s44
	s_mul_i32 s13, s13, s44
	s_add_u32 s13, s52, s13
	s_addc_u32 s45, 0, s45
	s_mul_hi_u32 s54, s11, s53
	s_mul_i32 s53, s11, s53
	s_add_u32 s13, s13, s53
	s_mul_hi_u32 s52, s11, s44
	s_addc_u32 s13, s45, s54
	s_addc_u32 s45, s52, 0
	s_mul_i32 s44, s11, s44
	s_add_u32 s13, s13, s44
	s_addc_u32 s44, 0, s45
	v_add_co_u32_e32 v2, vcc, s13, v2
	s_cmp_lg_u64 vcc, 0
	s_addc_u32 s11, s11, s44
	v_readfirstlane_b32 s44, v2
	s_mul_i32 s13, s8, s11
	s_mul_hi_u32 s45, s8, s44
	s_add_i32 s13, s45, s13
	s_mul_i32 s10, s10, s44
	s_add_i32 s13, s13, s10
	s_mul_i32 s8, s8, s44
	s_mul_hi_u32 s45, s11, s8
	s_mul_i32 s52, s11, s8
	s_mul_i32 s54, s44, s13
	s_mul_hi_u32 s8, s44, s8
	s_mul_hi_u32 s53, s44, s13
	s_add_u32 s8, s8, s54
	s_addc_u32 s44, 0, s53
	s_add_u32 s8, s8, s52
	s_mul_hi_u32 s10, s11, s13
	s_addc_u32 s8, s44, s45
	s_addc_u32 s10, s10, 0
	s_mul_i32 s13, s11, s13
	s_add_u32 s8, s8, s13
	s_addc_u32 s10, 0, s10
	v_add_co_u32_e32 v2, vcc, s8, v2
	s_cmp_lg_u64 vcc, 0
	s_addc_u32 s8, s11, s10
	v_readfirstlane_b32 s13, v2
	s_mul_i32 s11, s12, s8
	s_mul_hi_u32 s44, s12, s13
	s_mul_hi_u32 s10, s12, s8
	s_add_u32 s11, s44, s11
	s_addc_u32 s10, 0, s10
	s_mul_hi_u32 s45, s9, s13
	s_mul_i32 s13, s9, s13
	s_add_u32 s11, s11, s13
	s_mul_hi_u32 s44, s9, s8
	s_addc_u32 s10, s10, s45
	s_addc_u32 s11, s44, 0
	s_mul_i32 s8, s9, s8
	s_add_u32 s8, s10, s8
	s_addc_u32 s10, 0, s11
	s_mul_hi_u32 s11, s33, s8
	s_mul_i32 s8, s33, s8
	s_mul_i32 s10, s33, s10
	v_mov_b32_e32 v2, s8
	s_add_i32 s11, s11, s10
	v_sub_co_u32_e32 v2, vcc, s12, v2
	s_cmp_lg_u64 vcc, 0
	s_subb_u32 s8, s9, s11
	v_subrev_co_u32_e32 v3, vcc, s33, v2
	s_cmp_lg_u64 vcc, 0
	s_subb_u32 s10, s8, 0
	v_subrev_co_u32_e32 v6, vcc, s33, v3
	s_cmp_lg_u64 vcc, 0
	s_subb_u32 s11, s10, 0
	v_cmp_le_u32_e32 vcc, s33, v3
	s_cmp_eq_u32 s10, 0
	v_cndmask_b32_e64 v7, 0, -1, vcc
	s_cselect_b64 vcc, -1, 0
	v_cndmask_b32_e32 v7, -1, v7, vcc
	v_mov_b32_e32 v8, s10
	v_mov_b32_e32 v9, s11
	v_cmp_ne_u32_e32 vcc, 0, v7
	v_cndmask_b32_e32 v7, v8, v9, vcc
	v_cndmask_b32_e32 v6, v3, v6, vcc
	v_cmp_le_u32_e32 vcc, s33, v2
	s_cmp_eq_u32 s8, 0
	v_cndmask_b32_e64 v3, 0, -1, vcc
	s_cselect_b64 vcc, -1, 0
	v_cndmask_b32_e32 v3, -1, v3, vcc
	v_mov_b32_e32 v8, s8
	v_cmp_ne_u32_e32 vcc, 0, v3
	v_cndmask_b32_e32 v3, v8, v7, vcc
	v_cndmask_b32_e32 v2, v2, v6, vcc
	s_cbranch_execnz .LBB135_379
.LBB135_378:                            ;   in Loop: Header=BB135_12 Depth=1
	v_cvt_f32_u32_e32 v2, s33
	s_sub_i32 s8, 0, s33
	v_rcp_iflag_f32_e32 v2, v2
	v_mul_f32_e32 v2, 0x4f7ffffe, v2
	v_cvt_u32_f32_e32 v2, v2
	v_mul_lo_u32 v3, s8, v2
	v_mul_hi_u32 v3, v2, v3
	v_add_u32_e32 v2, v2, v3
	v_mul_hi_u32 v2, s12, v2
	v_mul_lo_u32 v2, v2, s33
	v_sub_u32_e32 v2, s12, v2
	v_subrev_u32_e32 v3, s33, v2
	v_cmp_le_u32_e32 vcc, s33, v2
	v_cndmask_b32_e32 v2, v2, v3, vcc
	v_subrev_u32_e32 v3, s33, v2
	v_cmp_le_u32_e32 vcc, s33, v2
	v_cndmask_b32_e32 v14, v2, v3, vcc
	v_pk_mov_b32 v[2:3], v[14:15], v[14:15] op_sel:[0,1]
.LBB135_379:                            ;   in Loop: Header=BB135_12 Depth=1
	v_mov_b32_e32 v6, s9
	v_sub_co_u32_e32 v2, vcc, s12, v2
	v_subb_co_u32_e32 v3, vcc, v6, v3, vcc
	v_cmp_gt_u64_e32 vcc, v[2:3], v[0:1]
	s_mov_b64 s[10:11], 0
                                        ; implicit-def: $vgpr33
	s_and_saveexec_b64 s[8:9], vcc
	s_cbranch_execz .LBB135_391
; %bb.380:                              ;   in Loop: Header=BB135_12 Depth=1
	v_mov_b32_e32 v8, v0
	v_pk_mov_b32 v[6:7], v[0:1], v[0:1] op_sel:[0,1]
                                        ; implicit-def: $sgpr12_sgpr13
	s_branch .LBB135_382
.LBB135_381:                            ;   in Loop: Header=BB135_382 Depth=2
	s_or_b64 exec, exec, s[44:45]
	s_waitcnt lgkmcnt(0)
	s_barrier
	ds_read_u16 v9, v15 offset:3072
	v_mov_b32_e32 v14, s90
	v_add_co_u32_e32 v6, vcc, s33, v6
	v_addc_co_u32_e32 v7, vcc, v7, v14, vcc
	s_waitcnt lgkmcnt(0)
	v_cmp_ne_u16_sdwa s[44:45], v9, v15 src0_sel:BYTE_0 src1_sel:DWORD
	v_cmp_ge_u64_e32 vcc, v[6:7], v[2:3]
	s_or_b64 s[52:53], vcc, s[44:45]
	s_and_b64 s[52:53], exec, s[52:53]
	s_or_b64 s[10:11], s[52:53], s[10:11]
	s_andn2_b64 s[12:13], s[12:13], exec
	s_and_b64 s[44:45], s[44:45], exec
	v_add_u32_e32 v8, s33, v8
	s_or_b64 s[12:13], s[12:13], s[44:45]
	s_barrier
	s_andn2_b64 exec, exec, s[10:11]
	s_cbranch_execz .LBB135_390
.LBB135_382:                            ;   Parent Loop BB135_12 Depth=1
                                        ; =>  This Inner Loop Header: Depth=2
	v_cmp_gt_u64_e32 vcc, s[4:5], v[6:7]
	v_mov_b32_e32 v9, 0
	s_and_saveexec_b64 s[44:45], vcc
	s_cbranch_execz .LBB135_384
; %bb.383:                              ;   in Loop: Header=BB135_382 Depth=2
	ds_read_u8 v9, v8
.LBB135_384:                            ;   in Loop: Header=BB135_382 Depth=2
	s_or_b64 exec, exec, s[44:45]
	s_and_saveexec_b64 s[44:45], vcc
	s_cbranch_execz .LBB135_381
; %bb.385:                              ;   in Loop: Header=BB135_382 Depth=2
	s_waitcnt lgkmcnt(0)
	v_add_u32_sdwa v14, sext(v9), s91 dst_sel:DWORD dst_unused:UNUSED_PAD src0_sel:BYTE_0 src1_sel:DWORD
	v_and_b32_e32 v14, v14, v31
	v_cmp_eq_u32_e32 vcc, v14, v32
	s_and_b64 exec, exec, vcc
	s_cbranch_execz .LBB135_381
; %bb.386:                              ;   in Loop: Header=BB135_382 Depth=2
	v_lshlrev_b16_e32 v9, 8, v9
	v_or_b32_e32 v9, 1, v9
	ds_write_b16 v15, v9 offset:3072
	s_branch .LBB135_381
.LBB135_387:                            ;   in Loop: Header=BB135_12 Depth=1
                                        ; implicit-def: $vgpr4_vgpr5
	s_branch .LBB135_332
.LBB135_388:                            ;   in Loop: Header=BB135_12 Depth=1
                                        ; implicit-def: $vgpr4_vgpr5
	s_branch .LBB135_348
.LBB135_389:                            ;   in Loop: Header=BB135_12 Depth=1
	s_mov_b64 s[8:9], -1
	s_mov_b64 s[10:11], 0
                                        ; implicit-def: $sgpr44_sgpr45
                                        ; implicit-def: $vgpr33
	s_mov_b64 s[88:89], s[8:9]
	s_cbranch_execnz .LBB135_392
	s_branch .LBB135_405
.LBB135_390:                            ;   in Loop: Header=BB135_12 Depth=1
	s_or_b64 exec, exec, s[10:11]
	v_lshrrev_b16_e32 v33, 8, v9
	s_and_b64 s[10:11], s[12:13], exec
.LBB135_391:                            ;   in Loop: Header=BB135_12 Depth=1
	s_or_b64 exec, exec, s[8:9]
	s_mov_b64 s[8:9], 0
	s_mov_b64 s[44:45], -1
	s_mov_b64 s[88:89], s[8:9]
	s_branch .LBB135_405
.LBB135_392:                            ;   in Loop: Header=BB135_12 Depth=1
	s_mov_b32 s94, s87
	s_cmp_lg_u64 s[94:95], 0
	s_cbranch_scc0 .LBB135_425
; %bb.393:                              ;   in Loop: Header=BB135_12 Depth=1
	v_cvt_f32_u32_e32 v2, s33
	s_sub_u32 s4, 0, s33
	s_subb_u32 s5, 0, 0
	v_mac_f32_e32 v2, 0, v30
	v_rcp_f32_e32 v2, v2
	v_mul_f32_e32 v2, 0x5f7ffffc, v2
	v_mul_f32_e32 v3, 0x2f800000, v2
	v_trunc_f32_e32 v3, v3
	v_mac_f32_e32 v2, 0xcf800000, v3
	v_cvt_u32_f32_e32 v3, v3
	v_cvt_u32_f32_e32 v2, v2
	v_readfirstlane_b32 s8, v3
	v_readfirstlane_b32 s9, v2
	s_mul_i32 s10, s4, s8
	s_mul_hi_u32 s12, s4, s9
	s_mul_i32 s11, s5, s9
	s_add_i32 s10, s12, s10
	s_mul_i32 s13, s4, s9
	s_add_i32 s10, s10, s11
	s_mul_hi_u32 s12, s9, s13
	s_mul_hi_u32 s11, s9, s10
	s_mul_i32 s9, s9, s10
	s_add_u32 s9, s12, s9
	s_addc_u32 s11, 0, s11
	s_mul_hi_u32 s44, s8, s13
	s_mul_i32 s13, s8, s13
	s_add_u32 s9, s9, s13
	s_mul_hi_u32 s12, s8, s10
	s_addc_u32 s9, s11, s44
	s_addc_u32 s11, s12, 0
	s_mul_i32 s10, s8, s10
	s_add_u32 s9, s9, s10
	s_addc_u32 s10, 0, s11
	v_add_co_u32_e32 v2, vcc, s9, v2
	s_cmp_lg_u64 vcc, 0
	s_addc_u32 s8, s8, s10
	v_readfirstlane_b32 s10, v2
	s_mul_i32 s9, s4, s8
	s_mul_hi_u32 s11, s4, s10
	s_add_i32 s9, s11, s9
	s_mul_i32 s5, s5, s10
	s_add_i32 s9, s9, s5
	s_mul_i32 s4, s4, s10
	s_mul_hi_u32 s11, s8, s4
	s_mul_i32 s12, s8, s4
	s_mul_i32 s44, s10, s9
	s_mul_hi_u32 s4, s10, s4
	s_mul_hi_u32 s13, s10, s9
	s_add_u32 s4, s4, s44
	s_addc_u32 s10, 0, s13
	s_add_u32 s4, s4, s12
	s_mul_hi_u32 s5, s8, s9
	s_addc_u32 s4, s10, s11
	s_addc_u32 s5, s5, 0
	s_mul_i32 s9, s8, s9
	s_add_u32 s4, s4, s9
	s_addc_u32 s5, 0, s5
	v_add_co_u32_e32 v2, vcc, s4, v2
	s_cmp_lg_u64 vcc, 0
	s_addc_u32 s4, s8, s5
	v_readlane_b32 s12, v42, 35
	v_readfirstlane_b32 s9, v2
	s_mul_i32 s8, s12, s4
	s_mul_hi_u32 s10, s12, s9
	s_mul_hi_u32 s5, s12, s4
	s_add_u32 s8, s10, s8
	s_addc_u32 s5, 0, s5
	s_mul_hi_u32 s11, s95, s9
	s_mul_i32 s9, s95, s9
	s_add_u32 s8, s8, s9
	s_mul_hi_u32 s10, s95, s4
	s_addc_u32 s5, s5, s11
	s_addc_u32 s8, s10, 0
	s_mul_i32 s4, s95, s4
	s_add_u32 s4, s5, s4
	s_addc_u32 s5, 0, s8
	s_mul_hi_u32 s8, s33, s4
	s_mul_i32 s4, s33, s4
	s_mul_i32 s5, s33, s5
	v_mov_b32_e32 v2, s4
	s_add_i32 s8, s8, s5
	v_sub_co_u32_e32 v2, vcc, s12, v2
	s_cmp_lg_u64 vcc, 0
	s_subb_u32 s4, s95, s8
	v_subrev_co_u32_e32 v3, vcc, s33, v2
	s_cmp_lg_u64 vcc, 0
	s_subb_u32 s5, s4, 0
	v_subrev_co_u32_e32 v6, vcc, s33, v3
	s_cmp_lg_u64 vcc, 0
	s_subb_u32 s8, s5, 0
	v_cmp_le_u32_e32 vcc, s33, v3
	s_cmp_eq_u32 s5, 0
	v_cndmask_b32_e64 v7, 0, -1, vcc
	s_cselect_b64 vcc, -1, 0
	v_cndmask_b32_e32 v7, -1, v7, vcc
	v_mov_b32_e32 v8, s5
	v_mov_b32_e32 v9, s8
	v_cmp_ne_u32_e32 vcc, 0, v7
	v_cndmask_b32_e32 v7, v8, v9, vcc
	v_cndmask_b32_e32 v6, v3, v6, vcc
	v_cmp_le_u32_e32 vcc, s33, v2
	s_cmp_eq_u32 s4, 0
	v_cndmask_b32_e64 v3, 0, -1, vcc
	s_cselect_b64 vcc, -1, 0
	v_cndmask_b32_e32 v3, -1, v3, vcc
	v_mov_b32_e32 v8, s4
	v_cmp_ne_u32_e32 vcc, 0, v3
	v_cndmask_b32_e32 v3, v8, v7, vcc
	v_cndmask_b32_e32 v2, v2, v6, vcc
	s_cbranch_execnz .LBB135_395
.LBB135_394:                            ;   in Loop: Header=BB135_12 Depth=1
	v_cvt_f32_u32_e32 v2, s33
	s_sub_i32 s4, 0, s33
	v_rcp_iflag_f32_e32 v2, v2
	v_mul_f32_e32 v2, 0x4f7ffffe, v2
	v_cvt_u32_f32_e32 v2, v2
	v_mul_lo_u32 v3, s4, v2
	v_mul_hi_u32 v3, v2, v3
	v_add_u32_e32 v2, v2, v3
	v_readlane_b32 s4, v42, 35
	v_mul_hi_u32 v2, s4, v2
	v_mul_lo_u32 v2, v2, s33
	v_sub_u32_e32 v2, s4, v2
	v_subrev_u32_e32 v3, s33, v2
	v_cmp_le_u32_e32 vcc, s33, v2
	v_cndmask_b32_e32 v2, v2, v3, vcc
	v_subrev_u32_e32 v3, s33, v2
	v_cmp_le_u32_e32 vcc, s33, v2
	v_cndmask_b32_e32 v14, v2, v3, vcc
	v_pk_mov_b32 v[2:3], v[14:15], v[14:15] op_sel:[0,1]
.LBB135_395:                            ;   in Loop: Header=BB135_12 Depth=1
	v_readlane_b32 s4, v42, 35
	v_mov_b32_e32 v6, s95
	v_sub_co_u32_e32 v2, vcc, s4, v2
	v_subb_co_u32_e32 v3, vcc, v6, v3, vcc
	v_cmp_gt_u64_e32 vcc, v[2:3], v[0:1]
	s_mov_b64 s[10:11], 0
                                        ; implicit-def: $vgpr33
	s_and_saveexec_b64 s[4:5], vcc
	s_cbranch_execz .LBB135_404
; %bb.396:                              ;   in Loop: Header=BB135_12 Depth=1
	s_mov_b64 s[8:9], 0
	v_pk_mov_b32 v[6:7], v[0:1], v[0:1] op_sel:[0,1]
                                        ; implicit-def: $sgpr10_sgpr11
	s_branch .LBB135_398
.LBB135_397:                            ;   in Loop: Header=BB135_398 Depth=2
	s_or_b64 exec, exec, s[12:13]
	s_waitcnt lgkmcnt(0)
	s_barrier
	s_waitcnt vmcnt(0)
	ds_read_u16 v8, v15 offset:3072
	v_mov_b32_e32 v9, s90
	v_add_co_u32_e32 v6, vcc, s33, v6
	v_addc_co_u32_e32 v7, vcc, v7, v9, vcc
	s_waitcnt lgkmcnt(0)
	v_cmp_ne_u16_sdwa s[12:13], v8, v15 src0_sel:BYTE_0 src1_sel:DWORD
	v_cmp_ge_u64_e32 vcc, v[6:7], v[2:3]
	s_or_b64 s[44:45], vcc, s[12:13]
	s_and_b64 s[44:45], exec, s[44:45]
	s_or_b64 s[8:9], s[44:45], s[8:9]
	s_andn2_b64 s[10:11], s[10:11], exec
	s_and_b64 s[12:13], s[12:13], exec
	s_or_b64 s[10:11], s[10:11], s[12:13]
	s_barrier
	s_andn2_b64 exec, exec, s[8:9]
	s_cbranch_execz .LBB135_403
.LBB135_398:                            ;   Parent Loop BB135_12 Depth=1
                                        ; =>  This Inner Loop Header: Depth=2
	v_cmp_gt_u64_e32 vcc, s[60:61], v[6:7]
	v_mov_b32_e32 v8, 0
	s_and_saveexec_b64 s[12:13], vcc
	s_cbranch_execz .LBB135_400
; %bb.399:                              ;   in Loop: Header=BB135_398 Depth=2
	v_pk_mov_b32 v[8:9], s[56:57], s[56:57] op_sel:[0,1]
	v_mad_u64_u32 v[8:9], s[44:45], v6, s58, v[8:9]
	v_mul_lo_u32 v14, v6, s59
	v_mul_lo_u32 v20, v7, s58
	v_add3_u32 v9, v20, v9, v14
	global_load_ubyte v8, v[8:9], off
.LBB135_400:                            ;   in Loop: Header=BB135_398 Depth=2
	s_or_b64 exec, exec, s[12:13]
	s_and_saveexec_b64 s[12:13], vcc
	s_cbranch_execz .LBB135_397
; %bb.401:                              ;   in Loop: Header=BB135_398 Depth=2
	s_waitcnt vmcnt(0)
	v_add_u32_sdwa v9, sext(v8), s91 dst_sel:DWORD dst_unused:UNUSED_PAD src0_sel:BYTE_0 src1_sel:DWORD
	v_and_b32_e32 v9, v9, v31
	v_cmp_eq_u32_e32 vcc, v9, v32
	s_and_b64 exec, exec, vcc
	s_cbranch_execz .LBB135_397
; %bb.402:                              ;   in Loop: Header=BB135_398 Depth=2
	v_lshlrev_b16_e32 v8, 8, v8
	v_or_b32_e32 v8, 1, v8
	ds_write_b16 v15, v8 offset:3072
	s_branch .LBB135_397
.LBB135_403:                            ;   in Loop: Header=BB135_12 Depth=1
	s_or_b64 exec, exec, s[8:9]
	v_lshrrev_b16_e32 v33, 8, v8
	s_and_b64 s[10:11], s[10:11], exec
.LBB135_404:                            ;   in Loop: Header=BB135_12 Depth=1
	s_or_b64 exec, exec, s[4:5]
	s_mov_b64 s[44:45], 0
	s_mov_b64 s[8:9], -1
	s_mov_b64 s[88:89], 0
.LBB135_405:                            ;   in Loop: Header=BB135_12 Depth=1
	s_orn2_b64 s[10:11], s[10:11], exec
.LBB135_406:                            ;   in Loop: Header=BB135_12 Depth=1
	s_or_b64 exec, exec, s[48:49]
	s_mov_b64 s[4:5], 0
                                        ; implicit-def: $vgpr6
	s_and_saveexec_b64 s[48:49], s[10:11]
	s_cbranch_execz .LBB135_471
; %bb.407:                              ;   in Loop: Header=BB135_12 Depth=1
	v_mov_b32_e32 v2, 1
	s_xor_b64 s[10:11], s[50:51], -1
	s_mov_b64 s[52:53], 0
	v_mov_b32_e32 v3, 0
	v_mov_b32_e32 v6, 1
	s_and_saveexec_b64 s[4:5], s[10:11]
	s_cbranch_execz .LBB135_417
; %bb.408:                              ;   in Loop: Header=BB135_12 Depth=1
	v_cmp_ge_u64_e32 vcc, s[18:19], v[4:5]
                                        ; implicit-def: $sgpr50
                                        ; implicit-def: $sgpr10_sgpr11
	s_and_saveexec_b64 s[12:13], vcc
	s_xor_b64 s[12:13], exec, s[12:13]
	s_cbranch_execz .LBB135_414
; %bb.409:                              ;   in Loop: Header=BB135_12 Depth=1
	ds_read_b64 v[2:3], v15 offset:5120
	s_waitcnt lgkmcnt(0)
	v_cmp_ne_u64_e32 vcc, 0, v[2:3]
	s_cbranch_vccnz .LBB135_413
; %bb.410:                              ;   in Loop: Header=BB135_12 Depth=1
	s_mov_b64 s[10:11], exec
	v_readlane_b32 s50, v42, 12
	v_readlane_b32 s51, v42, 13
	s_and_b64 s[50:51], s[10:11], s[50:51]
	s_mov_b64 exec, s[50:51]
	s_cbranch_execz .LBB135_412
; %bb.411:                              ;   in Loop: Header=BB135_12 Depth=1
	v_pk_mov_b32 v[2:3], s[18:19], s[18:19] op_sel:[0,1]
	ds_write_b64 v15, v[2:3] offset:5128
.LBB135_412:                            ;   in Loop: Header=BB135_12 Depth=1
	s_or_b64 exec, exec, s[10:11]
	s_waitcnt lgkmcnt(0)
	s_barrier
.LBB135_413:                            ;   in Loop: Header=BB135_12 Depth=1
	v_and_b32_e32 v2, s46, v32
	v_lshl_or_b32 v32, 1, s47, v2
	v_or_b32_e32 v31, s86, v31
	s_mov_b64 s[10:11], 0
	s_mov_b32 s50, 5
.LBB135_414:                            ;   in Loop: Header=BB135_12 Depth=1
	s_or_saveexec_b64 s[12:13], s[12:13]
	v_mov_b32_e32 v6, s50
	s_xor_b64 exec, exec, s[12:13]
; %bb.415:                              ;   in Loop: Header=BB135_12 Depth=1
	v_mov_b32_e32 v2, s19
	v_subrev_co_u32_e32 v4, vcc, s18, v4
	v_subb_co_u32_e32 v5, vcc, v5, v2, vcc
	v_mov_b32_e32 v6, 0
	s_or_b64 s[10:11], s[10:11], exec
; %bb.416:                              ;   in Loop: Header=BB135_12 Depth=1
	s_or_b64 exec, exec, s[12:13]
	s_and_b64 s[52:53], s[10:11], exec
	v_pk_mov_b32 v[2:3], v[4:5], v[4:5] op_sel:[0,1]
.LBB135_417:                            ;   in Loop: Header=BB135_12 Depth=1
	s_or_b64 exec, exec, s[4:5]
	s_mov_b64 s[50:51], -1
                                        ; implicit-def: $sgpr4_sgpr5
                                        ; implicit-def: $sgpr10_sgpr11
                                        ; implicit-def: $sgpr12_sgpr13
	s_and_saveexec_b64 s[18:19], s[52:53]
	s_cbranch_execz .LBB135_470
; %bb.418:                              ;   in Loop: Header=BB135_12 Depth=1
	s_cmp_eq_u64 s[16:17], 1
	s_cselect_b64 s[4:5], -1, 0
	v_cmp_eq_u64_e32 vcc, 1, v[2:3]
	s_and_b64 s[50:51], s[4:5], vcc
	s_mov_b64 s[54:55], -1
                                        ; implicit-def: $sgpr4_sgpr5
                                        ; implicit-def: $sgpr10_sgpr11
                                        ; implicit-def: $sgpr12_sgpr13
	s_and_saveexec_b64 s[52:53], s[50:51]
	s_cbranch_execz .LBB135_457
; %bb.419:                              ;   in Loop: Header=BB135_12 Depth=1
	ds_read_b64 v[4:5], v15 offset:5120
	s_waitcnt lgkmcnt(0)
	s_barrier
	v_readfirstlane_b32 s4, v4
	v_readfirstlane_b32 s5, v5
	s_mov_b64 s[10:11], exec
	v_readlane_b32 s12, v42, 30
	v_readlane_b32 s13, v42, 31
	s_and_b64 s[12:13], s[10:11], s[12:13]
	s_mov_b64 exec, s[12:13]
	s_cbranch_execz .LBB135_421
; %bb.420:                              ;   in Loop: Header=BB135_12 Depth=1
	ds_write_b8 v0, v15 offset:3072
.LBB135_421:                            ;   in Loop: Header=BB135_12 Depth=1
	s_or_b64 exec, exec, s[10:11]
	v_and_b32_e32 v32, s46, v32
	v_or_b32_e32 v31, s86, v31
	s_cmp_eq_u64 s[4:5], 0
	s_waitcnt lgkmcnt(0)
	s_barrier
	s_cbranch_scc1 .LBB135_426
; %bb.422:                              ;   in Loop: Header=BB135_12 Depth=1
	v_readlane_b32 s10, v42, 34
	s_add_u32 s47, s10, s4
	v_readlane_b32 s10, v42, 36
	s_addc_u32 s11, s10, s5
	s_mov_b32 s10, s87
	s_cmp_lg_u64 s[10:11], 0
	s_cbranch_scc0 .LBB135_427
; %bb.423:                              ;   in Loop: Header=BB135_12 Depth=1
	v_cvt_f32_u32_e32 v4, s33
	s_sub_u32 s10, 0, s33
	s_subb_u32 s12, 0, 0
	v_mac_f32_e32 v4, 0, v30
	v_rcp_f32_e32 v4, v4
	v_mul_f32_e32 v4, 0x5f7ffffc, v4
	v_mul_f32_e32 v5, 0x2f800000, v4
	v_trunc_f32_e32 v5, v5
	v_mac_f32_e32 v4, 0xcf800000, v5
	v_cvt_u32_f32_e32 v5, v5
	v_cvt_u32_f32_e32 v4, v4
	v_readfirstlane_b32 s13, v5
	v_readfirstlane_b32 s54, v4
	s_mul_i32 s55, s10, s13
	s_mul_hi_u32 s73, s10, s54
	s_mul_i32 s72, s12, s54
	s_add_i32 s55, s73, s55
	s_mul_i32 s92, s10, s54
	s_add_i32 s55, s55, s72
	s_mul_hi_u32 s73, s54, s92
	s_mul_hi_u32 s72, s54, s55
	s_mul_i32 s54, s54, s55
	s_add_u32 s54, s73, s54
	s_addc_u32 s72, 0, s72
	s_mul_hi_u32 s93, s13, s92
	s_mul_i32 s92, s13, s92
	s_add_u32 s54, s54, s92
	s_mul_hi_u32 s73, s13, s55
	s_addc_u32 s54, s72, s93
	s_addc_u32 s72, s73, 0
	s_mul_i32 s55, s13, s55
	s_add_u32 s54, s54, s55
	s_addc_u32 s55, 0, s72
	v_add_co_u32_e32 v4, vcc, s54, v4
	s_cmp_lg_u64 vcc, 0
	s_addc_u32 s13, s13, s55
	v_readfirstlane_b32 s55, v4
	s_mul_i32 s54, s10, s13
	s_mul_hi_u32 s72, s10, s55
	s_add_i32 s54, s72, s54
	s_mul_i32 s12, s12, s55
	s_add_i32 s54, s54, s12
	s_mul_i32 s10, s10, s55
	s_mul_hi_u32 s72, s13, s10
	s_mul_i32 s73, s13, s10
	s_mul_i32 s93, s55, s54
	s_mul_hi_u32 s10, s55, s10
	s_mul_hi_u32 s92, s55, s54
	s_add_u32 s10, s10, s93
	s_addc_u32 s55, 0, s92
	s_add_u32 s10, s10, s73
	s_mul_hi_u32 s12, s13, s54
	s_addc_u32 s10, s55, s72
	s_addc_u32 s12, s12, 0
	s_mul_i32 s54, s13, s54
	s_add_u32 s10, s10, s54
	s_addc_u32 s12, 0, s12
	v_add_co_u32_e32 v4, vcc, s10, v4
	s_cmp_lg_u64 vcc, 0
	s_addc_u32 s10, s13, s12
	v_readfirstlane_b32 s54, v4
	s_mul_i32 s13, s47, s10
	s_mul_hi_u32 s55, s47, s54
	s_mul_hi_u32 s12, s47, s10
	s_add_u32 s13, s55, s13
	s_addc_u32 s12, 0, s12
	s_mul_hi_u32 s72, s11, s54
	s_mul_i32 s54, s11, s54
	s_add_u32 s13, s13, s54
	s_mul_hi_u32 s55, s11, s10
	s_addc_u32 s12, s12, s72
	s_addc_u32 s13, s55, 0
	s_mul_i32 s10, s11, s10
	s_add_u32 s10, s12, s10
	s_addc_u32 s12, 0, s13
	s_mul_hi_u32 s13, s33, s10
	s_mul_i32 s10, s33, s10
	s_mul_i32 s12, s33, s12
	v_mov_b32_e32 v4, s10
	s_add_i32 s13, s13, s12
	v_sub_co_u32_e32 v4, vcc, s47, v4
	s_cmp_lg_u64 vcc, 0
	s_subb_u32 s10, s11, s13
	v_subrev_co_u32_e32 v5, vcc, s33, v4
	s_cmp_lg_u64 vcc, 0
	s_subb_u32 s12, s10, 0
	v_subrev_co_u32_e32 v6, vcc, s33, v5
	s_cmp_lg_u64 vcc, 0
	s_subb_u32 s13, s12, 0
	v_cmp_le_u32_e32 vcc, s33, v5
	s_cmp_eq_u32 s12, 0
	v_cndmask_b32_e64 v7, 0, -1, vcc
	s_cselect_b64 vcc, -1, 0
	v_cndmask_b32_e32 v7, -1, v7, vcc
	v_mov_b32_e32 v8, s12
	v_mov_b32_e32 v9, s13
	v_cmp_ne_u32_e32 vcc, 0, v7
	v_cndmask_b32_e32 v7, v8, v9, vcc
	v_cndmask_b32_e32 v6, v5, v6, vcc
	v_cmp_le_u32_e32 vcc, s33, v4
	s_cmp_eq_u32 s10, 0
	v_cndmask_b32_e64 v5, 0, -1, vcc
	s_cselect_b64 vcc, -1, 0
	v_cndmask_b32_e32 v5, -1, v5, vcc
	v_mov_b32_e32 v8, s10
	v_cmp_ne_u32_e32 vcc, 0, v5
	v_cndmask_b32_e32 v5, v8, v7, vcc
	v_cndmask_b32_e32 v4, v4, v6, vcc
	s_mov_b64 s[12:13], 0
	s_branch .LBB135_428
.LBB135_424:                            ;   in Loop: Header=BB135_12 Depth=1
                                        ; implicit-def: $vgpr2_vgpr3
	s_branch .LBB135_378
.LBB135_425:                            ;   in Loop: Header=BB135_12 Depth=1
                                        ; implicit-def: $vgpr2_vgpr3
	s_branch .LBB135_394
.LBB135_426:                            ;   in Loop: Header=BB135_12 Depth=1
	s_mov_b64 s[4:5], -1
	s_mov_b64 s[54:55], 0
                                        ; implicit-def: $sgpr10_sgpr11
                                        ; implicit-def: $vgpr33
	s_branch .LBB135_440
.LBB135_427:                            ;   in Loop: Header=BB135_12 Depth=1
	s_mov_b64 s[12:13], -1
                                        ; implicit-def: $vgpr4_vgpr5
.LBB135_428:                            ;   in Loop: Header=BB135_12 Depth=1
	s_andn2_b64 vcc, exec, s[12:13]
	s_cbranch_vccnz .LBB135_430
; %bb.429:                              ;   in Loop: Header=BB135_12 Depth=1
	v_cvt_f32_u32_e32 v4, s33
	s_sub_i32 s10, 0, s33
	v_rcp_iflag_f32_e32 v4, v4
	v_mul_f32_e32 v4, 0x4f7ffffe, v4
	v_cvt_u32_f32_e32 v4, v4
	v_mul_lo_u32 v5, s10, v4
	v_mul_hi_u32 v5, v4, v5
	v_add_u32_e32 v4, v4, v5
	v_mul_hi_u32 v4, s47, v4
	v_mul_lo_u32 v4, v4, s33
	v_sub_u32_e32 v4, s47, v4
	v_subrev_u32_e32 v5, s33, v4
	v_cmp_le_u32_e32 vcc, s33, v4
	v_cndmask_b32_e32 v4, v4, v5, vcc
	v_subrev_u32_e32 v5, s33, v4
	v_cmp_le_u32_e32 vcc, s33, v4
	v_cndmask_b32_e32 v14, v4, v5, vcc
	v_pk_mov_b32 v[4:5], v[14:15], v[14:15] op_sel:[0,1]
.LBB135_430:                            ;   in Loop: Header=BB135_12 Depth=1
	v_mov_b32_e32 v6, s11
	v_sub_co_u32_e32 v4, vcc, s47, v4
	v_subb_co_u32_e32 v5, vcc, v6, v5, vcc
	v_cmp_gt_u64_e32 vcc, v[4:5], v[0:1]
	s_mov_b64 s[54:55], 0
                                        ; implicit-def: $vgpr33
	s_and_saveexec_b64 s[10:11], vcc
	s_cbranch_execz .LBB135_439
; %bb.431:                              ;   in Loop: Header=BB135_12 Depth=1
	s_mov_b64 s[12:13], 0
	v_mov_b32_e32 v8, v0
	v_pk_mov_b32 v[6:7], v[0:1], v[0:1] op_sel:[0,1]
                                        ; implicit-def: $sgpr54_sgpr55
	s_branch .LBB135_433
.LBB135_432:                            ;   in Loop: Header=BB135_433 Depth=2
	s_or_b64 exec, exec, s[72:73]
	s_waitcnt lgkmcnt(0)
	s_barrier
	ds_read_u16 v9, v15 offset:3072
	v_mov_b32_e32 v14, s90
	v_add_co_u32_e32 v6, vcc, s33, v6
	v_addc_co_u32_e32 v7, vcc, v7, v14, vcc
	s_waitcnt lgkmcnt(0)
	v_cmp_ne_u16_sdwa s[72:73], v9, v15 src0_sel:BYTE_0 src1_sel:DWORD
	v_cmp_ge_u64_e32 vcc, v[6:7], v[4:5]
	s_or_b64 s[92:93], vcc, s[72:73]
	s_and_b64 s[92:93], exec, s[92:93]
	s_or_b64 s[12:13], s[92:93], s[12:13]
	s_andn2_b64 s[54:55], s[54:55], exec
	s_and_b64 s[72:73], s[72:73], exec
	v_add_u32_e32 v8, s33, v8
	s_or_b64 s[54:55], s[54:55], s[72:73]
	s_barrier
	s_andn2_b64 exec, exec, s[12:13]
	s_cbranch_execz .LBB135_438
.LBB135_433:                            ;   Parent Loop BB135_12 Depth=1
                                        ; =>  This Inner Loop Header: Depth=2
	v_cmp_gt_u64_e32 vcc, s[4:5], v[6:7]
	v_mov_b32_e32 v9, 0
	s_and_saveexec_b64 s[72:73], vcc
	s_cbranch_execz .LBB135_435
; %bb.434:                              ;   in Loop: Header=BB135_433 Depth=2
	ds_read_u8 v9, v8
.LBB135_435:                            ;   in Loop: Header=BB135_433 Depth=2
	s_or_b64 exec, exec, s[72:73]
	s_and_saveexec_b64 s[72:73], vcc
	s_cbranch_execz .LBB135_432
; %bb.436:                              ;   in Loop: Header=BB135_433 Depth=2
	s_waitcnt lgkmcnt(0)
	v_add_u32_sdwa v14, sext(v9), s91 dst_sel:DWORD dst_unused:UNUSED_PAD src0_sel:BYTE_0 src1_sel:DWORD
	v_and_b32_e32 v14, v14, v31
	v_cmp_eq_u32_e32 vcc, v14, v32
	s_and_b64 exec, exec, vcc
	s_cbranch_execz .LBB135_432
; %bb.437:                              ;   in Loop: Header=BB135_433 Depth=2
	v_lshlrev_b16_e32 v9, 8, v9
	v_or_b32_e32 v9, 1, v9
	ds_write_b16 v15, v9 offset:3072
	s_branch .LBB135_432
.LBB135_438:                            ;   in Loop: Header=BB135_12 Depth=1
	s_or_b64 exec, exec, s[12:13]
	v_lshrrev_b16_e32 v33, 8, v9
	s_and_b64 s[54:55], s[54:55], exec
.LBB135_439:                            ;   in Loop: Header=BB135_12 Depth=1
	s_or_b64 exec, exec, s[10:11]
	s_mov_b64 s[4:5], 0
	s_mov_b64 s[10:11], -1
.LBB135_440:                            ;   in Loop: Header=BB135_12 Depth=1
	s_and_b64 vcc, exec, s[4:5]
	s_mov_b64 s[12:13], s[4:5]
	s_cbranch_vccz .LBB135_456
; %bb.441:                              ;   in Loop: Header=BB135_12 Depth=1
	s_mov_b32 s94, s87
	s_cmp_lg_u64 s[94:95], 0
	s_cbranch_scc0 .LBB135_443
; %bb.442:                              ;   in Loop: Header=BB135_12 Depth=1
	v_cvt_f32_u32_e32 v4, s33
	s_sub_u32 s4, 0, s33
	s_subb_u32 s5, 0, 0
	v_mac_f32_e32 v4, 0, v30
	v_rcp_f32_e32 v4, v4
	v_mul_f32_e32 v4, 0x5f7ffffc, v4
	v_mul_f32_e32 v5, 0x2f800000, v4
	v_trunc_f32_e32 v5, v5
	v_mac_f32_e32 v4, 0xcf800000, v5
	v_cvt_u32_f32_e32 v5, v5
	v_cvt_u32_f32_e32 v4, v4
	v_readfirstlane_b32 s10, v5
	v_readfirstlane_b32 s11, v4
	s_mul_i32 s12, s4, s10
	s_mul_hi_u32 s47, s4, s11
	s_mul_i32 s13, s5, s11
	s_add_i32 s12, s47, s12
	s_mul_i32 s54, s4, s11
	s_add_i32 s12, s12, s13
	s_mul_hi_u32 s47, s11, s54
	s_mul_hi_u32 s13, s11, s12
	s_mul_i32 s11, s11, s12
	s_add_u32 s11, s47, s11
	s_addc_u32 s13, 0, s13
	s_mul_hi_u32 s55, s10, s54
	s_mul_i32 s54, s10, s54
	s_add_u32 s11, s11, s54
	s_mul_hi_u32 s47, s10, s12
	s_addc_u32 s11, s13, s55
	s_addc_u32 s13, s47, 0
	s_mul_i32 s12, s10, s12
	s_add_u32 s11, s11, s12
	s_addc_u32 s12, 0, s13
	v_add_co_u32_e32 v4, vcc, s11, v4
	s_cmp_lg_u64 vcc, 0
	s_addc_u32 s10, s10, s12
	v_readfirstlane_b32 s12, v4
	s_mul_i32 s11, s4, s10
	s_mul_hi_u32 s13, s4, s12
	s_add_i32 s11, s13, s11
	s_mul_i32 s5, s5, s12
	s_add_i32 s11, s11, s5
	s_mul_i32 s4, s4, s12
	s_mul_hi_u32 s13, s10, s4
	s_mul_i32 s47, s10, s4
	s_mul_i32 s55, s12, s11
	s_mul_hi_u32 s4, s12, s4
	s_mul_hi_u32 s54, s12, s11
	s_add_u32 s4, s4, s55
	s_addc_u32 s12, 0, s54
	s_add_u32 s4, s4, s47
	s_mul_hi_u32 s5, s10, s11
	s_addc_u32 s4, s12, s13
	s_addc_u32 s5, s5, 0
	s_mul_i32 s11, s10, s11
	s_add_u32 s4, s4, s11
	s_addc_u32 s5, 0, s5
	v_add_co_u32_e32 v4, vcc, s4, v4
	s_cmp_lg_u64 vcc, 0
	s_addc_u32 s4, s10, s5
	v_readlane_b32 s47, v42, 35
	v_readfirstlane_b32 s11, v4
	s_mul_i32 s10, s47, s4
	s_mul_hi_u32 s12, s47, s11
	s_mul_hi_u32 s5, s47, s4
	s_add_u32 s10, s12, s10
	s_addc_u32 s5, 0, s5
	s_mul_hi_u32 s13, s95, s11
	s_mul_i32 s11, s95, s11
	s_add_u32 s10, s10, s11
	s_mul_hi_u32 s12, s95, s4
	s_addc_u32 s5, s5, s13
	s_addc_u32 s10, s12, 0
	s_mul_i32 s4, s95, s4
	s_add_u32 s4, s5, s4
	s_addc_u32 s5, 0, s10
	s_mul_hi_u32 s10, s33, s4
	s_mul_i32 s4, s33, s4
	s_mul_i32 s5, s33, s5
	v_mov_b32_e32 v4, s4
	s_add_i32 s10, s10, s5
	v_sub_co_u32_e32 v4, vcc, s47, v4
	s_cmp_lg_u64 vcc, 0
	s_subb_u32 s4, s95, s10
	v_subrev_co_u32_e32 v5, vcc, s33, v4
	s_cmp_lg_u64 vcc, 0
	s_subb_u32 s5, s4, 0
	v_subrev_co_u32_e32 v6, vcc, s33, v5
	s_cmp_lg_u64 vcc, 0
	s_subb_u32 s10, s5, 0
	v_cmp_le_u32_e32 vcc, s33, v5
	s_cmp_eq_u32 s5, 0
	v_cndmask_b32_e64 v7, 0, -1, vcc
	s_cselect_b64 vcc, -1, 0
	v_cndmask_b32_e32 v7, -1, v7, vcc
	v_mov_b32_e32 v8, s5
	v_mov_b32_e32 v9, s10
	v_cmp_ne_u32_e32 vcc, 0, v7
	v_cndmask_b32_e32 v7, v8, v9, vcc
	v_cndmask_b32_e32 v6, v5, v6, vcc
	v_cmp_le_u32_e32 vcc, s33, v4
	s_cmp_eq_u32 s4, 0
	v_cndmask_b32_e64 v5, 0, -1, vcc
	s_cselect_b64 vcc, -1, 0
	v_cndmask_b32_e32 v5, -1, v5, vcc
	v_mov_b32_e32 v8, s4
	v_cmp_ne_u32_e32 vcc, 0, v5
	v_cndmask_b32_e32 v5, v8, v7, vcc
	v_cndmask_b32_e32 v4, v4, v6, vcc
	s_mov_b64 s[4:5], 0
	s_branch .LBB135_444
.LBB135_443:                            ;   in Loop: Header=BB135_12 Depth=1
	s_mov_b64 s[4:5], -1
                                        ; implicit-def: $vgpr4_vgpr5
.LBB135_444:                            ;   in Loop: Header=BB135_12 Depth=1
	s_andn2_b64 vcc, exec, s[4:5]
	s_cbranch_vccnz .LBB135_446
; %bb.445:                              ;   in Loop: Header=BB135_12 Depth=1
	v_cvt_f32_u32_e32 v4, s33
	s_sub_i32 s4, 0, s33
	v_rcp_iflag_f32_e32 v4, v4
	v_mul_f32_e32 v4, 0x4f7ffffe, v4
	v_cvt_u32_f32_e32 v4, v4
	v_mul_lo_u32 v5, s4, v4
	v_mul_hi_u32 v5, v4, v5
	v_add_u32_e32 v4, v4, v5
	v_readlane_b32 s4, v42, 35
	v_mul_hi_u32 v4, s4, v4
	v_mul_lo_u32 v4, v4, s33
	v_sub_u32_e32 v4, s4, v4
	v_subrev_u32_e32 v5, s33, v4
	v_cmp_le_u32_e32 vcc, s33, v4
	v_cndmask_b32_e32 v4, v4, v5, vcc
	v_subrev_u32_e32 v5, s33, v4
	v_cmp_le_u32_e32 vcc, s33, v4
	v_cndmask_b32_e32 v14, v4, v5, vcc
	v_pk_mov_b32 v[4:5], v[14:15], v[14:15] op_sel:[0,1]
.LBB135_446:                            ;   in Loop: Header=BB135_12 Depth=1
	v_readlane_b32 s4, v42, 35
	v_mov_b32_e32 v6, s95
	v_sub_co_u32_e32 v4, vcc, s4, v4
	v_subb_co_u32_e32 v5, vcc, v6, v5, vcc
	v_cmp_gt_u64_e32 vcc, v[4:5], v[0:1]
	s_mov_b64 s[54:55], 0
                                        ; implicit-def: $vgpr33
	s_and_saveexec_b64 s[4:5], vcc
	s_cbranch_execz .LBB135_455
; %bb.447:                              ;   in Loop: Header=BB135_12 Depth=1
	s_mov_b64 s[10:11], 0
	v_pk_mov_b32 v[6:7], v[0:1], v[0:1] op_sel:[0,1]
                                        ; implicit-def: $sgpr12_sgpr13
	s_branch .LBB135_449
.LBB135_448:                            ;   in Loop: Header=BB135_449 Depth=2
	s_or_b64 exec, exec, s[54:55]
	s_waitcnt lgkmcnt(0)
	s_barrier
	s_waitcnt vmcnt(0)
	ds_read_u16 v8, v15 offset:3072
	v_mov_b32_e32 v9, s90
	v_add_co_u32_e32 v6, vcc, s33, v6
	v_addc_co_u32_e32 v7, vcc, v7, v9, vcc
	s_waitcnt lgkmcnt(0)
	v_cmp_ne_u16_sdwa s[54:55], v8, v15 src0_sel:BYTE_0 src1_sel:DWORD
	v_cmp_ge_u64_e32 vcc, v[6:7], v[4:5]
	s_or_b64 s[72:73], vcc, s[54:55]
	s_and_b64 s[72:73], exec, s[72:73]
	s_or_b64 s[10:11], s[72:73], s[10:11]
	s_andn2_b64 s[12:13], s[12:13], exec
	s_and_b64 s[54:55], s[54:55], exec
	s_or_b64 s[12:13], s[12:13], s[54:55]
	s_barrier
	s_andn2_b64 exec, exec, s[10:11]
	s_cbranch_execz .LBB135_454
.LBB135_449:                            ;   Parent Loop BB135_12 Depth=1
                                        ; =>  This Inner Loop Header: Depth=2
	v_cmp_gt_u64_e32 vcc, s[60:61], v[6:7]
	v_mov_b32_e32 v8, 0
	s_and_saveexec_b64 s[54:55], vcc
	s_cbranch_execz .LBB135_451
; %bb.450:                              ;   in Loop: Header=BB135_449 Depth=2
	v_pk_mov_b32 v[8:9], s[56:57], s[56:57] op_sel:[0,1]
	v_mad_u64_u32 v[8:9], s[72:73], v6, s58, v[8:9]
	v_mul_lo_u32 v14, v6, s59
	v_mul_lo_u32 v20, v7, s58
	v_add3_u32 v9, v20, v9, v14
	global_load_ubyte v8, v[8:9], off
.LBB135_451:                            ;   in Loop: Header=BB135_449 Depth=2
	s_or_b64 exec, exec, s[54:55]
	s_and_saveexec_b64 s[54:55], vcc
	s_cbranch_execz .LBB135_448
; %bb.452:                              ;   in Loop: Header=BB135_449 Depth=2
	s_waitcnt vmcnt(0)
	v_add_u32_sdwa v9, sext(v8), s91 dst_sel:DWORD dst_unused:UNUSED_PAD src0_sel:BYTE_0 src1_sel:DWORD
	v_and_b32_e32 v9, v9, v31
	v_cmp_eq_u32_e32 vcc, v9, v32
	s_and_b64 exec, exec, vcc
	s_cbranch_execz .LBB135_448
; %bb.453:                              ;   in Loop: Header=BB135_449 Depth=2
	v_lshlrev_b16_e32 v8, 8, v8
	v_or_b32_e32 v8, 1, v8
	ds_write_b16 v15, v8 offset:3072
	s_branch .LBB135_448
.LBB135_454:                            ;   in Loop: Header=BB135_12 Depth=1
	s_or_b64 exec, exec, s[10:11]
	v_lshrrev_b16_e32 v33, 8, v8
	s_and_b64 s[54:55], s[12:13], exec
.LBB135_455:                            ;   in Loop: Header=BB135_12 Depth=1
	s_or_b64 exec, exec, s[4:5]
	s_mov_b64 s[10:11], 0
	s_mov_b64 s[4:5], -1
	s_mov_b64 s[12:13], 0
.LBB135_456:                            ;   in Loop: Header=BB135_12 Depth=1
	s_orn2_b64 s[54:55], s[54:55], exec
.LBB135_457:                            ;   in Loop: Header=BB135_12 Depth=1
	s_or_b64 exec, exec, s[52:53]
	s_mov_b64 s[72:73], 0
                                        ; implicit-def: $vgpr6
                                        ; implicit-def: $vgpr4_vgpr5
	s_and_saveexec_b64 s[52:53], s[54:55]
	s_cbranch_execz .LBB135_469
; %bb.458:                              ;   in Loop: Header=BB135_12 Depth=1
	v_mov_b32_e32 v4, 1
	s_xor_b64 s[54:55], s[50:51], -1
	v_mov_b32_e32 v6, 1
	v_mov_b32_e32 v5, 0
	s_and_saveexec_b64 s[50:51], s[54:55]
	s_cbranch_execz .LBB135_468
; %bb.459:                              ;   in Loop: Header=BB135_12 Depth=1
	v_cmp_ge_u64_e32 vcc, s[16:17], v[2:3]
                                        ; implicit-def: $sgpr47
	s_and_saveexec_b64 s[54:55], vcc
	s_xor_b64 s[54:55], exec, s[54:55]
	s_cbranch_execz .LBB135_465
; %bb.460:                              ;   in Loop: Header=BB135_12 Depth=1
	ds_read_b64 v[4:5], v15 offset:5120
	s_waitcnt lgkmcnt(0)
	v_cmp_ne_u64_e32 vcc, 0, v[4:5]
	s_cbranch_vccnz .LBB135_464
; %bb.461:                              ;   in Loop: Header=BB135_12 Depth=1
	s_mov_b64 s[72:73], exec
	v_readlane_b32 s92, v42, 12
	v_readlane_b32 s93, v42, 13
	s_and_b64 s[92:93], s[72:73], s[92:93]
	s_mov_b64 exec, s[92:93]
	s_cbranch_execz .LBB135_463
; %bb.462:                              ;   in Loop: Header=BB135_12 Depth=1
	v_pk_mov_b32 v[4:5], s[16:17], s[16:17] op_sel:[0,1]
	ds_write_b64 v15, v[4:5] offset:5128
.LBB135_463:                            ;   in Loop: Header=BB135_12 Depth=1
	s_or_b64 exec, exec, s[72:73]
	s_waitcnt lgkmcnt(0)
	s_barrier
.LBB135_464:                            ;   in Loop: Header=BB135_12 Depth=1
	v_and_b32_e32 v32, s46, v32
	v_or_b32_e32 v31, s86, v31
	s_mov_b32 s47, 5
.LBB135_465:                            ;   in Loop: Header=BB135_12 Depth=1
	s_or_saveexec_b64 s[54:55], s[54:55]
	v_mov_b32_e32 v6, s47
	s_xor_b64 exec, exec, s[54:55]
; %bb.466:                              ;   in Loop: Header=BB135_12 Depth=1
	v_mov_b32_e32 v4, s17
	v_subrev_co_u32_e32 v2, vcc, s16, v2
	v_subb_co_u32_e32 v3, vcc, v3, v4, vcc
	v_mov_b32_e32 v6, 5
; %bb.467:                              ;   in Loop: Header=BB135_12 Depth=1
	s_or_b64 exec, exec, s[54:55]
	v_pk_mov_b32 v[4:5], v[2:3], v[2:3] op_sel:[0,1]
.LBB135_468:                            ;   in Loop: Header=BB135_12 Depth=1
	s_or_b64 exec, exec, s[50:51]
	s_mov_b64 s[72:73], exec
.LBB135_469:                            ;   in Loop: Header=BB135_12 Depth=1
	s_or_b64 exec, exec, s[52:53]
	s_orn2_b64 s[50:51], s[72:73], exec
	v_pk_mov_b32 v[2:3], v[4:5], v[4:5] op_sel:[0,1]
.LBB135_470:                            ;   in Loop: Header=BB135_12 Depth=1
	s_or_b64 exec, exec, s[18:19]
	s_andn2_b64 s[8:9], s[8:9], exec
	s_and_b64 s[4:5], s[4:5], exec
	s_or_b64 s[8:9], s[8:9], s[4:5]
	s_andn2_b64 s[4:5], s[44:45], exec
	s_and_b64 s[10:11], s[10:11], exec
	s_or_b64 s[44:45], s[4:5], s[10:11]
	;; [unrolled: 3-line block ×3, first 2 shown]
	s_and_b64 s[4:5], s[50:51], exec
	v_pk_mov_b32 v[4:5], v[2:3], v[2:3] op_sel:[0,1]
.LBB135_471:                            ;   in Loop: Header=BB135_12 Depth=1
	s_or_b64 exec, exec, s[48:49]
	s_and_b64 s[12:13], s[8:9], exec
	s_and_b64 s[10:11], s[44:45], exec
	;; [unrolled: 1-line block ×3, first 2 shown]
	s_orn2_b64 s[4:5], s[4:5], exec
.LBB135_472:                            ;   in Loop: Header=BB135_12 Depth=1
	s_or_b64 exec, exec, s[22:23]
	s_andn2_b64 s[16:17], s[24:25], exec
	s_and_b64 s[12:13], s[12:13], exec
	s_or_b64 s[24:25], s[16:17], s[12:13]
	s_andn2_b64 s[12:13], s[36:37], exec
	s_and_b64 s[10:11], s[10:11], exec
	s_or_b64 s[36:37], s[12:13], s[10:11]
	;; [unrolled: 3-line block ×3, first 2 shown]
	s_and_b64 s[12:13], s[4:5], exec
	v_pk_mov_b32 v[2:3], v[4:5], v[4:5] op_sel:[0,1]
.LBB135_473:                            ;   in Loop: Header=BB135_12 Depth=1
	s_or_b64 exec, exec, s[42:43]
	s_and_b64 s[10:11], s[24:25], exec
	s_and_b64 s[8:9], s[36:37], exec
	;; [unrolled: 1-line block ×3, first 2 shown]
	s_orn2_b64 s[24:25], s[12:13], exec
.LBB135_474:                            ;   in Loop: Header=BB135_12 Depth=1
	s_or_b64 exec, exec, s[6:7]
	s_mov_b64 s[6:7], s[28:29]
	s_mov_b64 s[12:13], s[26:27]
	s_and_saveexec_b64 s[16:17], s[24:25]
; %bb.475:                              ;   in Loop: Header=BB135_12 Depth=1
	v_cmp_ne_u32_e64 s[6:7], 5, v6
	v_cmp_eq_u32_e32 vcc, 5, v6
	s_andn2_b64 s[12:13], s[26:27], exec
	s_and_b64 s[6:7], s[6:7], exec
	s_or_b64 s[12:13], s[12:13], s[6:7]
	s_andn2_b64 s[6:7], s[28:29], exec
	s_and_b64 s[18:19], vcc, exec
	s_andn2_b64 s[10:11], s[10:11], exec
	s_andn2_b64 s[8:9], s[8:9], exec
	;; [unrolled: 1-line block ×3, first 2 shown]
	s_or_b64 s[6:7], s[6:7], s[18:19]
; %bb.476:                              ;   in Loop: Header=BB135_12 Depth=1
	s_or_b64 exec, exec, s[16:17]
	s_andn2_b64 s[14:15], s[14:15], exec
	s_and_b64 s[10:11], s[10:11], exec
	s_or_b64 s[14:15], s[14:15], s[10:11]
	s_andn2_b64 s[10:11], s[38:39], exec
	s_and_b64 s[8:9], s[8:9], exec
	s_or_b64 s[38:39], s[10:11], s[8:9]
	;; [unrolled: 3-line block ×5, first 2 shown]
	v_mov_b32_e32 v8, v32
	v_mov_b32_e32 v9, v31
	;; [unrolled: 1-line block ×3, first 2 shown]
.LBB135_477:                            ;   in Loop: Header=BB135_12 Depth=1
	s_or_b64 exec, exec, s[34:35]
	s_mov_b64 s[36:37], s[20:21]
	s_mov_b64 s[34:35], s[20:21]
	s_and_saveexec_b64 s[4:5], s[28:29]
.LBB135_478:                            ;   in Loop: Header=BB135_12 Depth=1
	v_mov_b32_e32 v6, 0
	s_andn2_b64 s[20:21], s[20:21], exec
	s_andn2_b64 s[14:15], s[14:15], exec
	;; [unrolled: 1-line block ×5, first 2 shown]
	s_or_b64 s[26:27], s[26:27], exec
.LBB135_479:                            ;   in Loop: Header=BB135_12 Depth=1
	s_or_b64 exec, exec, s[4:5]
	s_andn2_b64 s[4:5], s[30:31], exec
	s_and_b64 s[8:9], s[20:21], exec
	s_or_b64 s[30:31], s[4:5], s[8:9]
	s_andn2_b64 s[4:5], s[64:65], exec
	s_and_b64 s[8:9], s[14:15], exec
	s_or_b64 s[64:65], s[4:5], s[8:9]
	;; [unrolled: 3-line block ×4, first 2 shown]
	s_andn2_b64 s[2:3], s[2:3], exec
	s_and_b64 s[4:5], s[34:35], exec
	s_mov_b64 s[6:7], -1
	s_or_b64 s[2:3], s[2:3], s[4:5]
                                        ; implicit-def: $vgpr31
                                        ; implicit-def: $vgpr32
                                        ; implicit-def: $vgpr20_vgpr21
                                        ; implicit-def: $vgpr33
	s_and_saveexec_b64 s[4:5], s[26:27]
	s_xor_b64 s[4:5], exec, s[4:5]
	s_cbranch_execz .LBB135_11
; %bb.480:                              ;   in Loop: Header=BB135_12 Depth=1
	v_cmp_eq_u32_e32 vcc, 0, v6
	s_mov_b64 s[8:9], -1
	s_and_saveexec_b64 s[10:11], vcc
	s_cbranch_execz .LBB135_10
; %bb.481:                              ;   in Loop: Header=BB135_12 Depth=1
	v_readlane_b32 s6, v42, 50
	s_xor_b32 s6, s6, 1
	s_add_i32 s12, s83, -2
	s_cmp_eq_u32 s83, 0
	v_writelane_b32 v42, s6, 50
	s_cselect_b64 s[6:7], -1, 0
	s_xor_b64 s[8:9], exec, -1
	s_orn2_b64 s[6:7], s[6:7], exec
	s_mov_b32 s83, s12
	s_branch .LBB135_10
.LBB135_482:
	s_or_b64 exec, exec, s[66:67]
	s_xor_b64 s[4:5], s[76:77], -1
	s_xor_b64 s[14:15], s[74:75], -1
	;; [unrolled: 1-line block ×5, first 2 shown]
	s_mov_b64 s[8:9], 0
	s_and_saveexec_b64 s[10:11], s[6:7]
	s_xor_b64 s[6:7], exec, s[10:11]
	s_cbranch_execnz .LBB135_487
; %bb.483:
	s_andn2_saveexec_b64 s[0:1], s[6:7]
	s_cbranch_execnz .LBB135_506
.LBB135_484:
	s_or_b64 exec, exec, s[0:1]
	s_and_saveexec_b64 s[0:1], s[8:9]
.LBB135_485:
	; divergent unreachable
.LBB135_486:
	s_endpgm
.LBB135_487:
	s_mov_b64 s[10:11], 0
	s_and_saveexec_b64 s[8:9], s[12:13]
	s_xor_b64 s[8:9], exec, s[8:9]
	s_cbranch_execz .LBB135_504
; %bb.488:
	s_mov_b64 s[12:13], 0
	s_and_saveexec_b64 s[10:11], s[14:15]
	s_xor_b64 s[10:11], exec, s[10:11]
	s_cbranch_execz .LBB135_502
; %bb.489:
	;; [unrolled: 5-line block ×3, first 2 shown]
	s_and_saveexec_b64 s[4:5], s[2:3]
	s_xor_b64 s[2:3], exec, s[4:5]
; %bb.491:
	v_xor_b32_e32 v22, 0xffffff80, v8
; %bb.492:
	s_or_b64 exec, exec, s[2:3]
	s_mov_b64 s[2:3], exec
	v_readlane_b32 s4, v42, 12
	v_readlane_b32 s5, v42, 13
	;; [unrolled: 1-line block ×4, first 2 shown]
	s_and_b64 s[4:5], s[2:3], s[4:5]
	v_readlane_b32 s41, v42, 21
	v_readlane_b32 s23, v42, 45
	v_readlane_b32 s20, v42, 14
	v_readlane_b32 s21, v42, 15
	s_mov_b64 exec, s[4:5]
	s_cbranch_execz .LBB135_494
; %bb.493:
	v_mov_b32_e32 v2, 0
	v_mov_b32_e32 v3, v2
	ds_write_b64 v2, v[2:3] offset:5136
.LBB135_494:
	s_or_b64 exec, exec, s[2:3]
	v_mov_b32_e32 v16, 0
	s_waitcnt lgkmcnt(0)
	s_barrier
	s_mov_b64 s[2:3], exec
	v_readlane_b32 s4, v42, 28
	v_readlane_b32 s5, v42, 29
	s_and_b64 s[4:5], s[2:3], s[4:5]
	s_mov_b64 exec, s[4:5]
	s_cbranch_execz .LBB135_496
; %bb.495:
	global_load_ubyte v16, v[12:13], off
.LBB135_496:
	s_or_b64 exec, exec, s[2:3]
	s_add_u32 s2, s60, 63
	s_addc_u32 s15, s61, 0
	s_and_b32 s14, s2, 0xffffffc0
	v_readlane_b32 s4, v42, 2
	v_readlane_b32 s2, v42, 0
	;; [unrolled: 1-line block ×4, first 2 shown]
	s_mov_b32 s24, s2
	s_mul_i32 s2, s2, s5
	s_mul_hi_u32 s3, s24, s4
	s_add_i32 s3, s3, s2
	s_mul_i32 s2, s24, s4
	v_readlane_b32 s28, v42, 16
	s_sub_u32 s2, s20, s2
	v_readlane_b32 s30, v42, 18
	v_readlane_b32 s31, v42, 19
	s_subb_u32 s3, 0, s3
	s_mul_i32 s4, s2, s31
	s_mul_hi_u32 s5, s2, s30
	v_readlane_b32 s29, v42, 17
	s_add_i32 s4, s5, s4
	s_mul_i32 s3, s3, s30
	s_add_i32 s17, s4, s3
	s_mul_i32 s16, s2, s30
	s_mul_i32 s2, s24, s29
	s_mul_hi_u32 s3, s24, s28
	s_add_i32 s18, s3, s2
	v_readlane_b32 s4, v42, 6
	v_readlane_b32 s2, v42, 4
	s_mul_i32 s19, s24, s28
	v_readlane_b32 s5, v42, 7
	v_readlane_b32 s3, v42, 5
	s_mov_b32 s24, s2
	s_mul_i32 s2, s2, s5
	s_mul_hi_u32 s3, s24, s4
	s_add_i32 s3, s3, s2
	s_mul_i32 s2, s24, s4
	v_readlane_b32 s28, v42, 46
	s_sub_u32 s2, s20, s2
	v_readlane_b32 s30, v42, 48
	v_readlane_b32 s31, v42, 49
	s_subb_u32 s3, 0, s3
	s_mul_i32 s4, s2, s31
	s_mul_hi_u32 s5, s2, s30
	v_readlane_b32 s29, v42, 47
	s_add_i32 s4, s5, s4
	s_mul_i32 s3, s3, s30
	s_add_i32 s3, s4, s3
	s_mul_i32 s4, s24, s29
	s_mul_hi_u32 s5, s24, s28
	s_add_i32 s5, s5, s4
	v_readlane_b32 s20, v42, 10
	v_readlane_b32 s21, v42, 11
	s_add_u32 s19, s20, s19
	s_addc_u32 s18, s21, s18
	s_mul_i32 s4, s24, s28
	s_add_u32 s16, s19, s16
	s_addc_u32 s17, s18, s17
	s_lshl_b64 s[4:5], s[4:5], 3
	v_readlane_b32 s18, v42, 8
	v_readlane_b32 s19, v42, 9
	s_add_u32 s4, s18, s4
	s_addc_u32 s5, s19, s5
	s_load_dwordx2 s[18:19], s[22:23], 0x368
	s_load_dwordx2 s[20:21], s[22:23], 0x510
	s_mul_i32 s2, s2, s30
	s_lshl_b64 s[2:3], s[2:3], 3
	s_add_u32 s48, s4, s2
	s_addc_u32 s49, s5, s3
	v_cmp_gt_u64_e32 vcc, s[14:15], v[0:1]
	s_mov_b64 s[24:25], -1
	s_mov_b64 s[2:3], 0
	s_mov_b64 s[4:5], 0
	s_and_saveexec_b64 s[22:23], vcc
	s_cbranch_execnz .LBB135_507
; %bb.497:
	s_or_b64 exec, exec, s[22:23]
	s_and_saveexec_b64 s[22:23], s[24:25]
	s_cbranch_execnz .LBB135_522
.LBB135_498:
	s_or_b64 exec, exec, s[22:23]
	s_and_saveexec_b64 s[0:1], s[4:5]
	s_xor_b64 s[0:1], exec, s[0:1]
	s_cbranch_execnz .LBB135_544
.LBB135_499:
	s_or_b64 exec, exec, s[0:1]
	s_and_b64 s[14:15], s[2:3], exec
.LBB135_500:
	s_andn2_saveexec_b64 s[0:1], s[12:13]
	s_cbranch_execnz .LBB135_547
.LBB135_501:
	s_or_b64 exec, exec, s[0:1]
	s_and_b64 s[12:13], s[14:15], exec
.LBB135_502:
	s_andn2_saveexec_b64 s[0:1], s[10:11]
	s_cbranch_execnz .LBB135_546
.LBB135_503:
	s_or_b64 exec, exec, s[0:1]
	s_and_b64 s[10:11], s[12:13], exec
.LBB135_504:
	s_andn2_saveexec_b64 s[0:1], s[8:9]
	s_cbranch_execnz .LBB135_545
.LBB135_505:
	s_or_b64 exec, exec, s[0:1]
	s_and_b64 s[8:9], s[10:11], exec
	s_andn2_saveexec_b64 s[0:1], s[6:7]
	s_cbranch_execz .LBB135_484
.LBB135_506:
	s_or_b64 s[8:9], s[8:9], exec
	s_trap 2
	s_or_b64 exec, exec, s[0:1]
	s_and_saveexec_b64 s[0:1], s[8:9]
	s_cbranch_execnz .LBB135_485
	s_branch .LBB135_486
.LBB135_507:
	s_movk_i32 s38, 0x80
	v_add_u32_sdwa v17, sext(v22), s38 dst_sel:DWORD dst_unused:UNUSED_PAD src0_sel:BYTE_0 src1_sel:DWORD
	s_mov_b64 s[24:25], 0
	v_mov_b32_e32 v18, s90
	v_mov_b32_e32 v3, 0
	v_pk_mov_b32 v[8:9], v[0:1], v[0:1] op_sel:[0,1]
                                        ; implicit-def: $sgpr26_sgpr27
                                        ; implicit-def: $vgpr6_vgpr7
	s_branch .LBB135_509
.LBB135_508:                            ;   in Loop: Header=BB135_509 Depth=1
	s_or_b64 exec, exec, s[28:29]
	s_xor_b64 s[28:29], s[34:35], -1
	s_and_b64 s[4:5], exec, s[4:5]
	s_or_b64 s[24:25], s[4:5], s[24:25]
	s_andn2_b64 s[4:5], s[26:27], exec
	s_and_b64 s[26:27], s[28:29], exec
	s_or_b64 s[26:27], s[4:5], s[26:27]
	v_mov_b32_e32 v16, v19
	v_pk_mov_b32 v[8:9], v[4:5], v[4:5] op_sel:[0,1]
	s_andn2_b64 exec, exec, s[24:25]
	s_cbranch_execz .LBB135_521
.LBB135_509:                            ; =>This Inner Loop Header: Depth=1
	v_add_co_u32_e32 v4, vcc, s33, v8
	v_addc_co_u32_e32 v5, vcc, v9, v18, vcc
	v_cmp_gt_u64_e32 vcc, s[60:61], v[4:5]
	v_mov_b32_e32 v19, 0
	s_and_saveexec_b64 s[4:5], vcc
	s_cbranch_execz .LBB135_511
; %bb.510:                              ;   in Loop: Header=BB135_509 Depth=1
	v_pk_mov_b32 v[14:15], s[56:57], s[56:57] op_sel:[0,1]
	v_mad_u64_u32 v[14:15], s[28:29], v4, s58, v[14:15]
	v_mul_lo_u32 v2, v4, s59
	v_mul_lo_u32 v19, v5, s58
	v_add3_u32 v15, v19, v15, v2
	global_load_ubyte v19, v[14:15], off
.LBB135_511:                            ;   in Loop: Header=BB135_509 Depth=1
	s_or_b64 exec, exec, s[4:5]
	s_waitcnt vmcnt(0)
	v_add_u32_sdwa v2, sext(v16), s38 dst_sel:DWORD dst_unused:UNUSED_PAD src0_sel:BYTE_0 src1_sel:DWORD
	v_cmp_gt_u32_e64 s[4:5], v2, v17
	v_cndmask_b32_e64 v14, 0, 1, s[4:5]
	v_cmp_lt_u32_e64 s[4:5], v2, v17
	v_cndmask_b32_e64 v2, 0, 1, s[4:5]
	v_cndmask_b32_e64 v2, v2, v14, s[40:41]
	v_and_b32_e32 v2, 1, v2
	v_cmp_gt_u64_e32 vcc, s[60:61], v[8:9]
	v_cmp_eq_u32_e64 s[4:5], 1, v2
	s_and_b64 s[28:29], vcc, s[4:5]
	v_cndmask_b32_e64 v2, 0, 1, s[28:29]
	v_cmp_ne_u32_e32 vcc, 0, v2
	s_cmp_lg_u64 vcc, 0
	s_cselect_b64 s[4:5], -1, 0
	s_and_b64 s[4:5], s[0:1], s[4:5]
	s_and_saveexec_b64 s[30:31], s[4:5]
	s_cbranch_execz .LBB135_515
; %bb.512:                              ;   in Loop: Header=BB135_509 Depth=1
	s_mov_b64 s[36:37], exec
	v_mbcnt_lo_u32_b32 v2, s36, 0
	v_mbcnt_hi_u32_b32 v14, s37, v2
	s_bcnt1_i32_b64 s39, vcc
	v_cmp_eq_u32_e64 s[4:5], 0, v14
                                        ; implicit-def: $vgpr6_vgpr7
	s_and_saveexec_b64 s[34:35], s[4:5]
	s_cbranch_execz .LBB135_514
; %bb.513:                              ;   in Loop: Header=BB135_509 Depth=1
	s_bcnt1_i32_b64 s4, s[36:37]
	s_mul_i32 s4, s39, s4
	v_mov_b32_e32 v2, s4
	s_waitcnt lgkmcnt(0)
	ds_add_rtn_u64 v[6:7], v3, v[2:3] offset:5136
.LBB135_514:                            ;   in Loop: Header=BB135_509 Depth=1
	s_or_b64 exec, exec, s[34:35]
	s_waitcnt lgkmcnt(0)
	v_readfirstlane_b32 s4, v7
	v_readfirstlane_b32 s5, v6
	v_mov_b32_e32 v6, s5
	v_mov_b32_e32 v7, s4
	v_mad_u64_u32 v[6:7], s[4:5], s39, v14, v[6:7]
.LBB135_515:                            ;   in Loop: Header=BB135_509 Depth=1
	s_or_b64 exec, exec, s[30:31]
	s_waitcnt lgkmcnt(0)
	ds_bpermute_b32 v6, v26, v6
	ds_bpermute_b32 v7, v26, v7
	s_mov_b64 s[4:5], -1
	s_mov_b64 s[36:37], -1
                                        ; implicit-def: $sgpr34_sgpr35
	s_and_saveexec_b64 s[30:31], s[28:29]
	s_cbranch_execz .LBB135_519
; %bb.516:                              ;   in Loop: Header=BB135_509 Depth=1
	v_and_b32_e32 v14, vcc_lo, v10
	v_and_b32_e32 v2, vcc_hi, v11
	v_bcnt_u32_b32 v14, v14, 0
	v_bcnt_u32_b32 v2, v2, v14
	s_waitcnt lgkmcnt(0)
	v_add_co_u32_e32 v14, vcc, v6, v2
	v_addc_co_u32_e32 v15, vcc, 0, v7, vcc
	v_cmp_gt_u64_e32 vcc, s[62:63], v[14:15]
	s_mov_b64 s[28:29], 0
	s_and_saveexec_b64 s[34:35], vcc
	s_cbranch_execz .LBB135_518
; %bb.517:                              ;   in Loop: Header=BB135_509 Depth=1
	v_mul_lo_u32 v2, v15, s20
	v_mul_lo_u32 v23, v14, s21
	v_mad_u64_u32 v[20:21], s[36:37], v14, s20, 0
	v_pk_mov_b32 v[24:25], s[16:17], s[16:17] op_sel:[0,1]
	v_add3_u32 v21, v21, v23, v2
	v_mad_u64_u32 v[24:25], s[36:37], v14, s18, v[24:25]
	v_mul_lo_u32 v2, v14, s19
	v_mul_lo_u32 v14, v15, s18
	v_add3_u32 v25, v14, v25, v2
	v_lshlrev_b64 v[14:15], 3, v[20:21]
	v_mov_b32_e32 v2, s49
	v_add_co_u32_e32 v14, vcc, s48, v14
	s_mov_b64 s[28:29], exec
	v_addc_co_u32_e32 v15, vcc, v2, v15, vcc
	global_store_byte v[24:25], v16, off
	global_store_dwordx2 v[14:15], v[8:9], off
.LBB135_518:                            ;   in Loop: Header=BB135_509 Depth=1
	s_or_b64 exec, exec, s[34:35]
	s_mov_b64 s[34:35], -1
	s_orn2_b64 s[36:37], s[28:29], exec
.LBB135_519:                            ;   in Loop: Header=BB135_509 Depth=1
	s_or_b64 exec, exec, s[30:31]
	s_and_saveexec_b64 s[28:29], s[36:37]
	s_cbranch_execz .LBB135_508
; %bb.520:                              ;   in Loop: Header=BB135_509 Depth=1
	v_cmp_le_u64_e32 vcc, s[14:15], v[4:5]
	s_andn2_b64 s[34:35], s[34:35], exec
	s_orn2_b64 s[4:5], vcc, exec
	s_branch .LBB135_508
.LBB135_521:
	s_or_b64 exec, exec, s[24:25]
	s_mov_b64 s[4:5], exec
	s_orn2_b64 s[24:25], s[26:27], exec
	s_or_b64 exec, exec, s[22:23]
	s_and_saveexec_b64 s[22:23], s[24:25]
	s_cbranch_execz .LBB135_498
.LBB135_522:
	v_mov_b32_e32 v3, 0
	v_mov_b32_e32 v8, 0
	s_waitcnt lgkmcnt(0)
	s_barrier
	s_mov_b64 s[2:3], exec
	v_readlane_b32 s24, v42, 28
	v_readlane_b32 s25, v42, 29
	s_and_b64 s[24:25], s[2:3], s[24:25]
	s_mov_b64 exec, s[24:25]
	s_cbranch_execz .LBB135_524
; %bb.523:
	global_load_ubyte v8, v[12:13], off
.LBB135_524:
	s_or_b64 exec, exec, s[2:3]
	s_mov_b64 s[26:27], 0
                                        ; implicit-def: $sgpr24_sgpr25
                                        ; implicit-def: $sgpr28_sgpr29
                                        ; implicit-def: $sgpr30_sgpr31
                                        ; implicit-def: $vgpr4_vgpr5
	s_branch .LBB135_527
.LBB135_525:                            ;   in Loop: Header=BB135_527 Depth=1
	s_or_b64 exec, exec, s[38:39]
	s_andn2_b64 s[30:31], s[30:31], exec
	s_and_b64 s[36:37], s[42:43], exec
	s_andn2_b64 s[28:29], s[28:29], exec
	s_and_b64 s[2:3], s[2:3], exec
	s_or_b64 s[30:31], s[30:31], s[36:37]
	s_or_b64 s[28:29], s[28:29], s[2:3]
	v_pk_mov_b32 v[0:1], v[6:7], v[6:7] op_sel:[0,1]
.LBB135_526:                            ;   in Loop: Header=BB135_527 Depth=1
	s_or_b64 exec, exec, s[34:35]
	s_xor_b64 s[2:3], s[30:31], -1
	s_and_b64 s[34:35], exec, s[28:29]
	s_or_b64 s[26:27], s[34:35], s[26:27]
	s_andn2_b64 s[24:25], s[24:25], exec
	s_and_b64 s[2:3], s[2:3], exec
	s_or_b64 s[24:25], s[24:25], s[2:3]
	s_andn2_b64 exec, exec, s[26:27]
	s_cbranch_execz .LBB135_542
.LBB135_527:                            ; =>This Inner Loop Header: Depth=1
	v_cmp_gt_u64_e32 vcc, s[14:15], v[0:1]
	s_or_b64 s[30:31], s[30:31], exec
	s_or_b64 s[28:29], s[28:29], exec
	s_and_saveexec_b64 s[34:35], vcc
	s_cbranch_execz .LBB135_526
; %bb.528:                              ;   in Loop: Header=BB135_527 Depth=1
	v_mov_b32_e32 v2, s90
	v_add_co_u32_e32 v6, vcc, s33, v0
	v_addc_co_u32_e32 v7, vcc, v1, v2, vcc
	v_cmp_gt_u64_e32 vcc, s[60:61], v[6:7]
	v_mov_b32_e32 v12, 0
	s_and_saveexec_b64 s[2:3], vcc
	s_cbranch_execz .LBB135_530
; %bb.529:                              ;   in Loop: Header=BB135_527 Depth=1
	v_pk_mov_b32 v[12:13], s[56:57], s[56:57] op_sel:[0,1]
	v_mad_u64_u32 v[12:13], s[36:37], v6, s58, v[12:13]
	v_mul_lo_u32 v2, v6, s59
	v_mul_lo_u32 v9, v7, s58
	v_add3_u32 v13, v9, v13, v2
	global_load_ubyte v12, v[12:13], off
.LBB135_530:                            ;   in Loop: Header=BB135_527 Depth=1
	s_or_b64 exec, exec, s[2:3]
	s_waitcnt vmcnt(0)
	v_and_b32_e32 v2, 0xff, v8
	v_cmp_gt_u64_e32 vcc, s[60:61], v[0:1]
	v_cmp_eq_u16_sdwa s[2:3], v2, v22 src0_sel:DWORD src1_sel:BYTE_0
	s_and_b64 s[38:39], vcc, s[2:3]
	v_cndmask_b32_e64 v2, 0, 1, s[38:39]
	v_cmp_ne_u32_e32 vcc, 0, v2
	s_cmp_lg_u64 vcc, 0
	s_cselect_b64 s[2:3], -1, 0
	s_and_b64 s[2:3], s[0:1], s[2:3]
	s_and_saveexec_b64 s[36:37], s[2:3]
	s_cbranch_execz .LBB135_534
; %bb.531:                              ;   in Loop: Header=BB135_527 Depth=1
	s_mov_b64 s[42:43], exec
	v_mbcnt_lo_u32_b32 v2, s42, 0
	v_mbcnt_hi_u32_b32 v9, s43, v2
	s_bcnt1_i32_b64 s44, vcc
	v_cmp_eq_u32_e64 s[2:3], 0, v9
                                        ; implicit-def: $vgpr4_vgpr5
	s_and_saveexec_b64 s[40:41], s[2:3]
	s_cbranch_execz .LBB135_533
; %bb.532:                              ;   in Loop: Header=BB135_527 Depth=1
	s_bcnt1_i32_b64 s2, s[42:43]
	s_mul_i32 s2, s44, s2
	v_mov_b32_e32 v2, s2
	ds_add_rtn_u64 v[4:5], v3, v[2:3] offset:5136
.LBB135_533:                            ;   in Loop: Header=BB135_527 Depth=1
	s_or_b64 exec, exec, s[40:41]
	s_waitcnt lgkmcnt(0)
	v_readfirstlane_b32 s2, v5
	v_readfirstlane_b32 s3, v4
	v_mov_b32_e32 v4, s3
	v_mov_b32_e32 v5, s2
	v_mad_u64_u32 v[4:5], s[2:3], s44, v9, v[4:5]
.LBB135_534:                            ;   in Loop: Header=BB135_527 Depth=1
	s_or_b64 exec, exec, s[36:37]
	ds_bpermute_b32 v4, v26, v4
	ds_bpermute_b32 v5, v26, v5
	s_cmp_eq_u64 vcc, 0
	s_cselect_b64 s[36:37], -1, 0
	s_mov_b64 s[40:41], -1
	s_mov_b64 s[42:43], -1
	s_waitcnt lgkmcnt(0)
	v_cmp_gt_u64_e64 s[2:3], s[62:63], v[4:5]
	s_or_b64 s[36:37], s[36:37], s[2:3]
	v_cndmask_b32_e64 v8, v8, v12, s[36:37]
	s_and_b64 s[44:45], s[38:39], s[36:37]
	s_mov_b64 s[2:3], -1
	s_and_saveexec_b64 s[38:39], s[44:45]
	s_cbranch_execz .LBB135_540
; %bb.535:                              ;   in Loop: Header=BB135_527 Depth=1
	v_and_b32_e32 v8, vcc_lo, v10
	v_and_b32_e32 v2, vcc_hi, v11
	v_bcnt_u32_b32 v8, v8, 0
	v_bcnt_u32_b32 v2, v2, v8
	v_mov_b32_e32 v9, s63
	v_sub_co_u32_e32 v8, vcc, s62, v4
	v_subb_co_u32_e32 v9, vcc, v9, v5, vcc
	v_cmp_le_u64_e64 s[40:41], v[8:9], v[2:3]
	v_cmp_gt_u64_e32 vcc, v[8:9], v[2:3]
	s_mov_b64 s[44:45], -1
	s_and_saveexec_b64 s[42:43], vcc
	s_cbranch_execz .LBB135_539
; %bb.536:                              ;   in Loop: Header=BB135_527 Depth=1
	v_add_co_u32_e32 v8, vcc, v4, v2
	v_addc_co_u32_e32 v9, vcc, 0, v5, vcc
	v_cmp_gt_u64_e32 vcc, s[62:63], v[8:9]
	s_mov_b64 s[46:47], s[40:41]
	s_and_saveexec_b64 s[44:45], vcc
	s_cbranch_execz .LBB135_538
; %bb.537:                              ;   in Loop: Header=BB135_527 Depth=1
	v_mul_lo_u32 v2, v9, s20
	v_mul_lo_u32 v13, v8, s21
	v_mad_u64_u32 v[14:15], s[46:47], v8, s20, 0
	v_pk_mov_b32 v[16:17], s[16:17], s[16:17] op_sel:[0,1]
	v_add3_u32 v15, v15, v13, v2
	v_mad_u64_u32 v[16:17], s[46:47], v8, s18, v[16:17]
	v_mul_lo_u32 v2, v8, s19
	v_mul_lo_u32 v8, v9, s18
	v_add3_u32 v17, v8, v17, v2
	v_lshlrev_b64 v[8:9], 3, v[14:15]
	v_mov_b32_e32 v2, s49
	v_add_co_u32_e32 v8, vcc, s48, v8
	v_addc_co_u32_e32 v9, vcc, v2, v9, vcc
	s_or_b64 s[46:47], s[40:41], exec
	global_store_byte v[16:17], v22, off
	global_store_dwordx2 v[8:9], v[0:1], off
.LBB135_538:                            ;   in Loop: Header=BB135_527 Depth=1
	s_or_b64 exec, exec, s[44:45]
	s_andn2_b64 s[40:41], s[40:41], exec
	s_and_b64 s[46:47], s[46:47], exec
	s_xor_b64 s[44:45], exec, -1
	s_or_b64 s[40:41], s[40:41], s[46:47]
.LBB135_539:                            ;   in Loop: Header=BB135_527 Depth=1
	s_or_b64 exec, exec, s[42:43]
	s_orn2_b64 s[42:43], s[44:45], exec
	s_or_b64 s[36:37], s[36:37], exec
	s_orn2_b64 s[40:41], s[40:41], exec
	v_mov_b32_e32 v8, v12
.LBB135_540:                            ;   in Loop: Header=BB135_527 Depth=1
	s_or_b64 exec, exec, s[38:39]
	s_and_saveexec_b64 s[38:39], s[40:41]
	s_cbranch_execz .LBB135_525
; %bb.541:                              ;   in Loop: Header=BB135_527 Depth=1
	s_xor_b64 s[2:3], s[36:37], -1
	s_or_b64 s[42:43], s[42:43], exec
	s_orn2_b64 s[2:3], s[2:3], exec
	s_branch .LBB135_525
.LBB135_542:
	s_or_b64 exec, exec, s[26:27]
	s_mov_b64 s[0:1], 0
	s_and_saveexec_b64 s[2:3], s[24:25]
	s_xor_b64 s[2:3], exec, s[2:3]
	s_cbranch_execnz .LBB135_548
.LBB135_543:
	s_or_b64 exec, exec, s[2:3]
	s_and_b64 s[2:3], s[0:1], exec
	s_andn2_b64 s[4:5], s[4:5], exec
	s_or_b64 exec, exec, s[22:23]
	s_and_saveexec_b64 s[0:1], s[4:5]
	s_xor_b64 s[0:1], exec, s[0:1]
	s_cbranch_execz .LBB135_499
.LBB135_544:
	s_or_b64 s[2:3], s[2:3], exec
	s_trap 2
	s_branch .LBB135_499
.LBB135_545:
	s_or_b64 s[10:11], s[10:11], exec
	s_trap 2
	s_branch .LBB135_505
.LBB135_546:
	s_or_b64 s[12:13], s[12:13], exec
	s_trap 2
	s_branch .LBB135_503
.LBB135_547:
	s_trap 2
	s_or_b64 s[14:15], s[14:15], exec
	s_branch .LBB135_501
.LBB135_548:
	s_mov_b64 s[0:1], exec
	s_trap 2
	s_branch .LBB135_543
	.section	.rodata,"a",@progbits
	.p2align	6, 0x0
	.amdhsa_kernel _ZN2at6native6sbtopk10gatherTopKIamLi2ELb0EEEvNS_4cuda6detail10TensorInfoIKT_T0_EES8_S8_bS8_S8_NS5_IS6_S8_EES8_NS5_IlS8_EES8_PS6_
		.amdhsa_group_segment_fixed_size 5152
		.amdhsa_private_segment_fixed_size 0
		.amdhsa_kernarg_size 1568
		.amdhsa_user_sgpr_count 6
		.amdhsa_user_sgpr_private_segment_buffer 1
		.amdhsa_user_sgpr_dispatch_ptr 0
		.amdhsa_user_sgpr_queue_ptr 0
		.amdhsa_user_sgpr_kernarg_segment_ptr 1
		.amdhsa_user_sgpr_dispatch_id 0
		.amdhsa_user_sgpr_flat_scratch_init 0
		.amdhsa_user_sgpr_kernarg_preload_length 0
		.amdhsa_user_sgpr_kernarg_preload_offset 0
		.amdhsa_user_sgpr_private_segment_size 0
		.amdhsa_uses_dynamic_stack 0
		.amdhsa_system_sgpr_private_segment_wavefront_offset 0
		.amdhsa_system_sgpr_workgroup_id_x 1
		.amdhsa_system_sgpr_workgroup_id_y 1
		.amdhsa_system_sgpr_workgroup_id_z 1
		.amdhsa_system_sgpr_workgroup_info 0
		.amdhsa_system_vgpr_workitem_id 0
		.amdhsa_next_free_vgpr 43
		.amdhsa_next_free_sgpr 96
		.amdhsa_accum_offset 44
		.amdhsa_reserve_vcc 1
		.amdhsa_reserve_flat_scratch 0
		.amdhsa_float_round_mode_32 0
		.amdhsa_float_round_mode_16_64 0
		.amdhsa_float_denorm_mode_32 3
		.amdhsa_float_denorm_mode_16_64 3
		.amdhsa_dx10_clamp 1
		.amdhsa_ieee_mode 1
		.amdhsa_fp16_overflow 0
		.amdhsa_tg_split 0
		.amdhsa_exception_fp_ieee_invalid_op 0
		.amdhsa_exception_fp_denorm_src 0
		.amdhsa_exception_fp_ieee_div_zero 0
		.amdhsa_exception_fp_ieee_overflow 0
		.amdhsa_exception_fp_ieee_underflow 0
		.amdhsa_exception_fp_ieee_inexact 0
		.amdhsa_exception_int_div_zero 0
	.end_amdhsa_kernel
	.section	.text._ZN2at6native6sbtopk10gatherTopKIamLi2ELb0EEEvNS_4cuda6detail10TensorInfoIKT_T0_EES8_S8_bS8_S8_NS5_IS6_S8_EES8_NS5_IlS8_EES8_PS6_,"axG",@progbits,_ZN2at6native6sbtopk10gatherTopKIamLi2ELb0EEEvNS_4cuda6detail10TensorInfoIKT_T0_EES8_S8_bS8_S8_NS5_IS6_S8_EES8_NS5_IlS8_EES8_PS6_,comdat
.Lfunc_end135:
	.size	_ZN2at6native6sbtopk10gatherTopKIamLi2ELb0EEEvNS_4cuda6detail10TensorInfoIKT_T0_EES8_S8_bS8_S8_NS5_IS6_S8_EES8_NS5_IlS8_EES8_PS6_, .Lfunc_end135-_ZN2at6native6sbtopk10gatherTopKIamLi2ELb0EEEvNS_4cuda6detail10TensorInfoIKT_T0_EES8_S8_bS8_S8_NS5_IS6_S8_EES8_NS5_IlS8_EES8_PS6_
                                        ; -- End function
	.section	.AMDGPU.csdata,"",@progbits
; Kernel info:
; codeLenInByte = 26480
; NumSgprs: 100
; NumVgprs: 43
; NumAgprs: 0
; TotalNumVgprs: 43
; ScratchSize: 0
; MemoryBound: 0
; FloatMode: 240
; IeeeMode: 1
; LDSByteSize: 5152 bytes/workgroup (compile time only)
; SGPRBlocks: 12
; VGPRBlocks: 5
; NumSGPRsForWavesPerEU: 100
; NumVGPRsForWavesPerEU: 43
; AccumOffset: 44
; Occupancy: 8
; WaveLimiterHint : 1
; COMPUTE_PGM_RSRC2:SCRATCH_EN: 0
; COMPUTE_PGM_RSRC2:USER_SGPR: 6
; COMPUTE_PGM_RSRC2:TRAP_HANDLER: 0
; COMPUTE_PGM_RSRC2:TGID_X_EN: 1
; COMPUTE_PGM_RSRC2:TGID_Y_EN: 1
; COMPUTE_PGM_RSRC2:TGID_Z_EN: 1
; COMPUTE_PGM_RSRC2:TIDIG_COMP_CNT: 0
; COMPUTE_PGM_RSRC3_GFX90A:ACCUM_OFFSET: 10
; COMPUTE_PGM_RSRC3_GFX90A:TG_SPLIT: 0
	.section	.text._ZN2at6native6mbtopk23computeBlockDigitCountsIamjLi3EEEvNS_4cuda6detail10TensorInfoIKT_T0_EEjPjjS8_iijT1_PSB_Ps,"axG",@progbits,_ZN2at6native6mbtopk23computeBlockDigitCountsIamjLi3EEEvNS_4cuda6detail10TensorInfoIKT_T0_EEjPjjS8_iijT1_PSB_Ps,comdat
	.protected	_ZN2at6native6mbtopk23computeBlockDigitCountsIamjLi3EEEvNS_4cuda6detail10TensorInfoIKT_T0_EEjPjjS8_iijT1_PSB_Ps ; -- Begin function _ZN2at6native6mbtopk23computeBlockDigitCountsIamjLi3EEEvNS_4cuda6detail10TensorInfoIKT_T0_EEjPjjS8_iijT1_PSB_Ps
	.globl	_ZN2at6native6mbtopk23computeBlockDigitCountsIamjLi3EEEvNS_4cuda6detail10TensorInfoIKT_T0_EEjPjjS8_iijT1_PSB_Ps
	.p2align	8
	.type	_ZN2at6native6mbtopk23computeBlockDigitCountsIamjLi3EEEvNS_4cuda6detail10TensorInfoIKT_T0_EEjPjjS8_iijT1_PSB_Ps,@function
_ZN2at6native6mbtopk23computeBlockDigitCountsIamjLi3EEEvNS_4cuda6detail10TensorInfoIKT_T0_EEjPjjS8_iijT1_PSB_Ps: ; @_ZN2at6native6mbtopk23computeBlockDigitCountsIamjLi3EEEvNS_4cuda6detail10TensorInfoIKT_T0_EEjPjjS8_iijT1_PSB_Ps
; %bb.0:
	s_load_dwordx4 s[12:15], s[4:5], 0x1c0
	s_load_dword s2, s[4:5], 0x1b0
	s_load_dwordx2 s[0:1], s[4:5], 0x1e0
	s_mov_b32 s21, 0
	s_waitcnt lgkmcnt(0)
	v_cvt_f32_u32_e32 v1, s14
	s_sub_i32 s3, 0, s14
	s_mul_i32 s1, s1, s8
	s_add_i32 s1, s1, s7
	v_rcp_iflag_f32_e32 v1, v1
	s_mul_i32 s24, s1, s0
	s_add_i32 s24, s24, s6
	v_mul_f32_e32 v1, 0x4f7ffffe, v1
	v_cvt_u32_f32_e32 v1, v1
	v_readfirstlane_b32 s0, v1
	s_mul_i32 s3, s3, s0
	s_mul_hi_u32 s1, s0, s3
	s_add_i32 s0, s0, s1
	s_mul_hi_u32 s0, s24, s0
	s_mul_i32 s1, s0, s14
	s_sub_i32 s1, s24, s1
	s_add_i32 s3, s0, 1
	s_sub_i32 s6, s1, s14
	s_cmp_ge_u32 s1, s14
	s_cselect_b32 s0, s3, s0
	s_cselect_b32 s1, s6, s1
	s_add_i32 s3, s0, 1
	s_cmp_ge_u32 s1, s14
	s_cselect_b32 s20, s3, s0
	s_cmp_ge_u32 s20, s2
	s_cbranch_scc1 .LBB136_27
; %bb.1:
	s_load_dwordx4 s[0:3], s[4:5], 0x1d0
	s_load_dwordx4 s[8:11], s[4:5], 0x10
	s_lshl_b64 s[6:7], s[20:21], 2
	s_waitcnt lgkmcnt(0)
	s_add_u32 s22, s0, s6
	v_pk_mov_b32 v[2:3], s[10:11], s[10:11] op_sel:[0,1]
	v_cmp_lt_u64_e32 vcc, s[20:21], v[2:3]
	s_addc_u32 s23, s1, s7
	s_mov_b64 s[6:7], 0
	s_mov_b64 s[0:1], 0
	s_cbranch_vccnz .LBB136_3
; %bb.2:
	v_cvt_f32_u32_e32 v1, s10
	s_sub_i32 s0, 0, s10
	s_mov_b32 s1, 0
	v_rcp_iflag_f32_e32 v1, v1
	v_mul_f32_e32 v1, 0x4f7ffffe, v1
	v_cvt_u32_f32_e32 v1, v1
	v_readfirstlane_b32 s7, v1
	s_mul_i32 s0, s0, s7
	s_mul_hi_u32 s0, s7, s0
	s_add_i32 s7, s7, s0
	s_mul_hi_u32 s0, s20, s7
	s_mul_i32 s16, s0, s10
	s_sub_i32 s16, s20, s16
	s_add_i32 s7, s0, 1
	s_sub_i32 s17, s16, s10
	s_cmp_ge_u32 s16, s10
	s_cselect_b32 s0, s7, s0
	s_cselect_b32 s16, s17, s16
	s_add_i32 s7, s0, 1
	s_cmp_ge_u32 s16, s10
	s_cselect_b32 s0, s7, s0
.LBB136_3:
	v_pk_mov_b32 v[2:3], s[8:9], s[8:9] op_sel:[0,1]
	v_cmp_lt_u64_e32 vcc, s[0:1], v[2:3]
	s_cbranch_vccnz .LBB136_5
; %bb.4:
	v_cvt_f32_u32_e32 v1, s8
	s_sub_i32 s6, 0, s8
	v_rcp_iflag_f32_e32 v1, v1
	v_mul_f32_e32 v1, 0x4f7ffffe, v1
	v_cvt_u32_f32_e32 v1, v1
	v_readfirstlane_b32 s7, v1
	s_mul_i32 s6, s6, s7
	s_mul_hi_u32 s6, s7, s6
	s_add_i32 s7, s7, s6
	s_mul_hi_u32 s6, s0, s7
	s_mul_i32 s16, s6, s8
	s_sub_i32 s16, s0, s16
	s_add_i32 s7, s6, 1
	s_sub_i32 s17, s16, s8
	s_cmp_ge_u32 s16, s8
	s_cselect_b32 s6, s7, s6
	s_cselect_b32 s16, s17, s16
	s_add_i32 s7, s6, 1
	s_cmp_ge_u32 s16, s8
	s_cselect_b32 s6, s7, s6
.LBB136_5:
	s_movk_i32 s7, 0x100
	v_cmp_gt_u32_e32 vcc, s7, v0
	v_lshlrev_b32_e32 v1, 2, v0
	s_and_saveexec_b64 s[16:17], vcc
	s_cbranch_execz .LBB136_7
; %bb.6:
	v_mov_b32_e32 v2, 0
	ds_write_b32 v1, v2
.LBB136_7:
	s_or_b64 exec, exec, s[16:17]
	s_load_dword s21, s[4:5], 0x1a0
	s_mul_i32 s7, s20, s14
	s_sub_i32 s7, s24, s7
	s_add_i32 s16, s7, 1
	s_mul_i32 s7, s13, s7
	s_lshl_b32 s26, s7, 8
	s_waitcnt lgkmcnt(0)
	s_sub_i32 s7, s21, s26
	s_add_u32 s7, s7, 0xff
	s_addc_u32 s17, 0, 0
	v_mov_b32_e32 v2, s7
	v_alignbit_b32 v2, s17, v2, 8
	s_cmp_lt_u32 s16, s14
	v_readfirstlane_b32 s7, v2
	s_cselect_b32 s14, s13, s7
	s_cmp_lt_i32 s14, 1
	s_mov_b32 s25, 0
	s_barrier
	s_cbranch_scc1 .LBB136_23
; %bb.8:
	s_load_dwordx4 s[16:19], s[4:5], 0xd0
	s_load_dwordx2 s[28:29], s[4:5], 0x0
	s_load_dword s13, s[22:23], 0x0
	s_mul_i32 s7, s0, s11
	s_load_dwordx2 s[22:23], s[4:5], 0xe0
	s_mul_hi_u32 s11, s0, s10
	s_add_i32 s11, s11, s7
	s_mul_i32 s7, s0, s10
	s_sub_u32 s7, s20, s7
	s_subb_u32 s10, 0, s11
	s_waitcnt lgkmcnt(0)
	s_mul_i32 s11, s7, s23
	s_mul_hi_u32 s20, s7, s22
	s_add_i32 s11, s20, s11
	s_mul_i32 s10, s10, s22
	s_add_i32 s11, s11, s10
	s_mul_i32 s9, s6, s9
	s_mul_hi_u32 s10, s6, s8
	s_add_i32 s10, s10, s9
	s_mul_i32 s8, s6, s8
	s_sub_u32 s0, s0, s8
	s_subb_u32 s1, s1, s10
	s_mul_i32 s8, s0, s19
	s_mul_hi_u32 s9, s0, s18
	s_add_i32 s8, s9, s8
	s_mul_i32 s1, s1, s18
	s_add_i32 s8, s8, s1
	s_mul_i32 s1, s6, s17
	s_mul_hi_u32 s9, s6, s16
	s_add_i32 s9, s9, s1
	s_mul_i32 s1, s6, s16
	s_add_u32 s1, s28, s1
	s_mul_i32 s0, s0, s18
	s_addc_u32 s6, s29, s9
	s_load_dwordx2 s[4:5], s[4:5], 0x1b8
	s_add_u32 s0, s1, s0
	s_mul_i32 s7, s7, s22
	s_addc_u32 s1, s6, s8
	s_add_u32 s6, s0, s7
	s_addc_u32 s7, s1, s11
	s_and_b32 s10, s12, 0xff
	s_cmp_eq_u32 s14, 1
	v_add_u32_e32 v2, s26, v0
	s_cbranch_scc1 .LBB136_18
; %bb.9:
	s_and_b32 s11, s14, 0x7ffffffe
	s_mov_b32 s12, 0
	v_mov_b32_e32 v3, 1
	v_mov_b32_e32 v4, v2
	s_branch .LBB136_11
.LBB136_10:                             ;   in Loop: Header=BB136_11 Depth=1
	s_or_b64 exec, exec, s[8:9]
	s_add_i32 s12, s12, 2
	s_cmp_eq_u32 s11, s12
	v_add_u32_e32 v4, 0x200, v4
	s_cbranch_scc1 .LBB136_17
.LBB136_11:                             ; =>This Inner Loop Header: Depth=1
	v_cmp_gt_u32_e64 s[0:1], s21, v4
	s_and_saveexec_b64 s[8:9], s[0:1]
	s_cbranch_execz .LBB136_14
; %bb.12:                               ;   in Loop: Header=BB136_11 Depth=1
	v_pk_mov_b32 v[6:7], s[6:7], s[6:7] op_sel:[0,1]
	s_waitcnt lgkmcnt(0)
	v_mad_u64_u32 v[6:7], s[0:1], v4, s4, v[6:7]
	v_mov_b32_e32 v8, v7
	v_mad_u64_u32 v[8:9], s[0:1], v4, s5, v[8:9]
	v_mov_b32_e32 v7, v8
	global_load_sbyte v5, v[6:7], off
	s_waitcnt vmcnt(0)
	v_add_u32_e32 v5, 0x80, v5
	v_xor_b32_e32 v6, s13, v5
	v_and_b32_e32 v6, s15, v6
	v_cmp_eq_u32_e64 s[0:1], 0, v6
	s_and_b64 exec, exec, s[0:1]
	s_cbranch_execz .LBB136_14
; %bb.13:                               ;   in Loop: Header=BB136_11 Depth=1
	v_lshrrev_b32_e32 v5, s10, v5
	v_lshlrev_b32_e32 v5, 2, v5
	ds_add_u32 v5, v3
.LBB136_14:                             ;   in Loop: Header=BB136_11 Depth=1
	s_or_b64 exec, exec, s[8:9]
	v_add_u32_e32 v5, 0x100, v4
	v_cmp_gt_u32_e64 s[0:1], s21, v5
	s_and_saveexec_b64 s[8:9], s[0:1]
	s_cbranch_execz .LBB136_10
; %bb.15:                               ;   in Loop: Header=BB136_11 Depth=1
	v_pk_mov_b32 v[6:7], s[6:7], s[6:7] op_sel:[0,1]
	s_waitcnt lgkmcnt(0)
	v_mad_u64_u32 v[6:7], s[0:1], v5, s4, v[6:7]
	v_mov_b32_e32 v8, v7
	v_mad_u64_u32 v[8:9], s[0:1], v5, s5, v[8:9]
	v_mov_b32_e32 v7, v8
	global_load_sbyte v5, v[6:7], off
	s_waitcnt vmcnt(0)
	v_add_u32_e32 v5, 0x80, v5
	v_xor_b32_e32 v6, s13, v5
	v_and_b32_e32 v6, s15, v6
	v_cmp_eq_u32_e64 s[0:1], 0, v6
	s_and_b64 exec, exec, s[0:1]
	s_cbranch_execz .LBB136_10
; %bb.16:                               ;   in Loop: Header=BB136_11 Depth=1
	v_lshrrev_b32_e32 v5, s10, v5
	v_lshlrev_b32_e32 v5, 2, v5
	ds_add_u32 v5, v3
	s_branch .LBB136_10
.LBB136_17:
	s_lshl_b32 s25, s11, 8
.LBB136_18:
	s_bitcmp0_b32 s14, 0
	s_cbranch_scc1 .LBB136_23
; %bb.19:
	v_add_u32_e32 v2, s25, v2
	v_cmp_gt_u32_e64 s[0:1], s21, v2
	s_and_saveexec_b64 s[8:9], s[0:1]
	s_cbranch_execz .LBB136_22
; %bb.20:
	v_pk_mov_b32 v[4:5], s[6:7], s[6:7] op_sel:[0,1]
	s_waitcnt lgkmcnt(0)
	v_mad_u64_u32 v[4:5], s[0:1], v2, s4, v[4:5]
	v_mov_b32_e32 v6, v5
	v_mad_u64_u32 v[2:3], s[0:1], v2, s5, v[6:7]
	v_mov_b32_e32 v5, v2
	global_load_sbyte v2, v[4:5], off
	s_waitcnt vmcnt(0)
	v_add_u32_e32 v2, 0x80, v2
	v_xor_b32_e32 v3, s13, v2
	v_and_b32_e32 v3, s15, v3
	v_cmp_eq_u32_e64 s[0:1], 0, v3
	s_and_b64 exec, exec, s[0:1]
	s_cbranch_execz .LBB136_22
; %bb.21:
	v_lshrrev_b32_e32 v2, s10, v2
	v_lshlrev_b32_e32 v2, 2, v2
	v_mov_b32_e32 v3, 1
	ds_add_u32 v2, v3
.LBB136_22:
	s_or_b64 exec, exec, s[8:9]
.LBB136_23:
	v_mov_b32_e32 v2, 0
	s_waitcnt lgkmcnt(0)
	s_barrier
	s_and_saveexec_b64 s[0:1], vcc
	s_cbranch_execz .LBB136_25
; %bb.24:
	ds_read_b32 v2, v1
.LBB136_25:
	s_or_b64 exec, exec, s[0:1]
	s_and_saveexec_b64 s[0:1], vcc
	s_cbranch_execz .LBB136_27
; %bb.26:
	v_lshl_or_b32 v0, s24, 8, v0
	v_mov_b32_e32 v1, 0
	v_lshlrev_b64 v[0:1], 1, v[0:1]
	v_mov_b32_e32 v3, s3
	v_add_co_u32_e32 v0, vcc, s2, v0
	v_addc_co_u32_e32 v1, vcc, v3, v1, vcc
	s_waitcnt lgkmcnt(0)
	global_store_short v[0:1], v2, off
.LBB136_27:
	s_endpgm
	.section	.rodata,"a",@progbits
	.p2align	6, 0x0
	.amdhsa_kernel _ZN2at6native6mbtopk23computeBlockDigitCountsIamjLi3EEEvNS_4cuda6detail10TensorInfoIKT_T0_EEjPjjS8_iijT1_PSB_Ps
		.amdhsa_group_segment_fixed_size 1024
		.amdhsa_private_segment_fixed_size 0
		.amdhsa_kernarg_size 736
		.amdhsa_user_sgpr_count 6
		.amdhsa_user_sgpr_private_segment_buffer 1
		.amdhsa_user_sgpr_dispatch_ptr 0
		.amdhsa_user_sgpr_queue_ptr 0
		.amdhsa_user_sgpr_kernarg_segment_ptr 1
		.amdhsa_user_sgpr_dispatch_id 0
		.amdhsa_user_sgpr_flat_scratch_init 0
		.amdhsa_user_sgpr_kernarg_preload_length 0
		.amdhsa_user_sgpr_kernarg_preload_offset 0
		.amdhsa_user_sgpr_private_segment_size 0
		.amdhsa_uses_dynamic_stack 0
		.amdhsa_system_sgpr_private_segment_wavefront_offset 0
		.amdhsa_system_sgpr_workgroup_id_x 1
		.amdhsa_system_sgpr_workgroup_id_y 1
		.amdhsa_system_sgpr_workgroup_id_z 1
		.amdhsa_system_sgpr_workgroup_info 0
		.amdhsa_system_vgpr_workitem_id 0
		.amdhsa_next_free_vgpr 10
		.amdhsa_next_free_sgpr 30
		.amdhsa_accum_offset 12
		.amdhsa_reserve_vcc 1
		.amdhsa_reserve_flat_scratch 0
		.amdhsa_float_round_mode_32 0
		.amdhsa_float_round_mode_16_64 0
		.amdhsa_float_denorm_mode_32 3
		.amdhsa_float_denorm_mode_16_64 3
		.amdhsa_dx10_clamp 1
		.amdhsa_ieee_mode 1
		.amdhsa_fp16_overflow 0
		.amdhsa_tg_split 0
		.amdhsa_exception_fp_ieee_invalid_op 0
		.amdhsa_exception_fp_denorm_src 0
		.amdhsa_exception_fp_ieee_div_zero 0
		.amdhsa_exception_fp_ieee_overflow 0
		.amdhsa_exception_fp_ieee_underflow 0
		.amdhsa_exception_fp_ieee_inexact 0
		.amdhsa_exception_int_div_zero 0
	.end_amdhsa_kernel
	.section	.text._ZN2at6native6mbtopk23computeBlockDigitCountsIamjLi3EEEvNS_4cuda6detail10TensorInfoIKT_T0_EEjPjjS8_iijT1_PSB_Ps,"axG",@progbits,_ZN2at6native6mbtopk23computeBlockDigitCountsIamjLi3EEEvNS_4cuda6detail10TensorInfoIKT_T0_EEjPjjS8_iijT1_PSB_Ps,comdat
.Lfunc_end136:
	.size	_ZN2at6native6mbtopk23computeBlockDigitCountsIamjLi3EEEvNS_4cuda6detail10TensorInfoIKT_T0_EEjPjjS8_iijT1_PSB_Ps, .Lfunc_end136-_ZN2at6native6mbtopk23computeBlockDigitCountsIamjLi3EEEvNS_4cuda6detail10TensorInfoIKT_T0_EEjPjjS8_iijT1_PSB_Ps
                                        ; -- End function
	.section	.AMDGPU.csdata,"",@progbits
; Kernel info:
; codeLenInByte = 1220
; NumSgprs: 34
; NumVgprs: 10
; NumAgprs: 0
; TotalNumVgprs: 10
; ScratchSize: 0
; MemoryBound: 0
; FloatMode: 240
; IeeeMode: 1
; LDSByteSize: 1024 bytes/workgroup (compile time only)
; SGPRBlocks: 4
; VGPRBlocks: 1
; NumSGPRsForWavesPerEU: 34
; NumVGPRsForWavesPerEU: 10
; AccumOffset: 12
; Occupancy: 8
; WaveLimiterHint : 1
; COMPUTE_PGM_RSRC2:SCRATCH_EN: 0
; COMPUTE_PGM_RSRC2:USER_SGPR: 6
; COMPUTE_PGM_RSRC2:TRAP_HANDLER: 0
; COMPUTE_PGM_RSRC2:TGID_X_EN: 1
; COMPUTE_PGM_RSRC2:TGID_Y_EN: 1
; COMPUTE_PGM_RSRC2:TGID_Z_EN: 1
; COMPUTE_PGM_RSRC2:TIDIG_COMP_CNT: 0
; COMPUTE_PGM_RSRC3_GFX90A:ACCUM_OFFSET: 2
; COMPUTE_PGM_RSRC3_GFX90A:TG_SPLIT: 0
	.section	.text._ZN2at6native6mbtopk10gatherTopKIamLi3EEEvNS_4cuda6detail10TensorInfoIKT_T0_EES8_S8_bjS8_NS5_IS6_S8_EES8_NS5_IlS8_EES8_jjPS6_PjSD_j,"axG",@progbits,_ZN2at6native6mbtopk10gatherTopKIamLi3EEEvNS_4cuda6detail10TensorInfoIKT_T0_EES8_S8_bjS8_NS5_IS6_S8_EES8_NS5_IlS8_EES8_jjPS6_PjSD_j,comdat
	.protected	_ZN2at6native6mbtopk10gatherTopKIamLi3EEEvNS_4cuda6detail10TensorInfoIKT_T0_EES8_S8_bjS8_NS5_IS6_S8_EES8_NS5_IlS8_EES8_jjPS6_PjSD_j ; -- Begin function _ZN2at6native6mbtopk10gatherTopKIamLi3EEEvNS_4cuda6detail10TensorInfoIKT_T0_EES8_S8_bjS8_NS5_IS6_S8_EES8_NS5_IlS8_EES8_jjPS6_PjSD_j
	.globl	_ZN2at6native6mbtopk10gatherTopKIamLi3EEEvNS_4cuda6detail10TensorInfoIKT_T0_EES8_S8_bjS8_NS5_IS6_S8_EES8_NS5_IlS8_EES8_jjPS6_PjSD_j
	.p2align	8
	.type	_ZN2at6native6mbtopk10gatherTopKIamLi3EEEvNS_4cuda6detail10TensorInfoIKT_T0_EES8_S8_bjS8_NS5_IS6_S8_EES8_NS5_IlS8_EES8_jjPS6_PjSD_j,@function
_ZN2at6native6mbtopk10gatherTopKIamLi3EEEvNS_4cuda6detail10TensorInfoIKT_T0_EES8_S8_bjS8_NS5_IS6_S8_EES8_NS5_IlS8_EES8_jjPS6_PjSD_j: ; @_ZN2at6native6mbtopk10gatherTopKIamLi3EEEvNS_4cuda6detail10TensorInfoIKT_T0_EES8_S8_bjS8_NS5_IS6_S8_EES8_NS5_IlS8_EES8_jjPS6_PjSD_j
; %bb.0:
	s_load_dwordx2 s[0:1], s[4:5], 0x538
	s_load_dword s2, s[4:5], 0x530
	s_waitcnt lgkmcnt(0)
	s_mul_i32 s1, s1, s8
	s_add_i32 s1, s1, s7
	s_mul_i32 s0, s1, s0
	s_add_i32 s0, s0, s6
	s_cmp_ge_u32 s0, s2
	s_cbranch_scc1 .LBB137_54
; %bb.1:
	s_load_dwordx2 s[34:35], s[4:5], 0x510
	s_load_dwordx4 s[8:11], s[4:5], 0x1a0
	s_load_dwordx4 s[12:15], s[4:5], 0x10
	s_mov_b32 s7, 0
	s_waitcnt lgkmcnt(0)
	v_cvt_f32_u32_e32 v1, s35
	s_sub_i32 s2, 0, s35
	s_lshl_b32 s1, s34, 8
	v_rcp_iflag_f32_e32 v1, v1
	v_mul_f32_e32 v1, 0x4f7ffffe, v1
	v_cvt_u32_f32_e32 v1, v1
	v_readfirstlane_b32 s3, v1
	s_mul_i32 s2, s2, s3
	s_mul_hi_u32 s2, s3, s2
	s_add_i32 s3, s3, s2
	s_mul_hi_u32 s2, s0, s3
	s_mul_i32 s3, s2, s35
	s_sub_i32 s3, s0, s3
	s_add_i32 s6, s2, 1
	s_sub_i32 s16, s3, s35
	s_cmp_ge_u32 s3, s35
	s_cselect_b32 s2, s6, s2
	s_cselect_b32 s3, s16, s3
	s_add_i32 s6, s2, 1
	s_cmp_ge_u32 s3, s35
	s_cselect_b32 s6, s6, s2
	s_mul_i32 s52, s6, s35
	s_sub_i32 s76, s0, s52
	s_add_i32 s0, s76, 1
	s_cmp_lt_u32 s0, s35
	s_mul_i32 s33, s76, s1
	s_cbranch_scc1 .LBB137_3
; %bb.2:
	s_sub_u32 s0, s8, s33
	s_subb_u32 s1, s9, 0
	s_add_u32 s0, s0, 0xff
	s_addc_u32 s1, s1, 0
	s_ashr_i32 s2, s1, 31
	s_lshr_b32 s2, s2, 24
	s_add_u32 s0, s0, s2
	s_addc_u32 s1, s1, 0
	v_mov_b32_e32 v1, s0
	v_alignbit_b32 v1, s1, v1, 8
	v_readfirstlane_b32 s34, v1
.LBB137_3:
	v_pk_mov_b32 v[2:3], s[14:15], s[14:15] op_sel:[0,1]
	v_cmp_lt_u64_e32 vcc, s[6:7], v[2:3]
	s_mov_b64 s[50:51], 0
	s_mov_b64 s[48:49], 0
	s_cbranch_vccnz .LBB137_5
; %bb.4:
	v_cvt_f32_u32_e32 v1, s14
	s_sub_i32 s0, 0, s14
	s_mov_b32 s49, 0
	v_rcp_iflag_f32_e32 v1, v1
	v_mul_f32_e32 v1, 0x4f7ffffe, v1
	v_cvt_u32_f32_e32 v1, v1
	v_readfirstlane_b32 s1, v1
	s_mul_i32 s0, s0, s1
	s_mul_hi_u32 s0, s1, s0
	s_add_i32 s1, s1, s0
	s_mul_hi_u32 s0, s6, s1
	s_mul_i32 s2, s0, s14
	s_sub_i32 s2, s6, s2
	s_add_i32 s1, s0, 1
	s_sub_i32 s3, s2, s14
	s_cmp_ge_u32 s2, s14
	s_cselect_b32 s0, s1, s0
	s_cselect_b32 s2, s3, s2
	s_add_i32 s1, s0, 1
	s_cmp_ge_u32 s2, s14
	s_cselect_b32 s48, s1, s0
.LBB137_5:
	s_load_dwordx4 s[16:19], s[4:5], 0x1d0
	v_pk_mov_b32 v[2:3], s[12:13], s[12:13] op_sel:[0,1]
	v_cmp_lt_u64_e32 vcc, s[48:49], v[2:3]
	s_cbranch_vccnz .LBB137_7
; %bb.6:
	v_cvt_f32_u32_e32 v1, s12
	s_sub_i32 s0, 0, s12
	v_rcp_iflag_f32_e32 v1, v1
	v_mul_f32_e32 v1, 0x4f7ffffe, v1
	v_cvt_u32_f32_e32 v1, v1
	v_readfirstlane_b32 s1, v1
	s_mul_i32 s0, s0, s1
	s_mul_hi_u32 s0, s1, s0
	s_add_i32 s1, s1, s0
	s_mul_hi_u32 s0, s48, s1
	s_mul_i32 s2, s0, s12
	s_sub_i32 s2, s48, s2
	s_add_i32 s1, s0, 1
	s_sub_i32 s3, s2, s12
	s_cmp_ge_u32 s2, s12
	s_cselect_b32 s0, s1, s0
	s_cselect_b32 s2, s3, s2
	s_add_i32 s1, s0, 1
	s_cmp_ge_u32 s2, s12
	s_cselect_b32 s50, s1, s0
.LBB137_7:
	s_waitcnt lgkmcnt(0)
	v_pk_mov_b32 v[2:3], s[18:19], s[18:19] op_sel:[0,1]
	v_cmp_lt_u64_e32 vcc, s[6:7], v[2:3]
	s_mov_b64 s[56:57], 0
	s_mov_b64 s[54:55], 0
	s_cbranch_vccnz .LBB137_9
; %bb.8:
	v_cvt_f32_u32_e32 v1, s18
	s_sub_i32 s0, 0, s18
	s_mov_b32 s55, 0
	v_rcp_iflag_f32_e32 v1, v1
	v_mul_f32_e32 v1, 0x4f7ffffe, v1
	v_cvt_u32_f32_e32 v1, v1
	v_readfirstlane_b32 s1, v1
	s_mul_i32 s0, s0, s1
	s_mul_hi_u32 s0, s1, s0
	s_add_i32 s1, s1, s0
	s_mul_hi_u32 s0, s6, s1
	s_mul_i32 s2, s0, s18
	s_sub_i32 s2, s6, s2
	s_add_i32 s1, s0, 1
	s_sub_i32 s3, s2, s18
	s_cmp_ge_u32 s2, s18
	s_cselect_b32 s0, s1, s0
	s_cselect_b32 s2, s3, s2
	s_add_i32 s1, s0, 1
	s_cmp_ge_u32 s2, s18
	s_cselect_b32 s54, s1, s0
.LBB137_9:
	s_load_dwordx4 s[20:23], s[4:5], 0x378
	v_pk_mov_b32 v[2:3], s[16:17], s[16:17] op_sel:[0,1]
	v_cmp_lt_u64_e32 vcc, s[54:55], v[2:3]
	s_cbranch_vccnz .LBB137_11
; %bb.10:
	v_cvt_f32_u32_e32 v1, s16
	s_sub_i32 s0, 0, s16
	v_rcp_iflag_f32_e32 v1, v1
	v_mul_f32_e32 v1, 0x4f7ffffe, v1
	v_cvt_u32_f32_e32 v1, v1
	v_readfirstlane_b32 s1, v1
	s_mul_i32 s0, s0, s1
	s_mul_hi_u32 s0, s1, s0
	s_add_i32 s1, s1, s0
	s_mul_hi_u32 s0, s54, s1
	s_mul_i32 s2, s0, s16
	s_sub_i32 s2, s54, s2
	s_add_i32 s1, s0, 1
	s_sub_i32 s3, s2, s16
	s_cmp_ge_u32 s2, s16
	s_cselect_b32 s0, s1, s0
	s_cselect_b32 s2, s3, s2
	s_add_i32 s1, s0, 1
	s_cmp_ge_u32 s2, s16
	s_cselect_b32 s56, s1, s0
.LBB137_11:
	s_waitcnt lgkmcnt(0)
	v_pk_mov_b32 v[2:3], s[22:23], s[22:23] op_sel:[0,1]
	v_cmp_lt_u64_e32 vcc, s[6:7], v[2:3]
	s_mov_b64 s[58:59], 0
	s_mov_b64 s[60:61], 0
	s_cbranch_vccnz .LBB137_13
; %bb.12:
	v_cvt_f32_u32_e32 v1, s22
	s_sub_i32 s0, 0, s22
	s_mov_b32 s61, 0
	v_rcp_iflag_f32_e32 v1, v1
	v_mul_f32_e32 v1, 0x4f7ffffe, v1
	v_cvt_u32_f32_e32 v1, v1
	v_readfirstlane_b32 s1, v1
	s_mul_i32 s0, s0, s1
	s_mul_hi_u32 s0, s1, s0
	s_add_i32 s1, s1, s0
	s_mul_hi_u32 s0, s6, s1
	s_mul_i32 s2, s0, s22
	s_sub_i32 s2, s6, s2
	s_add_i32 s1, s0, 1
	s_sub_i32 s3, s2, s22
	s_cmp_ge_u32 s2, s22
	s_cselect_b32 s0, s1, s0
	s_cselect_b32 s2, s3, s2
	s_add_i32 s1, s0, 1
	s_cmp_ge_u32 s2, s22
	s_cselect_b32 s60, s1, s0
.LBB137_13:
	s_load_dwordx2 s[62:63], s[4:5], 0xe0
	s_load_dwordx4 s[40:43], s[4:5], 0xd0
	s_load_dwordx2 s[64:65], s[4:5], 0x2a0
	s_load_dwordx4 s[44:47], s[4:5], 0x290
	;; [unrolled: 2-line block ×3, first 2 shown]
	v_pk_mov_b32 v[2:3], s[20:21], s[20:21] op_sel:[0,1]
	v_cmp_lt_u64_e32 vcc, s[60:61], v[2:3]
	s_cbranch_vccnz .LBB137_15
; %bb.14:
	v_cvt_f32_u32_e32 v1, s20
	s_sub_i32 s0, 0, s20
	v_rcp_iflag_f32_e32 v1, v1
	v_mul_f32_e32 v1, 0x4f7ffffe, v1
	v_cvt_u32_f32_e32 v1, v1
	v_readfirstlane_b32 s1, v1
	s_mul_i32 s0, s0, s1
	s_mul_hi_u32 s0, s1, s0
	s_add_i32 s1, s1, s0
	s_mul_hi_u32 s0, s60, s1
	s_mul_i32 s2, s0, s20
	s_sub_i32 s2, s60, s2
	s_add_i32 s1, s0, 1
	s_sub_i32 s3, s2, s20
	s_cmp_ge_u32 s2, s20
	s_cselect_b32 s0, s1, s0
	s_cselect_b32 s2, s3, s2
	s_add_i32 s1, s0, 1
	s_cmp_ge_u32 s2, s20
	s_cselect_b32 s58, s1, s0
.LBB137_15:
	s_load_dwordx4 s[24:27], s[4:5], 0x518
	s_load_dwordx2 s[66:67], s[4:5], 0x0
	v_mov_b32_e32 v1, 0
	s_mov_b32 s53, 0
	v_cmp_eq_u32_e64 s[2:3], 0, v0
	s_waitcnt lgkmcnt(0)
	s_add_u32 s0, s24, s6
	s_addc_u32 s1, s25, 0
	global_load_ubyte v5, v1, s[0:1]
	v_cmp_ne_u32_e64 s[0:1], 0, v0
	s_and_saveexec_b64 s[24:25], s[2:3]
	s_cbranch_execz .LBB137_31
; %bb.16:
	s_load_dwordx2 s[70:71], s[4:5], 0x528
	s_lshl_b64 s[72:73], s[52:53], 2
	s_add_u32 s28, s26, s72
	s_addc_u32 s29, s27, s73
	s_mov_b32 s51, 0
	s_waitcnt lgkmcnt(0)
	s_add_u32 s30, s70, s72
	s_addc_u32 s31, s71, s73
	s_cmp_lt_u32 s35, 4
	s_cbranch_scc1 .LBB137_28
; %bb.17:
	s_mov_b32 s52, 0
.LBB137_18:                             ; =>This Inner Loop Header: Depth=1
	s_add_u32 s28, s26, s72
	s_addc_u32 s29, s27, s73
	s_load_dwordx4 s[28:31], s[28:29], 0x0
	s_add_u32 s74, s70, s72
	s_addc_u32 s75, s71, s73
	s_cmp_ge_u32 s52, s76
	s_cbranch_scc0 .LBB137_25
; %bb.19:                               ;   in Loop: Header=BB137_18 Depth=1
	s_add_i32 s57, s52, 1
	s_cmp_ge_u32 s57, s76
	s_cbranch_scc0 .LBB137_26
.LBB137_20:                             ;   in Loop: Header=BB137_18 Depth=1
	s_add_i32 s57, s57, 1
	s_cmp_ge_u32 s57, s76
	s_cbranch_scc0 .LBB137_27
.LBB137_21:                             ;   in Loop: Header=BB137_18 Depth=1
	s_add_i32 s57, s57, 1
	s_cmp_ge_u32 s57, s76
	s_cbranch_scc1 .LBB137_23
.LBB137_22:                             ;   in Loop: Header=BB137_18 Depth=1
	s_load_dword s59, s[74:75], 0xc
	s_waitcnt lgkmcnt(0)
	s_add_i32 s53, s53, s31
	s_add_i32 s7, s59, s7
.LBB137_23:                             ;   in Loop: Header=BB137_18 Depth=1
	s_waitcnt lgkmcnt(0)
	s_add_i32 s28, s28, s51
	s_add_i32 s28, s28, s29
	;; [unrolled: 1-line block ×4, first 2 shown]
	s_add_u32 s26, s26, 16
	s_addc_u32 s27, s27, 0
	s_add_u32 s70, s70, 16
	s_addc_u32 s71, s71, 0
	s_add_i32 s59, s57, 4
	s_add_u32 s30, s70, s72
	s_addc_u32 s31, s71, s73
	s_add_u32 s28, s26, s72
	s_addc_u32 s29, s27, s73
	s_add_i32 s57, s57, 1
	s_cmp_ge_u32 s59, s35
	s_cbranch_scc1 .LBB137_29
; %bb.24:                               ;   in Loop: Header=BB137_18 Depth=1
	s_mov_b32 s52, s57
	s_branch .LBB137_18
.LBB137_25:                             ;   in Loop: Header=BB137_18 Depth=1
	s_load_dword s57, s[74:75], 0x0
	s_waitcnt lgkmcnt(0)
	s_add_i32 s53, s28, s53
	s_add_i32 s7, s57, s7
	;; [unrolled: 1-line block ×3, first 2 shown]
	s_cmp_ge_u32 s57, s76
	s_cbranch_scc1 .LBB137_20
.LBB137_26:                             ;   in Loop: Header=BB137_18 Depth=1
	s_load_dword s59, s[74:75], 0x4
	s_waitcnt lgkmcnt(0)
	s_add_i32 s53, s53, s29
	s_add_i32 s7, s59, s7
	;; [unrolled: 1-line block ×3, first 2 shown]
	s_cmp_ge_u32 s57, s76
	s_cbranch_scc1 .LBB137_21
.LBB137_27:                             ;   in Loop: Header=BB137_18 Depth=1
	s_load_dword s59, s[74:75], 0x8
	s_waitcnt lgkmcnt(0)
	s_add_i32 s53, s53, s30
	s_add_i32 s7, s59, s7
	;; [unrolled: 1-line block ×3, first 2 shown]
	s_cmp_ge_u32 s57, s76
	s_cbranch_scc0 .LBB137_22
	s_branch .LBB137_23
.LBB137_28:
	s_mov_b32 s26, 0
	s_cmp_ge_u32 s26, s35
	s_cbranch_scc0 .LBB137_52
	s_branch .LBB137_30
.LBB137_29:
	s_add_i32 s26, s52, 4
	s_cmp_ge_u32 s26, s35
	s_cbranch_scc0 .LBB137_52
.LBB137_30:
	v_mov_b32_e32 v2, s7
	v_mov_b32_e32 v3, s51
	;; [unrolled: 1-line block ×4, first 2 shown]
	ds_write_b96 v1, v[2:4] offset:1056
.LBB137_31:
	s_or_b64 exec, exec, s[24:25]
	s_load_dwordx4 s[24:27], s[4:5], 0x1b8
	s_load_dwordx4 s[28:31], s[4:5], 0x360
	s_cmp_eq_u32 s34, 0
	s_waitcnt lgkmcnt(0)
	s_barrier
	s_cbranch_scc1 .LBB137_54
; %bb.32:
	s_mul_i32 s7, s60, s23
	s_mul_hi_u32 s23, s60, s22
	s_add_i32 s23, s23, s7
	s_mul_i32 s7, s60, s22
	s_sub_u32 s7, s6, s7
	s_subb_u32 s22, 0, s23
	s_mul_i32 s23, s7, s69
	s_mul_hi_u32 s35, s7, s68
	s_add_i32 s23, s35, s23
	s_mul_i32 s22, s22, s68
	s_add_i32 s23, s23, s22
	s_mul_i32 s22, s7, s68
	s_mul_i32 s7, s56, s17
	s_mul_hi_u32 s17, s56, s16
	s_add_i32 s17, s17, s7
	s_mul_i32 s7, s56, s16
	s_sub_u32 s7, s54, s7
	s_subb_u32 s16, s55, s17
	s_mul_i32 s17, s7, s47
	s_mul_hi_u32 s35, s7, s46
	s_add_i32 s17, s35, s17
	s_mul_i32 s16, s16, s46
	s_add_i32 s35, s17, s16
	s_mul_i32 s46, s7, s46
	s_mul_i32 s7, s56, s45
	s_mul_hi_u32 s16, s56, s44
	s_add_i32 s45, s16, s7
	s_mul_i32 s7, s54, s19
	s_mul_hi_u32 s16, s54, s18
	s_add_i32 s16, s16, s7
	s_mul_i32 s7, s54, s18
	s_sub_u32 s7, s6, s7
	s_subb_u32 s16, 0, s16
	s_mul_i32 s17, s7, s65
	s_mul_hi_u32 s18, s7, s64
	s_add_i32 s17, s18, s17
	s_mul_i32 s16, s16, s64
	s_mul_i32 s19, s7, s64
	;; [unrolled: 1-line block ×3, first 2 shown]
	s_mul_hi_u32 s13, s50, s12
	s_add_i32 s18, s17, s16
	s_add_i32 s13, s13, s7
	s_mul_i32 s7, s50, s12
	s_sub_u32 s7, s48, s7
	s_subb_u32 s12, s49, s13
	s_mul_i32 s13, s7, s43
	s_mul_hi_u32 s16, s7, s42
	s_add_i32 s13, s16, s13
	s_mul_i32 s12, s12, s42
	s_add_i32 s13, s13, s12
	s_mul_i32 s12, s7, s42
	s_mul_i32 s7, s50, s41
	s_mul_hi_u32 s16, s50, s40
	s_add_i32 s41, s16, s7
	s_mul_i32 s7, s48, s15
	s_mul_hi_u32 s15, s48, s14
	s_add_i32 s15, s15, s7
	s_mul_i32 s7, s48, s14
	s_sub_u32 s6, s6, s7
	s_subb_u32 s7, 0, s15
	s_mul_i32 s14, s6, s63
	s_mul_hi_u32 s15, s6, s62
	s_add_i32 s14, s15, s14
	s_mul_i32 s7, s7, s62
	s_add_i32 s14, s14, s7
	s_mul_i32 s15, s6, s62
	s_mul_i32 s6, s58, s21
	s_mul_hi_u32 s7, s58, s20
	s_add_i32 s7, s7, s6
	s_mul_i32 s6, s58, s20
	s_sub_u32 s6, s60, s6
	s_subb_u32 s7, s61, s7
	s_mul_i32 s16, s6, s39
	s_mul_hi_u32 s17, s6, s38
	s_add_i32 s16, s17, s16
	s_mul_i32 s7, s7, s38
	s_add_i32 s7, s16, s7
	s_mul_i32 s16, s58, s37
	s_mul_hi_u32 s17, s58, s36
	s_mul_i32 s40, s50, s40
	s_add_i32 s17, s17, s16
	s_add_u32 s20, s66, s40
	s_addc_u32 s21, s67, s41
	s_add_u32 s12, s20, s12
	s_addc_u32 s13, s21, s13
	s_add_u32 s12, s12, s15
	s_mul_i32 s44, s56, s44
	s_addc_u32 s13, s13, s14
	s_add_u32 s14, s26, s44
	s_addc_u32 s15, s27, s45
	s_add_u32 s14, s14, s46
	s_addc_u32 s15, s15, s35
	s_mul_i32 s16, s58, s36
	s_add_u32 s14, s14, s19
	v_mov_b32_e32 v1, 0
	s_addc_u32 s15, s15, s18
	s_lshl_b64 s[16:17], s[16:17], 3
	ds_read_b96 v[2:4], v1 offset:1056
	s_mul_i32 s6, s6, s38
	s_add_u32 s16, s30, s16
	s_addc_u32 s17, s31, s17
	s_lshl_b64 s[6:7], s[6:7], 3
	s_add_u32 s16, s16, s6
	s_addc_u32 s17, s17, s7
	s_lshl_b64 s[6:7], s[22:23], 3
	s_add_u32 s20, s16, s6
	s_load_dword s6, s[4:5], 0x1b0
	s_waitcnt lgkmcnt(0)
	v_add_u32_e32 v2, v2, v3
	v_lshrrev_b32_e32 v3, 5, v0
	v_add_lshl_u32 v9, v3, v0, 2
	v_lshlrev_b32_e32 v3, 2, v0
	v_lshrrev_b32_e32 v6, 3, v0
	s_addc_u32 s21, s17, s7
	s_load_dwordx2 s[16:17], s[4:5], 0x508
	v_add_lshl_u32 v10, v6, v3, 2
	v_add_u32_e32 v3, -1, v0
	v_lshrrev_b32_e32 v6, 5, v3
	v_add_lshl_u32 v11, v6, v3, 2
	v_mbcnt_lo_u32_b32 v3, -1, 0
	s_movk_i32 s22, 0x80
	s_bitcmp1_b32 s6, 0
	v_mbcnt_hi_u32_b32 v12, -1, v3
	s_waitcnt vmcnt(0)
	v_add_u32_sdwa v8, sext(v5), s22 dst_sel:DWORD dst_unused:UNUSED_PAD src0_sel:BYTE_0 src1_sel:DWORD
	s_cselect_b64 s[4:5], -1, 0
	v_cmp_gt_u32_e64 s[6:7], 64, v0
	v_add_u32_e32 v0, s33, v0
	v_and_b32_e32 v13, 15, v12
	v_bfe_i32 v14, v12, 4, 1
	v_add_u32_e32 v15, -1, v12
	v_and_b32_e32 v16, 64, v12
                                        ; implicit-def: $vgpr17
	s_branch .LBB137_35
.LBB137_33:                             ;   in Loop: Header=BB137_35 Depth=1
	s_or_b64 exec, exec, s[18:19]
	v_add_u32_e32 v2, v3, v2
.LBB137_34:                             ;   in Loop: Header=BB137_35 Depth=1
	s_add_i32 s34, s34, -1
	v_add_u32_e32 v4, v18, v4
	s_cmp_lg_u32 s34, 0
	v_add_u32_e32 v0, 0x100, v0
	s_cbranch_scc0 .LBB137_54
.LBB137_35:                             ; =>This Inner Loop Header: Depth=1
	v_cmp_gt_u64_e32 vcc, s[8:9], v[0:1]
	v_mov_b32_e32 v3, v1
	v_mov_b32_e32 v6, v1
	s_and_saveexec_b64 s[18:19], vcc
	s_cbranch_execz .LBB137_37
; %bb.36:                               ;   in Loop: Header=BB137_35 Depth=1
	v_pk_mov_b32 v[6:7], s[12:13], s[12:13] op_sel:[0,1]
	v_mad_u64_u32 v[6:7], s[26:27], v0, s24, v[6:7]
	v_mov_b32_e32 v18, v7
	v_mad_u64_u32 v[18:19], s[26:27], v0, s25, v[18:19]
	v_mov_b32_e32 v7, v18
	global_load_ubyte v17, v[6:7], off
	s_waitcnt vmcnt(0)
	v_add_u32_sdwa v3, sext(v17), s22 dst_sel:DWORD dst_unused:UNUSED_PAD src0_sel:BYTE_0 src1_sel:DWORD
	v_cmp_gt_u32_e32 vcc, v3, v8
	v_cndmask_b32_e64 v6, 0, 1, vcc
	v_cmp_lt_u32_e32 vcc, v3, v8
	v_cndmask_b32_e64 v3, 0, 1, vcc
	v_cndmask_b32_e64 v3, v3, v6, s[4:5]
	v_cmp_eq_u16_sdwa s[26:27], v17, v5 src0_sel:DWORD src1_sel:BYTE_0
	v_and_b32_e32 v3, 1, v3
	v_cndmask_b32_e64 v6, 0, 1, s[26:27]
.LBB137_37:                             ;   in Loop: Header=BB137_35 Depth=1
	s_or_b64 exec, exec, s[18:19]
	ds_write_b32 v9, v3
	s_waitcnt lgkmcnt(0)
	s_barrier
	s_and_saveexec_b64 s[18:19], s[6:7]
	s_cbranch_execz .LBB137_39
; %bb.38:                               ;   in Loop: Header=BB137_35 Depth=1
	ds_read2_b32 v[18:19], v10 offset1:1
	ds_read2_b32 v[20:21], v10 offset0:2 offset1:3
	v_cmp_ne_u32_e32 vcc, 0, v13
	; wave barrier
	s_waitcnt lgkmcnt(1)
	v_add_u32_e32 v7, v19, v18
	s_waitcnt lgkmcnt(0)
	v_add3_u32 v7, v7, v20, v21
	s_nop 1
	v_mov_b32_dpp v19, v7 row_shr:1 row_mask:0xf bank_mask:0xf
	v_cndmask_b32_e32 v19, 0, v19, vcc
	v_add_u32_e32 v7, v19, v7
	v_cmp_lt_u32_e32 vcc, 1, v13
	s_nop 0
	v_mov_b32_dpp v19, v7 row_shr:2 row_mask:0xf bank_mask:0xf
	v_cndmask_b32_e32 v19, 0, v19, vcc
	v_add_u32_e32 v7, v7, v19
	v_cmp_lt_u32_e32 vcc, 3, v13
	;; [unrolled: 5-line block ×4, first 2 shown]
	s_nop 0
	v_mov_b32_dpp v19, v7 row_bcast:15 row_mask:0xf bank_mask:0xf
	v_and_b32_e32 v19, v14, v19
	v_add_u32_e32 v7, v7, v19
	s_nop 1
	v_mov_b32_dpp v19, v7 row_bcast:31 row_mask:0xf bank_mask:0xf
	v_cndmask_b32_e32 v19, 0, v19, vcc
	v_cmp_lt_i32_e32 vcc, v15, v16
	v_add_u32_e32 v7, v7, v19
	v_cndmask_b32_e32 v19, v15, v12, vcc
	v_lshlrev_b32_e32 v19, 2, v19
	ds_bpermute_b32 v7, v19, v7
	s_waitcnt lgkmcnt(0)
	v_add_u32_e32 v7, v7, v18
	v_cndmask_b32_e64 v7, v7, v3, s[2:3]
	ds_write_b32 v10, v7
	; wave barrier
	ds_read2_b32 v[18:19], v10 offset0:1 offset1:2
	ds_read_b32 v20, v10 offset:12
	s_waitcnt lgkmcnt(1)
	v_add_u32_e32 v7, v18, v7
	v_add_u32_e32 v18, v19, v7
	ds_write2_b32 v10, v7, v18 offset0:1 offset1:2
	s_waitcnt lgkmcnt(1)
	v_add_u32_e32 v7, v20, v18
	ds_write_b32 v10, v7 offset:12
.LBB137_39:                             ;   in Loop: Header=BB137_35 Depth=1
	s_or_b64 exec, exec, s[18:19]
	v_mov_b32_e32 v7, 0
	s_waitcnt lgkmcnt(0)
	s_barrier
	s_and_saveexec_b64 s[18:19], s[0:1]
	s_cbranch_execz .LBB137_41
; %bb.40:                               ;   in Loop: Header=BB137_35 Depth=1
	ds_read_b32 v7, v11
.LBB137_41:                             ;   in Loop: Header=BB137_35 Depth=1
	s_or_b64 exec, exec, s[18:19]
	ds_read_b32 v18, v1 offset:1048
	v_cmp_ne_u32_e32 vcc, 0, v3
	s_waitcnt lgkmcnt(0)
	s_barrier
	s_and_saveexec_b64 s[18:19], vcc
	s_cbranch_execz .LBB137_43
; %bb.42:                               ;   in Loop: Header=BB137_35 Depth=1
	v_add_u32_e32 v3, v7, v4
	v_pk_mov_b32 v[20:21], s[14:15], s[14:15] op_sel:[0,1]
	v_mad_u64_u32 v[20:21], s[26:27], v3, s28, v[20:21]
	v_mov_b32_e32 v22, v21
	v_mad_u64_u32 v[22:23], s[26:27], v3, s29, v[22:23]
	v_mov_b32_e32 v21, v22
	global_store_byte v[20:21], v17, off
	v_mad_u64_u32 v[20:21], s[26:27], v3, s16, 0
	v_mov_b32_e32 v22, v21
	v_mad_u64_u32 v[22:23], s[26:27], v3, s17, v[22:23]
	v_mov_b32_e32 v21, v22
	v_lshlrev_b64 v[20:21], 3, v[20:21]
	v_mov_b32_e32 v3, s21
	v_add_co_u32_e32 v20, vcc, s20, v20
	v_addc_co_u32_e32 v21, vcc, v3, v21, vcc
	global_store_dwordx2 v[20:21], v[0:1], off
.LBB137_43:                             ;   in Loop: Header=BB137_35 Depth=1
	s_or_b64 exec, exec, s[18:19]
	v_mov_b32_e32 v3, v1
	v_cmp_le_u64_e32 vcc, s[10:11], v[2:3]
	s_cbranch_vccnz .LBB137_34
; %bb.44:                               ;   in Loop: Header=BB137_35 Depth=1
	ds_write_b32 v9, v6
	s_waitcnt lgkmcnt(0)
	s_barrier
	s_and_saveexec_b64 s[18:19], s[6:7]
	s_cbranch_execz .LBB137_46
; %bb.45:                               ;   in Loop: Header=BB137_35 Depth=1
	ds_read2_b32 v[20:21], v10 offset1:1
	ds_read2_b32 v[22:23], v10 offset0:2 offset1:3
	v_cmp_ne_u32_e32 vcc, 0, v13
	; wave barrier
	s_waitcnt lgkmcnt(1)
	v_add_u32_e32 v3, v21, v20
	s_waitcnt lgkmcnt(0)
	v_add3_u32 v3, v3, v22, v23
	s_nop 1
	v_mov_b32_dpp v7, v3 row_shr:1 row_mask:0xf bank_mask:0xf
	v_cndmask_b32_e32 v7, 0, v7, vcc
	v_add_u32_e32 v3, v7, v3
	v_cmp_lt_u32_e32 vcc, 1, v13
	s_nop 0
	v_mov_b32_dpp v7, v3 row_shr:2 row_mask:0xf bank_mask:0xf
	v_cndmask_b32_e32 v7, 0, v7, vcc
	v_add_u32_e32 v3, v3, v7
	v_cmp_lt_u32_e32 vcc, 3, v13
	;; [unrolled: 5-line block ×4, first 2 shown]
	s_nop 0
	v_mov_b32_dpp v7, v3 row_bcast:15 row_mask:0xf bank_mask:0xf
	v_and_b32_e32 v7, v14, v7
	v_add_u32_e32 v3, v3, v7
	s_nop 1
	v_mov_b32_dpp v7, v3 row_bcast:31 row_mask:0xf bank_mask:0xf
	v_cndmask_b32_e32 v7, 0, v7, vcc
	v_cmp_lt_i32_e32 vcc, v15, v16
	v_add_u32_e32 v3, v3, v7
	v_cndmask_b32_e32 v7, v15, v12, vcc
	v_lshlrev_b32_e32 v7, 2, v7
	ds_bpermute_b32 v3, v7, v3
	s_waitcnt lgkmcnt(0)
	v_add_u32_e32 v3, v3, v20
	v_cndmask_b32_e64 v3, v3, v6, s[2:3]
	ds_write_b32 v10, v3
	; wave barrier
	ds_read2_b32 v[20:21], v10 offset0:1 offset1:2
	ds_read_b32 v7, v10 offset:12
	s_waitcnt lgkmcnt(1)
	v_add_u32_e32 v3, v20, v3
	v_add_u32_e32 v19, v21, v3
	ds_write2_b32 v10, v3, v19 offset0:1 offset1:2
	s_waitcnt lgkmcnt(1)
	v_add_u32_e32 v3, v7, v19
	ds_write_b32 v10, v3 offset:12
.LBB137_46:                             ;   in Loop: Header=BB137_35 Depth=1
	s_or_b64 exec, exec, s[18:19]
	v_mov_b32_e32 v7, 0
	s_waitcnt lgkmcnt(0)
	s_barrier
	s_and_saveexec_b64 s[18:19], s[0:1]
	s_cbranch_execz .LBB137_48
; %bb.47:                               ;   in Loop: Header=BB137_35 Depth=1
	ds_read_b32 v7, v11
.LBB137_48:                             ;   in Loop: Header=BB137_35 Depth=1
	s_or_b64 exec, exec, s[18:19]
	ds_read_b32 v3, v1 offset:1048
	v_cmp_ne_u32_e32 vcc, 0, v6
	s_waitcnt lgkmcnt(0)
	s_barrier
	s_and_saveexec_b64 s[18:19], vcc
	s_cbranch_execz .LBB137_33
; %bb.49:                               ;   in Loop: Header=BB137_35 Depth=1
	v_add_u32_e32 v6, v7, v2
	v_mov_b32_e32 v7, v1
	v_cmp_gt_u64_e32 vcc, s[10:11], v[6:7]
	s_and_b64 exec, exec, vcc
	s_cbranch_execz .LBB137_33
; %bb.50:                               ;   in Loop: Header=BB137_35 Depth=1
	v_pk_mov_b32 v[20:21], s[14:15], s[14:15] op_sel:[0,1]
	v_mad_u64_u32 v[20:21], s[26:27], v6, s28, v[20:21]
	v_mov_b32_e32 v22, v21
	v_mad_u64_u32 v[22:23], s[26:27], v6, s29, v[22:23]
	v_mov_b32_e32 v21, v22
	global_store_byte v[20:21], v17, off
	v_mad_u64_u32 v[20:21], s[26:27], v6, s16, 0
	v_mov_b32_e32 v22, v21
	v_mad_u64_u32 v[6:7], s[26:27], v6, s17, v[22:23]
	v_mov_b32_e32 v21, v6
	v_lshlrev_b64 v[6:7], 3, v[20:21]
	v_mov_b32_e32 v19, s21
	v_add_co_u32_e32 v6, vcc, s20, v6
	v_addc_co_u32_e32 v7, vcc, v19, v7, vcc
	global_store_dwordx2 v[6:7], v[0:1], off
	s_branch .LBB137_33
.LBB137_51:                             ;   in Loop: Header=BB137_52 Depth=1
	s_add_u32 s28, s28, 4
	s_addc_u32 s29, s29, 0
	s_waitcnt lgkmcnt(0)
	s_add_i32 s51, s27, s51
	s_add_u32 s30, s30, 4
	s_addc_u32 s31, s31, 0
	s_add_i32 s26, s26, 1
	s_cmp_lt_u32 s26, s35
	s_cbranch_scc0 .LBB137_30
.LBB137_52:                             ; =>This Inner Loop Header: Depth=1
	s_load_dword s27, s[28:29], 0x0
	s_cmp_ge_u32 s26, s76
	s_cbranch_scc1 .LBB137_51
; %bb.53:                               ;   in Loop: Header=BB137_52 Depth=1
	s_load_dword s52, s[30:31], 0x0
	s_waitcnt lgkmcnt(0)
	s_add_i32 s53, s27, s53
	s_add_i32 s7, s52, s7
	s_branch .LBB137_51
.LBB137_54:
	s_endpgm
	.section	.rodata,"a",@progbits
	.p2align	6, 0x0
	.amdhsa_kernel _ZN2at6native6mbtopk10gatherTopKIamLi3EEEvNS_4cuda6detail10TensorInfoIKT_T0_EES8_S8_bjS8_NS5_IS6_S8_EES8_NS5_IlS8_EES8_jjPS6_PjSD_j
		.amdhsa_group_segment_fixed_size 1068
		.amdhsa_private_segment_fixed_size 0
		.amdhsa_kernarg_size 1592
		.amdhsa_user_sgpr_count 6
		.amdhsa_user_sgpr_private_segment_buffer 1
		.amdhsa_user_sgpr_dispatch_ptr 0
		.amdhsa_user_sgpr_queue_ptr 0
		.amdhsa_user_sgpr_kernarg_segment_ptr 1
		.amdhsa_user_sgpr_dispatch_id 0
		.amdhsa_user_sgpr_flat_scratch_init 0
		.amdhsa_user_sgpr_kernarg_preload_length 0
		.amdhsa_user_sgpr_kernarg_preload_offset 0
		.amdhsa_user_sgpr_private_segment_size 0
		.amdhsa_uses_dynamic_stack 0
		.amdhsa_system_sgpr_private_segment_wavefront_offset 0
		.amdhsa_system_sgpr_workgroup_id_x 1
		.amdhsa_system_sgpr_workgroup_id_y 1
		.amdhsa_system_sgpr_workgroup_id_z 1
		.amdhsa_system_sgpr_workgroup_info 0
		.amdhsa_system_vgpr_workitem_id 0
		.amdhsa_next_free_vgpr 24
		.amdhsa_next_free_sgpr 77
		.amdhsa_accum_offset 24
		.amdhsa_reserve_vcc 1
		.amdhsa_reserve_flat_scratch 0
		.amdhsa_float_round_mode_32 0
		.amdhsa_float_round_mode_16_64 0
		.amdhsa_float_denorm_mode_32 3
		.amdhsa_float_denorm_mode_16_64 3
		.amdhsa_dx10_clamp 1
		.amdhsa_ieee_mode 1
		.amdhsa_fp16_overflow 0
		.amdhsa_tg_split 0
		.amdhsa_exception_fp_ieee_invalid_op 0
		.amdhsa_exception_fp_denorm_src 0
		.amdhsa_exception_fp_ieee_div_zero 0
		.amdhsa_exception_fp_ieee_overflow 0
		.amdhsa_exception_fp_ieee_underflow 0
		.amdhsa_exception_fp_ieee_inexact 0
		.amdhsa_exception_int_div_zero 0
	.end_amdhsa_kernel
	.section	.text._ZN2at6native6mbtopk10gatherTopKIamLi3EEEvNS_4cuda6detail10TensorInfoIKT_T0_EES8_S8_bjS8_NS5_IS6_S8_EES8_NS5_IlS8_EES8_jjPS6_PjSD_j,"axG",@progbits,_ZN2at6native6mbtopk10gatherTopKIamLi3EEEvNS_4cuda6detail10TensorInfoIKT_T0_EES8_S8_bjS8_NS5_IS6_S8_EES8_NS5_IlS8_EES8_jjPS6_PjSD_j,comdat
.Lfunc_end137:
	.size	_ZN2at6native6mbtopk10gatherTopKIamLi3EEEvNS_4cuda6detail10TensorInfoIKT_T0_EES8_S8_bjS8_NS5_IS6_S8_EES8_NS5_IlS8_EES8_jjPS6_PjSD_j, .Lfunc_end137-_ZN2at6native6mbtopk10gatherTopKIamLi3EEEvNS_4cuda6detail10TensorInfoIKT_T0_EES8_S8_bjS8_NS5_IS6_S8_EES8_NS5_IlS8_EES8_jjPS6_PjSD_j
                                        ; -- End function
	.section	.AMDGPU.csdata,"",@progbits
; Kernel info:
; codeLenInByte = 3180
; NumSgprs: 81
; NumVgprs: 24
; NumAgprs: 0
; TotalNumVgprs: 24
; ScratchSize: 0
; MemoryBound: 0
; FloatMode: 240
; IeeeMode: 1
; LDSByteSize: 1068 bytes/workgroup (compile time only)
; SGPRBlocks: 10
; VGPRBlocks: 2
; NumSGPRsForWavesPerEU: 81
; NumVGPRsForWavesPerEU: 24
; AccumOffset: 24
; Occupancy: 8
; WaveLimiterHint : 1
; COMPUTE_PGM_RSRC2:SCRATCH_EN: 0
; COMPUTE_PGM_RSRC2:USER_SGPR: 6
; COMPUTE_PGM_RSRC2:TRAP_HANDLER: 0
; COMPUTE_PGM_RSRC2:TGID_X_EN: 1
; COMPUTE_PGM_RSRC2:TGID_Y_EN: 1
; COMPUTE_PGM_RSRC2:TGID_Z_EN: 1
; COMPUTE_PGM_RSRC2:TIDIG_COMP_CNT: 0
; COMPUTE_PGM_RSRC3_GFX90A:ACCUM_OFFSET: 5
; COMPUTE_PGM_RSRC3_GFX90A:TG_SPLIT: 0
	.section	.text._ZN2at6native6sbtopk10gatherTopKIamLi3ELb0EEEvNS_4cuda6detail10TensorInfoIKT_T0_EES8_S8_bS8_S8_NS5_IS6_S8_EES8_NS5_IlS8_EES8_PS6_,"axG",@progbits,_ZN2at6native6sbtopk10gatherTopKIamLi3ELb0EEEvNS_4cuda6detail10TensorInfoIKT_T0_EES8_S8_bS8_S8_NS5_IS6_S8_EES8_NS5_IlS8_EES8_PS6_,comdat
	.protected	_ZN2at6native6sbtopk10gatherTopKIamLi3ELb0EEEvNS_4cuda6detail10TensorInfoIKT_T0_EES8_S8_bS8_S8_NS5_IS6_S8_EES8_NS5_IlS8_EES8_PS6_ ; -- Begin function _ZN2at6native6sbtopk10gatherTopKIamLi3ELb0EEEvNS_4cuda6detail10TensorInfoIKT_T0_EES8_S8_bS8_S8_NS5_IS6_S8_EES8_NS5_IlS8_EES8_PS6_
	.globl	_ZN2at6native6sbtopk10gatherTopKIamLi3ELb0EEEvNS_4cuda6detail10TensorInfoIKT_T0_EES8_S8_bS8_S8_NS5_IS6_S8_EES8_NS5_IlS8_EES8_PS6_
	.p2align	8
	.type	_ZN2at6native6sbtopk10gatherTopKIamLi3ELb0EEEvNS_4cuda6detail10TensorInfoIKT_T0_EES8_S8_bS8_S8_NS5_IS6_S8_EES8_NS5_IlS8_EES8_PS6_,@function
_ZN2at6native6sbtopk10gatherTopKIamLi3ELb0EEEvNS_4cuda6detail10TensorInfoIKT_T0_EES8_S8_bS8_S8_NS5_IS6_S8_EES8_NS5_IlS8_EES8_PS6_: ; @_ZN2at6native6sbtopk10gatherTopKIamLi3ELb0EEEvNS_4cuda6detail10TensorInfoIKT_T0_EES8_S8_bS8_S8_NS5_IS6_S8_EES8_NS5_IlS8_EES8_PS6_
; %bb.0:
	s_load_dwordx4 s[56:59], s[4:5], 0x1b8
	s_load_dwordx2 s[18:19], s[4:5], 0x520
	s_mov_b64 s[26:27], s[4:5]
	s_add_u32 s16, s26, 0x520
	s_addc_u32 s17, s27, 0
	s_waitcnt lgkmcnt(0)
	v_mov_b32_e32 v2, s56
	s_mul_i32 s0, s19, s8
	s_add_i32 s0, s0, s7
	s_mul_i32 s0, s0, s18
	v_mov_b32_e32 v3, s57
	s_add_i32 s28, s0, s6
	s_mov_b32 s29, 0
	v_cmp_ge_u64_e32 vcc, s[28:29], v[2:3]
	s_cbranch_vccnz .LBB138_492
; %bb.1:
	s_load_dwordx4 s[0:3], s[26:27], 0x10
	s_mov_b64 s[8:9], 0
	s_mov_b64 s[4:5], 0
	s_waitcnt lgkmcnt(0)
	v_pk_mov_b32 v[2:3], s[2:3], s[2:3] op_sel:[0,1]
	v_cmp_lt_u64_e32 vcc, s[28:29], v[2:3]
	s_cbranch_vccnz .LBB138_3
; %bb.2:
	v_cvt_f32_u32_e32 v1, s2
	s_sub_i32 s4, 0, s2
	s_mov_b32 s5, 0
	v_rcp_iflag_f32_e32 v1, v1
	v_mul_f32_e32 v1, 0x4f7ffffe, v1
	v_cvt_u32_f32_e32 v1, v1
	v_readfirstlane_b32 s7, v1
	s_mul_i32 s4, s4, s7
	s_mul_hi_u32 s4, s7, s4
	s_add_i32 s7, s7, s4
	s_mul_hi_u32 s4, s28, s7
	s_mul_i32 s9, s4, s2
	s_sub_i32 s9, s28, s9
	s_add_i32 s7, s4, 1
	s_sub_i32 s10, s9, s2
	s_cmp_ge_u32 s9, s2
	s_cselect_b32 s4, s7, s4
	s_cselect_b32 s9, s10, s9
	s_add_i32 s7, s4, 1
	s_cmp_ge_u32 s9, s2
	s_cselect_b32 s4, s7, s4
.LBB138_3:
	s_load_dwordx4 s[12:15], s[26:27], 0x1d8
	v_pk_mov_b32 v[2:3], s[0:1], s[0:1] op_sel:[0,1]
	v_cmp_lt_u64_e32 vcc, s[4:5], v[2:3]
	s_cbranch_vccnz .LBB138_5
; %bb.4:
	v_cvt_f32_u32_e32 v1, s0
	s_sub_i32 s7, 0, s0
	v_rcp_iflag_f32_e32 v1, v1
	v_mul_f32_e32 v1, 0x4f7ffffe, v1
	v_cvt_u32_f32_e32 v1, v1
	v_readfirstlane_b32 s8, v1
	s_mul_i32 s7, s7, s8
	s_mul_hi_u32 s7, s8, s7
	s_add_i32 s8, s8, s7
	s_mul_hi_u32 s7, s4, s8
	s_mul_i32 s9, s7, s0
	s_sub_i32 s9, s4, s9
	s_add_i32 s8, s7, 1
	s_sub_i32 s10, s9, s0
	s_cmp_ge_u32 s9, s0
	s_cselect_b32 s7, s8, s7
	s_cselect_b32 s9, s10, s9
	s_add_i32 s8, s7, 1
	s_cmp_ge_u32 s9, s0
	s_cselect_b32 s8, s8, s7
.LBB138_5:
	s_waitcnt lgkmcnt(0)
	v_pk_mov_b32 v[2:3], s[14:15], s[14:15] op_sel:[0,1]
	v_cmp_lt_u64_e32 vcc, s[28:29], v[2:3]
	s_mov_b64 s[10:11], 0
                                        ; implicit-def: $vgpr43 : SGPR spill to VGPR lane
	v_writelane_b32 v43, s10, 0
	s_mov_b64 s[20:21], 0
	v_writelane_b32 v43, s11, 1
	s_cbranch_vccnz .LBB138_7
; %bb.6:
	v_cvt_f32_u32_e32 v1, s14
	s_sub_i32 s7, 0, s14
	s_mov_b32 s21, 0
	v_rcp_iflag_f32_e32 v1, v1
	v_mul_f32_e32 v1, 0x4f7ffffe, v1
	v_cvt_u32_f32_e32 v1, v1
	v_readfirstlane_b32 s9, v1
	s_mul_i32 s7, s7, s9
	s_mul_hi_u32 s7, s9, s7
	s_add_i32 s9, s9, s7
	s_mul_hi_u32 s7, s28, s9
	s_mul_i32 s10, s7, s14
	s_sub_i32 s10, s28, s10
	s_add_i32 s9, s7, 1
	s_sub_i32 s11, s10, s14
	s_cmp_ge_u32 s10, s14
	s_cselect_b32 s7, s9, s7
	s_cselect_b32 s10, s11, s10
	s_add_i32 s9, s7, 1
	s_cmp_ge_u32 s10, s14
	s_cselect_b32 s20, s9, s7
.LBB138_7:
	s_load_dwordx4 s[36:39], s[26:27], 0x380
	v_pk_mov_b32 v[2:3], s[12:13], s[12:13] op_sel:[0,1]
	v_cmp_lt_u64_e32 vcc, s[20:21], v[2:3]
	s_cbranch_vccnz .LBB138_9
; %bb.8:
	v_cvt_f32_u32_e32 v1, s12
	s_sub_i32 s7, 0, s12
	v_rcp_iflag_f32_e32 v1, v1
	v_mul_f32_e32 v1, 0x4f7ffffe, v1
	v_cvt_u32_f32_e32 v1, v1
	v_readfirstlane_b32 s9, v1
	s_mul_i32 s7, s7, s9
	s_mul_hi_u32 s7, s9, s7
	s_add_i32 s9, s9, s7
	s_mul_hi_u32 s7, s20, s9
	s_mul_i32 s10, s7, s12
	s_sub_i32 s10, s20, s10
	s_add_i32 s9, s7, 1
	s_sub_i32 s11, s10, s12
	s_cmp_ge_u32 s10, s12
	s_cselect_b32 s7, s9, s7
	s_cselect_b32 s10, s11, s10
	s_add_i32 s9, s7, 1
	s_cmp_ge_u32 s10, s12
	s_cselect_b32 s10, s9, s7
	v_writelane_b32 v43, s10, 0
	v_writelane_b32 v43, s11, 1
.LBB138_9:
	v_writelane_b32 v43, s20, 2
	v_writelane_b32 v43, s21, 3
	;; [unrolled: 1-line block ×6, first 2 shown]
	s_load_dwordx2 s[10:11], s[26:27], 0xe0
	s_load_dwordx4 s[12:15], s[26:27], 0xd0
	s_waitcnt lgkmcnt(0)
	v_pk_mov_b32 v[2:3], s[38:39], s[38:39] op_sel:[0,1]
	v_cmp_lt_u64_e32 vcc, s[28:29], v[2:3]
	s_mov_b64 s[20:21], 0
	v_writelane_b32 v43, s20, 8
	s_mov_b64 s[22:23], 0
	v_writelane_b32 v43, s21, 9
	s_cbranch_vccnz .LBB138_11
; %bb.10:
	v_cvt_f32_u32_e32 v1, s38
	s_sub_i32 s7, 0, s38
	s_mov_b32 s23, 0
	v_rcp_iflag_f32_e32 v1, v1
	v_mul_f32_e32 v1, 0x4f7ffffe, v1
	v_cvt_u32_f32_e32 v1, v1
	v_readfirstlane_b32 s9, v1
	s_mul_i32 s7, s7, s9
	s_mul_hi_u32 s7, s9, s7
	s_add_i32 s9, s9, s7
	s_mul_hi_u32 s7, s28, s9
	s_mul_i32 s19, s7, s38
	s_sub_i32 s19, s28, s19
	s_add_i32 s9, s7, 1
	s_sub_i32 s20, s19, s38
	s_cmp_ge_u32 s19, s38
	s_cselect_b32 s7, s9, s7
	s_cselect_b32 s19, s20, s19
	s_add_i32 s9, s7, 1
	s_cmp_ge_u32 s19, s38
	s_cselect_b32 s22, s9, s7
.LBB138_11:
	s_load_dwordx2 s[20:21], s[26:27], 0x450
	s_load_dwordx4 s[40:43], s[26:27], 0x440
	v_pk_mov_b32 v[2:3], s[36:37], s[36:37] op_sel:[0,1]
	s_waitcnt lgkmcnt(0)
	v_writelane_b32 v43, s20, 10
	v_writelane_b32 v43, s21, 11
	s_load_dwordx2 s[20:21], s[26:27], 0x2a8
	v_writelane_b32 v43, s40, 12
	v_writelane_b32 v43, s41, 13
	;; [unrolled: 1-line block ×4, first 2 shown]
	s_load_dwordx4 s[40:43], s[26:27], 0x298
	s_waitcnt lgkmcnt(0)
	v_writelane_b32 v43, s20, 16
	v_writelane_b32 v43, s21, 17
	s_load_dwordx2 s[20:21], s[26:27], 0x0
	v_writelane_b32 v43, s40, 18
	v_writelane_b32 v43, s41, 19
	;; [unrolled: 1-line block ×5, first 2 shown]
	v_cmp_lt_u64_e32 vcc, s[22:23], v[2:3]
	v_writelane_b32 v43, s23, 23
	s_cbranch_vccnz .LBB138_13
; %bb.12:
	v_cvt_f32_u32_e32 v1, s36
	s_sub_i32 s7, 0, s36
	v_readlane_b32 s22, v43, 22
	v_readlane_b32 s23, v43, 23
	v_rcp_iflag_f32_e32 v1, v1
	v_mul_f32_e32 v1, 0x4f7ffffe, v1
	v_cvt_u32_f32_e32 v1, v1
	v_readfirstlane_b32 s9, v1
	s_mul_i32 s7, s7, s9
	s_mul_hi_u32 s7, s9, s7
	s_add_i32 s9, s9, s7
	s_mul_hi_u32 s7, s22, s9
	s_mul_i32 s19, s7, s36
	s_sub_i32 s19, s22, s19
	s_add_i32 s9, s7, 1
	s_sub_i32 s22, s19, s36
	s_cmp_ge_u32 s19, s36
	s_cselect_b32 s7, s9, s7
	s_cselect_b32 s19, s22, s19
	s_add_i32 s9, s7, 1
	s_cmp_ge_u32 s19, s36
	s_cselect_b32 s22, s9, s7
	v_writelane_b32 v43, s22, 8
	v_writelane_b32 v43, s23, 9
.LBB138_13:
	s_load_dwordx2 s[22:23], s[26:27], 0x370
	v_writelane_b32 v43, s36, 24
	v_writelane_b32 v43, s37, 25
	;; [unrolled: 1-line block ×4, first 2 shown]
	s_waitcnt lgkmcnt(0)
	v_writelane_b32 v43, s22, 28
	v_writelane_b32 v43, s23, 29
	s_load_dwordx2 s[22:23], s[26:27], 0x1c8
	s_load_dwordx4 s[60:63], s[26:27], 0x1a0
	s_mov_b32 s95, 0
	v_cmp_eq_u32_e64 s[24:25], 0, v0
	s_waitcnt lgkmcnt(0)
	v_writelane_b32 v43, s22, 30
	v_writelane_b32 v43, s23, 31
	s_mov_b64 s[22:23], exec
	v_writelane_b32 v43, s24, 32
	v_writelane_b32 v43, s25, 33
	s_and_b64 s[24:25], s[22:23], s[24:25]
	s_mov_b64 exec, s[24:25]
	s_cbranch_execz .LBB138_15
; %bb.14:
	v_mov_b32_e32 v2, 0
	v_mov_b32_e32 v4, s60
	;; [unrolled: 1-line block ×4, first 2 shown]
	ds_write_b32 v2, v2 offset:5144
	ds_write_b128 v2, v[2:5] offset:5120
.LBB138_15:
	s_or_b64 exec, exec, s[22:23]
	s_mul_i32 s1, s8, s1
	s_mul_hi_u32 s7, s8, s0
	s_add_i32 s7, s7, s1
	s_mul_i32 s0, s8, s0
	s_sub_u32 s0, s4, s0
	s_subb_u32 s1, s5, s7
	s_mul_i32 s5, s0, s15
	s_mul_hi_u32 s7, s0, s14
	s_add_i32 s5, s7, s5
	s_mul_i32 s1, s1, s14
	s_add_i32 s5, s5, s1
	s_mul_i32 s1, s8, s13
	s_mul_hi_u32 s7, s8, s12
	s_add_i32 s7, s7, s1
	s_mul_i32 s1, s8, s12
	s_mul_i32 s3, s4, s3
	s_mul_hi_u32 s8, s4, s2
	s_add_i32 s8, s8, s3
	s_mul_i32 s2, s4, s2
	s_mov_b32 s4, s28
	v_writelane_b32 v43, s4, 34
	s_sub_u32 s2, s28, s2
	v_writelane_b32 v43, s5, 35
	s_subb_u32 s3, 0, s8
	s_mul_i32 s4, s2, s11
	s_mul_hi_u32 s8, s2, s10
	s_add_i32 s4, s8, s4
	s_mul_i32 s3, s3, s10
	s_add_i32 s4, s4, s3
	s_add_u32 s1, s20, s1
	s_mul_i32 s0, s0, s14
	s_addc_u32 s3, s21, s7
	v_writelane_b32 v43, s26, 36
	s_load_dword s7, s[26:27], 0x1b0
	s_add_u32 s0, s1, s0
	s_mul_i32 s2, s2, s10
	s_addc_u32 s1, s3, s5
	s_add_u32 s56, s0, s2
	s_addc_u32 s57, s1, s4
	s_waitcnt lgkmcnt(0)
	s_bitcmp1_b32 s7, 0
	v_writelane_b32 v43, s27, 37
	s_cselect_b64 s[0:1], -1, 0
	v_writelane_b32 v43, s0, 38
	v_mbcnt_lo_u32_b32 v1, -1, 0
	v_writelane_b32 v43, s1, 39
	s_xor_b64 s[0:1], s[0:1], -1
	v_mbcnt_hi_u32_b32 v27, -1, v1
	v_writelane_b32 v43, s0, 40
	v_cmp_gt_u32_e32 vcc, 64, v0
	v_cmp_gt_i32_e64 s[10:11], 4, v27
	v_writelane_b32 v43, s1, 41
	s_and_b64 s[2:3], vcc, s[10:11]
	v_mov_b32_e32 v2, 0xc00
	v_writelane_b32 v43, s2, 42
	v_mov_b32_e32 v3, 0
	v_writelane_b32 v43, s3, 43
	v_cmp_gt_u64_e64 s[2:3], s[60:61], v[2:3]
	v_writelane_b32 v43, s2, 44
	v_pk_mov_b32 v[16:17], s[56:57], s[56:57] op_sel:[0,1]
	v_writelane_b32 v43, s3, 45
	v_mad_u64_u32 v[12:13], s[2:3], v0, s58, v[16:17]
	v_mov_b32_e32 v15, 0
	v_mov_b32_e32 v2, v13
	;; [unrolled: 1-line block ×3, first 2 shown]
	v_mad_u64_u32 v[2:3], s[2:3], v0, s59, v[2:3]
	v_cmp_gt_u64_e64 s[2:3], s[60:61], v[0:1]
	v_writelane_b32 v43, s2, 46
	v_writelane_b32 v43, s3, 47
	v_cmp_gt_u32_e64 s[2:3], 2, v0
	v_writelane_b32 v43, s2, 48
	s_barrier
	v_writelane_b32 v43, s3, 49
	s_load_dword s2, s[16:17], 0xc
	v_mov_b32_e32 v13, v2
	v_lshrrev_b32_e32 v2, 4, v0
	v_and_b32_e32 v28, 60, v2
	v_lshlrev_b32_e32 v2, 2, v27
	s_waitcnt lgkmcnt(0)
	s_and_b32 s33, s2, 0xffff
	s_bfe_u32 s3, s2, 0xa0006
	v_cmp_gt_u16_e64 s[4:5], s2, 63
	v_writelane_b32 v43, s4, 50
	s_add_u32 s2, s33, -1
	v_writelane_b32 v43, s5, 51
	s_addc_u32 s4, 0, -1
	v_writelane_b32 v43, s2, 52
	s_add_u32 s2, s2, s60
	s_addc_u32 s75, s4, s61
	s_cmp_lt_u32 s6, s18
	v_writelane_b32 v43, s2, 53
	s_cselect_b32 s2, 12, 18
	v_writelane_b32 v43, s4, 54
	s_add_u32 s4, s16, s2
	s_addc_u32 s5, s17, 0
	v_writelane_b32 v43, s4, 55
	v_writelane_b32 v43, s5, 56
	s_add_i32 s2, s3, -1
	s_bfe_u32 s4, s33, 0x30006
	s_cmp_gt_u32 s2, 6
	s_cselect_b64 s[6:7], -1, 0
	v_writelane_b32 v43, s6, 57
	s_and_b32 s76, s3, 0x3f8
	v_writelane_b32 v43, s7, 58
	s_cmp_lg_u32 s4, 0
	v_and_b32_e32 v26, 0x100, v2
	v_lshlrev_b64 v[2:3], v27, -1
	v_writelane_b32 v43, s4, 59
	s_cselect_b64 s[2:3], -1, 0
	v_not_b32_e32 v10, v2
	v_writelane_b32 v43, s2, 60
	v_mov_b32_e32 v2, 0xc00
	v_cmp_eq_u32_e64 s[0:1], 0, v27
	v_lshlrev_b32_e32 v18, 2, v0
	v_mov_b32_e32 v19, v15
	v_not_b32_e32 v11, v3
	s_mov_b32 s92, s95
	s_mov_b32 s77, 6
	v_writelane_b32 v43, s3, 61
	v_lshl_or_b32 v29, v27, 3, v2
	s_mov_b64 s[86:87], 0
	v_pk_mov_b32 v[20:21], s[62:63], s[62:63] op_sel:[0,1]
	s_movk_i32 s93, 0x80
	v_mov_b32_e32 v30, 0x4f800000
	v_mov_b32_e32 v33, 0
	;; [unrolled: 1-line block ×4, first 2 shown]
	s_mov_b32 s4, 0
                                        ; implicit-def: $sgpr2_sgpr3
                                        ; implicit-def: $sgpr64_sgpr65
                                        ; implicit-def: $sgpr68_sgpr69
                                        ; implicit-def: $sgpr70_sgpr71
                                        ; implicit-def: $sgpr66_sgpr67
                                        ; implicit-def: $sgpr82_sgpr83
                                        ; implicit-def: $sgpr88_sgpr89
                                        ; implicit-def: $sgpr78_sgpr79
	v_writelane_b32 v43, s4, 62
                                        ; implicit-def: $sgpr84_sgpr85
                                        ; implicit-def: $sgpr30_sgpr31
	s_branch .LBB138_18
.LBB138_16:                             ;   in Loop: Header=BB138_18 Depth=1
	s_or_b64 exec, exec, s[10:11]
	s_andn2_b64 s[10:11], s[30:31], exec
	s_and_b64 s[8:9], s[8:9], exec
	s_or_b64 s[30:31], s[10:11], s[8:9]
	s_andn2_b64 s[84:85], s[84:85], exec
	s_andn2_b64 s[78:79], s[78:79], exec
	;; [unrolled: 1-line block ×4, first 2 shown]
	s_orn2_b64 s[6:7], s[6:7], exec
	v_mov_b32_e32 v31, v9
	v_mov_b32_e32 v32, v8
	v_pk_mov_b32 v[20:21], v[2:3], v[2:3] op_sel:[0,1]
	v_mov_b32_e32 v33, v22
.LBB138_17:                             ;   in Loop: Header=BB138_18 Depth=1
	s_or_b64 exec, exec, s[4:5]
	s_and_b64 s[4:5], exec, s[6:7]
	s_or_b64 s[86:87], s[4:5], s[86:87]
	s_andn2_b64 s[4:5], s[66:67], exec
	s_and_b64 s[6:7], s[30:31], exec
	s_or_b64 s[66:67], s[4:5], s[6:7]
	s_andn2_b64 s[4:5], s[70:71], exec
	s_and_b64 s[6:7], s[84:85], exec
	;; [unrolled: 3-line block ×5, first 2 shown]
	s_or_b64 s[2:3], s[2:3], s[4:5]
	s_andn2_b64 exec, exec, s[86:87]
	s_cbranch_execz .LBB138_488
.LBB138_18:                             ; =>This Loop Header: Depth=1
                                        ;     Child Loop BB138_23 Depth 2
                                        ;     Child Loop BB138_38 Depth 2
	;; [unrolled: 1-line block ×24, first 2 shown]
	ds_read_b128 v[2:5], v15 offset:5120
	s_waitcnt lgkmcnt(0)
	v_readfirstlane_b32 s9, v3
	v_readfirstlane_b32 s8, v2
	s_cmp_lg_u64 s[8:9], 0
	s_cbranch_scc1 .LBB138_45
; %bb.19:                               ;   in Loop: Header=BB138_18 Depth=1
	v_readlane_b32 s4, v43, 44
	v_readlane_b32 s5, v43, 45
	s_and_b64 vcc, exec, s[4:5]
	s_cbranch_vccz .LBB138_31
; %bb.20:                               ;   in Loop: Header=BB138_18 Depth=1
	s_mov_b64 s[4:5], 0xc01
	v_cmp_gt_u64_e32 vcc, s[4:5], v[4:5]
	s_mov_b64 s[8:9], 0
	s_mov_b64 s[4:5], 0
	s_cbranch_vccz .LBB138_32
; %bb.21:                               ;   in Loop: Header=BB138_18 Depth=1
	v_readlane_b32 s4, v43, 55
	v_readlane_b32 s5, v43, 56
	global_load_ubyte v5, v[12:13], off
	v_pk_mov_b32 v[2:3], v[0:1], v[0:1] op_sel:[0,1]
	s_nop 2
	global_load_ushort v4, v15, s[4:5]
	s_mov_b64 s[4:5], 0
	s_branch .LBB138_23
.LBB138_22:                             ;   in Loop: Header=BB138_23 Depth=2
	s_or_b64 exec, exec, s[6:7]
	s_waitcnt vmcnt(0)
	v_mov_b32_e32 v5, v6
	s_andn2_b64 exec, exec, s[4:5]
	s_cbranch_execz .LBB138_104
.LBB138_23:                             ;   Parent Loop BB138_18 Depth=1
                                        ; =>  This Inner Loop Header: Depth=2
	s_waitcnt vmcnt(0)
	v_add_co_u32_sdwa v2, vcc, v2, v4 dst_sel:DWORD dst_unused:UNUSED_PAD src0_sel:DWORD src1_sel:WORD_0
	v_addc_co_u32_e32 v3, vcc, 0, v3, vcc
	v_cmp_gt_u64_e64 s[6:7], s[60:61], v[2:3]
	v_cmp_le_u64_e32 vcc, s[60:61], v[2:3]
	s_waitcnt lgkmcnt(0)
	v_mov_b32_e32 v7, 0
	v_mov_b32_e32 v6, 0
	s_and_saveexec_b64 s[10:11], s[6:7]
	s_cbranch_execz .LBB138_25
; %bb.24:                               ;   in Loop: Header=BB138_23 Depth=2
	v_mad_u64_u32 v[8:9], s[6:7], v2, s58, v[16:17]
	v_mul_lo_u32 v6, v2, s59
	v_mul_lo_u32 v14, v3, s58
	v_add3_u32 v9, v14, v9, v6
	global_load_ubyte v6, v[8:9], off
.LBB138_25:                             ;   in Loop: Header=BB138_23 Depth=2
	s_or_b64 exec, exec, s[10:11]
	v_add_u32_sdwa v8, sext(v5), s93 dst_sel:DWORD dst_unused:UNUSED_PAD src0_sel:BYTE_0 src1_sel:DWORD
	v_and_b32_e32 v8, v8, v31
	v_cmp_eq_u32_e64 s[14:15], v8, v32
	s_cmp_lg_u64 s[14:15], 0
	s_cselect_b64 s[6:7], -1, 0
	s_and_b64 s[6:7], s[0:1], s[6:7]
	s_and_saveexec_b64 s[10:11], s[6:7]
	s_cbranch_execz .LBB138_29
; %bb.26:                               ;   in Loop: Header=BB138_23 Depth=2
	s_mov_b64 s[16:17], exec
	v_mbcnt_lo_u32_b32 v7, s16, 0
	v_mbcnt_hi_u32_b32 v7, s17, v7
	s_bcnt1_i32_b64 s18, s[14:15]
	v_cmp_eq_u32_e64 s[6:7], 0, v7
                                        ; implicit-def: $vgpr8
	s_and_saveexec_b64 s[12:13], s[6:7]
	s_cbranch_execz .LBB138_28
; %bb.27:                               ;   in Loop: Header=BB138_23 Depth=2
	s_bcnt1_i32_b64 s6, s[16:17]
	s_mul_i32 s6, s18, s6
	v_mov_b32_e32 v8, s6
	ds_add_rtn_u32 v8, v15, v8 offset:5144
.LBB138_28:                             ;   in Loop: Header=BB138_23 Depth=2
	s_or_b64 exec, exec, s[12:13]
	s_waitcnt lgkmcnt(0)
	v_readfirstlane_b32 s6, v8
	v_mov_b32_e32 v8, s6
	v_mad_u32_u24 v7, s18, v7, v8
.LBB138_29:                             ;   in Loop: Header=BB138_23 Depth=2
	s_or_b64 exec, exec, s[10:11]
	ds_bpermute_b32 v7, v26, v7
	s_and_b64 s[6:7], exec, vcc
	s_or_b64 s[4:5], s[6:7], s[4:5]
	s_and_saveexec_b64 s[6:7], s[14:15]
	s_cbranch_execz .LBB138_22
; %bb.30:                               ;   in Loop: Header=BB138_23 Depth=2
	v_and_b32_e32 v9, s14, v10
	v_and_b32_e32 v8, s15, v11
	v_bcnt_u32_b32 v9, v9, 0
	v_bcnt_u32_b32 v8, v8, v9
	s_waitcnt lgkmcnt(0)
	v_add_u32_e32 v7, v7, v8
	ds_write_b8 v7, v5
	s_branch .LBB138_22
.LBB138_31:                             ;   in Loop: Header=BB138_18 Depth=1
	s_mov_b64 s[8:9], -1
	s_mov_b64 s[4:5], 0
.LBB138_32:                             ;   in Loop: Header=BB138_18 Depth=1
	s_and_b64 vcc, exec, s[8:9]
	s_cbranch_vccz .LBB138_43
.LBB138_33:                             ;   in Loop: Header=BB138_18 Depth=1
	v_mov_b32_e32 v4, 0
	s_mov_b64 s[4:5], exec
	v_readlane_b32 s6, v43, 46
	v_readlane_b32 s7, v43, 47
	s_and_b64 s[6:7], s[4:5], s[6:7]
	s_mov_b64 exec, s[6:7]
	s_cbranch_execz .LBB138_35
; %bb.34:                               ;   in Loop: Header=BB138_18 Depth=1
	global_load_ubyte v4, v[12:13], off
.LBB138_35:                             ;   in Loop: Header=BB138_18 Depth=1
	s_or_b64 exec, exec, s[4:5]
	s_mov_b64 s[4:5], exec
	v_readlane_b32 s6, v43, 46
	v_readlane_b32 s7, v43, 47
	s_and_b64 s[6:7], s[4:5], s[6:7]
	s_mov_b64 exec, s[6:7]
	s_cbranch_execz .LBB138_40
; %bb.36:                               ;   in Loop: Header=BB138_18 Depth=1
	v_readlane_b32 s6, v43, 55
	v_readlane_b32 s7, v43, 56
	s_mov_b64 s[8:9], 0
	v_mov_b32_e32 v5, v0
	s_nop 2
	global_load_ushort v2, v15, s[6:7]
	s_waitcnt vmcnt(0)
	v_and_b32_e32 v6, 0xffff, v2
	v_pk_mov_b32 v[2:3], v[0:1], v[0:1] op_sel:[0,1]
	s_branch .LBB138_38
.LBB138_37:                             ;   in Loop: Header=BB138_38 Depth=2
	s_or_b64 exec, exec, s[10:11]
	s_and_b64 s[6:7], exec, vcc
	s_or_b64 s[8:9], s[6:7], s[8:9]
	ds_write_b8 v5, v4
	v_add_u32_e32 v5, v5, v6
	s_waitcnt vmcnt(0)
	v_mov_b32_e32 v4, v7
	s_andn2_b64 exec, exec, s[8:9]
	s_cbranch_execz .LBB138_40
.LBB138_38:                             ;   Parent Loop BB138_18 Depth=1
                                        ; =>  This Inner Loop Header: Depth=2
	v_add_co_u32_e32 v2, vcc, v2, v6
	v_addc_co_u32_e32 v3, vcc, 0, v3, vcc
	v_cmp_gt_u64_e64 s[6:7], s[60:61], v[2:3]
	v_cmp_le_u64_e32 vcc, s[60:61], v[2:3]
	v_mov_b32_e32 v7, 0
	s_and_saveexec_b64 s[10:11], s[6:7]
	s_cbranch_execz .LBB138_37
; %bb.39:                               ;   in Loop: Header=BB138_38 Depth=2
	v_pk_mov_b32 v[8:9], s[56:57], s[56:57] op_sel:[0,1]
	v_mad_u64_u32 v[8:9], s[6:7], v2, s58, v[8:9]
	v_mul_lo_u32 v7, v2, s59
	v_mul_lo_u32 v14, v3, s58
	v_add3_u32 v9, v14, v9, v7
	global_load_ubyte v7, v[8:9], off
	s_branch .LBB138_37
.LBB138_40:                             ;   in Loop: Header=BB138_18 Depth=1
	s_or_b64 exec, exec, s[4:5]
	s_waitcnt lgkmcnt(0)
	s_barrier
	s_mov_b64 s[4:5], exec
	v_readlane_b32 s6, v43, 32
	v_readlane_b32 s7, v43, 33
	s_and_b64 s[6:7], s[4:5], s[6:7]
	s_mov_b64 exec, s[6:7]
	s_cbranch_execz .LBB138_42
; %bb.41:                               ;   in Loop: Header=BB138_18 Depth=1
	v_pk_mov_b32 v[2:3], s[60:61], s[60:61] op_sel:[0,1]
	ds_write_b64 v15, v[2:3] offset:5120
.LBB138_42:                             ;   in Loop: Header=BB138_18 Depth=1
	s_or_b64 exec, exec, s[4:5]
	s_mov_b64 s[4:5], -1
	s_waitcnt lgkmcnt(0)
	s_barrier
                                        ; implicit-def: $sgpr8_sgpr9
.LBB138_43:                             ;   in Loop: Header=BB138_18 Depth=1
	s_and_b64 vcc, exec, s[4:5]
	s_cbranch_vccz .LBB138_45
; %bb.44:                               ;   in Loop: Header=BB138_18 Depth=1
	ds_read_b64 v[2:3], v15 offset:5120
	s_waitcnt lgkmcnt(0)
	v_readfirstlane_b32 s8, v2
.LBB138_45:                             ;   in Loop: Header=BB138_18 Depth=1
	s_cmp_lt_i32 s8, 1
	s_cbranch_scc0 .LBB138_60
; %bb.46:                               ;   in Loop: Header=BB138_18 Depth=1
	v_readlane_b32 s4, v43, 55
	v_readlane_b32 s5, v43, 56
	s_nop 4
	global_load_ushort v34, v15, s[4:5]
	s_mov_b32 s4, s95
	s_waitcnt vmcnt(0)
	v_readfirstlane_b32 s5, v34
	s_and_b32 s5, 0xffff, s5
	s_lshl_b32 s9, s5, 2
	s_mov_b32 s5, s61
	s_cmp_lg_u64 s[4:5], 0
	s_cbranch_scc0 .LBB138_80
; %bb.47:                               ;   in Loop: Header=BB138_18 Depth=1
	v_cvt_f32_u32_e32 v2, s9
	s_sub_u32 s4, 0, s9
	s_subb_u32 s5, 0, 0
	v_mac_f32_e32 v2, 0, v30
	v_rcp_f32_e32 v2, v2
	v_mul_f32_e32 v2, 0x5f7ffffc, v2
	v_mul_f32_e32 v3, 0x2f800000, v2
	v_trunc_f32_e32 v3, v3
	v_mac_f32_e32 v2, 0xcf800000, v3
	v_cvt_u32_f32_e32 v3, v3
	v_cvt_u32_f32_e32 v2, v2
	v_readfirstlane_b32 s6, v3
	v_readfirstlane_b32 s7, v2
	s_mul_i32 s10, s4, s6
	s_mul_hi_u32 s12, s4, s7
	s_mul_i32 s11, s5, s7
	s_add_i32 s10, s12, s10
	s_mul_i32 s13, s4, s7
	s_add_i32 s10, s10, s11
	s_mul_hi_u32 s12, s7, s13
	s_mul_hi_u32 s11, s7, s10
	s_mul_i32 s7, s7, s10
	s_add_u32 s7, s12, s7
	s_addc_u32 s11, 0, s11
	s_mul_hi_u32 s14, s6, s13
	s_mul_i32 s13, s6, s13
	s_add_u32 s7, s7, s13
	s_mul_hi_u32 s12, s6, s10
	s_addc_u32 s7, s11, s14
	s_addc_u32 s11, s12, 0
	s_mul_i32 s10, s6, s10
	s_add_u32 s7, s7, s10
	s_addc_u32 s10, 0, s11
	v_add_co_u32_e32 v2, vcc, s7, v2
	s_cmp_lg_u64 vcc, 0
	s_addc_u32 s6, s6, s10
	v_readfirstlane_b32 s10, v2
	s_mul_i32 s7, s4, s6
	s_mul_hi_u32 s11, s4, s10
	s_add_i32 s7, s11, s7
	s_mul_i32 s5, s5, s10
	s_add_i32 s7, s7, s5
	s_mul_i32 s4, s4, s10
	s_mul_hi_u32 s11, s6, s4
	s_mul_i32 s12, s6, s4
	s_mul_i32 s14, s10, s7
	s_mul_hi_u32 s4, s10, s4
	s_mul_hi_u32 s13, s10, s7
	s_add_u32 s4, s4, s14
	s_addc_u32 s10, 0, s13
	s_add_u32 s4, s4, s12
	s_mul_hi_u32 s5, s6, s7
	s_addc_u32 s4, s10, s11
	s_addc_u32 s5, s5, 0
	s_mul_i32 s7, s6, s7
	s_add_u32 s4, s4, s7
	s_addc_u32 s5, 0, s5
	v_add_co_u32_e32 v2, vcc, s4, v2
	s_cmp_lg_u64 vcc, 0
	s_addc_u32 s4, s6, s5
	v_readfirstlane_b32 s7, v2
	s_mul_i32 s6, s60, s4
	s_mul_hi_u32 s10, s60, s7
	s_mul_hi_u32 s5, s60, s4
	s_add_u32 s6, s10, s6
	s_addc_u32 s5, 0, s5
	s_mul_hi_u32 s11, s61, s7
	s_mul_i32 s7, s61, s7
	s_add_u32 s6, s6, s7
	s_mul_hi_u32 s10, s61, s4
	s_addc_u32 s5, s5, s11
	s_addc_u32 s6, s10, 0
	s_mul_i32 s4, s61, s4
	s_add_u32 s4, s5, s4
	s_addc_u32 s5, 0, s6
	s_mul_hi_u32 s6, s9, s4
	s_mul_i32 s4, s9, s4
	s_mul_i32 s5, s9, s5
	v_mov_b32_e32 v2, s4
	s_add_i32 s6, s6, s5
	v_sub_co_u32_e32 v2, vcc, s60, v2
	s_cmp_lg_u64 vcc, 0
	s_subb_u32 s4, s61, s6
	v_subrev_co_u32_e32 v3, vcc, s9, v2
	s_cmp_lg_u64 vcc, 0
	s_subb_u32 s5, s4, 0
	v_subrev_co_u32_e32 v4, vcc, s9, v3
	s_cmp_lg_u64 vcc, 0
	s_subb_u32 s6, s5, 0
	v_cmp_le_u32_e32 vcc, s9, v3
	s_cmp_eq_u32 s5, 0
	v_cndmask_b32_e64 v5, 0, -1, vcc
	s_cselect_b64 vcc, -1, 0
	v_cndmask_b32_e32 v5, -1, v5, vcc
	v_mov_b32_e32 v6, s5
	v_mov_b32_e32 v7, s6
	v_cmp_ne_u32_e32 vcc, 0, v5
	v_cndmask_b32_e32 v5, v6, v7, vcc
	v_cndmask_b32_e32 v4, v3, v4, vcc
	v_cmp_le_u32_e32 vcc, s9, v2
	s_cmp_eq_u32 s4, 0
	v_cndmask_b32_e64 v3, 0, -1, vcc
	s_cselect_b64 vcc, -1, 0
	v_cndmask_b32_e32 v3, -1, v3, vcc
	v_mov_b32_e32 v6, s4
	v_cmp_ne_u32_e32 vcc, 0, v3
	v_cndmask_b32_e32 v3, v6, v5, vcc
	v_cndmask_b32_e32 v2, v2, v4, vcc
	s_cbranch_execnz .LBB138_49
.LBB138_48:                             ;   in Loop: Header=BB138_18 Depth=1
	v_cvt_f32_u32_e32 v2, s9
	s_sub_i32 s4, 0, s9
	v_rcp_iflag_f32_e32 v2, v2
	v_mul_f32_e32 v2, 0x4f7ffffe, v2
	v_cvt_u32_f32_e32 v2, v2
	v_mul_lo_u32 v3, s4, v2
	v_mul_hi_u32 v3, v2, v3
	v_add_u32_e32 v2, v2, v3
	v_mul_hi_u32 v2, s60, v2
	v_mul_lo_u32 v2, v2, s9
	v_sub_u32_e32 v2, s60, v2
	v_subrev_u32_e32 v3, s9, v2
	v_cmp_le_u32_e32 vcc, s9, v2
	v_cndmask_b32_e32 v2, v2, v3, vcc
	v_subrev_u32_e32 v3, s9, v2
	v_cmp_le_u32_e32 vcc, s9, v2
	v_cndmask_b32_e32 v14, v2, v3, vcc
	v_pk_mov_b32 v[2:3], v[14:15], v[14:15] op_sel:[0,1]
.LBB138_49:                             ;   in Loop: Header=BB138_18 Depth=1
	v_mov_b32_e32 v4, s61
	v_sub_co_u32_e32 v22, vcc, s60, v2
	v_subb_co_u32_e32 v23, vcc, v4, v3, vcc
	v_pk_mov_b32 v[2:3], 0, 0
	v_cmp_gt_u64_e32 vcc, v[22:23], v[18:19]
	s_mov_b64 s[10:11], 0
	v_pk_mov_b32 v[4:5], v[2:3], v[2:3] op_sel:[0,1]
	v_pk_mov_b32 v[6:7], v[2:3], v[2:3] op_sel:[0,1]
	;; [unrolled: 1-line block ×3, first 2 shown]
	s_and_saveexec_b64 s[54:55], vcc
	s_cbranch_execz .LBB138_53
; %bb.50:                               ;   in Loop: Header=BB138_18 Depth=1
	s_and_b32 s4, s77, 0xfe
	s_mov_b64 s[80:81], 0
	s_mov_b64 s[72:73], 0
	;; [unrolled: 1-line block ×4, first 2 shown]
	v_pk_mov_b32 v[24:25], v[18:19], v[18:19] op_sel:[0,1]
.LBB138_51:                             ;   Parent Loop BB138_18 Depth=1
                                        ; =>  This Inner Loop Header: Depth=2
	v_pk_mov_b32 v[2:3], s[56:57], s[56:57] op_sel:[0,1]
	v_mul_lo_u32 v4, v24, s59
	v_mul_lo_u32 v5, v25, s58
	v_mad_u64_u32 v[2:3], s[6:7], v24, s58, v[2:3]
	v_mov_b32_e32 v6, s59
	v_add3_u32 v3, v5, v3, v4
	v_add_co_u32_e64 v4, s[6:7], s58, v2
	v_addc_co_u32_e64 v5, s[6:7], v3, v6, s[6:7]
	v_mov_b32_e32 v7, s59
	global_load_sbyte v9, v[2:3], off
	global_load_sbyte v6, v[4:5], off
	v_add_co_u32_e64 v2, s[6:7], s58, v4
	v_addc_co_u32_e64 v3, s[6:7], v5, v7, s[6:7]
	v_mov_b32_e32 v8, s59
	v_add_co_u32_e64 v4, s[6:7], s58, v2
	global_load_sbyte v2, v[2:3], off
	v_addc_co_u32_e64 v5, s[6:7], v3, v8, s[6:7]
	global_load_sbyte v3, v[4:5], off
	v_add_co_u32_e32 v24, vcc, s9, v24
	v_addc_co_u32_e32 v25, vcc, 0, v25, vcc
	v_cmp_ge_u64_e32 vcc, v[24:25], v[22:23]
	s_waitcnt vmcnt(3)
	v_add_u32_e32 v4, 0x80, v9
	s_waitcnt vmcnt(2)
	v_add_u32_e32 v5, 0x80, v6
	v_and_b32_e32 v6, v4, v31
	v_bfe_u32 v4, v4, s4, 2
	v_cmp_eq_u32_e64 s[14:15], v6, v32
	v_and_b32_e32 v6, v5, v31
	v_bfe_u32 v5, v5, s4, 2
	v_cmp_eq_u32_e64 s[6:7], 0, v4
	v_cmp_eq_u32_e64 s[16:17], v6, v32
	s_waitcnt vmcnt(1)
	v_add_u32_e32 v2, 0x80, v2
	v_cmp_eq_u32_e64 s[26:27], 0, v5
	s_and_b64 s[6:7], s[14:15], s[6:7]
	v_cmp_eq_u32_e64 s[34:35], 1, v4
	v_cmp_eq_u32_e64 s[36:37], 2, v4
	;; [unrolled: 1-line block ×3, first 2 shown]
	s_waitcnt vmcnt(0)
	v_add_u32_e32 v3, 0x80, v3
	v_and_b32_e32 v4, v2, v31
	v_bfe_u32 v2, v2, s4, 2
	v_cmp_eq_u32_e64 s[38:39], 1, v5
	v_cmp_eq_u32_e64 s[40:41], 2, v5
	;; [unrolled: 1-line block ×3, first 2 shown]
	v_cndmask_b32_e64 v5, 0, 1, s[6:7]
	s_and_b64 s[26:27], s[16:17], s[26:27]
	v_cmp_eq_u32_e64 s[22:23], v4, v32
	v_and_b32_e32 v4, v3, v31
	v_bfe_u32 v3, v3, s4, 2
	v_cmp_eq_u32_e64 s[6:7], 0, v2
	v_cmp_eq_u32_e64 s[42:43], 1, v2
	;; [unrolled: 1-line block ×4, first 2 shown]
	v_cmp_ne_u32_e64 s[46:47], 0, v5
	v_cndmask_b32_e64 v2, 0, 1, s[26:27]
	v_cmp_eq_u32_e64 s[26:27], v4, v32
	v_cmp_eq_u32_e64 s[48:49], 0, v3
	s_bcnt1_i32_b64 s5, s[46:47]
	v_cmp_ne_u32_e64 s[46:47], 0, v2
	s_and_b64 s[6:7], s[22:23], s[6:7]
	v_cndmask_b32_e64 v2, 0, 1, s[6:7]
	s_bcnt1_i32_b64 s74, s[46:47]
	s_and_b64 s[46:47], s[26:27], s[48:49]
	v_cmp_ne_u32_e64 s[6:7], 0, v2
	v_cndmask_b32_e64 v2, 0, 1, s[46:47]
	s_bcnt1_i32_b64 s46, s[6:7]
	v_cmp_ne_u32_e64 s[6:7], 0, v2
	s_bcnt1_i32_b64 s6, s[6:7]
	s_add_u32 s5, s5, s90
	s_addc_u32 s7, 0, s91
	s_add_u32 s5, s5, s74
	s_addc_u32 s7, s7, 0
	s_add_u32 s5, s5, s46
	s_addc_u32 s7, s7, 0
	s_add_u32 s90, s5, s6
	s_addc_u32 s91, s7, 0
	s_and_b64 s[6:7], s[14:15], s[34:35]
	v_cndmask_b32_e64 v4, 0, 1, s[6:7]
	s_and_b64 s[6:7], s[16:17], s[38:39]
	v_cmp_eq_u32_e64 s[50:51], 1, v3
	v_cndmask_b32_e64 v5, 0, 1, s[6:7]
	s_and_b64 s[6:7], s[22:23], s[42:43]
	v_cndmask_b32_e64 v6, 0, 1, s[6:7]
	s_and_b64 s[6:7], s[26:27], s[50:51]
	v_cndmask_b32_e64 v7, 0, 1, s[6:7]
	v_cmp_ne_u32_e64 s[6:7], 0, v4
	v_cmp_ne_u32_e64 s[34:35], 0, v5
	v_cmp_ne_u32_e64 s[38:39], 0, v6
	v_cmp_ne_u32_e64 s[42:43], 0, v7
	s_bcnt1_i32_b64 s5, s[6:7]
	s_bcnt1_i32_b64 s6, s[34:35]
	s_bcnt1_i32_b64 s7, s[38:39]
	s_bcnt1_i32_b64 s34, s[42:43]
	s_add_u32 s5, s5, s12
	s_addc_u32 s12, 0, s13
	s_add_u32 s5, s5, s6
	s_addc_u32 s6, s12, 0
	s_add_u32 s5, s5, s7
	s_addc_u32 s6, s6, 0
	s_add_u32 s12, s5, s34
	s_addc_u32 s13, s6, 0
	s_and_b64 s[6:7], s[14:15], s[36:37]
	v_cndmask_b32_e64 v6, 0, 1, s[6:7]
	s_and_b64 s[6:7], s[16:17], s[40:41]
	v_cmp_eq_u32_e64 s[52:53], 2, v3
	v_cndmask_b32_e64 v7, 0, 1, s[6:7]
	s_and_b64 s[6:7], s[22:23], s[44:45]
	v_cndmask_b32_e64 v8, 0, 1, s[6:7]
	s_and_b64 s[6:7], s[26:27], s[52:53]
	v_cndmask_b32_e64 v9, 0, 1, s[6:7]
	v_cmp_ne_u32_e64 s[6:7], 0, v6
	v_cmp_ne_u32_e64 s[34:35], 0, v7
	v_cmp_ne_u32_e64 s[36:37], 0, v8
	v_cmp_ne_u32_e64 s[38:39], 0, v9
	s_bcnt1_i32_b64 s5, s[6:7]
	s_bcnt1_i32_b64 s6, s[34:35]
	s_bcnt1_i32_b64 s7, s[36:37]
	;; [unrolled: 25-line block ×3, first 2 shown]
	s_bcnt1_i32_b64 s14, s[18:19]
	s_add_u32 s5, s5, s80
	s_addc_u32 s15, 0, s81
	s_add_u32 s5, s5, s6
	s_addc_u32 s6, s15, 0
	;; [unrolled: 2-line block ×4, first 2 shown]
	v_pk_mov_b32 v[2:3], s[90:91], s[90:91] op_sel:[0,1]
	v_pk_mov_b32 v[4:5], s[12:13], s[12:13] op_sel:[0,1]
	v_pk_mov_b32 v[6:7], s[72:73], s[72:73] op_sel:[0,1]
	s_or_b64 s[10:11], vcc, s[10:11]
	v_pk_mov_b32 v[8:9], s[80:81], s[80:81] op_sel:[0,1]
	s_andn2_b64 exec, exec, s[10:11]
	s_cbranch_execnz .LBB138_51
; %bb.52:                               ;   in Loop: Header=BB138_18 Depth=1
	s_or_b64 exec, exec, s[10:11]
.LBB138_53:                             ;   in Loop: Header=BB138_18 Depth=1
	s_or_b64 exec, exec, s[54:55]
	v_add_co_u32_e32 v22, vcc, v22, v0
	v_addc_co_u32_e32 v23, vcc, 0, v23, vcc
	v_cmp_gt_u64_e32 vcc, s[60:61], v[22:23]
	v_mov_b32_e32 v14, 0
	s_and_saveexec_b64 s[4:5], vcc
	s_cbranch_execz .LBB138_55
; %bb.54:                               ;   in Loop: Header=BB138_18 Depth=1
	v_pk_mov_b32 v[24:25], s[56:57], s[56:57] op_sel:[0,1]
	v_mad_u64_u32 v[24:25], s[6:7], v22, s58, v[24:25]
	v_mul_lo_u32 v14, v22, s59
	v_mul_lo_u32 v35, v23, s58
	v_add3_u32 v25, v35, v25, v14
	global_load_ubyte v14, v[24:25], off
.LBB138_55:                             ;   in Loop: Header=BB138_18 Depth=1
	s_or_b64 exec, exec, s[4:5]
	s_and_saveexec_b64 s[4:5], vcc
	s_cbranch_execz .LBB138_62
; %bb.56:                               ;   in Loop: Header=BB138_18 Depth=1
	s_and_b32 s9, s77, 0xfe
	s_mov_b64 s[10:11], 0
	s_branch .LBB138_58
.LBB138_57:                             ;   in Loop: Header=BB138_58 Depth=2
	s_or_b64 exec, exec, s[12:13]
	s_waitcnt vmcnt(0)
	v_add_u32_sdwa v14, sext(v14), s93 dst_sel:DWORD dst_unused:UNUSED_PAD src0_sel:BYTE_0 src1_sel:DWORD
	s_and_b64 s[6:7], exec, vcc
	v_and_b32_e32 v25, v14, v31
	v_bfe_u32 v14, v14, s9, 2
	s_or_b64 s[10:11], s[6:7], s[10:11]
	v_cmp_eq_u32_e32 vcc, v25, v32
	v_cmp_eq_u32_e64 s[6:7], 0, v14
	s_and_b64 s[6:7], vcc, s[6:7]
	v_cndmask_b32_e64 v25, 0, 1, s[6:7]
	v_cmp_ne_u32_e64 s[6:7], 0, v25
	s_bcnt1_i32_b64 s6, s[6:7]
	v_add_co_u32_e64 v2, s[6:7], s6, v2
	v_addc_co_u32_e64 v3, s[6:7], 0, v3, s[6:7]
	v_cmp_eq_u32_e64 s[6:7], 1, v14
	s_and_b64 s[6:7], vcc, s[6:7]
	v_cndmask_b32_e64 v25, 0, 1, s[6:7]
	v_cmp_ne_u32_e64 s[6:7], 0, v25
	s_bcnt1_i32_b64 s6, s[6:7]
	v_add_co_u32_e64 v4, s[6:7], s6, v4
	v_addc_co_u32_e64 v5, s[6:7], 0, v5, s[6:7]
	;; [unrolled: 7-line block ×3, first 2 shown]
	v_cmp_eq_u32_e64 s[6:7], 3, v14
	s_and_b64 s[6:7], vcc, s[6:7]
	v_cndmask_b32_e64 v14, 0, 1, s[6:7]
	v_cmp_ne_u32_e32 vcc, 0, v14
	s_bcnt1_i32_b64 s6, vcc
	v_add_co_u32_e32 v8, vcc, s6, v8
	v_addc_co_u32_e32 v9, vcc, 0, v9, vcc
	v_mov_b32_e32 v14, v24
	s_andn2_b64 exec, exec, s[10:11]
	s_cbranch_execz .LBB138_61
.LBB138_58:                             ;   Parent Loop BB138_18 Depth=1
                                        ; =>  This Inner Loop Header: Depth=2
	v_add_co_u32_sdwa v22, vcc, v22, v34 dst_sel:DWORD dst_unused:UNUSED_PAD src0_sel:DWORD src1_sel:WORD_0
	v_addc_co_u32_e32 v23, vcc, 0, v23, vcc
	v_cmp_gt_u64_e64 s[6:7], s[60:61], v[22:23]
	v_cmp_le_u64_e32 vcc, s[60:61], v[22:23]
	v_mov_b32_e32 v24, 0
	s_and_saveexec_b64 s[12:13], s[6:7]
	s_cbranch_execz .LBB138_57
; %bb.59:                               ;   in Loop: Header=BB138_58 Depth=2
	v_pk_mov_b32 v[24:25], s[56:57], s[56:57] op_sel:[0,1]
	v_mad_u64_u32 v[24:25], s[6:7], v22, s58, v[24:25]
	v_mul_lo_u32 v35, v22, s59
	v_mul_lo_u32 v36, v23, s58
	v_add3_u32 v25, v36, v25, v35
	global_load_ubyte v24, v[24:25], off
	s_branch .LBB138_57
.LBB138_60:                             ;   in Loop: Header=BB138_18 Depth=1
                                        ; implicit-def: $vgpr8_vgpr9
                                        ; implicit-def: $vgpr4_vgpr5
	s_cbranch_execnz .LBB138_63
	s_branch .LBB138_72
.LBB138_61:                             ;   in Loop: Header=BB138_18 Depth=1
	s_or_b64 exec, exec, s[10:11]
.LBB138_62:                             ;   in Loop: Header=BB138_18 Depth=1
	s_or_b64 exec, exec, s[4:5]
	s_branch .LBB138_72
.LBB138_63:                             ;   in Loop: Header=BB138_18 Depth=1
	v_readlane_b32 s4, v43, 55
	v_readlane_b32 s5, v43, 56
	s_mov_b64 s[10:11], 0
	s_nop 3
	global_load_ushort v14, v15, s[4:5]
	s_waitcnt vmcnt(0)
	v_readfirstlane_b32 s4, v14
	s_and_b32 s4, 0xffff, s4
	s_lshl_b32 s9, s4, 2
	v_cvt_f32_u32_e32 v2, s9
	s_sub_i32 s4, 0, s9
	v_rcp_iflag_f32_e32 v4, v2
	v_pk_mov_b32 v[2:3], 0, 0
	v_pk_mov_b32 v[6:7], v[2:3], v[2:3] op_sel:[0,1]
	v_mul_f32_e32 v4, 0x4f7ffffe, v4
	v_cvt_u32_f32_e32 v8, v4
	v_pk_mov_b32 v[4:5], v[2:3], v[2:3] op_sel:[0,1]
	v_readfirstlane_b32 s5, v8
	s_mul_i32 s4, s4, s5
	s_mul_hi_u32 s4, s5, s4
	s_add_i32 s5, s5, s4
	s_mul_hi_u32 s4, s8, s5
	s_mul_i32 s4, s4, s9
	s_sub_i32 s4, s8, s4
	s_sub_i32 s5, s4, s9
	s_cmp_ge_u32 s4, s9
	s_cselect_b32 s4, s5, s4
	s_sub_i32 s5, s4, s9
	s_cmp_ge_u32 s4, s9
	s_cselect_b32 s4, s5, s4
	s_sub_i32 s94, s8, s4
	v_cmp_gt_u32_e32 vcc, s94, v18
	v_pk_mov_b32 v[8:9], v[2:3], v[2:3] op_sel:[0,1]
	s_and_saveexec_b64 s[12:13], vcc
	s_cbranch_execz .LBB138_67
; %bb.64:                               ;   in Loop: Header=BB138_18 Depth=1
	s_and_b32 s74, s77, 0xfe
	v_mov_b32_e32 v24, v18
	s_mov_b64 s[72:73], 0
	s_mov_b64 s[80:81], 0
	s_mov_b64 s[90:91], 0
	s_mov_b64 s[4:5], 0
	v_pk_mov_b32 v[22:23], v[18:19], v[18:19] op_sel:[0,1]
.LBB138_65:                             ;   Parent Loop BB138_18 Depth=1
                                        ; =>  This Inner Loop Header: Depth=2
	ds_read_b32 v2, v24
	v_add_co_u32_e32 v22, vcc, s9, v22
	v_addc_co_u32_e32 v23, vcc, 0, v23, vcc
	s_waitcnt lgkmcnt(0)
	v_add_u32_sdwa v3, sext(v2), s93 dst_sel:DWORD dst_unused:UNUSED_PAD src0_sel:BYTE_0 src1_sel:DWORD
	v_add_u32_sdwa v4, sext(v2), s93 dst_sel:DWORD dst_unused:UNUSED_PAD src0_sel:BYTE_1 src1_sel:DWORD
	v_and_b32_e32 v6, v3, v31
	v_bfe_u32 v3, v3, s74, 2
	v_add_u32_sdwa v5, sext(v2), s93 dst_sel:DWORD dst_unused:UNUSED_PAD src0_sel:BYTE_2 src1_sel:DWORD
	v_add_u32_sdwa v2, sext(v2), s93 dst_sel:DWORD dst_unused:UNUSED_PAD src0_sel:BYTE_3 src1_sel:DWORD
	v_and_b32_e32 v7, v4, v31
	v_bfe_u32 v4, v4, s74, 2
	v_cmp_eq_u32_e64 s[20:21], v6, v32
	v_cmp_eq_u32_e64 s[6:7], 0, v3
	v_and_b32_e32 v8, v5, v31
	v_and_b32_e32 v9, v2, v31
	v_bfe_u32 v5, v5, s74, 2
	v_bfe_u32 v2, v2, s74, 2
	v_cmp_eq_u32_e64 s[18:19], v7, v32
	v_cmp_eq_u32_e64 s[34:35], 0, v4
	s_and_b64 s[6:7], s[20:21], s[6:7]
	v_cmp_eq_u32_e64 s[16:17], v8, v32
	v_cmp_eq_u32_e64 s[36:37], 0, v5
	;; [unrolled: 1-line block ×6, first 2 shown]
	v_cndmask_b32_e64 v2, 0, 1, s[6:7]
	s_and_b64 s[6:7], s[18:19], s[34:35]
	v_cmp_eq_u32_e64 s[14:15], v9, v32
	v_cmp_eq_u32_e64 s[40:41], 1, v3
	;; [unrolled: 1-line block ×4, first 2 shown]
	v_cndmask_b32_e64 v3, 0, 1, s[6:7]
	s_and_b64 s[6:7], s[16:17], s[36:37]
	v_cmp_eq_u32_e64 s[42:43], 1, v4
	v_cmp_eq_u32_e64 s[50:51], 2, v4
	;; [unrolled: 1-line block ×3, first 2 shown]
	v_cndmask_b32_e64 v4, 0, 1, s[6:7]
	s_and_b64 s[6:7], s[14:15], s[38:39]
	v_cmp_eq_u32_e64 s[44:45], 1, v5
	v_cmp_eq_u32_e64 s[52:53], 2, v5
	;; [unrolled: 1-line block ×3, first 2 shown]
	v_cndmask_b32_e64 v5, 0, 1, s[6:7]
	v_cmp_ne_u32_e64 s[6:7], 0, v2
	v_cmp_ne_u32_e64 s[34:35], 0, v3
	v_cmp_ne_u32_e64 s[36:37], 0, v4
	v_cmp_ne_u32_e64 s[38:39], 0, v5
	s_bcnt1_i32_b64 s6, s[6:7]
	s_bcnt1_i32_b64 s7, s[34:35]
	s_bcnt1_i32_b64 s34, s[36:37]
	s_bcnt1_i32_b64 s35, s[38:39]
	s_add_u32 s4, s6, s4
	s_addc_u32 s5, 0, s5
	s_add_u32 s4, s4, s7
	s_addc_u32 s5, s5, 0
	s_add_u32 s4, s4, s34
	s_addc_u32 s5, s5, 0
	s_add_u32 s4, s4, s35
	s_addc_u32 s5, s5, 0
	s_and_b64 s[6:7], s[20:21], s[40:41]
	v_cndmask_b32_e64 v4, 0, 1, s[6:7]
	s_and_b64 s[6:7], s[18:19], s[42:43]
	v_cndmask_b32_e64 v5, 0, 1, s[6:7]
	s_and_b64 s[6:7], s[16:17], s[44:45]
	v_cndmask_b32_e64 v6, 0, 1, s[6:7]
	s_and_b64 s[6:7], s[14:15], s[46:47]
	v_cndmask_b32_e64 v7, 0, 1, s[6:7]
	v_cmp_ne_u32_e64 s[6:7], 0, v4
	v_cmp_ne_u32_e64 s[34:35], 0, v5
	v_cmp_ne_u32_e64 s[36:37], 0, v6
	v_cmp_ne_u32_e64 s[38:39], 0, v7
	s_bcnt1_i32_b64 s6, s[6:7]
	s_bcnt1_i32_b64 s7, s[34:35]
	s_bcnt1_i32_b64 s34, s[36:37]
	s_bcnt1_i32_b64 s35, s[38:39]
	s_add_u32 s6, s6, s90
	s_addc_u32 s36, 0, s91
	s_add_u32 s6, s6, s7
	s_addc_u32 s7, s36, 0
	s_add_u32 s6, s6, s34
	s_addc_u32 s7, s7, 0
	s_add_u32 s90, s6, s35
	s_addc_u32 s91, s7, 0
	s_and_b64 s[6:7], s[20:21], s[48:49]
	v_cndmask_b32_e64 v6, 0, 1, s[6:7]
	s_and_b64 s[6:7], s[18:19], s[50:51]
	v_cndmask_b32_e64 v7, 0, 1, s[6:7]
	s_and_b64 s[6:7], s[16:17], s[52:53]
	v_cndmask_b32_e64 v8, 0, 1, s[6:7]
	s_and_b64 s[6:7], s[14:15], s[54:55]
	;; [unrolled: 24-line block ×3, first 2 shown]
	v_cndmask_b32_e64 v34, 0, 1, s[6:7]
	v_cmp_ne_u32_e64 s[6:7], 0, v8
	v_cmp_ne_u32_e64 s[14:15], 0, v9
	;; [unrolled: 1-line block ×4, first 2 shown]
	s_bcnt1_i32_b64 s6, s[6:7]
	s_bcnt1_i32_b64 s7, s[14:15]
	s_bcnt1_i32_b64 s14, s[16:17]
	s_bcnt1_i32_b64 s15, s[18:19]
	s_add_u32 s6, s6, s72
	s_addc_u32 s16, 0, s73
	s_add_u32 s6, s6, s7
	s_addc_u32 s7, s16, 0
	;; [unrolled: 2-line block ×3, first 2 shown]
	s_add_u32 s72, s6, s15
	v_cmp_le_u64_e32 vcc, s[94:95], v[22:23]
	s_addc_u32 s73, s7, 0
	v_add_u32_e32 v24, s9, v24
	v_pk_mov_b32 v[2:3], s[4:5], s[4:5] op_sel:[0,1]
	v_pk_mov_b32 v[4:5], s[90:91], s[90:91] op_sel:[0,1]
	;; [unrolled: 1-line block ×3, first 2 shown]
	s_or_b64 s[10:11], vcc, s[10:11]
	v_pk_mov_b32 v[8:9], s[72:73], s[72:73] op_sel:[0,1]
	s_andn2_b64 exec, exec, s[10:11]
	s_cbranch_execnz .LBB138_65
; %bb.66:                               ;   in Loop: Header=BB138_18 Depth=1
	s_or_b64 exec, exec, s[10:11]
.LBB138_67:                             ;   in Loop: Header=BB138_18 Depth=1
	s_or_b64 exec, exec, s[12:13]
	v_and_b32_e32 v24, 0xffff, v14
	v_add_u32_e32 v14, s94, v0
	v_cmp_gt_u32_e32 vcc, s8, v14
	s_and_saveexec_b64 s[4:5], vcc
	s_cbranch_execz .LBB138_71
; %bb.68:                               ;   in Loop: Header=BB138_18 Depth=1
	s_and_b32 s94, s8, 0x7fffffff
	s_and_b32 s10, s77, 0xfe
	s_mov_b64 s[8:9], 0
	v_pk_mov_b32 v[22:23], v[14:15], v[14:15] op_sel:[0,1]
.LBB138_69:                             ;   Parent Loop BB138_18 Depth=1
                                        ; =>  This Inner Loop Header: Depth=2
	ds_read_i8 v25, v14
	v_add_co_u32_e32 v22, vcc, v22, v24
	v_addc_co_u32_e32 v23, vcc, 0, v23, vcc
	s_waitcnt lgkmcnt(0)
	v_add_u32_e32 v25, 0x80, v25
	v_and_b32_e32 v34, v25, v31
	v_bfe_u32 v25, v25, s10, 2
	v_cmp_eq_u32_e64 s[6:7], v34, v32
	v_cmp_eq_u32_e64 s[14:15], 0, v25
	;; [unrolled: 1-line block ×3, first 2 shown]
	s_and_b64 s[12:13], s[6:7], s[14:15]
	v_cmp_eq_u32_e64 s[18:19], 2, v25
	v_cmp_eq_u32_e64 s[20:21], 3, v25
	v_cndmask_b32_e64 v25, 0, 1, s[12:13]
	s_and_b64 s[12:13], s[6:7], s[16:17]
	v_cndmask_b32_e64 v34, 0, 1, s[12:13]
	s_and_b64 s[12:13], s[6:7], s[18:19]
	s_and_b64 s[6:7], s[6:7], s[20:21]
	v_cndmask_b32_e64 v35, 0, 1, s[12:13]
	v_cndmask_b32_e64 v36, 0, 1, s[6:7]
	v_cmp_ne_u32_e64 s[6:7], 0, v25
	v_cmp_ne_u32_e64 s[14:15], 0, v34
	;; [unrolled: 1-line block ×4, first 2 shown]
	v_cmp_le_u64_e32 vcc, s[94:95], v[22:23]
	s_bcnt1_i32_b64 s6, s[6:7]
	s_bcnt1_i32_b64 s7, s[14:15]
	;; [unrolled: 1-line block ×4, first 2 shown]
	s_or_b64 s[8:9], vcc, s[8:9]
	v_add_co_u32_e32 v2, vcc, s6, v2
	v_addc_co_u32_e32 v3, vcc, 0, v3, vcc
	v_add_co_u32_e32 v4, vcc, s7, v4
	v_addc_co_u32_e32 v5, vcc, 0, v5, vcc
	;; [unrolled: 2-line block ×3, first 2 shown]
	v_add_co_u32_e32 v8, vcc, s12, v8
	v_add_u32_e32 v14, v14, v24
	v_addc_co_u32_e32 v9, vcc, 0, v9, vcc
	s_andn2_b64 exec, exec, s[8:9]
	s_cbranch_execnz .LBB138_69
; %bb.70:                               ;   in Loop: Header=BB138_18 Depth=1
	s_or_b64 exec, exec, s[8:9]
.LBB138_71:                             ;   in Loop: Header=BB138_18 Depth=1
	s_or_b64 exec, exec, s[4:5]
.LBB138_72:                             ;   in Loop: Header=BB138_18 Depth=1
	v_readlane_b32 s4, v43, 62
	s_lshl_b32 s6, s4, 6
	s_and_saveexec_b64 s[4:5], s[0:1]
	s_cbranch_execz .LBB138_74
; %bb.73:                               ;   in Loop: Header=BB138_18 Depth=1
	s_waitcnt vmcnt(0)
	v_or_b32_e32 v14, s6, v28
	v_lshlrev_b32_e32 v14, 3, v14
	ds_write_b128 v14, v[2:5] offset:3072
	ds_write_b128 v14, v[6:9] offset:3088
.LBB138_74:                             ;   in Loop: Header=BB138_18 Depth=1
	s_or_b64 exec, exec, s[4:5]
	s_waitcnt lgkmcnt(0)
	s_barrier
	s_mov_b64 s[4:5], exec
	v_readlane_b32 s8, v43, 42
	v_readlane_b32 s9, v43, 43
	s_and_b64 s[8:9], s[4:5], s[8:9]
	s_mov_b64 exec, s[8:9]
	s_cbranch_execz .LBB138_86
; %bb.75:                               ;   in Loop: Header=BB138_18 Depth=1
	v_readlane_b32 s8, v43, 50
	v_readlane_b32 s9, v43, 51
	s_andn2_b64 vcc, exec, s[8:9]
	v_pk_mov_b32 v[2:3], 0, 0
	s_cbranch_vccnz .LBB138_85
; %bb.76:                               ;   in Loop: Header=BB138_18 Depth=1
	v_readlane_b32 s8, v43, 57
	v_readlane_b32 s9, v43, 58
	s_andn2_b64 vcc, exec, s[8:9]
	s_cbranch_vccnz .LBB138_81
; %bb.77:                               ;   in Loop: Header=BB138_18 Depth=1
	v_readlane_b32 s7, v43, 62
	s_waitcnt vmcnt(0)
	v_lshl_add_u32 v4, s7, 9, v29
	s_mov_b32 s7, 0
	v_pk_mov_b32 v[2:3], 0, 0
.LBB138_78:                             ;   Parent Loop BB138_18 Depth=1
                                        ; =>  This Inner Loop Header: Depth=2
	ds_read2_b64 v[6:9], v4 offset1:4
	ds_read2_b64 v[22:25], v4 offset0:8 offset1:12
	ds_read2_b64 v[34:37], v4 offset0:16 offset1:20
	;; [unrolled: 1-line block ×3, first 2 shown]
	s_add_i32 s7, s7, 8
	s_waitcnt lgkmcnt(3)
	v_add_co_u32_e32 v2, vcc, v6, v2
	v_addc_co_u32_e32 v3, vcc, v7, v3, vcc
	v_add_co_u32_e32 v2, vcc, v8, v2
	v_addc_co_u32_e32 v3, vcc, v9, v3, vcc
	s_waitcnt lgkmcnt(2)
	v_add_co_u32_e32 v2, vcc, v22, v2
	v_addc_co_u32_e32 v3, vcc, v23, v3, vcc
	v_add_co_u32_e32 v2, vcc, v24, v2
	v_addc_co_u32_e32 v3, vcc, v25, v3, vcc
	;; [unrolled: 5-line block ×3, first 2 shown]
	s_waitcnt lgkmcnt(0)
	v_add_co_u32_e32 v2, vcc, v38, v2
	v_addc_co_u32_e32 v3, vcc, v39, v3, vcc
	v_add_co_u32_e32 v2, vcc, v40, v2
	v_add_u32_e32 v4, 0x100, v4
	s_cmp_eq_u32 s76, s7
	v_addc_co_u32_e32 v3, vcc, v41, v3, vcc
	s_cbranch_scc0 .LBB138_78
; %bb.79:                               ;   in Loop: Header=BB138_18 Depth=1
	s_mov_b32 s7, s76
	s_branch .LBB138_82
.LBB138_80:                             ;   in Loop: Header=BB138_18 Depth=1
                                        ; implicit-def: $vgpr2_vgpr3
	s_branch .LBB138_48
.LBB138_81:                             ;   in Loop: Header=BB138_18 Depth=1
	s_mov_b32 s7, 0
	v_pk_mov_b32 v[2:3], 0, 0
.LBB138_82:                             ;   in Loop: Header=BB138_18 Depth=1
	v_readlane_b32 s8, v43, 60
	v_readlane_b32 s9, v43, 61
	s_andn2_b64 vcc, exec, s[8:9]
	s_cbranch_vccnz .LBB138_85
; %bb.83:                               ;   in Loop: Header=BB138_18 Depth=1
	v_readlane_b32 s8, v43, 62
	s_lshl_b32 s8, s8, 9
	s_lshl_b32 s7, s7, 5
	s_add_i32 s8, s8, s7
	s_waitcnt vmcnt(0)
	v_add_u32_e32 v4, s8, v29
	v_readlane_b32 s7, v43, 59
.LBB138_84:                             ;   Parent Loop BB138_18 Depth=1
                                        ; =>  This Inner Loop Header: Depth=2
	ds_read_b64 v[6:7], v4
	s_add_i32 s7, s7, -1
	v_add_u32_e32 v4, 32, v4
	s_cmp_lg_u32 s7, 0
	s_waitcnt lgkmcnt(0)
	v_add_co_u32_e32 v2, vcc, v6, v2
	v_addc_co_u32_e32 v3, vcc, v7, v3, vcc
	s_cbranch_scc1 .LBB138_84
.LBB138_85:                             ;   in Loop: Header=BB138_18 Depth=1
	s_waitcnt vmcnt(0)
	v_add_lshl_u32 v4, s6, v27, 3
	ds_write_b64 v4, v[2:3] offset:3072
.LBB138_86:                             ;   in Loop: Header=BB138_18 Depth=1
	s_or_b64 exec, exec, s[4:5]
	s_lshl_b32 s4, s6, 3
	v_mov_b32_e32 v6, s4
	s_waitcnt lgkmcnt(0)
	s_barrier
	s_waitcnt vmcnt(0)
	ds_read_b128 v[2:5], v6 offset:3072
	ds_read_b128 v[6:9], v6 offset:3088
	s_and_b32 s47, s77, 0xfe
	v_readlane_b32 s4, v43, 40
	s_lshl_b32 s94, 3, s47
	v_readlane_b32 s5, v43, 41
	s_waitcnt lgkmcnt(1)
	v_readfirstlane_b32 s17, v3
	v_readfirstlane_b32 s16, v2
	;; [unrolled: 1-line block ×4, first 2 shown]
	s_waitcnt lgkmcnt(0)
	v_readfirstlane_b32 s23, v7
	v_readfirstlane_b32 s22, v6
	;; [unrolled: 1-line block ×4, first 2 shown]
	s_not_b32 s46, s94
	s_andn2_b64 vcc, exec, s[4:5]
	v_cmp_eq_u64_e64 s[14:15], 1, v[20:21]
	s_cbranch_vccnz .LBB138_102
; %bb.87:                               ;   in Loop: Header=BB138_18 Depth=1
	s_cmp_eq_u64 s[16:17], 1
	s_cselect_b64 s[4:5], -1, 0
	s_and_b64 s[6:7], s[4:5], s[14:15]
	s_mov_b64 s[4:5], -1
	v_mov_b32_e32 v8, v32
	v_mov_b32_e32 v9, v31
	;; [unrolled: 1-line block ×3, first 2 shown]
                                        ; implicit-def: $sgpr20_sgpr21
                                        ; implicit-def: $sgpr36_sgpr37
                                        ; implicit-def: $sgpr34_sgpr35
	s_and_saveexec_b64 s[8:9], s[6:7]
	s_cbranch_execz .LBB138_124
; %bb.88:                               ;   in Loop: Header=BB138_18 Depth=1
	ds_read_b64 v[2:3], v15 offset:5120
	s_waitcnt lgkmcnt(0)
	s_barrier
	v_readfirstlane_b32 s4, v2
	v_readfirstlane_b32 s5, v3
	s_mov_b64 s[10:11], exec
	v_readlane_b32 s12, v43, 48
	v_readlane_b32 s13, v43, 49
	s_and_b64 s[12:13], s[10:11], s[12:13]
	s_mov_b64 exec, s[12:13]
	s_cbranch_execz .LBB138_90
; %bb.89:                               ;   in Loop: Header=BB138_18 Depth=1
	ds_write_b8 v0, v15 offset:3072
.LBB138_90:                             ;   in Loop: Header=BB138_18 Depth=1
	s_or_b64 exec, exec, s[10:11]
	v_and_b32_e32 v8, s46, v32
	v_or_b32_e32 v9, s94, v31
	s_cmp_eq_u64 s[4:5], 0
	s_waitcnt lgkmcnt(0)
	s_barrier
	s_cbranch_scc1 .LBB138_107
; %bb.91:                               ;   in Loop: Header=BB138_18 Depth=1
	v_readlane_b32 s10, v43, 52
	s_add_u32 s20, s10, s4
	v_readlane_b32 s10, v43, 54
	s_addc_u32 s11, s10, s5
	s_mov_b32 s10, s95
	s_cmp_lg_u64 s[10:11], 0
	s_cbranch_scc0 .LBB138_151
; %bb.92:                               ;   in Loop: Header=BB138_18 Depth=1
	v_cvt_f32_u32_e32 v2, s33
	s_sub_u32 s10, 0, s33
	s_subb_u32 s12, 0, 0
	v_mac_f32_e32 v2, 0, v30
	v_rcp_f32_e32 v2, v2
	v_mul_f32_e32 v2, 0x5f7ffffc, v2
	v_mul_f32_e32 v3, 0x2f800000, v2
	v_trunc_f32_e32 v3, v3
	v_mac_f32_e32 v2, 0xcf800000, v3
	v_cvt_u32_f32_e32 v3, v3
	v_cvt_u32_f32_e32 v2, v2
	v_readfirstlane_b32 s13, v3
	v_readfirstlane_b32 s21, v2
	s_mul_i32 s26, s10, s13
	s_mul_hi_u32 s28, s10, s21
	s_mul_i32 s27, s12, s21
	s_add_i32 s26, s28, s26
	s_mul_i32 s29, s10, s21
	s_add_i32 s26, s26, s27
	s_mul_hi_u32 s28, s21, s29
	s_mul_hi_u32 s27, s21, s26
	s_mul_i32 s21, s21, s26
	s_add_u32 s21, s28, s21
	s_addc_u32 s27, 0, s27
	s_mul_hi_u32 s34, s13, s29
	s_mul_i32 s29, s13, s29
	s_add_u32 s21, s21, s29
	s_mul_hi_u32 s28, s13, s26
	s_addc_u32 s21, s27, s34
	s_addc_u32 s27, s28, 0
	s_mul_i32 s26, s13, s26
	s_add_u32 s21, s21, s26
	s_addc_u32 s26, 0, s27
	v_add_co_u32_e32 v2, vcc, s21, v2
	s_cmp_lg_u64 vcc, 0
	s_addc_u32 s13, s13, s26
	v_readfirstlane_b32 s26, v2
	s_mul_i32 s21, s10, s13
	s_mul_hi_u32 s27, s10, s26
	s_add_i32 s21, s27, s21
	s_mul_i32 s12, s12, s26
	s_add_i32 s21, s21, s12
	s_mul_i32 s10, s10, s26
	s_mul_hi_u32 s27, s13, s10
	s_mul_i32 s28, s13, s10
	s_mul_i32 s34, s26, s21
	s_mul_hi_u32 s10, s26, s10
	s_mul_hi_u32 s29, s26, s21
	s_add_u32 s10, s10, s34
	s_addc_u32 s26, 0, s29
	s_add_u32 s10, s10, s28
	s_mul_hi_u32 s12, s13, s21
	s_addc_u32 s10, s26, s27
	s_addc_u32 s12, s12, 0
	s_mul_i32 s21, s13, s21
	s_add_u32 s10, s10, s21
	s_addc_u32 s12, 0, s12
	v_add_co_u32_e32 v2, vcc, s10, v2
	s_cmp_lg_u64 vcc, 0
	s_addc_u32 s10, s13, s12
	v_readfirstlane_b32 s21, v2
	s_mul_i32 s13, s20, s10
	s_mul_hi_u32 s26, s20, s21
	s_mul_hi_u32 s12, s20, s10
	s_add_u32 s13, s26, s13
	s_addc_u32 s12, 0, s12
	s_mul_hi_u32 s27, s11, s21
	s_mul_i32 s21, s11, s21
	s_add_u32 s13, s13, s21
	s_mul_hi_u32 s26, s11, s10
	s_addc_u32 s12, s12, s27
	s_addc_u32 s13, s26, 0
	s_mul_i32 s10, s11, s10
	s_add_u32 s10, s12, s10
	s_addc_u32 s12, 0, s13
	s_mul_hi_u32 s13, s33, s10
	s_mul_i32 s10, s33, s10
	s_mul_i32 s12, s33, s12
	v_mov_b32_e32 v2, s10
	s_add_i32 s13, s13, s12
	v_sub_co_u32_e32 v2, vcc, s20, v2
	s_cmp_lg_u64 vcc, 0
	s_subb_u32 s10, s11, s13
	v_subrev_co_u32_e32 v3, vcc, s33, v2
	s_cmp_lg_u64 vcc, 0
	s_subb_u32 s12, s10, 0
	v_subrev_co_u32_e32 v4, vcc, s33, v3
	s_cmp_lg_u64 vcc, 0
	s_subb_u32 s13, s12, 0
	v_cmp_le_u32_e32 vcc, s33, v3
	s_cmp_eq_u32 s12, 0
	v_cndmask_b32_e64 v5, 0, -1, vcc
	s_cselect_b64 vcc, -1, 0
	v_cndmask_b32_e32 v5, -1, v5, vcc
	v_mov_b32_e32 v6, s12
	v_mov_b32_e32 v7, s13
	v_cmp_ne_u32_e32 vcc, 0, v5
	v_cndmask_b32_e32 v5, v6, v7, vcc
	v_cndmask_b32_e32 v4, v3, v4, vcc
	v_cmp_le_u32_e32 vcc, s33, v2
	s_cmp_eq_u32 s10, 0
	v_cndmask_b32_e64 v3, 0, -1, vcc
	s_cselect_b64 vcc, -1, 0
	v_cndmask_b32_e32 v3, -1, v3, vcc
	v_mov_b32_e32 v6, s10
	v_cmp_ne_u32_e32 vcc, 0, v3
	v_cndmask_b32_e32 v3, v6, v5, vcc
	v_cndmask_b32_e32 v2, v2, v4, vcc
	s_cbranch_execnz .LBB138_94
.LBB138_93:                             ;   in Loop: Header=BB138_18 Depth=1
	v_cvt_f32_u32_e32 v2, s33
	s_sub_i32 s10, 0, s33
	v_rcp_iflag_f32_e32 v2, v2
	v_mul_f32_e32 v2, 0x4f7ffffe, v2
	v_cvt_u32_f32_e32 v2, v2
	v_mul_lo_u32 v3, s10, v2
	v_mul_hi_u32 v3, v2, v3
	v_add_u32_e32 v2, v2, v3
	v_mul_hi_u32 v2, s20, v2
	v_mul_lo_u32 v2, v2, s33
	v_sub_u32_e32 v2, s20, v2
	v_subrev_u32_e32 v3, s33, v2
	v_cmp_le_u32_e32 vcc, s33, v2
	v_cndmask_b32_e32 v2, v2, v3, vcc
	v_subrev_u32_e32 v3, s33, v2
	v_cmp_le_u32_e32 vcc, s33, v2
	v_cndmask_b32_e32 v14, v2, v3, vcc
	v_pk_mov_b32 v[2:3], v[14:15], v[14:15] op_sel:[0,1]
.LBB138_94:                             ;   in Loop: Header=BB138_18 Depth=1
	v_mov_b32_e32 v4, s11
	v_sub_co_u32_e32 v2, vcc, s20, v2
	v_subb_co_u32_e32 v3, vcc, v4, v3, vcc
	v_cmp_gt_u64_e32 vcc, v[2:3], v[0:1]
	s_mov_b64 s[10:11], 0
                                        ; implicit-def: $vgpr22
	s_and_saveexec_b64 s[12:13], vcc
	s_cbranch_execz .LBB138_109
; %bb.95:                               ;   in Loop: Header=BB138_18 Depth=1
	v_mov_b32_e32 v6, v0
	v_pk_mov_b32 v[4:5], v[0:1], v[0:1] op_sel:[0,1]
                                        ; implicit-def: $sgpr20_sgpr21
	s_branch .LBB138_97
.LBB138_96:                             ;   in Loop: Header=BB138_97 Depth=2
	s_or_b64 exec, exec, s[26:27]
	s_waitcnt lgkmcnt(0)
	s_barrier
	ds_read_u16 v7, v15 offset:3072
	v_mov_b32_e32 v14, s92
	v_add_co_u32_e32 v4, vcc, s33, v4
	v_addc_co_u32_e32 v5, vcc, v5, v14, vcc
	s_waitcnt lgkmcnt(0)
	v_cmp_ne_u16_sdwa s[26:27], v7, v15 src0_sel:BYTE_0 src1_sel:DWORD
	v_cmp_ge_u64_e32 vcc, v[4:5], v[2:3]
	s_or_b64 s[28:29], vcc, s[26:27]
	s_and_b64 s[28:29], exec, s[28:29]
	s_or_b64 s[10:11], s[28:29], s[10:11]
	s_andn2_b64 s[20:21], s[20:21], exec
	s_and_b64 s[26:27], s[26:27], exec
	v_add_u32_e32 v6, s33, v6
	s_or_b64 s[20:21], s[20:21], s[26:27]
	s_barrier
	s_andn2_b64 exec, exec, s[10:11]
	s_cbranch_execz .LBB138_108
.LBB138_97:                             ;   Parent Loop BB138_18 Depth=1
                                        ; =>  This Inner Loop Header: Depth=2
	v_cmp_gt_u64_e32 vcc, s[4:5], v[4:5]
	v_mov_b32_e32 v7, 0
	s_and_saveexec_b64 s[26:27], vcc
	s_cbranch_execz .LBB138_99
; %bb.98:                               ;   in Loop: Header=BB138_97 Depth=2
	ds_read_u8 v7, v6
.LBB138_99:                             ;   in Loop: Header=BB138_97 Depth=2
	s_or_b64 exec, exec, s[26:27]
	s_and_saveexec_b64 s[26:27], vcc
	s_cbranch_execz .LBB138_96
; %bb.100:                              ;   in Loop: Header=BB138_97 Depth=2
	s_waitcnt lgkmcnt(0)
	v_add_u32_sdwa v14, sext(v7), s93 dst_sel:DWORD dst_unused:UNUSED_PAD src0_sel:BYTE_0 src1_sel:DWORD
	v_and_b32_e32 v14, v14, v9
	v_cmp_eq_u32_e32 vcc, v14, v8
	s_and_b64 exec, exec, vcc
	s_cbranch_execz .LBB138_96
; %bb.101:                              ;   in Loop: Header=BB138_97 Depth=2
	v_lshlrev_b16_e32 v7, 8, v7
	v_or_b32_e32 v7, 1, v7
	ds_write_b16 v15, v7 offset:3072
	s_branch .LBB138_96
.LBB138_102:                            ;   in Loop: Header=BB138_18 Depth=1
	s_mov_b64 s[28:29], 0
	s_mov_b64 s[26:27], 0
                                        ; implicit-def: $sgpr34_sgpr35
                                        ; implicit-def: $sgpr36_sgpr37
                                        ; implicit-def: $sgpr20_sgpr21
                                        ; implicit-def: $vgpr6
                                        ; implicit-def: $vgpr2_vgpr3
                                        ; implicit-def: $vgpr8
                                        ; implicit-def: $vgpr9
                                        ; implicit-def: $vgpr22
	s_cbranch_execnz .LBB138_288
.LBB138_103:                            ;   in Loop: Header=BB138_18 Depth=1
	s_mov_b64 s[14:15], s[20:21]
	s_mov_b64 s[38:39], s[20:21]
	s_and_saveexec_b64 s[4:5], s[28:29]
	s_cbranch_execnz .LBB138_484
	s_branch .LBB138_485
.LBB138_104:                            ;   in Loop: Header=BB138_18 Depth=1
	s_or_b64 exec, exec, s[4:5]
	s_waitcnt lgkmcnt(0)
	s_barrier
	s_mov_b64 s[4:5], exec
	v_readlane_b32 s6, v43, 32
	v_readlane_b32 s7, v43, 33
	s_and_b64 s[6:7], s[4:5], s[6:7]
	s_mov_b64 exec, s[6:7]
	s_cbranch_execz .LBB138_106
; %bb.105:                              ;   in Loop: Header=BB138_18 Depth=1
	ds_read_b32 v2, v15 offset:5144
	s_waitcnt lgkmcnt(0)
	v_ashrrev_i32_e32 v3, 31, v2
	ds_write_b64 v15, v[2:3] offset:5120
.LBB138_106:                            ;   in Loop: Header=BB138_18 Depth=1
	s_or_b64 exec, exec, s[4:5]
	s_waitcnt lgkmcnt(0)
	s_barrier
	s_mov_b64 s[4:5], -1
	s_and_b64 vcc, exec, s[8:9]
	s_cbranch_vccnz .LBB138_33
	s_branch .LBB138_43
.LBB138_107:                            ;   in Loop: Header=BB138_18 Depth=1
	s_mov_b64 s[20:21], -1
	s_mov_b64 s[10:11], 0
                                        ; implicit-def: $sgpr34_sgpr35
                                        ; implicit-def: $vgpr22
	s_mov_b64 s[36:37], s[20:21]
	s_cbranch_execnz .LBB138_110
	s_branch .LBB138_123
.LBB138_108:                            ;   in Loop: Header=BB138_18 Depth=1
	s_or_b64 exec, exec, s[10:11]
	v_lshrrev_b16_e32 v22, 8, v7
	s_and_b64 s[10:11], s[20:21], exec
.LBB138_109:                            ;   in Loop: Header=BB138_18 Depth=1
	s_or_b64 exec, exec, s[12:13]
	s_mov_b64 s[34:35], -1
	s_mov_b64 s[20:21], 0
	s_mov_b64 s[36:37], s[20:21]
	s_branch .LBB138_123
.LBB138_110:                            ;   in Loop: Header=BB138_18 Depth=1
	s_mov_b32 s74, s95
	s_cmp_lg_u64 s[74:75], 0
	s_cbranch_scc0 .LBB138_152
; %bb.111:                              ;   in Loop: Header=BB138_18 Depth=1
	v_cvt_f32_u32_e32 v2, s33
	s_sub_u32 s4, 0, s33
	s_subb_u32 s5, 0, 0
	v_mac_f32_e32 v2, 0, v30
	v_rcp_f32_e32 v2, v2
	v_mul_f32_e32 v2, 0x5f7ffffc, v2
	v_mul_f32_e32 v3, 0x2f800000, v2
	v_trunc_f32_e32 v3, v3
	v_mac_f32_e32 v2, 0xcf800000, v3
	v_cvt_u32_f32_e32 v3, v3
	v_cvt_u32_f32_e32 v2, v2
	v_readfirstlane_b32 s10, v3
	v_readfirstlane_b32 s11, v2
	s_mul_i32 s12, s4, s10
	s_mul_hi_u32 s20, s4, s11
	s_mul_i32 s13, s5, s11
	s_add_i32 s12, s20, s12
	s_mul_i32 s21, s4, s11
	s_add_i32 s12, s12, s13
	s_mul_hi_u32 s20, s11, s21
	s_mul_hi_u32 s13, s11, s12
	s_mul_i32 s11, s11, s12
	s_add_u32 s11, s20, s11
	s_addc_u32 s13, 0, s13
	s_mul_hi_u32 s26, s10, s21
	s_mul_i32 s21, s10, s21
	s_add_u32 s11, s11, s21
	s_mul_hi_u32 s20, s10, s12
	s_addc_u32 s11, s13, s26
	s_addc_u32 s13, s20, 0
	s_mul_i32 s12, s10, s12
	s_add_u32 s11, s11, s12
	s_addc_u32 s12, 0, s13
	v_add_co_u32_e32 v2, vcc, s11, v2
	s_cmp_lg_u64 vcc, 0
	s_addc_u32 s10, s10, s12
	v_readfirstlane_b32 s12, v2
	s_mul_i32 s11, s4, s10
	s_mul_hi_u32 s13, s4, s12
	s_add_i32 s11, s13, s11
	s_mul_i32 s5, s5, s12
	s_add_i32 s11, s11, s5
	s_mul_i32 s4, s4, s12
	s_mul_hi_u32 s13, s10, s4
	s_mul_i32 s20, s10, s4
	s_mul_i32 s26, s12, s11
	s_mul_hi_u32 s4, s12, s4
	s_mul_hi_u32 s21, s12, s11
	s_add_u32 s4, s4, s26
	s_addc_u32 s12, 0, s21
	s_add_u32 s4, s4, s20
	s_mul_hi_u32 s5, s10, s11
	s_addc_u32 s4, s12, s13
	s_addc_u32 s5, s5, 0
	s_mul_i32 s11, s10, s11
	s_add_u32 s4, s4, s11
	s_addc_u32 s5, 0, s5
	v_add_co_u32_e32 v2, vcc, s4, v2
	s_cmp_lg_u64 vcc, 0
	s_addc_u32 s4, s10, s5
	v_readlane_b32 s20, v43, 53
	v_readfirstlane_b32 s11, v2
	s_mul_i32 s10, s20, s4
	s_mul_hi_u32 s12, s20, s11
	s_mul_hi_u32 s5, s20, s4
	s_add_u32 s10, s12, s10
	s_addc_u32 s5, 0, s5
	s_mul_hi_u32 s13, s75, s11
	s_mul_i32 s11, s75, s11
	s_add_u32 s10, s10, s11
	s_mul_hi_u32 s12, s75, s4
	s_addc_u32 s5, s5, s13
	s_addc_u32 s10, s12, 0
	s_mul_i32 s4, s75, s4
	s_add_u32 s4, s5, s4
	s_addc_u32 s5, 0, s10
	s_mul_hi_u32 s10, s33, s4
	s_mul_i32 s4, s33, s4
	s_mul_i32 s5, s33, s5
	v_mov_b32_e32 v2, s4
	s_add_i32 s10, s10, s5
	v_sub_co_u32_e32 v2, vcc, s20, v2
	s_cmp_lg_u64 vcc, 0
	s_subb_u32 s4, s75, s10
	v_subrev_co_u32_e32 v3, vcc, s33, v2
	s_cmp_lg_u64 vcc, 0
	s_subb_u32 s5, s4, 0
	v_subrev_co_u32_e32 v4, vcc, s33, v3
	s_cmp_lg_u64 vcc, 0
	s_subb_u32 s10, s5, 0
	v_cmp_le_u32_e32 vcc, s33, v3
	s_cmp_eq_u32 s5, 0
	v_cndmask_b32_e64 v5, 0, -1, vcc
	s_cselect_b64 vcc, -1, 0
	v_cndmask_b32_e32 v5, -1, v5, vcc
	v_mov_b32_e32 v6, s5
	v_mov_b32_e32 v7, s10
	v_cmp_ne_u32_e32 vcc, 0, v5
	v_cndmask_b32_e32 v5, v6, v7, vcc
	v_cndmask_b32_e32 v4, v3, v4, vcc
	v_cmp_le_u32_e32 vcc, s33, v2
	s_cmp_eq_u32 s4, 0
	v_cndmask_b32_e64 v3, 0, -1, vcc
	s_cselect_b64 vcc, -1, 0
	v_cndmask_b32_e32 v3, -1, v3, vcc
	v_mov_b32_e32 v6, s4
	v_cmp_ne_u32_e32 vcc, 0, v3
	v_cndmask_b32_e32 v3, v6, v5, vcc
	v_cndmask_b32_e32 v2, v2, v4, vcc
	s_cbranch_execnz .LBB138_113
.LBB138_112:                            ;   in Loop: Header=BB138_18 Depth=1
	v_cvt_f32_u32_e32 v2, s33
	s_sub_i32 s4, 0, s33
	v_rcp_iflag_f32_e32 v2, v2
	v_mul_f32_e32 v2, 0x4f7ffffe, v2
	v_cvt_u32_f32_e32 v2, v2
	v_mul_lo_u32 v3, s4, v2
	v_mul_hi_u32 v3, v2, v3
	v_add_u32_e32 v2, v2, v3
	v_readlane_b32 s4, v43, 53
	v_mul_hi_u32 v2, s4, v2
	v_mul_lo_u32 v2, v2, s33
	v_sub_u32_e32 v2, s4, v2
	v_subrev_u32_e32 v3, s33, v2
	v_cmp_le_u32_e32 vcc, s33, v2
	v_cndmask_b32_e32 v2, v2, v3, vcc
	v_subrev_u32_e32 v3, s33, v2
	v_cmp_le_u32_e32 vcc, s33, v2
	v_cndmask_b32_e32 v14, v2, v3, vcc
	v_pk_mov_b32 v[2:3], v[14:15], v[14:15] op_sel:[0,1]
.LBB138_113:                            ;   in Loop: Header=BB138_18 Depth=1
	v_readlane_b32 s4, v43, 53
	v_mov_b32_e32 v4, s75
	v_sub_co_u32_e32 v2, vcc, s4, v2
	v_subb_co_u32_e32 v3, vcc, v4, v3, vcc
	v_cmp_gt_u64_e32 vcc, v[2:3], v[0:1]
	s_mov_b64 s[10:11], 0
                                        ; implicit-def: $vgpr22
	s_and_saveexec_b64 s[4:5], vcc
	s_cbranch_execz .LBB138_122
; %bb.114:                              ;   in Loop: Header=BB138_18 Depth=1
	v_pk_mov_b32 v[4:5], v[0:1], v[0:1] op_sel:[0,1]
                                        ; implicit-def: $sgpr12_sgpr13
	s_branch .LBB138_116
.LBB138_115:                            ;   in Loop: Header=BB138_116 Depth=2
	s_or_b64 exec, exec, s[20:21]
	s_waitcnt lgkmcnt(0)
	s_barrier
	s_waitcnt vmcnt(0)
	ds_read_u16 v6, v15 offset:3072
	v_mov_b32_e32 v7, s92
	v_add_co_u32_e32 v4, vcc, s33, v4
	v_addc_co_u32_e32 v5, vcc, v5, v7, vcc
	s_waitcnt lgkmcnt(0)
	v_cmp_ne_u16_sdwa s[20:21], v6, v15 src0_sel:BYTE_0 src1_sel:DWORD
	v_cmp_ge_u64_e32 vcc, v[4:5], v[2:3]
	s_or_b64 s[26:27], vcc, s[20:21]
	s_and_b64 s[26:27], exec, s[26:27]
	s_or_b64 s[10:11], s[26:27], s[10:11]
	s_andn2_b64 s[12:13], s[12:13], exec
	s_and_b64 s[20:21], s[20:21], exec
	s_or_b64 s[12:13], s[12:13], s[20:21]
	s_barrier
	s_andn2_b64 exec, exec, s[10:11]
	s_cbranch_execz .LBB138_121
.LBB138_116:                            ;   Parent Loop BB138_18 Depth=1
                                        ; =>  This Inner Loop Header: Depth=2
	v_cmp_gt_u64_e32 vcc, s[60:61], v[4:5]
	v_mov_b32_e32 v6, 0
	s_and_saveexec_b64 s[20:21], vcc
	s_cbranch_execz .LBB138_118
; %bb.117:                              ;   in Loop: Header=BB138_116 Depth=2
	v_pk_mov_b32 v[6:7], s[56:57], s[56:57] op_sel:[0,1]
	v_mad_u64_u32 v[6:7], s[26:27], v4, s58, v[6:7]
	v_mul_lo_u32 v14, v4, s59
	v_mul_lo_u32 v22, v5, s58
	v_add3_u32 v7, v22, v7, v14
	global_load_ubyte v6, v[6:7], off
.LBB138_118:                            ;   in Loop: Header=BB138_116 Depth=2
	s_or_b64 exec, exec, s[20:21]
	s_and_saveexec_b64 s[20:21], vcc
	s_cbranch_execz .LBB138_115
; %bb.119:                              ;   in Loop: Header=BB138_116 Depth=2
	s_waitcnt vmcnt(0)
	v_add_u32_sdwa v7, sext(v6), s93 dst_sel:DWORD dst_unused:UNUSED_PAD src0_sel:BYTE_0 src1_sel:DWORD
	v_and_b32_e32 v7, v7, v9
	v_cmp_eq_u32_e32 vcc, v7, v8
	s_and_b64 exec, exec, vcc
	s_cbranch_execz .LBB138_115
; %bb.120:                              ;   in Loop: Header=BB138_116 Depth=2
	v_lshlrev_b16_e32 v6, 8, v6
	v_or_b32_e32 v6, 1, v6
	ds_write_b16 v15, v6 offset:3072
	s_branch .LBB138_115
.LBB138_121:                            ;   in Loop: Header=BB138_18 Depth=1
	s_or_b64 exec, exec, s[10:11]
	v_lshrrev_b16_e32 v22, 8, v6
	s_and_b64 s[10:11], s[12:13], exec
.LBB138_122:                            ;   in Loop: Header=BB138_18 Depth=1
	s_or_b64 exec, exec, s[4:5]
	s_mov_b64 s[36:37], -1
	s_mov_b64 s[20:21], 0
	s_mov_b64 s[34:35], 0
.LBB138_123:                            ;   in Loop: Header=BB138_18 Depth=1
	s_orn2_b64 s[4:5], s[10:11], exec
.LBB138_124:                            ;   in Loop: Header=BB138_18 Depth=1
	s_or_b64 exec, exec, s[8:9]
	s_mov_b64 s[38:39], 0
	s_mov_b64 s[28:29], 0
	;; [unrolled: 1-line block ×3, first 2 shown]
                                        ; implicit-def: $vgpr6
                                        ; implicit-def: $vgpr2_vgpr3
	s_and_saveexec_b64 s[40:41], s[4:5]
	s_cbranch_execz .LBB138_287
; %bb.125:                              ;   in Loop: Header=BB138_18 Depth=1
	v_mov_b32_e32 v2, 1
	s_xor_b64 s[8:9], s[6:7], -1
	s_mov_b64 s[6:7], 0
	v_mov_b32_e32 v3, 0
	v_mov_b32_e32 v6, 1
	s_and_saveexec_b64 s[4:5], s[8:9]
	s_cbranch_execz .LBB138_135
; %bb.126:                              ;   in Loop: Header=BB138_18 Depth=1
	v_cmp_ge_u64_e32 vcc, s[16:17], v[20:21]
                                        ; implicit-def: $sgpr10
                                        ; implicit-def: $sgpr6_sgpr7
	s_and_saveexec_b64 s[8:9], vcc
	s_xor_b64 s[8:9], exec, s[8:9]
	s_cbranch_execz .LBB138_132
; %bb.127:                              ;   in Loop: Header=BB138_18 Depth=1
	ds_read_b64 v[2:3], v15 offset:5120
	s_waitcnt lgkmcnt(0)
	v_cmp_ne_u64_e32 vcc, 0, v[2:3]
	s_cbranch_vccnz .LBB138_131
; %bb.128:                              ;   in Loop: Header=BB138_18 Depth=1
	s_mov_b64 s[6:7], exec
	v_readlane_b32 s10, v43, 32
	v_readlane_b32 s11, v43, 33
	s_and_b64 s[10:11], s[6:7], s[10:11]
	s_mov_b64 exec, s[10:11]
	s_cbranch_execz .LBB138_130
; %bb.129:                              ;   in Loop: Header=BB138_18 Depth=1
	v_pk_mov_b32 v[2:3], s[16:17], s[16:17] op_sel:[0,1]
	ds_write_b64 v15, v[2:3] offset:5128
.LBB138_130:                            ;   in Loop: Header=BB138_18 Depth=1
	s_or_b64 exec, exec, s[6:7]
	s_waitcnt lgkmcnt(0)
	s_barrier
.LBB138_131:                            ;   in Loop: Header=BB138_18 Depth=1
	v_and_b32_e32 v8, s46, v8
	v_or_b32_e32 v9, s94, v9
	s_mov_b64 s[6:7], 0
	s_mov_b32 s10, 8
.LBB138_132:                            ;   in Loop: Header=BB138_18 Depth=1
	s_or_saveexec_b64 s[8:9], s[8:9]
	v_mov_b32_e32 v6, s10
	v_pk_mov_b32 v[2:3], v[20:21], v[20:21] op_sel:[0,1]
	s_xor_b64 exec, exec, s[8:9]
; %bb.133:                              ;   in Loop: Header=BB138_18 Depth=1
	v_mov_b32_e32 v3, s17
	v_subrev_co_u32_e32 v2, vcc, s16, v20
	v_subb_co_u32_e32 v3, vcc, v21, v3, vcc
	v_mov_b32_e32 v6, 0
	s_or_b64 s[6:7], s[6:7], exec
; %bb.134:                              ;   in Loop: Header=BB138_18 Depth=1
	s_or_b64 exec, exec, s[8:9]
	s_and_b64 s[6:7], s[6:7], exec
.LBB138_135:                            ;   in Loop: Header=BB138_18 Depth=1
	s_or_b64 exec, exec, s[4:5]
	s_mov_b64 s[26:27], -1
                                        ; implicit-def: $sgpr4_sgpr5
                                        ; implicit-def: $sgpr8_sgpr9
                                        ; implicit-def: $sgpr10_sgpr11
	s_and_saveexec_b64 s[12:13], s[6:7]
	s_xor_b64 s[6:7], exec, s[12:13]
	s_cbranch_execz .LBB138_284
; %bb.136:                              ;   in Loop: Header=BB138_18 Depth=1
	s_cmp_eq_u64 s[18:19], 1
	s_cselect_b64 s[4:5], -1, 0
	v_cmp_eq_u64_e32 vcc, 1, v[2:3]
	s_and_b64 s[8:9], s[4:5], vcc
	s_mov_b64 s[4:5], -1
                                        ; implicit-def: $sgpr26_sgpr27
                                        ; implicit-def: $sgpr42_sgpr43
                                        ; implicit-def: $sgpr28_sgpr29
	s_and_saveexec_b64 s[44:45], s[8:9]
	s_cbranch_execz .LBB138_170
; %bb.137:                              ;   in Loop: Header=BB138_18 Depth=1
	ds_read_b64 v[4:5], v15 offset:5120
	s_waitcnt lgkmcnt(0)
	s_barrier
	v_readfirstlane_b32 s4, v4
	v_readfirstlane_b32 s5, v5
	s_mov_b64 s[10:11], exec
	v_readlane_b32 s12, v43, 48
	v_readlane_b32 s13, v43, 49
	s_and_b64 s[12:13], s[10:11], s[12:13]
	s_mov_b64 exec, s[12:13]
	s_cbranch_execz .LBB138_139
; %bb.138:                              ;   in Loop: Header=BB138_18 Depth=1
	ds_write_b8 v0, v15 offset:3072
.LBB138_139:                            ;   in Loop: Header=BB138_18 Depth=1
	s_or_b64 exec, exec, s[10:11]
	v_and_b32_e32 v4, s46, v8
	v_lshl_or_b32 v8, 1, s47, v4
	v_or_b32_e32 v9, s94, v9
	s_cmp_eq_u64 s[4:5], 0
	s_waitcnt lgkmcnt(0)
	s_barrier
	s_cbranch_scc1 .LBB138_153
; %bb.140:                              ;   in Loop: Header=BB138_18 Depth=1
	v_readlane_b32 s10, v43, 52
	s_add_u32 s26, s10, s4
	v_readlane_b32 s10, v43, 54
	s_addc_u32 s11, s10, s5
	s_mov_b32 s10, s95
	s_cmp_lg_u64 s[10:11], 0
	s_cbranch_scc0 .LBB138_197
; %bb.141:                              ;   in Loop: Header=BB138_18 Depth=1
	v_cvt_f32_u32_e32 v4, s33
	s_sub_u32 s10, 0, s33
	s_subb_u32 s12, 0, 0
	v_mac_f32_e32 v4, 0, v30
	v_rcp_f32_e32 v4, v4
	v_mul_f32_e32 v4, 0x5f7ffffc, v4
	v_mul_f32_e32 v5, 0x2f800000, v4
	v_trunc_f32_e32 v5, v5
	v_mac_f32_e32 v4, 0xcf800000, v5
	v_cvt_u32_f32_e32 v5, v5
	v_cvt_u32_f32_e32 v4, v4
	v_readfirstlane_b32 s13, v5
	v_readfirstlane_b32 s27, v4
	s_mul_i32 s28, s10, s13
	s_mul_hi_u32 s42, s10, s27
	s_mul_i32 s29, s12, s27
	s_add_i32 s28, s42, s28
	s_mul_i32 s43, s10, s27
	s_add_i32 s28, s28, s29
	s_mul_hi_u32 s42, s27, s43
	s_mul_hi_u32 s29, s27, s28
	s_mul_i32 s27, s27, s28
	s_add_u32 s27, s42, s27
	s_addc_u32 s29, 0, s29
	s_mul_hi_u32 s48, s13, s43
	s_mul_i32 s43, s13, s43
	s_add_u32 s27, s27, s43
	s_mul_hi_u32 s42, s13, s28
	s_addc_u32 s27, s29, s48
	s_addc_u32 s29, s42, 0
	s_mul_i32 s28, s13, s28
	s_add_u32 s27, s27, s28
	s_addc_u32 s28, 0, s29
	v_add_co_u32_e32 v4, vcc, s27, v4
	s_cmp_lg_u64 vcc, 0
	s_addc_u32 s13, s13, s28
	v_readfirstlane_b32 s28, v4
	s_mul_i32 s27, s10, s13
	s_mul_hi_u32 s29, s10, s28
	s_add_i32 s27, s29, s27
	s_mul_i32 s12, s12, s28
	s_add_i32 s27, s27, s12
	s_mul_i32 s10, s10, s28
	s_mul_hi_u32 s29, s13, s10
	s_mul_i32 s42, s13, s10
	s_mul_i32 s48, s28, s27
	s_mul_hi_u32 s10, s28, s10
	s_mul_hi_u32 s43, s28, s27
	s_add_u32 s10, s10, s48
	s_addc_u32 s28, 0, s43
	s_add_u32 s10, s10, s42
	s_mul_hi_u32 s12, s13, s27
	s_addc_u32 s10, s28, s29
	s_addc_u32 s12, s12, 0
	s_mul_i32 s27, s13, s27
	s_add_u32 s10, s10, s27
	s_addc_u32 s12, 0, s12
	v_add_co_u32_e32 v4, vcc, s10, v4
	s_cmp_lg_u64 vcc, 0
	s_addc_u32 s10, s13, s12
	v_readfirstlane_b32 s27, v4
	s_mul_i32 s13, s26, s10
	s_mul_hi_u32 s28, s26, s27
	s_mul_hi_u32 s12, s26, s10
	s_add_u32 s13, s28, s13
	s_addc_u32 s12, 0, s12
	s_mul_hi_u32 s29, s11, s27
	s_mul_i32 s27, s11, s27
	s_add_u32 s13, s13, s27
	s_mul_hi_u32 s28, s11, s10
	s_addc_u32 s12, s12, s29
	s_addc_u32 s13, s28, 0
	s_mul_i32 s10, s11, s10
	s_add_u32 s10, s12, s10
	s_addc_u32 s12, 0, s13
	s_mul_hi_u32 s13, s33, s10
	s_mul_i32 s10, s33, s10
	s_mul_i32 s12, s33, s12
	v_mov_b32_e32 v4, s10
	s_add_i32 s13, s13, s12
	v_sub_co_u32_e32 v4, vcc, s26, v4
	s_cmp_lg_u64 vcc, 0
	s_subb_u32 s10, s11, s13
	v_subrev_co_u32_e32 v5, vcc, s33, v4
	s_cmp_lg_u64 vcc, 0
	s_subb_u32 s12, s10, 0
	v_subrev_co_u32_e32 v6, vcc, s33, v5
	s_cmp_lg_u64 vcc, 0
	s_subb_u32 s13, s12, 0
	v_cmp_le_u32_e32 vcc, s33, v5
	s_cmp_eq_u32 s12, 0
	v_cndmask_b32_e64 v7, 0, -1, vcc
	s_cselect_b64 vcc, -1, 0
	v_cndmask_b32_e32 v7, -1, v7, vcc
	v_mov_b32_e32 v14, s12
	v_mov_b32_e32 v22, s13
	v_cmp_ne_u32_e32 vcc, 0, v7
	v_cndmask_b32_e32 v7, v14, v22, vcc
	v_cndmask_b32_e32 v6, v5, v6, vcc
	v_cmp_le_u32_e32 vcc, s33, v4
	s_cmp_eq_u32 s10, 0
	v_cndmask_b32_e64 v5, 0, -1, vcc
	s_cselect_b64 vcc, -1, 0
	v_cndmask_b32_e32 v5, -1, v5, vcc
	v_mov_b32_e32 v14, s10
	v_cmp_ne_u32_e32 vcc, 0, v5
	v_cndmask_b32_e32 v5, v14, v7, vcc
	v_cndmask_b32_e32 v4, v4, v6, vcc
	s_cbranch_execnz .LBB138_143
.LBB138_142:                            ;   in Loop: Header=BB138_18 Depth=1
	v_cvt_f32_u32_e32 v4, s33
	s_sub_i32 s10, 0, s33
	v_rcp_iflag_f32_e32 v4, v4
	v_mul_f32_e32 v4, 0x4f7ffffe, v4
	v_cvt_u32_f32_e32 v4, v4
	v_mul_lo_u32 v5, s10, v4
	v_mul_hi_u32 v5, v4, v5
	v_add_u32_e32 v4, v4, v5
	v_mul_hi_u32 v4, s26, v4
	v_mul_lo_u32 v4, v4, s33
	v_sub_u32_e32 v4, s26, v4
	v_subrev_u32_e32 v5, s33, v4
	v_cmp_le_u32_e32 vcc, s33, v4
	v_cndmask_b32_e32 v4, v4, v5, vcc
	v_subrev_u32_e32 v5, s33, v4
	v_cmp_le_u32_e32 vcc, s33, v4
	v_cndmask_b32_e32 v14, v4, v5, vcc
	v_pk_mov_b32 v[4:5], v[14:15], v[14:15] op_sel:[0,1]
.LBB138_143:                            ;   in Loop: Header=BB138_18 Depth=1
	v_mov_b32_e32 v6, s11
	v_sub_co_u32_e32 v4, vcc, s26, v4
	v_subb_co_u32_e32 v5, vcc, v6, v5, vcc
	v_cmp_gt_u64_e32 vcc, v[4:5], v[0:1]
	s_mov_b64 s[10:11], 0
                                        ; implicit-def: $vgpr22
	s_and_saveexec_b64 s[12:13], vcc
	s_cbranch_execz .LBB138_155
; %bb.144:                              ;   in Loop: Header=BB138_18 Depth=1
	v_mov_b32_e32 v14, v0
	v_pk_mov_b32 v[6:7], v[0:1], v[0:1] op_sel:[0,1]
                                        ; implicit-def: $sgpr26_sgpr27
	s_branch .LBB138_146
.LBB138_145:                            ;   in Loop: Header=BB138_146 Depth=2
	s_or_b64 exec, exec, s[28:29]
	s_waitcnt lgkmcnt(0)
	s_barrier
	ds_read_u16 v22, v15 offset:3072
	v_mov_b32_e32 v23, s92
	v_add_co_u32_e32 v6, vcc, s33, v6
	v_addc_co_u32_e32 v7, vcc, v7, v23, vcc
	s_waitcnt lgkmcnt(0)
	v_cmp_ne_u16_sdwa s[28:29], v22, v15 src0_sel:BYTE_0 src1_sel:DWORD
	v_cmp_ge_u64_e32 vcc, v[6:7], v[4:5]
	s_or_b64 s[42:43], vcc, s[28:29]
	s_and_b64 s[42:43], exec, s[42:43]
	s_or_b64 s[10:11], s[42:43], s[10:11]
	s_andn2_b64 s[26:27], s[26:27], exec
	s_and_b64 s[28:29], s[28:29], exec
	v_add_u32_e32 v14, s33, v14
	s_or_b64 s[26:27], s[26:27], s[28:29]
	s_barrier
	s_andn2_b64 exec, exec, s[10:11]
	s_cbranch_execz .LBB138_154
.LBB138_146:                            ;   Parent Loop BB138_18 Depth=1
                                        ; =>  This Inner Loop Header: Depth=2
	v_cmp_gt_u64_e32 vcc, s[4:5], v[6:7]
	v_mov_b32_e32 v22, 0
	s_and_saveexec_b64 s[28:29], vcc
	s_cbranch_execz .LBB138_148
; %bb.147:                              ;   in Loop: Header=BB138_146 Depth=2
	ds_read_u8 v22, v14
.LBB138_148:                            ;   in Loop: Header=BB138_146 Depth=2
	s_or_b64 exec, exec, s[28:29]
	s_and_saveexec_b64 s[28:29], vcc
	s_cbranch_execz .LBB138_145
; %bb.149:                              ;   in Loop: Header=BB138_146 Depth=2
	s_waitcnt lgkmcnt(0)
	v_add_u32_sdwa v23, sext(v22), s93 dst_sel:DWORD dst_unused:UNUSED_PAD src0_sel:BYTE_0 src1_sel:DWORD
	v_and_b32_e32 v23, v23, v9
	v_cmp_eq_u32_e32 vcc, v23, v8
	s_and_b64 exec, exec, vcc
	s_cbranch_execz .LBB138_145
; %bb.150:                              ;   in Loop: Header=BB138_146 Depth=2
	v_lshlrev_b16_e32 v22, 8, v22
	v_or_b32_e32 v22, 1, v22
	ds_write_b16 v15, v22 offset:3072
	s_branch .LBB138_145
.LBB138_151:                            ;   in Loop: Header=BB138_18 Depth=1
                                        ; implicit-def: $vgpr2_vgpr3
	s_branch .LBB138_93
.LBB138_152:                            ;   in Loop: Header=BB138_18 Depth=1
                                        ; implicit-def: $vgpr2_vgpr3
	s_branch .LBB138_112
.LBB138_153:                            ;   in Loop: Header=BB138_18 Depth=1
	s_mov_b64 s[26:27], -1
	s_mov_b64 s[10:11], 0
                                        ; implicit-def: $sgpr28_sgpr29
                                        ; implicit-def: $vgpr22
	s_mov_b64 s[42:43], s[26:27]
	s_cbranch_execnz .LBB138_156
	s_branch .LBB138_169
.LBB138_154:                            ;   in Loop: Header=BB138_18 Depth=1
	s_or_b64 exec, exec, s[10:11]
	v_lshrrev_b16_e32 v22, 8, v22
	s_and_b64 s[10:11], s[26:27], exec
.LBB138_155:                            ;   in Loop: Header=BB138_18 Depth=1
	s_or_b64 exec, exec, s[12:13]
	s_mov_b64 s[28:29], -1
	s_mov_b64 s[26:27], 0
	s_mov_b64 s[42:43], s[26:27]
	s_branch .LBB138_169
.LBB138_156:                            ;   in Loop: Header=BB138_18 Depth=1
	s_mov_b32 s74, s95
	s_cmp_lg_u64 s[74:75], 0
	s_cbranch_scc0 .LBB138_198
; %bb.157:                              ;   in Loop: Header=BB138_18 Depth=1
	v_cvt_f32_u32_e32 v4, s33
	s_sub_u32 s4, 0, s33
	s_subb_u32 s5, 0, 0
	v_mac_f32_e32 v4, 0, v30
	v_rcp_f32_e32 v4, v4
	v_mul_f32_e32 v4, 0x5f7ffffc, v4
	v_mul_f32_e32 v5, 0x2f800000, v4
	v_trunc_f32_e32 v5, v5
	v_mac_f32_e32 v4, 0xcf800000, v5
	v_cvt_u32_f32_e32 v5, v5
	v_cvt_u32_f32_e32 v4, v4
	v_readfirstlane_b32 s10, v5
	v_readfirstlane_b32 s11, v4
	s_mul_i32 s12, s4, s10
	s_mul_hi_u32 s26, s4, s11
	s_mul_i32 s13, s5, s11
	s_add_i32 s12, s26, s12
	s_mul_i32 s27, s4, s11
	s_add_i32 s12, s12, s13
	s_mul_hi_u32 s26, s11, s27
	s_mul_hi_u32 s13, s11, s12
	s_mul_i32 s11, s11, s12
	s_add_u32 s11, s26, s11
	s_addc_u32 s13, 0, s13
	s_mul_hi_u32 s28, s10, s27
	s_mul_i32 s27, s10, s27
	s_add_u32 s11, s11, s27
	s_mul_hi_u32 s26, s10, s12
	s_addc_u32 s11, s13, s28
	s_addc_u32 s13, s26, 0
	s_mul_i32 s12, s10, s12
	s_add_u32 s11, s11, s12
	s_addc_u32 s12, 0, s13
	v_add_co_u32_e32 v4, vcc, s11, v4
	s_cmp_lg_u64 vcc, 0
	s_addc_u32 s10, s10, s12
	v_readfirstlane_b32 s12, v4
	s_mul_i32 s11, s4, s10
	s_mul_hi_u32 s13, s4, s12
	s_add_i32 s11, s13, s11
	s_mul_i32 s5, s5, s12
	s_add_i32 s11, s11, s5
	s_mul_i32 s4, s4, s12
	s_mul_hi_u32 s13, s10, s4
	s_mul_i32 s26, s10, s4
	s_mul_i32 s28, s12, s11
	s_mul_hi_u32 s4, s12, s4
	s_mul_hi_u32 s27, s12, s11
	s_add_u32 s4, s4, s28
	s_addc_u32 s12, 0, s27
	s_add_u32 s4, s4, s26
	s_mul_hi_u32 s5, s10, s11
	s_addc_u32 s4, s12, s13
	s_addc_u32 s5, s5, 0
	s_mul_i32 s11, s10, s11
	s_add_u32 s4, s4, s11
	s_addc_u32 s5, 0, s5
	v_add_co_u32_e32 v4, vcc, s4, v4
	s_cmp_lg_u64 vcc, 0
	s_addc_u32 s4, s10, s5
	v_readlane_b32 s26, v43, 53
	v_readfirstlane_b32 s11, v4
	s_mul_i32 s10, s26, s4
	s_mul_hi_u32 s12, s26, s11
	s_mul_hi_u32 s5, s26, s4
	s_add_u32 s10, s12, s10
	s_addc_u32 s5, 0, s5
	s_mul_hi_u32 s13, s75, s11
	s_mul_i32 s11, s75, s11
	s_add_u32 s10, s10, s11
	s_mul_hi_u32 s12, s75, s4
	s_addc_u32 s5, s5, s13
	s_addc_u32 s10, s12, 0
	s_mul_i32 s4, s75, s4
	s_add_u32 s4, s5, s4
	s_addc_u32 s5, 0, s10
	s_mul_hi_u32 s10, s33, s4
	s_mul_i32 s4, s33, s4
	s_mul_i32 s5, s33, s5
	v_mov_b32_e32 v4, s4
	s_add_i32 s10, s10, s5
	v_sub_co_u32_e32 v4, vcc, s26, v4
	s_cmp_lg_u64 vcc, 0
	s_subb_u32 s4, s75, s10
	v_subrev_co_u32_e32 v5, vcc, s33, v4
	s_cmp_lg_u64 vcc, 0
	s_subb_u32 s5, s4, 0
	v_subrev_co_u32_e32 v6, vcc, s33, v5
	s_cmp_lg_u64 vcc, 0
	s_subb_u32 s10, s5, 0
	v_cmp_le_u32_e32 vcc, s33, v5
	s_cmp_eq_u32 s5, 0
	v_cndmask_b32_e64 v7, 0, -1, vcc
	s_cselect_b64 vcc, -1, 0
	v_cndmask_b32_e32 v7, -1, v7, vcc
	v_mov_b32_e32 v14, s5
	v_mov_b32_e32 v22, s10
	v_cmp_ne_u32_e32 vcc, 0, v7
	v_cndmask_b32_e32 v7, v14, v22, vcc
	v_cndmask_b32_e32 v6, v5, v6, vcc
	v_cmp_le_u32_e32 vcc, s33, v4
	s_cmp_eq_u32 s4, 0
	v_cndmask_b32_e64 v5, 0, -1, vcc
	s_cselect_b64 vcc, -1, 0
	v_cndmask_b32_e32 v5, -1, v5, vcc
	v_mov_b32_e32 v14, s4
	v_cmp_ne_u32_e32 vcc, 0, v5
	v_cndmask_b32_e32 v5, v14, v7, vcc
	v_cndmask_b32_e32 v4, v4, v6, vcc
	s_cbranch_execnz .LBB138_159
.LBB138_158:                            ;   in Loop: Header=BB138_18 Depth=1
	v_cvt_f32_u32_e32 v4, s33
	s_sub_i32 s4, 0, s33
	v_rcp_iflag_f32_e32 v4, v4
	v_mul_f32_e32 v4, 0x4f7ffffe, v4
	v_cvt_u32_f32_e32 v4, v4
	v_mul_lo_u32 v5, s4, v4
	v_mul_hi_u32 v5, v4, v5
	v_add_u32_e32 v4, v4, v5
	v_readlane_b32 s4, v43, 53
	v_mul_hi_u32 v4, s4, v4
	v_mul_lo_u32 v4, v4, s33
	v_sub_u32_e32 v4, s4, v4
	v_subrev_u32_e32 v5, s33, v4
	v_cmp_le_u32_e32 vcc, s33, v4
	v_cndmask_b32_e32 v4, v4, v5, vcc
	v_subrev_u32_e32 v5, s33, v4
	v_cmp_le_u32_e32 vcc, s33, v4
	v_cndmask_b32_e32 v14, v4, v5, vcc
	v_pk_mov_b32 v[4:5], v[14:15], v[14:15] op_sel:[0,1]
.LBB138_159:                            ;   in Loop: Header=BB138_18 Depth=1
	v_readlane_b32 s4, v43, 53
	v_mov_b32_e32 v6, s75
	v_sub_co_u32_e32 v4, vcc, s4, v4
	v_subb_co_u32_e32 v5, vcc, v6, v5, vcc
	v_cmp_gt_u64_e32 vcc, v[4:5], v[0:1]
	s_mov_b64 s[10:11], 0
                                        ; implicit-def: $vgpr22
	s_and_saveexec_b64 s[4:5], vcc
	s_cbranch_execz .LBB138_168
; %bb.160:                              ;   in Loop: Header=BB138_18 Depth=1
	v_pk_mov_b32 v[6:7], v[0:1], v[0:1] op_sel:[0,1]
                                        ; implicit-def: $sgpr12_sgpr13
	s_branch .LBB138_162
.LBB138_161:                            ;   in Loop: Header=BB138_162 Depth=2
	s_or_b64 exec, exec, s[26:27]
	s_waitcnt lgkmcnt(0)
	s_barrier
	s_waitcnt vmcnt(0)
	ds_read_u16 v14, v15 offset:3072
	v_mov_b32_e32 v22, s92
	v_add_co_u32_e32 v6, vcc, s33, v6
	v_addc_co_u32_e32 v7, vcc, v7, v22, vcc
	s_waitcnt lgkmcnt(0)
	v_cmp_ne_u16_sdwa s[26:27], v14, v15 src0_sel:BYTE_0 src1_sel:DWORD
	v_cmp_ge_u64_e32 vcc, v[6:7], v[4:5]
	s_or_b64 s[28:29], vcc, s[26:27]
	s_and_b64 s[28:29], exec, s[28:29]
	s_or_b64 s[10:11], s[28:29], s[10:11]
	s_andn2_b64 s[12:13], s[12:13], exec
	s_and_b64 s[26:27], s[26:27], exec
	s_or_b64 s[12:13], s[12:13], s[26:27]
	s_barrier
	s_andn2_b64 exec, exec, s[10:11]
	s_cbranch_execz .LBB138_167
.LBB138_162:                            ;   Parent Loop BB138_18 Depth=1
                                        ; =>  This Inner Loop Header: Depth=2
	v_cmp_gt_u64_e32 vcc, s[60:61], v[6:7]
	v_mov_b32_e32 v14, 0
	s_and_saveexec_b64 s[26:27], vcc
	s_cbranch_execz .LBB138_164
; %bb.163:                              ;   in Loop: Header=BB138_162 Depth=2
	v_pk_mov_b32 v[22:23], s[56:57], s[56:57] op_sel:[0,1]
	v_mad_u64_u32 v[22:23], s[28:29], v6, s58, v[22:23]
	v_mul_lo_u32 v14, v6, s59
	v_mul_lo_u32 v24, v7, s58
	v_add3_u32 v23, v24, v23, v14
	global_load_ubyte v14, v[22:23], off
.LBB138_164:                            ;   in Loop: Header=BB138_162 Depth=2
	s_or_b64 exec, exec, s[26:27]
	s_and_saveexec_b64 s[26:27], vcc
	s_cbranch_execz .LBB138_161
; %bb.165:                              ;   in Loop: Header=BB138_162 Depth=2
	s_waitcnt vmcnt(0)
	v_add_u32_sdwa v22, sext(v14), s93 dst_sel:DWORD dst_unused:UNUSED_PAD src0_sel:BYTE_0 src1_sel:DWORD
	v_and_b32_e32 v22, v22, v9
	v_cmp_eq_u32_e32 vcc, v22, v8
	s_and_b64 exec, exec, vcc
	s_cbranch_execz .LBB138_161
; %bb.166:                              ;   in Loop: Header=BB138_162 Depth=2
	v_lshlrev_b16_e32 v14, 8, v14
	v_or_b32_e32 v14, 1, v14
	ds_write_b16 v15, v14 offset:3072
	s_branch .LBB138_161
.LBB138_167:                            ;   in Loop: Header=BB138_18 Depth=1
	s_or_b64 exec, exec, s[10:11]
	v_lshrrev_b16_e32 v22, 8, v14
	s_and_b64 s[10:11], s[12:13], exec
.LBB138_168:                            ;   in Loop: Header=BB138_18 Depth=1
	s_or_b64 exec, exec, s[4:5]
	s_mov_b64 s[42:43], -1
	s_mov_b64 s[26:27], 0
	s_mov_b64 s[28:29], 0
.LBB138_169:                            ;   in Loop: Header=BB138_18 Depth=1
	s_orn2_b64 s[4:5], s[10:11], exec
.LBB138_170:                            ;   in Loop: Header=BB138_18 Depth=1
	s_or_b64 exec, exec, s[44:45]
	s_mov_b64 s[12:13], 0
                                        ; implicit-def: $vgpr6
	s_and_saveexec_b64 s[44:45], s[4:5]
	s_cbranch_execz .LBB138_283
; %bb.171:                              ;   in Loop: Header=BB138_18 Depth=1
	v_mov_b32_e32 v4, 1
	s_xor_b64 s[8:9], s[8:9], -1
	s_mov_b64 s[48:49], 0
	v_mov_b32_e32 v5, 0
	v_mov_b32_e32 v6, 1
	s_and_saveexec_b64 s[4:5], s[8:9]
	s_cbranch_execz .LBB138_181
; %bb.172:                              ;   in Loop: Header=BB138_18 Depth=1
	v_cmp_ge_u64_e32 vcc, s[18:19], v[2:3]
                                        ; implicit-def: $sgpr12
                                        ; implicit-def: $sgpr8_sgpr9
	s_and_saveexec_b64 s[10:11], vcc
	s_xor_b64 s[10:11], exec, s[10:11]
	s_cbranch_execz .LBB138_178
; %bb.173:                              ;   in Loop: Header=BB138_18 Depth=1
	ds_read_b64 v[4:5], v15 offset:5120
	s_waitcnt lgkmcnt(0)
	v_cmp_ne_u64_e32 vcc, 0, v[4:5]
	s_cbranch_vccnz .LBB138_177
; %bb.174:                              ;   in Loop: Header=BB138_18 Depth=1
	s_mov_b64 s[8:9], exec
	v_readlane_b32 s12, v43, 32
	v_readlane_b32 s13, v43, 33
	s_and_b64 s[12:13], s[8:9], s[12:13]
	s_mov_b64 exec, s[12:13]
	s_cbranch_execz .LBB138_176
; %bb.175:                              ;   in Loop: Header=BB138_18 Depth=1
	v_pk_mov_b32 v[4:5], s[18:19], s[18:19] op_sel:[0,1]
	ds_write_b64 v15, v[4:5] offset:5128
.LBB138_176:                            ;   in Loop: Header=BB138_18 Depth=1
	s_or_b64 exec, exec, s[8:9]
	s_waitcnt lgkmcnt(0)
	s_barrier
.LBB138_177:                            ;   in Loop: Header=BB138_18 Depth=1
	v_and_b32_e32 v4, s46, v8
	v_lshl_or_b32 v8, 1, s47, v4
	v_or_b32_e32 v9, s94, v9
	s_mov_b64 s[8:9], 0
	s_mov_b32 s12, 8
.LBB138_178:                            ;   in Loop: Header=BB138_18 Depth=1
	s_or_saveexec_b64 s[10:11], s[10:11]
	v_mov_b32_e32 v6, s12
	s_xor_b64 exec, exec, s[10:11]
; %bb.179:                              ;   in Loop: Header=BB138_18 Depth=1
	v_mov_b32_e32 v4, s19
	v_subrev_co_u32_e32 v2, vcc, s18, v2
	v_subb_co_u32_e32 v3, vcc, v3, v4, vcc
	v_mov_b32_e32 v6, 0
	s_or_b64 s[8:9], s[8:9], exec
; %bb.180:                              ;   in Loop: Header=BB138_18 Depth=1
	s_or_b64 exec, exec, s[10:11]
	s_and_b64 s[48:49], s[8:9], exec
	v_pk_mov_b32 v[4:5], v[2:3], v[2:3] op_sel:[0,1]
.LBB138_181:                            ;   in Loop: Header=BB138_18 Depth=1
	s_or_b64 exec, exec, s[4:5]
	s_mov_b64 s[4:5], -1
                                        ; implicit-def: $sgpr8_sgpr9
                                        ; implicit-def: $sgpr10_sgpr11
                                        ; implicit-def: $sgpr12_sgpr13
	s_and_saveexec_b64 s[50:51], s[48:49]
	s_cbranch_execz .LBB138_282
; %bb.182:                              ;   in Loop: Header=BB138_18 Depth=1
	s_cmp_eq_u64 s[22:23], 1
	s_cselect_b64 s[4:5], -1, 0
	v_cmp_eq_u64_e32 vcc, 1, v[4:5]
	s_and_b64 s[54:55], s[4:5], vcc
	s_mov_b64 s[10:11], -1
                                        ; implicit-def: $sgpr8_sgpr9
                                        ; implicit-def: $sgpr48_sgpr49
                                        ; implicit-def: $vcc
	s_and_saveexec_b64 s[52:53], s[54:55]
	s_cbranch_execz .LBB138_216
; %bb.183:                              ;   in Loop: Header=BB138_18 Depth=1
	ds_read_b64 v[2:3], v15 offset:5120
	s_waitcnt lgkmcnt(0)
	s_barrier
	v_readfirstlane_b32 s4, v2
	v_readfirstlane_b32 s5, v3
	s_mov_b64 s[8:9], exec
	v_readlane_b32 s10, v43, 48
	v_readlane_b32 s11, v43, 49
	s_and_b64 s[10:11], s[8:9], s[10:11]
	s_mov_b64 exec, s[10:11]
	s_cbranch_execz .LBB138_185
; %bb.184:                              ;   in Loop: Header=BB138_18 Depth=1
	ds_write_b8 v0, v15 offset:3072
.LBB138_185:                            ;   in Loop: Header=BB138_18 Depth=1
	s_or_b64 exec, exec, s[8:9]
	v_and_b32_e32 v2, s46, v8
	v_lshl_or_b32 v8, 2, s47, v2
	v_or_b32_e32 v9, s94, v9
	s_cmp_eq_u64 s[4:5], 0
	s_waitcnt lgkmcnt(0)
	s_barrier
	s_cbranch_scc1 .LBB138_199
; %bb.186:                              ;   in Loop: Header=BB138_18 Depth=1
	v_readlane_b32 s8, v43, 52
	s_add_u32 s12, s8, s4
	v_readlane_b32 s8, v43, 54
	s_addc_u32 s9, s8, s5
	s_mov_b32 s8, s95
	s_cmp_lg_u64 s[8:9], 0
	s_cbranch_scc0 .LBB138_234
; %bb.187:                              ;   in Loop: Header=BB138_18 Depth=1
	v_cvt_f32_u32_e32 v2, s33
	s_sub_u32 s8, 0, s33
	s_subb_u32 s10, 0, 0
	v_mac_f32_e32 v2, 0, v30
	v_rcp_f32_e32 v2, v2
	v_mul_f32_e32 v2, 0x5f7ffffc, v2
	v_mul_f32_e32 v3, 0x2f800000, v2
	v_trunc_f32_e32 v3, v3
	v_mac_f32_e32 v2, 0xcf800000, v3
	v_cvt_u32_f32_e32 v3, v3
	v_cvt_u32_f32_e32 v2, v2
	v_readfirstlane_b32 s11, v3
	v_readfirstlane_b32 s13, v2
	s_mul_i32 s48, s8, s11
	s_mul_hi_u32 s72, s8, s13
	s_mul_i32 s49, s10, s13
	s_add_i32 s48, s72, s48
	s_mul_i32 s73, s8, s13
	s_add_i32 s48, s48, s49
	s_mul_hi_u32 s72, s13, s73
	s_mul_hi_u32 s49, s13, s48
	s_mul_i32 s13, s13, s48
	s_add_u32 s13, s72, s13
	s_addc_u32 s49, 0, s49
	s_mul_hi_u32 s74, s11, s73
	s_mul_i32 s73, s11, s73
	s_add_u32 s13, s13, s73
	s_mul_hi_u32 s72, s11, s48
	s_addc_u32 s13, s49, s74
	s_addc_u32 s49, s72, 0
	s_mul_i32 s48, s11, s48
	s_add_u32 s13, s13, s48
	s_addc_u32 s48, 0, s49
	v_add_co_u32_e32 v2, vcc, s13, v2
	s_cmp_lg_u64 vcc, 0
	s_addc_u32 s11, s11, s48
	v_readfirstlane_b32 s48, v2
	s_mul_i32 s13, s8, s11
	s_mul_hi_u32 s49, s8, s48
	s_add_i32 s13, s49, s13
	s_mul_i32 s10, s10, s48
	s_add_i32 s13, s13, s10
	s_mul_i32 s8, s8, s48
	s_mul_hi_u32 s49, s11, s8
	s_mul_i32 s72, s11, s8
	s_mul_i32 s74, s48, s13
	s_mul_hi_u32 s8, s48, s8
	s_mul_hi_u32 s73, s48, s13
	s_add_u32 s8, s8, s74
	s_addc_u32 s48, 0, s73
	s_add_u32 s8, s8, s72
	s_mul_hi_u32 s10, s11, s13
	s_addc_u32 s8, s48, s49
	s_addc_u32 s10, s10, 0
	s_mul_i32 s13, s11, s13
	s_add_u32 s8, s8, s13
	s_addc_u32 s10, 0, s10
	v_add_co_u32_e32 v2, vcc, s8, v2
	s_cmp_lg_u64 vcc, 0
	s_addc_u32 s8, s11, s10
	v_readfirstlane_b32 s13, v2
	s_mul_i32 s11, s12, s8
	s_mul_hi_u32 s48, s12, s13
	s_mul_hi_u32 s10, s12, s8
	s_add_u32 s11, s48, s11
	s_addc_u32 s10, 0, s10
	s_mul_hi_u32 s49, s9, s13
	s_mul_i32 s13, s9, s13
	s_add_u32 s11, s11, s13
	s_mul_hi_u32 s48, s9, s8
	s_addc_u32 s10, s10, s49
	s_addc_u32 s11, s48, 0
	s_mul_i32 s8, s9, s8
	s_add_u32 s8, s10, s8
	s_addc_u32 s10, 0, s11
	s_mul_hi_u32 s11, s33, s8
	s_mul_i32 s8, s33, s8
	s_mul_i32 s10, s33, s10
	v_mov_b32_e32 v2, s8
	s_add_i32 s11, s11, s10
	v_sub_co_u32_e32 v2, vcc, s12, v2
	s_cmp_lg_u64 vcc, 0
	s_subb_u32 s8, s9, s11
	v_subrev_co_u32_e32 v3, vcc, s33, v2
	s_cmp_lg_u64 vcc, 0
	s_subb_u32 s10, s8, 0
	v_subrev_co_u32_e32 v6, vcc, s33, v3
	s_cmp_lg_u64 vcc, 0
	s_subb_u32 s11, s10, 0
	v_cmp_le_u32_e32 vcc, s33, v3
	s_cmp_eq_u32 s10, 0
	v_cndmask_b32_e64 v7, 0, -1, vcc
	s_cselect_b64 vcc, -1, 0
	v_cndmask_b32_e32 v7, -1, v7, vcc
	v_mov_b32_e32 v14, s10
	v_mov_b32_e32 v22, s11
	v_cmp_ne_u32_e32 vcc, 0, v7
	v_cndmask_b32_e32 v7, v14, v22, vcc
	v_cndmask_b32_e32 v6, v3, v6, vcc
	v_cmp_le_u32_e32 vcc, s33, v2
	s_cmp_eq_u32 s8, 0
	v_cndmask_b32_e64 v3, 0, -1, vcc
	s_cselect_b64 vcc, -1, 0
	v_cndmask_b32_e32 v3, -1, v3, vcc
	v_mov_b32_e32 v14, s8
	v_cmp_ne_u32_e32 vcc, 0, v3
	v_cndmask_b32_e32 v3, v14, v7, vcc
	v_cndmask_b32_e32 v2, v2, v6, vcc
	s_cbranch_execnz .LBB138_189
.LBB138_188:                            ;   in Loop: Header=BB138_18 Depth=1
	v_cvt_f32_u32_e32 v2, s33
	s_sub_i32 s8, 0, s33
	v_rcp_iflag_f32_e32 v2, v2
	v_mul_f32_e32 v2, 0x4f7ffffe, v2
	v_cvt_u32_f32_e32 v2, v2
	v_mul_lo_u32 v3, s8, v2
	v_mul_hi_u32 v3, v2, v3
	v_add_u32_e32 v2, v2, v3
	v_mul_hi_u32 v2, s12, v2
	v_mul_lo_u32 v2, v2, s33
	v_sub_u32_e32 v2, s12, v2
	v_subrev_u32_e32 v3, s33, v2
	v_cmp_le_u32_e32 vcc, s33, v2
	v_cndmask_b32_e32 v2, v2, v3, vcc
	v_subrev_u32_e32 v3, s33, v2
	v_cmp_le_u32_e32 vcc, s33, v2
	v_cndmask_b32_e32 v14, v2, v3, vcc
	v_pk_mov_b32 v[2:3], v[14:15], v[14:15] op_sel:[0,1]
.LBB138_189:                            ;   in Loop: Header=BB138_18 Depth=1
	v_mov_b32_e32 v6, s9
	v_sub_co_u32_e32 v2, vcc, s12, v2
	v_subb_co_u32_e32 v3, vcc, v6, v3, vcc
	v_cmp_gt_u64_e32 vcc, v[2:3], v[0:1]
	s_mov_b64 s[10:11], 0
                                        ; implicit-def: $vgpr22
	s_and_saveexec_b64 s[8:9], vcc
	s_cbranch_execz .LBB138_201
; %bb.190:                              ;   in Loop: Header=BB138_18 Depth=1
	v_mov_b32_e32 v14, v0
	v_pk_mov_b32 v[6:7], v[0:1], v[0:1] op_sel:[0,1]
                                        ; implicit-def: $sgpr12_sgpr13
	s_branch .LBB138_192
.LBB138_191:                            ;   in Loop: Header=BB138_192 Depth=2
	s_or_b64 exec, exec, s[48:49]
	s_waitcnt lgkmcnt(0)
	s_barrier
	ds_read_u16 v22, v15 offset:3072
	v_mov_b32_e32 v23, s92
	v_add_co_u32_e32 v6, vcc, s33, v6
	v_addc_co_u32_e32 v7, vcc, v7, v23, vcc
	s_waitcnt lgkmcnt(0)
	v_cmp_ne_u16_sdwa s[48:49], v22, v15 src0_sel:BYTE_0 src1_sel:DWORD
	v_cmp_ge_u64_e32 vcc, v[6:7], v[2:3]
	s_or_b64 s[72:73], vcc, s[48:49]
	s_and_b64 s[72:73], exec, s[72:73]
	s_or_b64 s[10:11], s[72:73], s[10:11]
	s_andn2_b64 s[12:13], s[12:13], exec
	s_and_b64 s[48:49], s[48:49], exec
	v_add_u32_e32 v14, s33, v14
	s_or_b64 s[12:13], s[12:13], s[48:49]
	s_barrier
	s_andn2_b64 exec, exec, s[10:11]
	s_cbranch_execz .LBB138_200
.LBB138_192:                            ;   Parent Loop BB138_18 Depth=1
                                        ; =>  This Inner Loop Header: Depth=2
	v_cmp_gt_u64_e32 vcc, s[4:5], v[6:7]
	v_mov_b32_e32 v22, 0
	s_and_saveexec_b64 s[48:49], vcc
	s_cbranch_execz .LBB138_194
; %bb.193:                              ;   in Loop: Header=BB138_192 Depth=2
	ds_read_u8 v22, v14
.LBB138_194:                            ;   in Loop: Header=BB138_192 Depth=2
	s_or_b64 exec, exec, s[48:49]
	s_and_saveexec_b64 s[48:49], vcc
	s_cbranch_execz .LBB138_191
; %bb.195:                              ;   in Loop: Header=BB138_192 Depth=2
	s_waitcnt lgkmcnt(0)
	v_add_u32_sdwa v23, sext(v22), s93 dst_sel:DWORD dst_unused:UNUSED_PAD src0_sel:BYTE_0 src1_sel:DWORD
	v_and_b32_e32 v23, v23, v9
	v_cmp_eq_u32_e32 vcc, v23, v8
	s_and_b64 exec, exec, vcc
	s_cbranch_execz .LBB138_191
; %bb.196:                              ;   in Loop: Header=BB138_192 Depth=2
	v_lshlrev_b16_e32 v22, 8, v22
	v_or_b32_e32 v22, 1, v22
	ds_write_b16 v15, v22 offset:3072
	s_branch .LBB138_191
.LBB138_197:                            ;   in Loop: Header=BB138_18 Depth=1
                                        ; implicit-def: $vgpr4_vgpr5
	s_branch .LBB138_142
.LBB138_198:                            ;   in Loop: Header=BB138_18 Depth=1
                                        ; implicit-def: $vgpr4_vgpr5
	s_branch .LBB138_158
.LBB138_199:                            ;   in Loop: Header=BB138_18 Depth=1
	s_mov_b64 s[8:9], -1
	s_mov_b64 s[10:11], 0
                                        ; implicit-def: $sgpr4_sgpr5
                                        ; implicit-def: $vgpr22
	s_mov_b64 s[48:49], s[8:9]
	s_cbranch_execnz .LBB138_202
	s_branch .LBB138_215
.LBB138_200:                            ;   in Loop: Header=BB138_18 Depth=1
	s_or_b64 exec, exec, s[10:11]
	v_lshrrev_b16_e32 v22, 8, v22
	s_and_b64 s[10:11], s[12:13], exec
.LBB138_201:                            ;   in Loop: Header=BB138_18 Depth=1
	s_or_b64 exec, exec, s[8:9]
	s_mov_b64 s[4:5], -1
	s_mov_b64 s[8:9], 0
	s_mov_b64 s[48:49], s[8:9]
	s_branch .LBB138_215
.LBB138_202:                            ;   in Loop: Header=BB138_18 Depth=1
	s_mov_b32 s74, s95
	s_cmp_lg_u64 s[74:75], 0
	s_cbranch_scc0 .LBB138_235
; %bb.203:                              ;   in Loop: Header=BB138_18 Depth=1
	v_cvt_f32_u32_e32 v2, s33
	s_sub_u32 s4, 0, s33
	s_subb_u32 s5, 0, 0
	v_mac_f32_e32 v2, 0, v30
	v_rcp_f32_e32 v2, v2
	v_mul_f32_e32 v2, 0x5f7ffffc, v2
	v_mul_f32_e32 v3, 0x2f800000, v2
	v_trunc_f32_e32 v3, v3
	v_mac_f32_e32 v2, 0xcf800000, v3
	v_cvt_u32_f32_e32 v3, v3
	v_cvt_u32_f32_e32 v2, v2
	v_readfirstlane_b32 s8, v3
	v_readfirstlane_b32 s9, v2
	s_mul_i32 s10, s4, s8
	s_mul_hi_u32 s12, s4, s9
	s_mul_i32 s11, s5, s9
	s_add_i32 s10, s12, s10
	s_mul_i32 s13, s4, s9
	s_add_i32 s10, s10, s11
	s_mul_hi_u32 s12, s9, s13
	s_mul_hi_u32 s11, s9, s10
	s_mul_i32 s9, s9, s10
	s_add_u32 s9, s12, s9
	s_addc_u32 s11, 0, s11
	s_mul_hi_u32 s48, s8, s13
	s_mul_i32 s13, s8, s13
	s_add_u32 s9, s9, s13
	s_mul_hi_u32 s12, s8, s10
	s_addc_u32 s9, s11, s48
	s_addc_u32 s11, s12, 0
	s_mul_i32 s10, s8, s10
	s_add_u32 s9, s9, s10
	s_addc_u32 s10, 0, s11
	v_add_co_u32_e32 v2, vcc, s9, v2
	s_cmp_lg_u64 vcc, 0
	s_addc_u32 s8, s8, s10
	v_readfirstlane_b32 s10, v2
	s_mul_i32 s9, s4, s8
	s_mul_hi_u32 s11, s4, s10
	s_add_i32 s9, s11, s9
	s_mul_i32 s5, s5, s10
	s_add_i32 s9, s9, s5
	s_mul_i32 s4, s4, s10
	s_mul_hi_u32 s11, s8, s4
	s_mul_i32 s12, s8, s4
	s_mul_i32 s48, s10, s9
	s_mul_hi_u32 s4, s10, s4
	s_mul_hi_u32 s13, s10, s9
	s_add_u32 s4, s4, s48
	s_addc_u32 s10, 0, s13
	s_add_u32 s4, s4, s12
	s_mul_hi_u32 s5, s8, s9
	s_addc_u32 s4, s10, s11
	s_addc_u32 s5, s5, 0
	s_mul_i32 s9, s8, s9
	s_add_u32 s4, s4, s9
	s_addc_u32 s5, 0, s5
	v_add_co_u32_e32 v2, vcc, s4, v2
	s_cmp_lg_u64 vcc, 0
	s_addc_u32 s4, s8, s5
	v_readlane_b32 s12, v43, 53
	v_readfirstlane_b32 s9, v2
	s_mul_i32 s8, s12, s4
	s_mul_hi_u32 s10, s12, s9
	s_mul_hi_u32 s5, s12, s4
	s_add_u32 s8, s10, s8
	s_addc_u32 s5, 0, s5
	s_mul_hi_u32 s11, s75, s9
	s_mul_i32 s9, s75, s9
	s_add_u32 s8, s8, s9
	s_mul_hi_u32 s10, s75, s4
	s_addc_u32 s5, s5, s11
	s_addc_u32 s8, s10, 0
	s_mul_i32 s4, s75, s4
	s_add_u32 s4, s5, s4
	s_addc_u32 s5, 0, s8
	s_mul_hi_u32 s8, s33, s4
	s_mul_i32 s4, s33, s4
	s_mul_i32 s5, s33, s5
	v_mov_b32_e32 v2, s4
	s_add_i32 s8, s8, s5
	v_sub_co_u32_e32 v2, vcc, s12, v2
	s_cmp_lg_u64 vcc, 0
	s_subb_u32 s4, s75, s8
	v_subrev_co_u32_e32 v3, vcc, s33, v2
	s_cmp_lg_u64 vcc, 0
	s_subb_u32 s5, s4, 0
	v_subrev_co_u32_e32 v6, vcc, s33, v3
	s_cmp_lg_u64 vcc, 0
	s_subb_u32 s8, s5, 0
	v_cmp_le_u32_e32 vcc, s33, v3
	s_cmp_eq_u32 s5, 0
	v_cndmask_b32_e64 v7, 0, -1, vcc
	s_cselect_b64 vcc, -1, 0
	v_cndmask_b32_e32 v7, -1, v7, vcc
	v_mov_b32_e32 v14, s5
	v_mov_b32_e32 v22, s8
	v_cmp_ne_u32_e32 vcc, 0, v7
	v_cndmask_b32_e32 v7, v14, v22, vcc
	v_cndmask_b32_e32 v6, v3, v6, vcc
	v_cmp_le_u32_e32 vcc, s33, v2
	s_cmp_eq_u32 s4, 0
	v_cndmask_b32_e64 v3, 0, -1, vcc
	s_cselect_b64 vcc, -1, 0
	v_cndmask_b32_e32 v3, -1, v3, vcc
	v_mov_b32_e32 v14, s4
	v_cmp_ne_u32_e32 vcc, 0, v3
	v_cndmask_b32_e32 v3, v14, v7, vcc
	v_cndmask_b32_e32 v2, v2, v6, vcc
	s_cbranch_execnz .LBB138_205
.LBB138_204:                            ;   in Loop: Header=BB138_18 Depth=1
	v_cvt_f32_u32_e32 v2, s33
	s_sub_i32 s4, 0, s33
	v_rcp_iflag_f32_e32 v2, v2
	v_mul_f32_e32 v2, 0x4f7ffffe, v2
	v_cvt_u32_f32_e32 v2, v2
	v_mul_lo_u32 v3, s4, v2
	v_mul_hi_u32 v3, v2, v3
	v_add_u32_e32 v2, v2, v3
	v_readlane_b32 s4, v43, 53
	v_mul_hi_u32 v2, s4, v2
	v_mul_lo_u32 v2, v2, s33
	v_sub_u32_e32 v2, s4, v2
	v_subrev_u32_e32 v3, s33, v2
	v_cmp_le_u32_e32 vcc, s33, v2
	v_cndmask_b32_e32 v2, v2, v3, vcc
	v_subrev_u32_e32 v3, s33, v2
	v_cmp_le_u32_e32 vcc, s33, v2
	v_cndmask_b32_e32 v14, v2, v3, vcc
	v_pk_mov_b32 v[2:3], v[14:15], v[14:15] op_sel:[0,1]
.LBB138_205:                            ;   in Loop: Header=BB138_18 Depth=1
	v_readlane_b32 s4, v43, 53
	v_mov_b32_e32 v6, s75
	v_sub_co_u32_e32 v2, vcc, s4, v2
	v_subb_co_u32_e32 v3, vcc, v6, v3, vcc
	v_cmp_gt_u64_e32 vcc, v[2:3], v[0:1]
	s_mov_b64 s[10:11], 0
                                        ; implicit-def: $vgpr22
	s_and_saveexec_b64 s[4:5], vcc
	s_cbranch_execz .LBB138_214
; %bb.206:                              ;   in Loop: Header=BB138_18 Depth=1
	s_mov_b64 s[8:9], 0
	v_pk_mov_b32 v[6:7], v[0:1], v[0:1] op_sel:[0,1]
                                        ; implicit-def: $sgpr10_sgpr11
	s_branch .LBB138_208
.LBB138_207:                            ;   in Loop: Header=BB138_208 Depth=2
	s_or_b64 exec, exec, s[12:13]
	s_waitcnt lgkmcnt(0)
	s_barrier
	s_waitcnt vmcnt(0)
	ds_read_u16 v14, v15 offset:3072
	v_mov_b32_e32 v22, s92
	v_add_co_u32_e32 v6, vcc, s33, v6
	v_addc_co_u32_e32 v7, vcc, v7, v22, vcc
	s_waitcnt lgkmcnt(0)
	v_cmp_ne_u16_sdwa s[12:13], v14, v15 src0_sel:BYTE_0 src1_sel:DWORD
	v_cmp_ge_u64_e32 vcc, v[6:7], v[2:3]
	s_or_b64 s[48:49], vcc, s[12:13]
	s_and_b64 s[48:49], exec, s[48:49]
	s_or_b64 s[8:9], s[48:49], s[8:9]
	s_andn2_b64 s[10:11], s[10:11], exec
	s_and_b64 s[12:13], s[12:13], exec
	s_or_b64 s[10:11], s[10:11], s[12:13]
	s_barrier
	s_andn2_b64 exec, exec, s[8:9]
	s_cbranch_execz .LBB138_213
.LBB138_208:                            ;   Parent Loop BB138_18 Depth=1
                                        ; =>  This Inner Loop Header: Depth=2
	v_cmp_gt_u64_e32 vcc, s[60:61], v[6:7]
	v_mov_b32_e32 v14, 0
	s_and_saveexec_b64 s[12:13], vcc
	s_cbranch_execz .LBB138_210
; %bb.209:                              ;   in Loop: Header=BB138_208 Depth=2
	v_pk_mov_b32 v[22:23], s[56:57], s[56:57] op_sel:[0,1]
	v_mad_u64_u32 v[22:23], s[48:49], v6, s58, v[22:23]
	v_mul_lo_u32 v14, v6, s59
	v_mul_lo_u32 v24, v7, s58
	v_add3_u32 v23, v24, v23, v14
	global_load_ubyte v14, v[22:23], off
.LBB138_210:                            ;   in Loop: Header=BB138_208 Depth=2
	s_or_b64 exec, exec, s[12:13]
	s_and_saveexec_b64 s[12:13], vcc
	s_cbranch_execz .LBB138_207
; %bb.211:                              ;   in Loop: Header=BB138_208 Depth=2
	s_waitcnt vmcnt(0)
	v_add_u32_sdwa v22, sext(v14), s93 dst_sel:DWORD dst_unused:UNUSED_PAD src0_sel:BYTE_0 src1_sel:DWORD
	v_and_b32_e32 v22, v22, v9
	v_cmp_eq_u32_e32 vcc, v22, v8
	s_and_b64 exec, exec, vcc
	s_cbranch_execz .LBB138_207
; %bb.212:                              ;   in Loop: Header=BB138_208 Depth=2
	v_lshlrev_b16_e32 v14, 8, v14
	v_or_b32_e32 v14, 1, v14
	ds_write_b16 v15, v14 offset:3072
	s_branch .LBB138_207
.LBB138_213:                            ;   in Loop: Header=BB138_18 Depth=1
	s_or_b64 exec, exec, s[8:9]
	v_lshrrev_b16_e32 v22, 8, v14
	s_and_b64 s[10:11], s[10:11], exec
.LBB138_214:                            ;   in Loop: Header=BB138_18 Depth=1
	s_or_b64 exec, exec, s[4:5]
	s_mov_b64 s[48:49], -1
	s_mov_b64 s[8:9], 0
	s_mov_b64 s[4:5], 0
.LBB138_215:                            ;   in Loop: Header=BB138_18 Depth=1
	s_orn2_b64 s[10:11], s[10:11], exec
	s_mov_b64 vcc, s[4:5]
.LBB138_216:                            ;   in Loop: Header=BB138_18 Depth=1
	s_or_b64 exec, exec, s[52:53]
	s_mov_b64 s[4:5], 0
                                        ; implicit-def: $vgpr6
	s_and_saveexec_b64 s[52:53], s[10:11]
	s_cbranch_execz .LBB138_281
; %bb.217:                              ;   in Loop: Header=BB138_18 Depth=1
	v_mov_b32_e32 v2, 1
	s_xor_b64 s[10:11], s[54:55], -1
	s_mov_b64 s[80:81], 0
	v_mov_b32_e32 v3, 0
	v_mov_b32_e32 v6, 1
	s_and_saveexec_b64 s[4:5], s[10:11]
	s_cbranch_execz .LBB138_227
; %bb.218:                              ;   in Loop: Header=BB138_18 Depth=1
	s_mov_b64 s[90:91], vcc
	v_cmp_ge_u64_e32 vcc, s[22:23], v[4:5]
                                        ; implicit-def: $sgpr54
                                        ; implicit-def: $sgpr10_sgpr11
	s_and_saveexec_b64 s[12:13], vcc
	s_xor_b64 s[12:13], exec, s[12:13]
	s_cbranch_execz .LBB138_224
; %bb.219:                              ;   in Loop: Header=BB138_18 Depth=1
	ds_read_b64 v[2:3], v15 offset:5120
	s_waitcnt lgkmcnt(0)
	v_cmp_ne_u64_e32 vcc, 0, v[2:3]
	s_cbranch_vccnz .LBB138_223
; %bb.220:                              ;   in Loop: Header=BB138_18 Depth=1
	s_mov_b64 s[10:11], exec
	v_readlane_b32 s54, v43, 32
	v_readlane_b32 s55, v43, 33
	s_and_b64 s[54:55], s[10:11], s[54:55]
	s_mov_b64 exec, s[54:55]
	s_cbranch_execz .LBB138_222
; %bb.221:                              ;   in Loop: Header=BB138_18 Depth=1
	v_pk_mov_b32 v[2:3], s[22:23], s[22:23] op_sel:[0,1]
	ds_write_b64 v15, v[2:3] offset:5128
.LBB138_222:                            ;   in Loop: Header=BB138_18 Depth=1
	s_or_b64 exec, exec, s[10:11]
	s_waitcnt lgkmcnt(0)
	s_barrier
.LBB138_223:                            ;   in Loop: Header=BB138_18 Depth=1
	v_and_b32_e32 v2, s46, v8
	v_lshl_or_b32 v8, 2, s47, v2
	v_or_b32_e32 v9, s94, v9
	s_mov_b64 s[10:11], 0
	s_mov_b32 s54, 8
.LBB138_224:                            ;   in Loop: Header=BB138_18 Depth=1
	s_or_saveexec_b64 s[12:13], s[12:13]
	v_mov_b32_e32 v6, s54
	s_xor_b64 exec, exec, s[12:13]
; %bb.225:                              ;   in Loop: Header=BB138_18 Depth=1
	v_mov_b32_e32 v2, s23
	v_subrev_co_u32_e32 v4, vcc, s22, v4
	v_subb_co_u32_e32 v5, vcc, v5, v2, vcc
	v_mov_b32_e32 v6, 0
	s_or_b64 s[10:11], s[10:11], exec
; %bb.226:                              ;   in Loop: Header=BB138_18 Depth=1
	s_or_b64 exec, exec, s[12:13]
	s_and_b64 s[80:81], s[10:11], exec
	v_pk_mov_b32 v[2:3], v[4:5], v[4:5] op_sel:[0,1]
	s_mov_b64 vcc, s[90:91]
.LBB138_227:                            ;   in Loop: Header=BB138_18 Depth=1
	s_or_b64 exec, exec, s[4:5]
	s_mov_b64 s[72:73], -1
                                        ; implicit-def: $sgpr4_sgpr5
                                        ; implicit-def: $sgpr12_sgpr13
                                        ; implicit-def: $sgpr10_sgpr11
	s_and_saveexec_b64 s[54:55], s[80:81]
	s_cbranch_execz .LBB138_280
; %bb.228:                              ;   in Loop: Header=BB138_18 Depth=1
                                        ; implicit-def: $vgpr42 : SGPR spill to VGPR lane
	v_writelane_b32 v43, vcc_lo, 63
	s_cmp_eq_u64 s[24:25], 1
	v_writelane_b32 v42, vcc_hi, 0
	s_cselect_b64 s[4:5], -1, 0
	v_cmp_eq_u64_e32 vcc, 1, v[2:3]
	s_mov_b64 s[80:81], -1
	s_and_b64 s[72:73], s[4:5], vcc
                                        ; implicit-def: $sgpr4_sgpr5
                                        ; implicit-def: $sgpr12_sgpr13
                                        ; implicit-def: $sgpr10_sgpr11
	s_mov_b64 s[90:91], exec
	v_writelane_b32 v42, s72, 1
	v_writelane_b32 v42, s73, 2
	s_and_b64 s[72:73], s[90:91], s[72:73]
	s_mov_b64 exec, s[72:73]
	s_cbranch_execz .LBB138_267
; %bb.229:                              ;   in Loop: Header=BB138_18 Depth=1
	ds_read_b64 v[4:5], v15 offset:5120
	s_waitcnt lgkmcnt(0)
	s_barrier
	v_readfirstlane_b32 s4, v4
	v_readfirstlane_b32 s5, v5
	s_mov_b64 s[10:11], exec
	v_readlane_b32 s12, v43, 48
	v_readlane_b32 s13, v43, 49
	s_and_b64 s[12:13], s[10:11], s[12:13]
	s_mov_b64 exec, s[12:13]
	s_cbranch_execz .LBB138_231
; %bb.230:                              ;   in Loop: Header=BB138_18 Depth=1
	ds_write_b8 v0, v15 offset:3072
.LBB138_231:                            ;   in Loop: Header=BB138_18 Depth=1
	s_or_b64 exec, exec, s[10:11]
	v_or_b32_e32 v8, s94, v8
	v_or_b32_e32 v9, s94, v9
	s_cmp_eq_u64 s[4:5], 0
	v_writelane_b32 v42, s90, 3
	s_waitcnt lgkmcnt(0)
	s_barrier
	v_writelane_b32 v42, s91, 4
	s_cbranch_scc1 .LBB138_236
; %bb.232:                              ;   in Loop: Header=BB138_18 Depth=1
	v_readlane_b32 s10, v43, 52
	s_add_u32 s72, s10, s4
	v_readlane_b32 s10, v43, 54
	s_addc_u32 s11, s10, s5
	s_mov_b32 s10, s95
	s_cmp_lg_u64 s[10:11], 0
	s_cbranch_scc0 .LBB138_237
; %bb.233:                              ;   in Loop: Header=BB138_18 Depth=1
	v_cvt_f32_u32_e32 v4, s33
	s_sub_u32 s10, 0, s33
	s_subb_u32 s12, 0, 0
	v_mac_f32_e32 v4, 0, v30
	v_rcp_f32_e32 v4, v4
	v_mul_f32_e32 v4, 0x5f7ffffc, v4
	v_mul_f32_e32 v5, 0x2f800000, v4
	v_trunc_f32_e32 v5, v5
	v_mac_f32_e32 v4, 0xcf800000, v5
	v_cvt_u32_f32_e32 v5, v5
	v_cvt_u32_f32_e32 v4, v4
	v_readfirstlane_b32 s13, v5
	v_readfirstlane_b32 s73, v4
	s_mul_i32 s74, s10, s13
	s_mul_hi_u32 s81, s10, s73
	s_mul_i32 s80, s12, s73
	s_add_i32 s74, s81, s74
	s_mul_i32 s90, s10, s73
	s_add_i32 s74, s74, s80
	s_mul_hi_u32 s81, s73, s90
	s_mul_hi_u32 s80, s73, s74
	s_mul_i32 s73, s73, s74
	s_add_u32 s73, s81, s73
	s_addc_u32 s80, 0, s80
	s_mul_hi_u32 s91, s13, s90
	s_mul_i32 s90, s13, s90
	s_add_u32 s73, s73, s90
	s_mul_hi_u32 s81, s13, s74
	s_addc_u32 s73, s80, s91
	s_addc_u32 s80, s81, 0
	s_mul_i32 s74, s13, s74
	s_add_u32 s73, s73, s74
	s_addc_u32 s74, 0, s80
	v_add_co_u32_e32 v4, vcc, s73, v4
	s_cmp_lg_u64 vcc, 0
	s_addc_u32 s13, s13, s74
	v_readfirstlane_b32 s74, v4
	s_mul_i32 s73, s10, s13
	s_mul_hi_u32 s80, s10, s74
	s_add_i32 s73, s80, s73
	s_mul_i32 s12, s12, s74
	s_add_i32 s73, s73, s12
	s_mul_i32 s10, s10, s74
	s_mul_hi_u32 s80, s13, s10
	s_mul_i32 s81, s13, s10
	s_mul_i32 s91, s74, s73
	s_mul_hi_u32 s10, s74, s10
	s_mul_hi_u32 s90, s74, s73
	s_add_u32 s10, s10, s91
	s_addc_u32 s74, 0, s90
	s_add_u32 s10, s10, s81
	s_mul_hi_u32 s12, s13, s73
	s_addc_u32 s10, s74, s80
	s_addc_u32 s12, s12, 0
	s_mul_i32 s73, s13, s73
	s_add_u32 s10, s10, s73
	s_addc_u32 s12, 0, s12
	v_add_co_u32_e32 v4, vcc, s10, v4
	s_cmp_lg_u64 vcc, 0
	s_addc_u32 s10, s13, s12
	v_readfirstlane_b32 s73, v4
	s_mul_i32 s13, s72, s10
	s_mul_hi_u32 s74, s72, s73
	s_mul_hi_u32 s12, s72, s10
	s_add_u32 s13, s74, s13
	s_addc_u32 s12, 0, s12
	s_mul_hi_u32 s80, s11, s73
	s_mul_i32 s73, s11, s73
	s_add_u32 s13, s13, s73
	s_mul_hi_u32 s74, s11, s10
	s_addc_u32 s12, s12, s80
	s_addc_u32 s13, s74, 0
	s_mul_i32 s10, s11, s10
	s_add_u32 s10, s12, s10
	s_addc_u32 s12, 0, s13
	s_mul_hi_u32 s13, s33, s10
	s_mul_i32 s10, s33, s10
	s_mul_i32 s12, s33, s12
	v_mov_b32_e32 v4, s10
	s_add_i32 s13, s13, s12
	v_sub_co_u32_e32 v4, vcc, s72, v4
	s_cmp_lg_u64 vcc, 0
	s_subb_u32 s10, s11, s13
	v_subrev_co_u32_e32 v5, vcc, s33, v4
	s_cmp_lg_u64 vcc, 0
	s_subb_u32 s12, s10, 0
	v_subrev_co_u32_e32 v6, vcc, s33, v5
	s_cmp_lg_u64 vcc, 0
	s_subb_u32 s13, s12, 0
	v_cmp_le_u32_e32 vcc, s33, v5
	s_cmp_eq_u32 s12, 0
	v_cndmask_b32_e64 v7, 0, -1, vcc
	s_cselect_b64 vcc, -1, 0
	v_cndmask_b32_e32 v7, -1, v7, vcc
	v_mov_b32_e32 v14, s12
	v_mov_b32_e32 v22, s13
	v_cmp_ne_u32_e32 vcc, 0, v7
	v_cndmask_b32_e32 v7, v14, v22, vcc
	v_cndmask_b32_e32 v6, v5, v6, vcc
	v_cmp_le_u32_e32 vcc, s33, v4
	s_cmp_eq_u32 s10, 0
	v_cndmask_b32_e64 v5, 0, -1, vcc
	s_cselect_b64 vcc, -1, 0
	v_cndmask_b32_e32 v5, -1, v5, vcc
	v_mov_b32_e32 v14, s10
	v_cmp_ne_u32_e32 vcc, 0, v5
	v_cndmask_b32_e32 v5, v14, v7, vcc
	v_cndmask_b32_e32 v4, v4, v6, vcc
	s_mov_b64 s[12:13], 0
	s_branch .LBB138_238
.LBB138_234:                            ;   in Loop: Header=BB138_18 Depth=1
                                        ; implicit-def: $vgpr2_vgpr3
	s_branch .LBB138_188
.LBB138_235:                            ;   in Loop: Header=BB138_18 Depth=1
                                        ; implicit-def: $vgpr2_vgpr3
	s_branch .LBB138_204
.LBB138_236:                            ;   in Loop: Header=BB138_18 Depth=1
	s_mov_b64 s[4:5], -1
	s_mov_b64 s[72:73], 0
                                        ; implicit-def: $sgpr10_sgpr11
                                        ; implicit-def: $vgpr22
	s_branch .LBB138_250
.LBB138_237:                            ;   in Loop: Header=BB138_18 Depth=1
	s_mov_b64 s[12:13], -1
                                        ; implicit-def: $vgpr4_vgpr5
.LBB138_238:                            ;   in Loop: Header=BB138_18 Depth=1
	s_andn2_b64 vcc, exec, s[12:13]
	s_cbranch_vccnz .LBB138_240
; %bb.239:                              ;   in Loop: Header=BB138_18 Depth=1
	v_cvt_f32_u32_e32 v4, s33
	s_sub_i32 s10, 0, s33
	v_rcp_iflag_f32_e32 v4, v4
	v_mul_f32_e32 v4, 0x4f7ffffe, v4
	v_cvt_u32_f32_e32 v4, v4
	v_mul_lo_u32 v5, s10, v4
	v_mul_hi_u32 v5, v4, v5
	v_add_u32_e32 v4, v4, v5
	v_mul_hi_u32 v4, s72, v4
	v_mul_lo_u32 v4, v4, s33
	v_sub_u32_e32 v4, s72, v4
	v_subrev_u32_e32 v5, s33, v4
	v_cmp_le_u32_e32 vcc, s33, v4
	v_cndmask_b32_e32 v4, v4, v5, vcc
	v_subrev_u32_e32 v5, s33, v4
	v_cmp_le_u32_e32 vcc, s33, v4
	v_cndmask_b32_e32 v14, v4, v5, vcc
	v_pk_mov_b32 v[4:5], v[14:15], v[14:15] op_sel:[0,1]
.LBB138_240:                            ;   in Loop: Header=BB138_18 Depth=1
	v_mov_b32_e32 v6, s11
	v_sub_co_u32_e32 v4, vcc, s72, v4
	v_subb_co_u32_e32 v5, vcc, v6, v5, vcc
	v_cmp_gt_u64_e32 vcc, v[4:5], v[0:1]
	s_mov_b64 s[72:73], 0
                                        ; implicit-def: $vgpr22
	s_and_saveexec_b64 s[10:11], vcc
	s_cbranch_execz .LBB138_249
; %bb.241:                              ;   in Loop: Header=BB138_18 Depth=1
	s_mov_b64 s[12:13], 0
	v_mov_b32_e32 v14, v0
	v_pk_mov_b32 v[6:7], v[0:1], v[0:1] op_sel:[0,1]
                                        ; implicit-def: $sgpr72_sgpr73
	s_branch .LBB138_243
.LBB138_242:                            ;   in Loop: Header=BB138_243 Depth=2
	s_or_b64 exec, exec, s[80:81]
	s_waitcnt lgkmcnt(0)
	s_barrier
	ds_read_u16 v22, v15 offset:3072
	v_mov_b32_e32 v23, s92
	v_add_co_u32_e32 v6, vcc, s33, v6
	v_addc_co_u32_e32 v7, vcc, v7, v23, vcc
	s_waitcnt lgkmcnt(0)
	v_cmp_ne_u16_sdwa s[80:81], v22, v15 src0_sel:BYTE_0 src1_sel:DWORD
	v_cmp_ge_u64_e32 vcc, v[6:7], v[4:5]
	s_or_b64 s[90:91], vcc, s[80:81]
	s_and_b64 s[90:91], exec, s[90:91]
	s_or_b64 s[12:13], s[90:91], s[12:13]
	s_andn2_b64 s[72:73], s[72:73], exec
	s_and_b64 s[80:81], s[80:81], exec
	v_add_u32_e32 v14, s33, v14
	s_or_b64 s[72:73], s[72:73], s[80:81]
	s_barrier
	s_andn2_b64 exec, exec, s[12:13]
	s_cbranch_execz .LBB138_248
.LBB138_243:                            ;   Parent Loop BB138_18 Depth=1
                                        ; =>  This Inner Loop Header: Depth=2
	v_cmp_gt_u64_e32 vcc, s[4:5], v[6:7]
	v_mov_b32_e32 v22, 0
	s_and_saveexec_b64 s[80:81], vcc
	s_cbranch_execz .LBB138_245
; %bb.244:                              ;   in Loop: Header=BB138_243 Depth=2
	ds_read_u8 v22, v14
.LBB138_245:                            ;   in Loop: Header=BB138_243 Depth=2
	s_or_b64 exec, exec, s[80:81]
	s_and_saveexec_b64 s[80:81], vcc
	s_cbranch_execz .LBB138_242
; %bb.246:                              ;   in Loop: Header=BB138_243 Depth=2
	s_waitcnt lgkmcnt(0)
	v_add_u32_sdwa v23, sext(v22), s93 dst_sel:DWORD dst_unused:UNUSED_PAD src0_sel:BYTE_0 src1_sel:DWORD
	v_and_b32_e32 v23, v23, v9
	v_cmp_eq_u32_e32 vcc, v23, v8
	s_and_b64 exec, exec, vcc
	s_cbranch_execz .LBB138_242
; %bb.247:                              ;   in Loop: Header=BB138_243 Depth=2
	v_lshlrev_b16_e32 v22, 8, v22
	v_or_b32_e32 v22, 1, v22
	ds_write_b16 v15, v22 offset:3072
	s_branch .LBB138_242
.LBB138_248:                            ;   in Loop: Header=BB138_18 Depth=1
	s_or_b64 exec, exec, s[12:13]
	v_lshrrev_b16_e32 v22, 8, v22
	s_and_b64 s[72:73], s[72:73], exec
.LBB138_249:                            ;   in Loop: Header=BB138_18 Depth=1
	s_or_b64 exec, exec, s[10:11]
	s_mov_b64 s[10:11], -1
	s_mov_b64 s[4:5], 0
.LBB138_250:                            ;   in Loop: Header=BB138_18 Depth=1
	s_and_b64 vcc, exec, s[4:5]
	s_mov_b64 s[12:13], s[4:5]
	s_cbranch_vccz .LBB138_266
; %bb.251:                              ;   in Loop: Header=BB138_18 Depth=1
	s_mov_b32 s74, s95
	s_cmp_lg_u64 s[74:75], 0
	s_cbranch_scc0 .LBB138_253
; %bb.252:                              ;   in Loop: Header=BB138_18 Depth=1
	v_cvt_f32_u32_e32 v4, s33
	s_sub_u32 s4, 0, s33
	s_subb_u32 s5, 0, 0
	v_mac_f32_e32 v4, 0, v30
	v_rcp_f32_e32 v4, v4
	v_mul_f32_e32 v4, 0x5f7ffffc, v4
	v_mul_f32_e32 v5, 0x2f800000, v4
	v_trunc_f32_e32 v5, v5
	v_mac_f32_e32 v4, 0xcf800000, v5
	v_cvt_u32_f32_e32 v5, v5
	v_cvt_u32_f32_e32 v4, v4
	v_readfirstlane_b32 s10, v5
	v_readfirstlane_b32 s11, v4
	s_mul_i32 s12, s4, s10
	s_mul_hi_u32 s72, s4, s11
	s_mul_i32 s13, s5, s11
	s_add_i32 s12, s72, s12
	s_mul_i32 s73, s4, s11
	s_add_i32 s12, s12, s13
	s_mul_hi_u32 s72, s11, s73
	s_mul_hi_u32 s13, s11, s12
	s_mul_i32 s11, s11, s12
	s_add_u32 s11, s72, s11
	s_addc_u32 s13, 0, s13
	s_mul_hi_u32 s74, s10, s73
	s_mul_i32 s73, s10, s73
	s_add_u32 s11, s11, s73
	s_mul_hi_u32 s72, s10, s12
	s_addc_u32 s11, s13, s74
	s_addc_u32 s13, s72, 0
	s_mul_i32 s12, s10, s12
	s_add_u32 s11, s11, s12
	s_addc_u32 s12, 0, s13
	v_add_co_u32_e32 v4, vcc, s11, v4
	s_cmp_lg_u64 vcc, 0
	s_addc_u32 s10, s10, s12
	v_readfirstlane_b32 s12, v4
	s_mul_i32 s11, s4, s10
	s_mul_hi_u32 s13, s4, s12
	s_add_i32 s11, s13, s11
	s_mul_i32 s5, s5, s12
	s_add_i32 s11, s11, s5
	s_mul_i32 s4, s4, s12
	s_mul_hi_u32 s13, s10, s4
	s_mul_i32 s72, s10, s4
	s_mul_i32 s74, s12, s11
	s_mul_hi_u32 s4, s12, s4
	s_mul_hi_u32 s73, s12, s11
	s_add_u32 s4, s4, s74
	s_addc_u32 s12, 0, s73
	s_add_u32 s4, s4, s72
	s_mul_hi_u32 s5, s10, s11
	s_addc_u32 s4, s12, s13
	s_addc_u32 s5, s5, 0
	s_mul_i32 s11, s10, s11
	s_add_u32 s4, s4, s11
	s_addc_u32 s5, 0, s5
	v_add_co_u32_e32 v4, vcc, s4, v4
	s_cmp_lg_u64 vcc, 0
	s_addc_u32 s4, s10, s5
	v_readlane_b32 s72, v43, 53
	v_readfirstlane_b32 s11, v4
	s_mul_i32 s10, s72, s4
	s_mul_hi_u32 s12, s72, s11
	s_mul_hi_u32 s5, s72, s4
	s_add_u32 s10, s12, s10
	s_addc_u32 s5, 0, s5
	s_mul_hi_u32 s13, s75, s11
	s_mul_i32 s11, s75, s11
	s_add_u32 s10, s10, s11
	s_mul_hi_u32 s12, s75, s4
	s_addc_u32 s5, s5, s13
	s_addc_u32 s10, s12, 0
	s_mul_i32 s4, s75, s4
	s_add_u32 s4, s5, s4
	s_addc_u32 s5, 0, s10
	s_mul_hi_u32 s10, s33, s4
	s_mul_i32 s4, s33, s4
	s_mul_i32 s5, s33, s5
	v_mov_b32_e32 v4, s4
	s_add_i32 s10, s10, s5
	v_sub_co_u32_e32 v4, vcc, s72, v4
	s_cmp_lg_u64 vcc, 0
	s_subb_u32 s4, s75, s10
	v_subrev_co_u32_e32 v5, vcc, s33, v4
	s_cmp_lg_u64 vcc, 0
	s_subb_u32 s5, s4, 0
	v_subrev_co_u32_e32 v6, vcc, s33, v5
	s_cmp_lg_u64 vcc, 0
	s_subb_u32 s10, s5, 0
	v_cmp_le_u32_e32 vcc, s33, v5
	s_cmp_eq_u32 s5, 0
	v_cndmask_b32_e64 v7, 0, -1, vcc
	s_cselect_b64 vcc, -1, 0
	v_cndmask_b32_e32 v7, -1, v7, vcc
	v_mov_b32_e32 v14, s5
	v_mov_b32_e32 v22, s10
	v_cmp_ne_u32_e32 vcc, 0, v7
	v_cndmask_b32_e32 v7, v14, v22, vcc
	v_cndmask_b32_e32 v6, v5, v6, vcc
	v_cmp_le_u32_e32 vcc, s33, v4
	s_cmp_eq_u32 s4, 0
	v_cndmask_b32_e64 v5, 0, -1, vcc
	s_cselect_b64 vcc, -1, 0
	v_cndmask_b32_e32 v5, -1, v5, vcc
	v_mov_b32_e32 v14, s4
	v_cmp_ne_u32_e32 vcc, 0, v5
	v_cndmask_b32_e32 v5, v14, v7, vcc
	v_cndmask_b32_e32 v4, v4, v6, vcc
	s_mov_b64 s[4:5], 0
	s_branch .LBB138_254
.LBB138_253:                            ;   in Loop: Header=BB138_18 Depth=1
	s_mov_b64 s[4:5], -1
                                        ; implicit-def: $vgpr4_vgpr5
.LBB138_254:                            ;   in Loop: Header=BB138_18 Depth=1
	s_andn2_b64 vcc, exec, s[4:5]
	s_cbranch_vccnz .LBB138_256
; %bb.255:                              ;   in Loop: Header=BB138_18 Depth=1
	v_cvt_f32_u32_e32 v4, s33
	s_sub_i32 s4, 0, s33
	v_rcp_iflag_f32_e32 v4, v4
	v_mul_f32_e32 v4, 0x4f7ffffe, v4
	v_cvt_u32_f32_e32 v4, v4
	v_mul_lo_u32 v5, s4, v4
	v_mul_hi_u32 v5, v4, v5
	v_add_u32_e32 v4, v4, v5
	v_readlane_b32 s4, v43, 53
	v_mul_hi_u32 v4, s4, v4
	v_mul_lo_u32 v4, v4, s33
	v_sub_u32_e32 v4, s4, v4
	v_subrev_u32_e32 v5, s33, v4
	v_cmp_le_u32_e32 vcc, s33, v4
	v_cndmask_b32_e32 v4, v4, v5, vcc
	v_subrev_u32_e32 v5, s33, v4
	v_cmp_le_u32_e32 vcc, s33, v4
	v_cndmask_b32_e32 v14, v4, v5, vcc
	v_pk_mov_b32 v[4:5], v[14:15], v[14:15] op_sel:[0,1]
.LBB138_256:                            ;   in Loop: Header=BB138_18 Depth=1
	v_readlane_b32 s4, v43, 53
	v_mov_b32_e32 v6, s75
	v_sub_co_u32_e32 v4, vcc, s4, v4
	v_subb_co_u32_e32 v5, vcc, v6, v5, vcc
	v_cmp_gt_u64_e32 vcc, v[4:5], v[0:1]
	s_mov_b64 s[72:73], 0
                                        ; implicit-def: $vgpr22
	s_and_saveexec_b64 s[4:5], vcc
	s_cbranch_execz .LBB138_265
; %bb.257:                              ;   in Loop: Header=BB138_18 Depth=1
	s_mov_b64 s[10:11], 0
	v_pk_mov_b32 v[6:7], v[0:1], v[0:1] op_sel:[0,1]
                                        ; implicit-def: $sgpr12_sgpr13
	s_branch .LBB138_259
.LBB138_258:                            ;   in Loop: Header=BB138_259 Depth=2
	s_or_b64 exec, exec, s[72:73]
	s_waitcnt lgkmcnt(0)
	s_barrier
	s_waitcnt vmcnt(0)
	ds_read_u16 v14, v15 offset:3072
	v_mov_b32_e32 v22, s92
	v_add_co_u32_e32 v6, vcc, s33, v6
	v_addc_co_u32_e32 v7, vcc, v7, v22, vcc
	s_waitcnt lgkmcnt(0)
	v_cmp_ne_u16_sdwa s[72:73], v14, v15 src0_sel:BYTE_0 src1_sel:DWORD
	v_cmp_ge_u64_e32 vcc, v[6:7], v[4:5]
	s_or_b64 s[80:81], vcc, s[72:73]
	s_and_b64 s[80:81], exec, s[80:81]
	s_or_b64 s[10:11], s[80:81], s[10:11]
	s_andn2_b64 s[12:13], s[12:13], exec
	s_and_b64 s[72:73], s[72:73], exec
	s_or_b64 s[12:13], s[12:13], s[72:73]
	s_barrier
	s_andn2_b64 exec, exec, s[10:11]
	s_cbranch_execz .LBB138_264
.LBB138_259:                            ;   Parent Loop BB138_18 Depth=1
                                        ; =>  This Inner Loop Header: Depth=2
	v_cmp_gt_u64_e32 vcc, s[60:61], v[6:7]
	v_mov_b32_e32 v14, 0
	s_and_saveexec_b64 s[72:73], vcc
	s_cbranch_execz .LBB138_261
; %bb.260:                              ;   in Loop: Header=BB138_259 Depth=2
	v_pk_mov_b32 v[22:23], s[56:57], s[56:57] op_sel:[0,1]
	v_mad_u64_u32 v[22:23], s[80:81], v6, s58, v[22:23]
	v_mul_lo_u32 v14, v6, s59
	v_mul_lo_u32 v24, v7, s58
	v_add3_u32 v23, v24, v23, v14
	global_load_ubyte v14, v[22:23], off
.LBB138_261:                            ;   in Loop: Header=BB138_259 Depth=2
	s_or_b64 exec, exec, s[72:73]
	s_and_saveexec_b64 s[72:73], vcc
	s_cbranch_execz .LBB138_258
; %bb.262:                              ;   in Loop: Header=BB138_259 Depth=2
	s_waitcnt vmcnt(0)
	v_add_u32_sdwa v22, sext(v14), s93 dst_sel:DWORD dst_unused:UNUSED_PAD src0_sel:BYTE_0 src1_sel:DWORD
	v_and_b32_e32 v22, v22, v9
	v_cmp_eq_u32_e32 vcc, v22, v8
	s_and_b64 exec, exec, vcc
	s_cbranch_execz .LBB138_258
; %bb.263:                              ;   in Loop: Header=BB138_259 Depth=2
	v_lshlrev_b16_e32 v14, 8, v14
	v_or_b32_e32 v14, 1, v14
	ds_write_b16 v15, v14 offset:3072
	s_branch .LBB138_258
.LBB138_264:                            ;   in Loop: Header=BB138_18 Depth=1
	s_or_b64 exec, exec, s[10:11]
	v_lshrrev_b16_e32 v22, 8, v14
	s_and_b64 s[72:73], s[12:13], exec
.LBB138_265:                            ;   in Loop: Header=BB138_18 Depth=1
	s_or_b64 exec, exec, s[4:5]
	s_mov_b64 s[12:13], -1
	s_mov_b64 s[4:5], 0
	s_mov_b64 s[10:11], 0
.LBB138_266:                            ;   in Loop: Header=BB138_18 Depth=1
	v_readlane_b32 s90, v42, 3
	s_orn2_b64 s[80:81], s[72:73], exec
	v_readlane_b32 s91, v42, 4
.LBB138_267:                            ;   in Loop: Header=BB138_18 Depth=1
	s_or_b64 exec, exec, s[90:91]
	s_mov_b64 s[90:91], 0
                                        ; implicit-def: $vgpr6
                                        ; implicit-def: $vgpr4_vgpr5
	s_and_saveexec_b64 s[72:73], s[80:81]
	v_readlane_b32 vcc_lo, v43, 63
	v_readlane_b32 vcc_hi, v42, 0
	s_cbranch_execz .LBB138_279
; %bb.268:                              ;   in Loop: Header=BB138_18 Depth=1
	v_readlane_b32 s80, v42, 1
	v_readlane_b32 s81, v42, 2
	v_mov_b32_e32 v4, 1
	s_xor_b64 s[90:91], s[80:81], -1
	v_mov_b32_e32 v6, 1
	v_mov_b32_e32 v5, 0
	s_and_saveexec_b64 s[80:81], s[90:91]
	s_cbranch_execz .LBB138_278
; %bb.269:                              ;   in Loop: Header=BB138_18 Depth=1
	v_cmp_ge_u64_e32 vcc, s[24:25], v[2:3]
                                        ; implicit-def: $sgpr74
	s_and_saveexec_b64 s[90:91], vcc
	s_xor_b64 s[90:91], exec, s[90:91]
	s_cbranch_execz .LBB138_275
; %bb.270:                              ;   in Loop: Header=BB138_18 Depth=1
	ds_read_b64 v[4:5], v15 offset:5120
	s_waitcnt lgkmcnt(0)
	v_cmp_ne_u64_e32 vcc, 0, v[4:5]
	s_cbranch_vccnz .LBB138_274
; %bb.271:                              ;   in Loop: Header=BB138_18 Depth=1
	v_writelane_b32 v42, s54, 5
	v_writelane_b32 v42, s55, 6
	s_mov_b64 s[54:55], exec
	v_writelane_b32 v42, s54, 7
	v_writelane_b32 v42, s55, 8
	v_readlane_b32 vcc_lo, v43, 32
	v_readlane_b32 s54, v42, 7
	v_readlane_b32 vcc_hi, v43, 33
	v_readlane_b32 s55, v42, 8
	s_and_b64 vcc, s[54:55], vcc
	s_mov_b64 exec, vcc
	s_cbranch_execz .LBB138_273
; %bb.272:                              ;   in Loop: Header=BB138_18 Depth=1
	v_pk_mov_b32 v[4:5], s[24:25], s[24:25] op_sel:[0,1]
	ds_write_b64 v15, v[4:5] offset:5128
.LBB138_273:                            ;   in Loop: Header=BB138_18 Depth=1
	v_readlane_b32 vcc_lo, v42, 7
	v_readlane_b32 vcc_hi, v42, 8
	s_or_b64 exec, exec, vcc
	v_readlane_b32 s54, v42, 5
	v_readlane_b32 s55, v42, 6
	s_waitcnt lgkmcnt(0)
	s_barrier
.LBB138_274:                            ;   in Loop: Header=BB138_18 Depth=1
	v_or_b32_e32 v8, s94, v8
	v_or_b32_e32 v9, s94, v9
	s_mov_b32 s74, 8
.LBB138_275:                            ;   in Loop: Header=BB138_18 Depth=1
	s_or_saveexec_b64 s[90:91], s[90:91]
	v_mov_b32_e32 v6, s74
	s_xor_b64 exec, exec, s[90:91]
; %bb.276:                              ;   in Loop: Header=BB138_18 Depth=1
	v_mov_b32_e32 v4, s25
	v_subrev_co_u32_e32 v2, vcc, s24, v2
	v_subb_co_u32_e32 v3, vcc, v3, v4, vcc
	v_mov_b32_e32 v6, 8
; %bb.277:                              ;   in Loop: Header=BB138_18 Depth=1
	s_or_b64 exec, exec, s[90:91]
	v_readlane_b32 vcc_lo, v43, 63
	v_pk_mov_b32 v[4:5], v[2:3], v[2:3] op_sel:[0,1]
	v_readlane_b32 vcc_hi, v42, 0
.LBB138_278:                            ;   in Loop: Header=BB138_18 Depth=1
	s_or_b64 exec, exec, s[80:81]
	s_mov_b64 s[90:91], exec
.LBB138_279:                            ;   in Loop: Header=BB138_18 Depth=1
	s_or_b64 exec, exec, s[72:73]
	s_orn2_b64 s[72:73], s[90:91], exec
	v_pk_mov_b32 v[2:3], v[4:5], v[4:5] op_sel:[0,1]
.LBB138_280:                            ;   in Loop: Header=BB138_18 Depth=1
	s_or_b64 exec, exec, s[54:55]
	s_andn2_b64 s[8:9], s[8:9], exec
	s_and_b64 s[4:5], s[4:5], exec
	s_or_b64 s[8:9], s[8:9], s[4:5]
	s_andn2_b64 s[4:5], s[48:49], exec
	s_and_b64 s[12:13], s[12:13], exec
	s_or_b64 s[48:49], s[4:5], s[12:13]
	s_andn2_b64 s[4:5], vcc, exec
	s_and_b64 s[10:11], s[10:11], exec
	s_or_b64 vcc, s[4:5], s[10:11]
	s_and_b64 s[4:5], s[72:73], exec
	v_pk_mov_b32 v[4:5], v[2:3], v[2:3] op_sel:[0,1]
.LBB138_281:                            ;   in Loop: Header=BB138_18 Depth=1
	s_or_b64 exec, exec, s[52:53]
	s_and_b64 s[12:13], s[8:9], exec
	s_and_b64 s[10:11], s[48:49], exec
	s_and_b64 s[8:9], vcc, exec
	s_orn2_b64 s[4:5], s[4:5], exec
.LBB138_282:                            ;   in Loop: Header=BB138_18 Depth=1
	s_or_b64 exec, exec, s[50:51]
	s_andn2_b64 s[26:27], s[26:27], exec
	s_and_b64 s[12:13], s[12:13], exec
	s_or_b64 s[26:27], s[26:27], s[12:13]
	s_andn2_b64 s[12:13], s[42:43], exec
	s_and_b64 s[10:11], s[10:11], exec
	s_or_b64 s[42:43], s[12:13], s[10:11]
	;; [unrolled: 3-line block ×3, first 2 shown]
	s_and_b64 s[12:13], s[4:5], exec
	v_pk_mov_b32 v[2:3], v[4:5], v[4:5] op_sel:[0,1]
.LBB138_283:                            ;   in Loop: Header=BB138_18 Depth=1
	s_or_b64 exec, exec, s[44:45]
	s_and_b64 s[10:11], s[26:27], exec
	s_and_b64 s[8:9], s[42:43], exec
	;; [unrolled: 1-line block ×3, first 2 shown]
	s_orn2_b64 s[26:27], s[12:13], exec
.LBB138_284:                            ;   in Loop: Header=BB138_18 Depth=1
	s_or_b64 exec, exec, s[6:7]
	s_mov_b64 s[6:7], 0
	s_mov_b64 s[12:13], 0
	s_and_saveexec_b64 s[28:29], s[26:27]
	s_xor_b64 s[26:27], exec, s[28:29]
; %bb.285:                              ;   in Loop: Header=BB138_18 Depth=1
	v_cmp_eq_u32_e32 vcc, 8, v6
	v_cmp_ne_u32_e64 s[6:7], 8, v6
	s_andn2_b64 s[10:11], s[10:11], exec
	s_andn2_b64 s[8:9], s[8:9], exec
	;; [unrolled: 1-line block ×3, first 2 shown]
	s_and_b64 s[12:13], s[6:7], exec
	s_and_b64 s[6:7], vcc, exec
; %bb.286:                              ;   in Loop: Header=BB138_18 Depth=1
	s_or_b64 exec, exec, s[26:27]
	s_andn2_b64 s[20:21], s[20:21], exec
	s_and_b64 s[10:11], s[10:11], exec
	s_or_b64 s[20:21], s[20:21], s[10:11]
	s_andn2_b64 s[10:11], s[36:37], exec
	s_and_b64 s[8:9], s[8:9], exec
	s_or_b64 s[36:37], s[10:11], s[8:9]
	;; [unrolled: 3-line block ×3, first 2 shown]
	s_and_b64 s[26:27], s[12:13], exec
	s_and_b64 s[28:29], s[6:7], exec
.LBB138_287:                            ;   in Loop: Header=BB138_18 Depth=1
	s_or_b64 exec, exec, s[40:41]
	s_and_b64 vcc, exec, s[38:39]
	s_cbranch_vccz .LBB138_103
.LBB138_288:                            ;   in Loop: Header=BB138_18 Depth=1
	s_cmp_eq_u64 s[24:25], 1
	s_cselect_b64 s[4:5], -1, 0
	s_and_b64 s[6:7], s[4:5], s[14:15]
	s_mov_b64 s[4:5], -1
                                        ; implicit-def: $sgpr14_sgpr15
                                        ; implicit-def: $sgpr38_sgpr39
                                        ; implicit-def: $sgpr20_sgpr21
	s_and_saveexec_b64 s[8:9], s[6:7]
	s_cbranch_execz .LBB138_320
; %bb.289:                              ;   in Loop: Header=BB138_18 Depth=1
	ds_read_b64 v[2:3], v15 offset:5120
	s_waitcnt lgkmcnt(0)
	s_barrier
	v_readfirstlane_b32 s4, v2
	v_readfirstlane_b32 s5, v3
	s_mov_b64 s[10:11], exec
	v_readlane_b32 s12, v43, 48
	v_readlane_b32 s13, v43, 49
	s_and_b64 s[12:13], s[10:11], s[12:13]
	s_mov_b64 exec, s[12:13]
	s_cbranch_execz .LBB138_291
; %bb.290:                              ;   in Loop: Header=BB138_18 Depth=1
	ds_write_b8 v0, v15 offset:3072
.LBB138_291:                            ;   in Loop: Header=BB138_18 Depth=1
	s_or_b64 exec, exec, s[10:11]
	v_or_b32_e32 v32, s94, v32
	v_or_b32_e32 v31, s94, v31
	s_cmp_eq_u64 s[4:5], 0
	s_waitcnt lgkmcnt(0)
	s_barrier
	s_cbranch_scc1 .LBB138_303
; %bb.292:                              ;   in Loop: Header=BB138_18 Depth=1
	v_readlane_b32 s10, v43, 52
	s_add_u32 s14, s10, s4
	v_readlane_b32 s10, v43, 54
	s_addc_u32 s11, s10, s5
	s_mov_b32 s10, s95
	s_cmp_lg_u64 s[10:11], 0
	s_cbranch_scc0 .LBB138_347
; %bb.293:                              ;   in Loop: Header=BB138_18 Depth=1
	v_cvt_f32_u32_e32 v2, s33
	s_sub_u32 s10, 0, s33
	s_subb_u32 s12, 0, 0
	v_mac_f32_e32 v2, 0, v30
	v_rcp_f32_e32 v2, v2
	v_mul_f32_e32 v2, 0x5f7ffffc, v2
	v_mul_f32_e32 v3, 0x2f800000, v2
	v_trunc_f32_e32 v3, v3
	v_mac_f32_e32 v2, 0xcf800000, v3
	v_cvt_u32_f32_e32 v3, v3
	v_cvt_u32_f32_e32 v2, v2
	v_readfirstlane_b32 s13, v3
	v_readfirstlane_b32 s15, v2
	s_mul_i32 s20, s10, s13
	s_mul_hi_u32 s34, s10, s15
	s_mul_i32 s21, s12, s15
	s_add_i32 s20, s34, s20
	s_mul_i32 s35, s10, s15
	s_add_i32 s20, s20, s21
	s_mul_hi_u32 s34, s15, s35
	s_mul_hi_u32 s21, s15, s20
	s_mul_i32 s15, s15, s20
	s_add_u32 s15, s34, s15
	s_addc_u32 s21, 0, s21
	s_mul_hi_u32 s36, s13, s35
	s_mul_i32 s35, s13, s35
	s_add_u32 s15, s15, s35
	s_mul_hi_u32 s34, s13, s20
	s_addc_u32 s15, s21, s36
	s_addc_u32 s21, s34, 0
	s_mul_i32 s20, s13, s20
	s_add_u32 s15, s15, s20
	s_addc_u32 s20, 0, s21
	v_add_co_u32_e32 v2, vcc, s15, v2
	s_cmp_lg_u64 vcc, 0
	s_addc_u32 s13, s13, s20
	v_readfirstlane_b32 s20, v2
	s_mul_i32 s15, s10, s13
	s_mul_hi_u32 s21, s10, s20
	s_add_i32 s15, s21, s15
	s_mul_i32 s12, s12, s20
	s_add_i32 s15, s15, s12
	s_mul_i32 s10, s10, s20
	s_mul_hi_u32 s21, s13, s10
	s_mul_i32 s34, s13, s10
	s_mul_i32 s36, s20, s15
	s_mul_hi_u32 s10, s20, s10
	s_mul_hi_u32 s35, s20, s15
	s_add_u32 s10, s10, s36
	s_addc_u32 s20, 0, s35
	s_add_u32 s10, s10, s34
	s_mul_hi_u32 s12, s13, s15
	s_addc_u32 s10, s20, s21
	s_addc_u32 s12, s12, 0
	s_mul_i32 s15, s13, s15
	s_add_u32 s10, s10, s15
	s_addc_u32 s12, 0, s12
	v_add_co_u32_e32 v2, vcc, s10, v2
	s_cmp_lg_u64 vcc, 0
	s_addc_u32 s10, s13, s12
	v_readfirstlane_b32 s15, v2
	s_mul_i32 s13, s14, s10
	s_mul_hi_u32 s20, s14, s15
	s_mul_hi_u32 s12, s14, s10
	s_add_u32 s13, s20, s13
	s_addc_u32 s12, 0, s12
	s_mul_hi_u32 s21, s11, s15
	s_mul_i32 s15, s11, s15
	s_add_u32 s13, s13, s15
	s_mul_hi_u32 s20, s11, s10
	s_addc_u32 s12, s12, s21
	s_addc_u32 s13, s20, 0
	s_mul_i32 s10, s11, s10
	s_add_u32 s10, s12, s10
	s_addc_u32 s12, 0, s13
	s_mul_hi_u32 s13, s33, s10
	s_mul_i32 s10, s33, s10
	s_mul_i32 s12, s33, s12
	v_mov_b32_e32 v2, s10
	s_add_i32 s13, s13, s12
	v_sub_co_u32_e32 v2, vcc, s14, v2
	s_cmp_lg_u64 vcc, 0
	s_subb_u32 s10, s11, s13
	v_subrev_co_u32_e32 v3, vcc, s33, v2
	s_cmp_lg_u64 vcc, 0
	s_subb_u32 s12, s10, 0
	v_subrev_co_u32_e32 v4, vcc, s33, v3
	s_cmp_lg_u64 vcc, 0
	s_subb_u32 s13, s12, 0
	v_cmp_le_u32_e32 vcc, s33, v3
	s_cmp_eq_u32 s12, 0
	v_cndmask_b32_e64 v5, 0, -1, vcc
	s_cselect_b64 vcc, -1, 0
	v_cndmask_b32_e32 v5, -1, v5, vcc
	v_mov_b32_e32 v6, s12
	v_mov_b32_e32 v7, s13
	v_cmp_ne_u32_e32 vcc, 0, v5
	v_cndmask_b32_e32 v5, v6, v7, vcc
	v_cndmask_b32_e32 v4, v3, v4, vcc
	v_cmp_le_u32_e32 vcc, s33, v2
	s_cmp_eq_u32 s10, 0
	v_cndmask_b32_e64 v3, 0, -1, vcc
	s_cselect_b64 vcc, -1, 0
	v_cndmask_b32_e32 v3, -1, v3, vcc
	v_mov_b32_e32 v6, s10
	v_cmp_ne_u32_e32 vcc, 0, v3
	v_cndmask_b32_e32 v3, v6, v5, vcc
	v_cndmask_b32_e32 v2, v2, v4, vcc
	s_cbranch_execnz .LBB138_295
.LBB138_294:                            ;   in Loop: Header=BB138_18 Depth=1
	v_cvt_f32_u32_e32 v2, s33
	s_sub_i32 s10, 0, s33
	v_rcp_iflag_f32_e32 v2, v2
	v_mul_f32_e32 v2, 0x4f7ffffe, v2
	v_cvt_u32_f32_e32 v2, v2
	v_mul_lo_u32 v3, s10, v2
	v_mul_hi_u32 v3, v2, v3
	v_add_u32_e32 v2, v2, v3
	v_mul_hi_u32 v2, s14, v2
	v_mul_lo_u32 v2, v2, s33
	v_sub_u32_e32 v2, s14, v2
	v_subrev_u32_e32 v3, s33, v2
	v_cmp_le_u32_e32 vcc, s33, v2
	v_cndmask_b32_e32 v2, v2, v3, vcc
	v_subrev_u32_e32 v3, s33, v2
	v_cmp_le_u32_e32 vcc, s33, v2
	v_cndmask_b32_e32 v14, v2, v3, vcc
	v_pk_mov_b32 v[2:3], v[14:15], v[14:15] op_sel:[0,1]
.LBB138_295:                            ;   in Loop: Header=BB138_18 Depth=1
	v_mov_b32_e32 v4, s11
	v_sub_co_u32_e32 v2, vcc, s14, v2
	v_subb_co_u32_e32 v3, vcc, v4, v3, vcc
	v_cmp_gt_u64_e32 vcc, v[2:3], v[0:1]
	s_mov_b64 s[10:11], 0
                                        ; implicit-def: $vgpr33
	s_and_saveexec_b64 s[12:13], vcc
	s_cbranch_execz .LBB138_305
; %bb.296:                              ;   in Loop: Header=BB138_18 Depth=1
	v_mov_b32_e32 v6, v0
	v_pk_mov_b32 v[4:5], v[0:1], v[0:1] op_sel:[0,1]
                                        ; implicit-def: $sgpr14_sgpr15
	s_branch .LBB138_298
.LBB138_297:                            ;   in Loop: Header=BB138_298 Depth=2
	s_or_b64 exec, exec, s[20:21]
	s_waitcnt lgkmcnt(0)
	s_barrier
	ds_read_u16 v7, v15 offset:3072
	v_mov_b32_e32 v8, s92
	v_add_co_u32_e32 v4, vcc, s33, v4
	v_addc_co_u32_e32 v5, vcc, v5, v8, vcc
	s_waitcnt lgkmcnt(0)
	v_cmp_ne_u16_sdwa s[20:21], v7, v15 src0_sel:BYTE_0 src1_sel:DWORD
	v_cmp_ge_u64_e32 vcc, v[4:5], v[2:3]
	s_or_b64 s[34:35], vcc, s[20:21]
	s_and_b64 s[34:35], exec, s[34:35]
	s_or_b64 s[10:11], s[34:35], s[10:11]
	s_andn2_b64 s[14:15], s[14:15], exec
	s_and_b64 s[20:21], s[20:21], exec
	v_add_u32_e32 v6, s33, v6
	s_or_b64 s[14:15], s[14:15], s[20:21]
	s_barrier
	s_andn2_b64 exec, exec, s[10:11]
	s_cbranch_execz .LBB138_304
.LBB138_298:                            ;   Parent Loop BB138_18 Depth=1
                                        ; =>  This Inner Loop Header: Depth=2
	v_cmp_gt_u64_e32 vcc, s[4:5], v[4:5]
	v_mov_b32_e32 v7, 0
	s_and_saveexec_b64 s[20:21], vcc
	s_cbranch_execz .LBB138_300
; %bb.299:                              ;   in Loop: Header=BB138_298 Depth=2
	ds_read_u8 v7, v6
.LBB138_300:                            ;   in Loop: Header=BB138_298 Depth=2
	s_or_b64 exec, exec, s[20:21]
	s_and_saveexec_b64 s[20:21], vcc
	s_cbranch_execz .LBB138_297
; %bb.301:                              ;   in Loop: Header=BB138_298 Depth=2
	s_waitcnt lgkmcnt(0)
	v_add_u32_sdwa v8, sext(v7), s93 dst_sel:DWORD dst_unused:UNUSED_PAD src0_sel:BYTE_0 src1_sel:DWORD
	v_and_b32_e32 v8, v8, v31
	v_cmp_eq_u32_e32 vcc, v8, v32
	s_and_b64 exec, exec, vcc
	s_cbranch_execz .LBB138_297
; %bb.302:                              ;   in Loop: Header=BB138_298 Depth=2
	v_lshlrev_b16_e32 v7, 8, v7
	v_or_b32_e32 v7, 1, v7
	ds_write_b16 v15, v7 offset:3072
	s_branch .LBB138_297
.LBB138_303:                            ;   in Loop: Header=BB138_18 Depth=1
	s_mov_b64 s[14:15], -1
	s_mov_b64 s[10:11], 0
                                        ; implicit-def: $sgpr38_sgpr39
                                        ; implicit-def: $vgpr33
	s_mov_b64 s[20:21], s[14:15]
	s_cbranch_execnz .LBB138_306
	s_branch .LBB138_319
.LBB138_304:                            ;   in Loop: Header=BB138_18 Depth=1
	s_or_b64 exec, exec, s[10:11]
	v_lshrrev_b16_e32 v33, 8, v7
	s_and_b64 s[10:11], s[14:15], exec
.LBB138_305:                            ;   in Loop: Header=BB138_18 Depth=1
	s_or_b64 exec, exec, s[12:13]
	s_mov_b64 s[14:15], 0
	s_mov_b64 s[38:39], -1
	s_mov_b64 s[20:21], s[14:15]
	s_branch .LBB138_319
.LBB138_306:                            ;   in Loop: Header=BB138_18 Depth=1
	s_mov_b32 s74, s95
	s_cmp_lg_u64 s[74:75], 0
	s_cbranch_scc0 .LBB138_348
; %bb.307:                              ;   in Loop: Header=BB138_18 Depth=1
	v_cvt_f32_u32_e32 v2, s33
	s_sub_u32 s4, 0, s33
	s_subb_u32 s5, 0, 0
	v_mac_f32_e32 v2, 0, v30
	v_rcp_f32_e32 v2, v2
	v_mul_f32_e32 v2, 0x5f7ffffc, v2
	v_mul_f32_e32 v3, 0x2f800000, v2
	v_trunc_f32_e32 v3, v3
	v_mac_f32_e32 v2, 0xcf800000, v3
	v_cvt_u32_f32_e32 v3, v3
	v_cvt_u32_f32_e32 v2, v2
	v_readfirstlane_b32 s10, v3
	v_readfirstlane_b32 s11, v2
	s_mul_i32 s12, s4, s10
	s_mul_hi_u32 s14, s4, s11
	s_mul_i32 s13, s5, s11
	s_add_i32 s12, s14, s12
	s_mul_i32 s15, s4, s11
	s_add_i32 s12, s12, s13
	s_mul_hi_u32 s14, s11, s15
	s_mul_hi_u32 s13, s11, s12
	s_mul_i32 s11, s11, s12
	s_add_u32 s11, s14, s11
	s_addc_u32 s13, 0, s13
	s_mul_hi_u32 s20, s10, s15
	s_mul_i32 s15, s10, s15
	s_add_u32 s11, s11, s15
	s_mul_hi_u32 s14, s10, s12
	s_addc_u32 s11, s13, s20
	s_addc_u32 s13, s14, 0
	s_mul_i32 s12, s10, s12
	s_add_u32 s11, s11, s12
	s_addc_u32 s12, 0, s13
	v_add_co_u32_e32 v2, vcc, s11, v2
	s_cmp_lg_u64 vcc, 0
	s_addc_u32 s10, s10, s12
	v_readfirstlane_b32 s12, v2
	s_mul_i32 s11, s4, s10
	s_mul_hi_u32 s13, s4, s12
	s_add_i32 s11, s13, s11
	s_mul_i32 s5, s5, s12
	s_add_i32 s11, s11, s5
	s_mul_i32 s4, s4, s12
	s_mul_hi_u32 s13, s10, s4
	s_mul_i32 s14, s10, s4
	s_mul_i32 s20, s12, s11
	s_mul_hi_u32 s4, s12, s4
	s_mul_hi_u32 s15, s12, s11
	s_add_u32 s4, s4, s20
	s_addc_u32 s12, 0, s15
	s_add_u32 s4, s4, s14
	s_mul_hi_u32 s5, s10, s11
	s_addc_u32 s4, s12, s13
	s_addc_u32 s5, s5, 0
	s_mul_i32 s11, s10, s11
	s_add_u32 s4, s4, s11
	s_addc_u32 s5, 0, s5
	v_add_co_u32_e32 v2, vcc, s4, v2
	s_cmp_lg_u64 vcc, 0
	s_addc_u32 s4, s10, s5
	v_readlane_b32 s14, v43, 53
	v_readfirstlane_b32 s11, v2
	s_mul_i32 s10, s14, s4
	s_mul_hi_u32 s12, s14, s11
	s_mul_hi_u32 s5, s14, s4
	s_add_u32 s10, s12, s10
	s_addc_u32 s5, 0, s5
	s_mul_hi_u32 s13, s75, s11
	s_mul_i32 s11, s75, s11
	s_add_u32 s10, s10, s11
	s_mul_hi_u32 s12, s75, s4
	s_addc_u32 s5, s5, s13
	s_addc_u32 s10, s12, 0
	s_mul_i32 s4, s75, s4
	s_add_u32 s4, s5, s4
	s_addc_u32 s5, 0, s10
	s_mul_hi_u32 s10, s33, s4
	s_mul_i32 s4, s33, s4
	s_mul_i32 s5, s33, s5
	v_mov_b32_e32 v2, s4
	s_add_i32 s10, s10, s5
	v_sub_co_u32_e32 v2, vcc, s14, v2
	s_cmp_lg_u64 vcc, 0
	s_subb_u32 s4, s75, s10
	v_subrev_co_u32_e32 v3, vcc, s33, v2
	s_cmp_lg_u64 vcc, 0
	s_subb_u32 s5, s4, 0
	v_subrev_co_u32_e32 v4, vcc, s33, v3
	s_cmp_lg_u64 vcc, 0
	s_subb_u32 s10, s5, 0
	v_cmp_le_u32_e32 vcc, s33, v3
	s_cmp_eq_u32 s5, 0
	v_cndmask_b32_e64 v5, 0, -1, vcc
	s_cselect_b64 vcc, -1, 0
	v_cndmask_b32_e32 v5, -1, v5, vcc
	v_mov_b32_e32 v6, s5
	v_mov_b32_e32 v7, s10
	v_cmp_ne_u32_e32 vcc, 0, v5
	v_cndmask_b32_e32 v5, v6, v7, vcc
	v_cndmask_b32_e32 v4, v3, v4, vcc
	v_cmp_le_u32_e32 vcc, s33, v2
	s_cmp_eq_u32 s4, 0
	v_cndmask_b32_e64 v3, 0, -1, vcc
	s_cselect_b64 vcc, -1, 0
	v_cndmask_b32_e32 v3, -1, v3, vcc
	v_mov_b32_e32 v6, s4
	v_cmp_ne_u32_e32 vcc, 0, v3
	v_cndmask_b32_e32 v3, v6, v5, vcc
	v_cndmask_b32_e32 v2, v2, v4, vcc
	s_cbranch_execnz .LBB138_309
.LBB138_308:                            ;   in Loop: Header=BB138_18 Depth=1
	v_cvt_f32_u32_e32 v2, s33
	s_sub_i32 s4, 0, s33
	v_rcp_iflag_f32_e32 v2, v2
	v_mul_f32_e32 v2, 0x4f7ffffe, v2
	v_cvt_u32_f32_e32 v2, v2
	v_mul_lo_u32 v3, s4, v2
	v_mul_hi_u32 v3, v2, v3
	v_add_u32_e32 v2, v2, v3
	v_readlane_b32 s4, v43, 53
	v_mul_hi_u32 v2, s4, v2
	v_mul_lo_u32 v2, v2, s33
	v_sub_u32_e32 v2, s4, v2
	v_subrev_u32_e32 v3, s33, v2
	v_cmp_le_u32_e32 vcc, s33, v2
	v_cndmask_b32_e32 v2, v2, v3, vcc
	v_subrev_u32_e32 v3, s33, v2
	v_cmp_le_u32_e32 vcc, s33, v2
	v_cndmask_b32_e32 v14, v2, v3, vcc
	v_pk_mov_b32 v[2:3], v[14:15], v[14:15] op_sel:[0,1]
.LBB138_309:                            ;   in Loop: Header=BB138_18 Depth=1
	v_readlane_b32 s4, v43, 53
	v_mov_b32_e32 v4, s75
	v_sub_co_u32_e32 v2, vcc, s4, v2
	v_subb_co_u32_e32 v3, vcc, v4, v3, vcc
	v_cmp_gt_u64_e32 vcc, v[2:3], v[0:1]
	s_mov_b64 s[10:11], 0
                                        ; implicit-def: $vgpr33
	s_and_saveexec_b64 s[4:5], vcc
	s_cbranch_execz .LBB138_318
; %bb.310:                              ;   in Loop: Header=BB138_18 Depth=1
	v_pk_mov_b32 v[4:5], v[0:1], v[0:1] op_sel:[0,1]
                                        ; implicit-def: $sgpr12_sgpr13
	s_branch .LBB138_312
.LBB138_311:                            ;   in Loop: Header=BB138_312 Depth=2
	s_or_b64 exec, exec, s[14:15]
	s_waitcnt lgkmcnt(0)
	s_barrier
	s_waitcnt vmcnt(0)
	ds_read_u16 v6, v15 offset:3072
	v_mov_b32_e32 v7, s92
	v_add_co_u32_e32 v4, vcc, s33, v4
	v_addc_co_u32_e32 v5, vcc, v5, v7, vcc
	s_waitcnt lgkmcnt(0)
	v_cmp_ne_u16_sdwa s[14:15], v6, v15 src0_sel:BYTE_0 src1_sel:DWORD
	v_cmp_ge_u64_e32 vcc, v[4:5], v[2:3]
	s_or_b64 s[20:21], vcc, s[14:15]
	s_and_b64 s[20:21], exec, s[20:21]
	s_or_b64 s[10:11], s[20:21], s[10:11]
	s_andn2_b64 s[12:13], s[12:13], exec
	s_and_b64 s[14:15], s[14:15], exec
	s_or_b64 s[12:13], s[12:13], s[14:15]
	s_barrier
	s_andn2_b64 exec, exec, s[10:11]
	s_cbranch_execz .LBB138_317
.LBB138_312:                            ;   Parent Loop BB138_18 Depth=1
                                        ; =>  This Inner Loop Header: Depth=2
	v_cmp_gt_u64_e32 vcc, s[60:61], v[4:5]
	v_mov_b32_e32 v6, 0
	s_and_saveexec_b64 s[14:15], vcc
	s_cbranch_execz .LBB138_314
; %bb.313:                              ;   in Loop: Header=BB138_312 Depth=2
	v_pk_mov_b32 v[6:7], s[56:57], s[56:57] op_sel:[0,1]
	v_mad_u64_u32 v[6:7], s[20:21], v4, s58, v[6:7]
	v_mul_lo_u32 v8, v4, s59
	v_mul_lo_u32 v9, v5, s58
	v_add3_u32 v7, v9, v7, v8
	global_load_ubyte v6, v[6:7], off
.LBB138_314:                            ;   in Loop: Header=BB138_312 Depth=2
	s_or_b64 exec, exec, s[14:15]
	s_and_saveexec_b64 s[14:15], vcc
	s_cbranch_execz .LBB138_311
; %bb.315:                              ;   in Loop: Header=BB138_312 Depth=2
	s_waitcnt vmcnt(0)
	v_add_u32_sdwa v7, sext(v6), s93 dst_sel:DWORD dst_unused:UNUSED_PAD src0_sel:BYTE_0 src1_sel:DWORD
	v_and_b32_e32 v7, v7, v31
	v_cmp_eq_u32_e32 vcc, v7, v32
	s_and_b64 exec, exec, vcc
	s_cbranch_execz .LBB138_311
; %bb.316:                              ;   in Loop: Header=BB138_312 Depth=2
	v_lshlrev_b16_e32 v6, 8, v6
	v_or_b32_e32 v6, 1, v6
	ds_write_b16 v15, v6 offset:3072
	s_branch .LBB138_311
.LBB138_317:                            ;   in Loop: Header=BB138_18 Depth=1
	s_or_b64 exec, exec, s[10:11]
	v_lshrrev_b16_e32 v33, 8, v6
	s_and_b64 s[10:11], s[12:13], exec
.LBB138_318:                            ;   in Loop: Header=BB138_18 Depth=1
	s_or_b64 exec, exec, s[4:5]
	s_mov_b64 s[38:39], 0
	s_mov_b64 s[14:15], -1
	s_mov_b64 s[20:21], 0
.LBB138_319:                            ;   in Loop: Header=BB138_18 Depth=1
	s_orn2_b64 s[4:5], s[10:11], exec
.LBB138_320:                            ;   in Loop: Header=BB138_18 Depth=1
	s_or_b64 exec, exec, s[8:9]
                                        ; implicit-def: $vgpr6
                                        ; implicit-def: $vgpr2_vgpr3
                                        ; implicit-def: $vgpr8
                                        ; implicit-def: $vgpr9
                                        ; implicit-def: $vgpr22
	s_and_saveexec_b64 s[34:35], s[4:5]
	s_cbranch_execz .LBB138_483
; %bb.321:                              ;   in Loop: Header=BB138_18 Depth=1
	v_mov_b32_e32 v2, 1
	s_xor_b64 s[8:9], s[6:7], -1
	s_mov_b64 s[6:7], 0
	v_mov_b32_e32 v3, 0
	v_mov_b32_e32 v6, 1
	s_and_saveexec_b64 s[4:5], s[8:9]
	s_cbranch_execz .LBB138_331
; %bb.322:                              ;   in Loop: Header=BB138_18 Depth=1
	v_cmp_ge_u64_e32 vcc, s[24:25], v[20:21]
                                        ; implicit-def: $sgpr10
                                        ; implicit-def: $sgpr6_sgpr7
	s_and_saveexec_b64 s[8:9], vcc
	s_xor_b64 s[8:9], exec, s[8:9]
	s_cbranch_execz .LBB138_328
; %bb.323:                              ;   in Loop: Header=BB138_18 Depth=1
	ds_read_b64 v[2:3], v15 offset:5120
	s_waitcnt lgkmcnt(0)
	v_cmp_ne_u64_e32 vcc, 0, v[2:3]
	s_cbranch_vccnz .LBB138_327
; %bb.324:                              ;   in Loop: Header=BB138_18 Depth=1
	s_mov_b64 s[6:7], exec
	v_readlane_b32 s10, v43, 32
	v_readlane_b32 s11, v43, 33
	s_and_b64 s[10:11], s[6:7], s[10:11]
	s_mov_b64 exec, s[10:11]
	s_cbranch_execz .LBB138_326
; %bb.325:                              ;   in Loop: Header=BB138_18 Depth=1
	v_pk_mov_b32 v[2:3], s[24:25], s[24:25] op_sel:[0,1]
	ds_write_b64 v15, v[2:3] offset:5128
.LBB138_326:                            ;   in Loop: Header=BB138_18 Depth=1
	s_or_b64 exec, exec, s[6:7]
	s_waitcnt lgkmcnt(0)
	s_barrier
.LBB138_327:                            ;   in Loop: Header=BB138_18 Depth=1
	v_or_b32_e32 v32, s94, v32
	v_or_b32_e32 v31, s94, v31
	s_mov_b64 s[6:7], 0
	s_mov_b32 s10, 5
.LBB138_328:                            ;   in Loop: Header=BB138_18 Depth=1
	s_or_saveexec_b64 s[8:9], s[8:9]
	v_mov_b32_e32 v6, s10
	s_xor_b64 exec, exec, s[8:9]
; %bb.329:                              ;   in Loop: Header=BB138_18 Depth=1
	v_mov_b32_e32 v2, s25
	v_subrev_co_u32_e32 v20, vcc, s24, v20
	v_subb_co_u32_e32 v21, vcc, v21, v2, vcc
	v_mov_b32_e32 v6, 0
	s_or_b64 s[6:7], s[6:7], exec
; %bb.330:                              ;   in Loop: Header=BB138_18 Depth=1
	s_or_b64 exec, exec, s[8:9]
	s_and_b64 s[6:7], s[6:7], exec
	v_pk_mov_b32 v[2:3], v[20:21], v[20:21] op_sel:[0,1]
.LBB138_331:                            ;   in Loop: Header=BB138_18 Depth=1
	s_or_b64 exec, exec, s[4:5]
	s_mov_b64 s[24:25], -1
                                        ; implicit-def: $sgpr4_sgpr5
                                        ; implicit-def: $sgpr8_sgpr9
                                        ; implicit-def: $sgpr10_sgpr11
	s_and_saveexec_b64 s[12:13], s[6:7]
	s_xor_b64 s[6:7], exec, s[12:13]
	s_cbranch_execz .LBB138_480
; %bb.332:                              ;   in Loop: Header=BB138_18 Depth=1
	s_cmp_eq_u64 s[22:23], 1
	s_cselect_b64 s[4:5], -1, 0
	v_cmp_eq_u64_e32 vcc, 1, v[2:3]
	s_and_b64 s[8:9], s[4:5], vcc
	s_mov_b64 s[4:5], -1
                                        ; implicit-def: $sgpr24_sgpr25
                                        ; implicit-def: $sgpr36_sgpr37
                                        ; implicit-def: $sgpr40_sgpr41
	s_and_saveexec_b64 s[42:43], s[8:9]
	s_cbranch_execz .LBB138_366
; %bb.333:                              ;   in Loop: Header=BB138_18 Depth=1
	ds_read_b64 v[4:5], v15 offset:5120
	s_waitcnt lgkmcnt(0)
	s_barrier
	v_readfirstlane_b32 s4, v4
	v_readfirstlane_b32 s5, v5
	s_mov_b64 s[10:11], exec
	v_readlane_b32 s12, v43, 48
	v_readlane_b32 s13, v43, 49
	s_and_b64 s[12:13], s[10:11], s[12:13]
	s_mov_b64 exec, s[12:13]
	s_cbranch_execz .LBB138_335
; %bb.334:                              ;   in Loop: Header=BB138_18 Depth=1
	ds_write_b8 v0, v15 offset:3072
.LBB138_335:                            ;   in Loop: Header=BB138_18 Depth=1
	s_or_b64 exec, exec, s[10:11]
	v_and_b32_e32 v4, s46, v32
	v_lshl_or_b32 v32, 2, s47, v4
	v_or_b32_e32 v31, s94, v31
	s_cmp_eq_u64 s[4:5], 0
	s_waitcnt lgkmcnt(0)
	s_barrier
	s_cbranch_scc1 .LBB138_349
; %bb.336:                              ;   in Loop: Header=BB138_18 Depth=1
	v_readlane_b32 s10, v43, 52
	s_add_u32 s24, s10, s4
	v_readlane_b32 s10, v43, 54
	s_addc_u32 s11, s10, s5
	s_mov_b32 s10, s95
	s_cmp_lg_u64 s[10:11], 0
	s_cbranch_scc0 .LBB138_393
; %bb.337:                              ;   in Loop: Header=BB138_18 Depth=1
	v_cvt_f32_u32_e32 v4, s33
	s_sub_u32 s10, 0, s33
	s_subb_u32 s12, 0, 0
	v_mac_f32_e32 v4, 0, v30
	v_rcp_f32_e32 v4, v4
	v_mul_f32_e32 v4, 0x5f7ffffc, v4
	v_mul_f32_e32 v5, 0x2f800000, v4
	v_trunc_f32_e32 v5, v5
	v_mac_f32_e32 v4, 0xcf800000, v5
	v_cvt_u32_f32_e32 v5, v5
	v_cvt_u32_f32_e32 v4, v4
	v_readfirstlane_b32 s13, v5
	v_readfirstlane_b32 s25, v4
	s_mul_i32 s36, s10, s13
	s_mul_hi_u32 s40, s10, s25
	s_mul_i32 s37, s12, s25
	s_add_i32 s36, s40, s36
	s_mul_i32 s41, s10, s25
	s_add_i32 s36, s36, s37
	s_mul_hi_u32 s40, s25, s41
	s_mul_hi_u32 s37, s25, s36
	s_mul_i32 s25, s25, s36
	s_add_u32 s25, s40, s25
	s_addc_u32 s37, 0, s37
	s_mul_hi_u32 s44, s13, s41
	s_mul_i32 s41, s13, s41
	s_add_u32 s25, s25, s41
	s_mul_hi_u32 s40, s13, s36
	s_addc_u32 s25, s37, s44
	s_addc_u32 s37, s40, 0
	s_mul_i32 s36, s13, s36
	s_add_u32 s25, s25, s36
	s_addc_u32 s36, 0, s37
	v_add_co_u32_e32 v4, vcc, s25, v4
	s_cmp_lg_u64 vcc, 0
	s_addc_u32 s13, s13, s36
	v_readfirstlane_b32 s36, v4
	s_mul_i32 s25, s10, s13
	s_mul_hi_u32 s37, s10, s36
	s_add_i32 s25, s37, s25
	s_mul_i32 s12, s12, s36
	s_add_i32 s25, s25, s12
	s_mul_i32 s10, s10, s36
	s_mul_hi_u32 s37, s13, s10
	s_mul_i32 s40, s13, s10
	s_mul_i32 s44, s36, s25
	s_mul_hi_u32 s10, s36, s10
	s_mul_hi_u32 s41, s36, s25
	s_add_u32 s10, s10, s44
	s_addc_u32 s36, 0, s41
	s_add_u32 s10, s10, s40
	s_mul_hi_u32 s12, s13, s25
	s_addc_u32 s10, s36, s37
	s_addc_u32 s12, s12, 0
	s_mul_i32 s25, s13, s25
	s_add_u32 s10, s10, s25
	s_addc_u32 s12, 0, s12
	v_add_co_u32_e32 v4, vcc, s10, v4
	s_cmp_lg_u64 vcc, 0
	s_addc_u32 s10, s13, s12
	v_readfirstlane_b32 s25, v4
	s_mul_i32 s13, s24, s10
	s_mul_hi_u32 s36, s24, s25
	s_mul_hi_u32 s12, s24, s10
	s_add_u32 s13, s36, s13
	s_addc_u32 s12, 0, s12
	s_mul_hi_u32 s37, s11, s25
	s_mul_i32 s25, s11, s25
	s_add_u32 s13, s13, s25
	s_mul_hi_u32 s36, s11, s10
	s_addc_u32 s12, s12, s37
	s_addc_u32 s13, s36, 0
	s_mul_i32 s10, s11, s10
	s_add_u32 s10, s12, s10
	s_addc_u32 s12, 0, s13
	s_mul_hi_u32 s13, s33, s10
	s_mul_i32 s10, s33, s10
	s_mul_i32 s12, s33, s12
	v_mov_b32_e32 v4, s10
	s_add_i32 s13, s13, s12
	v_sub_co_u32_e32 v4, vcc, s24, v4
	s_cmp_lg_u64 vcc, 0
	s_subb_u32 s10, s11, s13
	v_subrev_co_u32_e32 v5, vcc, s33, v4
	s_cmp_lg_u64 vcc, 0
	s_subb_u32 s12, s10, 0
	v_subrev_co_u32_e32 v6, vcc, s33, v5
	s_cmp_lg_u64 vcc, 0
	s_subb_u32 s13, s12, 0
	v_cmp_le_u32_e32 vcc, s33, v5
	s_cmp_eq_u32 s12, 0
	v_cndmask_b32_e64 v7, 0, -1, vcc
	s_cselect_b64 vcc, -1, 0
	v_cndmask_b32_e32 v7, -1, v7, vcc
	v_mov_b32_e32 v8, s12
	v_mov_b32_e32 v9, s13
	v_cmp_ne_u32_e32 vcc, 0, v7
	v_cndmask_b32_e32 v7, v8, v9, vcc
	v_cndmask_b32_e32 v6, v5, v6, vcc
	v_cmp_le_u32_e32 vcc, s33, v4
	s_cmp_eq_u32 s10, 0
	v_cndmask_b32_e64 v5, 0, -1, vcc
	s_cselect_b64 vcc, -1, 0
	v_cndmask_b32_e32 v5, -1, v5, vcc
	v_mov_b32_e32 v8, s10
	v_cmp_ne_u32_e32 vcc, 0, v5
	v_cndmask_b32_e32 v5, v8, v7, vcc
	v_cndmask_b32_e32 v4, v4, v6, vcc
	s_cbranch_execnz .LBB138_339
.LBB138_338:                            ;   in Loop: Header=BB138_18 Depth=1
	v_cvt_f32_u32_e32 v4, s33
	s_sub_i32 s10, 0, s33
	v_rcp_iflag_f32_e32 v4, v4
	v_mul_f32_e32 v4, 0x4f7ffffe, v4
	v_cvt_u32_f32_e32 v4, v4
	v_mul_lo_u32 v5, s10, v4
	v_mul_hi_u32 v5, v4, v5
	v_add_u32_e32 v4, v4, v5
	v_mul_hi_u32 v4, s24, v4
	v_mul_lo_u32 v4, v4, s33
	v_sub_u32_e32 v4, s24, v4
	v_subrev_u32_e32 v5, s33, v4
	v_cmp_le_u32_e32 vcc, s33, v4
	v_cndmask_b32_e32 v4, v4, v5, vcc
	v_subrev_u32_e32 v5, s33, v4
	v_cmp_le_u32_e32 vcc, s33, v4
	v_cndmask_b32_e32 v14, v4, v5, vcc
	v_pk_mov_b32 v[4:5], v[14:15], v[14:15] op_sel:[0,1]
.LBB138_339:                            ;   in Loop: Header=BB138_18 Depth=1
	v_mov_b32_e32 v6, s11
	v_sub_co_u32_e32 v4, vcc, s24, v4
	v_subb_co_u32_e32 v5, vcc, v6, v5, vcc
	v_cmp_gt_u64_e32 vcc, v[4:5], v[0:1]
	s_mov_b64 s[10:11], 0
                                        ; implicit-def: $vgpr33
	s_and_saveexec_b64 s[12:13], vcc
	s_cbranch_execz .LBB138_351
; %bb.340:                              ;   in Loop: Header=BB138_18 Depth=1
	v_mov_b32_e32 v8, v0
	v_pk_mov_b32 v[6:7], v[0:1], v[0:1] op_sel:[0,1]
                                        ; implicit-def: $sgpr24_sgpr25
	s_branch .LBB138_342
.LBB138_341:                            ;   in Loop: Header=BB138_342 Depth=2
	s_or_b64 exec, exec, s[36:37]
	s_waitcnt lgkmcnt(0)
	s_barrier
	ds_read_u16 v9, v15 offset:3072
	v_mov_b32_e32 v14, s92
	v_add_co_u32_e32 v6, vcc, s33, v6
	v_addc_co_u32_e32 v7, vcc, v7, v14, vcc
	s_waitcnt lgkmcnt(0)
	v_cmp_ne_u16_sdwa s[36:37], v9, v15 src0_sel:BYTE_0 src1_sel:DWORD
	v_cmp_ge_u64_e32 vcc, v[6:7], v[4:5]
	s_or_b64 s[40:41], vcc, s[36:37]
	s_and_b64 s[40:41], exec, s[40:41]
	s_or_b64 s[10:11], s[40:41], s[10:11]
	s_andn2_b64 s[24:25], s[24:25], exec
	s_and_b64 s[36:37], s[36:37], exec
	v_add_u32_e32 v8, s33, v8
	s_or_b64 s[24:25], s[24:25], s[36:37]
	s_barrier
	s_andn2_b64 exec, exec, s[10:11]
	s_cbranch_execz .LBB138_350
.LBB138_342:                            ;   Parent Loop BB138_18 Depth=1
                                        ; =>  This Inner Loop Header: Depth=2
	v_cmp_gt_u64_e32 vcc, s[4:5], v[6:7]
	v_mov_b32_e32 v9, 0
	s_and_saveexec_b64 s[36:37], vcc
	s_cbranch_execz .LBB138_344
; %bb.343:                              ;   in Loop: Header=BB138_342 Depth=2
	ds_read_u8 v9, v8
.LBB138_344:                            ;   in Loop: Header=BB138_342 Depth=2
	s_or_b64 exec, exec, s[36:37]
	s_and_saveexec_b64 s[36:37], vcc
	s_cbranch_execz .LBB138_341
; %bb.345:                              ;   in Loop: Header=BB138_342 Depth=2
	s_waitcnt lgkmcnt(0)
	v_add_u32_sdwa v14, sext(v9), s93 dst_sel:DWORD dst_unused:UNUSED_PAD src0_sel:BYTE_0 src1_sel:DWORD
	v_and_b32_e32 v14, v14, v31
	v_cmp_eq_u32_e32 vcc, v14, v32
	s_and_b64 exec, exec, vcc
	s_cbranch_execz .LBB138_341
; %bb.346:                              ;   in Loop: Header=BB138_342 Depth=2
	v_lshlrev_b16_e32 v9, 8, v9
	v_or_b32_e32 v9, 1, v9
	ds_write_b16 v15, v9 offset:3072
	s_branch .LBB138_341
.LBB138_347:                            ;   in Loop: Header=BB138_18 Depth=1
                                        ; implicit-def: $vgpr2_vgpr3
	s_branch .LBB138_294
.LBB138_348:                            ;   in Loop: Header=BB138_18 Depth=1
                                        ; implicit-def: $vgpr2_vgpr3
	s_branch .LBB138_308
.LBB138_349:                            ;   in Loop: Header=BB138_18 Depth=1
	s_mov_b64 s[24:25], -1
	s_mov_b64 s[10:11], 0
                                        ; implicit-def: $sgpr36_sgpr37
                                        ; implicit-def: $vgpr33
	s_mov_b64 s[40:41], s[24:25]
	s_cbranch_execnz .LBB138_352
	s_branch .LBB138_365
.LBB138_350:                            ;   in Loop: Header=BB138_18 Depth=1
	s_or_b64 exec, exec, s[10:11]
	v_lshrrev_b16_e32 v33, 8, v9
	s_and_b64 s[10:11], s[24:25], exec
.LBB138_351:                            ;   in Loop: Header=BB138_18 Depth=1
	s_or_b64 exec, exec, s[12:13]
	s_mov_b64 s[24:25], 0
	s_mov_b64 s[36:37], -1
	s_mov_b64 s[40:41], s[24:25]
	s_branch .LBB138_365
.LBB138_352:                            ;   in Loop: Header=BB138_18 Depth=1
	s_mov_b32 s74, s95
	s_cmp_lg_u64 s[74:75], 0
	s_cbranch_scc0 .LBB138_394
; %bb.353:                              ;   in Loop: Header=BB138_18 Depth=1
	v_cvt_f32_u32_e32 v4, s33
	s_sub_u32 s4, 0, s33
	s_subb_u32 s5, 0, 0
	v_mac_f32_e32 v4, 0, v30
	v_rcp_f32_e32 v4, v4
	v_mul_f32_e32 v4, 0x5f7ffffc, v4
	v_mul_f32_e32 v5, 0x2f800000, v4
	v_trunc_f32_e32 v5, v5
	v_mac_f32_e32 v4, 0xcf800000, v5
	v_cvt_u32_f32_e32 v5, v5
	v_cvt_u32_f32_e32 v4, v4
	v_readfirstlane_b32 s10, v5
	v_readfirstlane_b32 s11, v4
	s_mul_i32 s12, s4, s10
	s_mul_hi_u32 s24, s4, s11
	s_mul_i32 s13, s5, s11
	s_add_i32 s12, s24, s12
	s_mul_i32 s25, s4, s11
	s_add_i32 s12, s12, s13
	s_mul_hi_u32 s24, s11, s25
	s_mul_hi_u32 s13, s11, s12
	s_mul_i32 s11, s11, s12
	s_add_u32 s11, s24, s11
	s_addc_u32 s13, 0, s13
	s_mul_hi_u32 s36, s10, s25
	s_mul_i32 s25, s10, s25
	s_add_u32 s11, s11, s25
	s_mul_hi_u32 s24, s10, s12
	s_addc_u32 s11, s13, s36
	s_addc_u32 s13, s24, 0
	s_mul_i32 s12, s10, s12
	s_add_u32 s11, s11, s12
	s_addc_u32 s12, 0, s13
	v_add_co_u32_e32 v4, vcc, s11, v4
	s_cmp_lg_u64 vcc, 0
	s_addc_u32 s10, s10, s12
	v_readfirstlane_b32 s12, v4
	s_mul_i32 s11, s4, s10
	s_mul_hi_u32 s13, s4, s12
	s_add_i32 s11, s13, s11
	s_mul_i32 s5, s5, s12
	s_add_i32 s11, s11, s5
	s_mul_i32 s4, s4, s12
	s_mul_hi_u32 s13, s10, s4
	s_mul_i32 s24, s10, s4
	s_mul_i32 s36, s12, s11
	s_mul_hi_u32 s4, s12, s4
	s_mul_hi_u32 s25, s12, s11
	s_add_u32 s4, s4, s36
	s_addc_u32 s12, 0, s25
	s_add_u32 s4, s4, s24
	s_mul_hi_u32 s5, s10, s11
	s_addc_u32 s4, s12, s13
	s_addc_u32 s5, s5, 0
	s_mul_i32 s11, s10, s11
	s_add_u32 s4, s4, s11
	s_addc_u32 s5, 0, s5
	v_add_co_u32_e32 v4, vcc, s4, v4
	s_cmp_lg_u64 vcc, 0
	s_addc_u32 s4, s10, s5
	v_readlane_b32 s24, v43, 53
	v_readfirstlane_b32 s11, v4
	s_mul_i32 s10, s24, s4
	s_mul_hi_u32 s12, s24, s11
	s_mul_hi_u32 s5, s24, s4
	s_add_u32 s10, s12, s10
	s_addc_u32 s5, 0, s5
	s_mul_hi_u32 s13, s75, s11
	s_mul_i32 s11, s75, s11
	s_add_u32 s10, s10, s11
	s_mul_hi_u32 s12, s75, s4
	s_addc_u32 s5, s5, s13
	s_addc_u32 s10, s12, 0
	s_mul_i32 s4, s75, s4
	s_add_u32 s4, s5, s4
	s_addc_u32 s5, 0, s10
	s_mul_hi_u32 s10, s33, s4
	s_mul_i32 s4, s33, s4
	s_mul_i32 s5, s33, s5
	v_mov_b32_e32 v4, s4
	s_add_i32 s10, s10, s5
	v_sub_co_u32_e32 v4, vcc, s24, v4
	s_cmp_lg_u64 vcc, 0
	s_subb_u32 s4, s75, s10
	v_subrev_co_u32_e32 v5, vcc, s33, v4
	s_cmp_lg_u64 vcc, 0
	s_subb_u32 s5, s4, 0
	v_subrev_co_u32_e32 v6, vcc, s33, v5
	s_cmp_lg_u64 vcc, 0
	s_subb_u32 s10, s5, 0
	v_cmp_le_u32_e32 vcc, s33, v5
	s_cmp_eq_u32 s5, 0
	v_cndmask_b32_e64 v7, 0, -1, vcc
	s_cselect_b64 vcc, -1, 0
	v_cndmask_b32_e32 v7, -1, v7, vcc
	v_mov_b32_e32 v8, s5
	v_mov_b32_e32 v9, s10
	v_cmp_ne_u32_e32 vcc, 0, v7
	v_cndmask_b32_e32 v7, v8, v9, vcc
	v_cndmask_b32_e32 v6, v5, v6, vcc
	v_cmp_le_u32_e32 vcc, s33, v4
	s_cmp_eq_u32 s4, 0
	v_cndmask_b32_e64 v5, 0, -1, vcc
	s_cselect_b64 vcc, -1, 0
	v_cndmask_b32_e32 v5, -1, v5, vcc
	v_mov_b32_e32 v8, s4
	v_cmp_ne_u32_e32 vcc, 0, v5
	v_cndmask_b32_e32 v5, v8, v7, vcc
	v_cndmask_b32_e32 v4, v4, v6, vcc
	s_cbranch_execnz .LBB138_355
.LBB138_354:                            ;   in Loop: Header=BB138_18 Depth=1
	v_cvt_f32_u32_e32 v4, s33
	s_sub_i32 s4, 0, s33
	v_rcp_iflag_f32_e32 v4, v4
	v_mul_f32_e32 v4, 0x4f7ffffe, v4
	v_cvt_u32_f32_e32 v4, v4
	v_mul_lo_u32 v5, s4, v4
	v_mul_hi_u32 v5, v4, v5
	v_add_u32_e32 v4, v4, v5
	v_readlane_b32 s4, v43, 53
	v_mul_hi_u32 v4, s4, v4
	v_mul_lo_u32 v4, v4, s33
	v_sub_u32_e32 v4, s4, v4
	v_subrev_u32_e32 v5, s33, v4
	v_cmp_le_u32_e32 vcc, s33, v4
	v_cndmask_b32_e32 v4, v4, v5, vcc
	v_subrev_u32_e32 v5, s33, v4
	v_cmp_le_u32_e32 vcc, s33, v4
	v_cndmask_b32_e32 v14, v4, v5, vcc
	v_pk_mov_b32 v[4:5], v[14:15], v[14:15] op_sel:[0,1]
.LBB138_355:                            ;   in Loop: Header=BB138_18 Depth=1
	v_readlane_b32 s4, v43, 53
	v_mov_b32_e32 v6, s75
	v_sub_co_u32_e32 v4, vcc, s4, v4
	v_subb_co_u32_e32 v5, vcc, v6, v5, vcc
	v_cmp_gt_u64_e32 vcc, v[4:5], v[0:1]
	s_mov_b64 s[10:11], 0
                                        ; implicit-def: $vgpr33
	s_and_saveexec_b64 s[4:5], vcc
	s_cbranch_execz .LBB138_364
; %bb.356:                              ;   in Loop: Header=BB138_18 Depth=1
	v_pk_mov_b32 v[6:7], v[0:1], v[0:1] op_sel:[0,1]
                                        ; implicit-def: $sgpr12_sgpr13
	s_branch .LBB138_358
.LBB138_357:                            ;   in Loop: Header=BB138_358 Depth=2
	s_or_b64 exec, exec, s[24:25]
	s_waitcnt lgkmcnt(0)
	s_barrier
	s_waitcnt vmcnt(0)
	ds_read_u16 v8, v15 offset:3072
	v_mov_b32_e32 v9, s92
	v_add_co_u32_e32 v6, vcc, s33, v6
	v_addc_co_u32_e32 v7, vcc, v7, v9, vcc
	s_waitcnt lgkmcnt(0)
	v_cmp_ne_u16_sdwa s[24:25], v8, v15 src0_sel:BYTE_0 src1_sel:DWORD
	v_cmp_ge_u64_e32 vcc, v[6:7], v[4:5]
	s_or_b64 s[36:37], vcc, s[24:25]
	s_and_b64 s[36:37], exec, s[36:37]
	s_or_b64 s[10:11], s[36:37], s[10:11]
	s_andn2_b64 s[12:13], s[12:13], exec
	s_and_b64 s[24:25], s[24:25], exec
	s_or_b64 s[12:13], s[12:13], s[24:25]
	s_barrier
	s_andn2_b64 exec, exec, s[10:11]
	s_cbranch_execz .LBB138_363
.LBB138_358:                            ;   Parent Loop BB138_18 Depth=1
                                        ; =>  This Inner Loop Header: Depth=2
	v_cmp_gt_u64_e32 vcc, s[60:61], v[6:7]
	v_mov_b32_e32 v8, 0
	s_and_saveexec_b64 s[24:25], vcc
	s_cbranch_execz .LBB138_360
; %bb.359:                              ;   in Loop: Header=BB138_358 Depth=2
	v_pk_mov_b32 v[8:9], s[56:57], s[56:57] op_sel:[0,1]
	v_mad_u64_u32 v[8:9], s[36:37], v6, s58, v[8:9]
	v_mul_lo_u32 v14, v6, s59
	v_mul_lo_u32 v20, v7, s58
	v_add3_u32 v9, v20, v9, v14
	global_load_ubyte v8, v[8:9], off
.LBB138_360:                            ;   in Loop: Header=BB138_358 Depth=2
	s_or_b64 exec, exec, s[24:25]
	s_and_saveexec_b64 s[24:25], vcc
	s_cbranch_execz .LBB138_357
; %bb.361:                              ;   in Loop: Header=BB138_358 Depth=2
	s_waitcnt vmcnt(0)
	v_add_u32_sdwa v9, sext(v8), s93 dst_sel:DWORD dst_unused:UNUSED_PAD src0_sel:BYTE_0 src1_sel:DWORD
	v_and_b32_e32 v9, v9, v31
	v_cmp_eq_u32_e32 vcc, v9, v32
	s_and_b64 exec, exec, vcc
	s_cbranch_execz .LBB138_357
; %bb.362:                              ;   in Loop: Header=BB138_358 Depth=2
	v_lshlrev_b16_e32 v8, 8, v8
	v_or_b32_e32 v8, 1, v8
	ds_write_b16 v15, v8 offset:3072
	s_branch .LBB138_357
.LBB138_363:                            ;   in Loop: Header=BB138_18 Depth=1
	s_or_b64 exec, exec, s[10:11]
	v_lshrrev_b16_e32 v33, 8, v8
	s_and_b64 s[10:11], s[12:13], exec
.LBB138_364:                            ;   in Loop: Header=BB138_18 Depth=1
	s_or_b64 exec, exec, s[4:5]
	s_mov_b64 s[36:37], 0
	s_mov_b64 s[24:25], -1
	s_mov_b64 s[40:41], 0
.LBB138_365:                            ;   in Loop: Header=BB138_18 Depth=1
	s_orn2_b64 s[4:5], s[10:11], exec
.LBB138_366:                            ;   in Loop: Header=BB138_18 Depth=1
	s_or_b64 exec, exec, s[42:43]
	s_mov_b64 s[12:13], 0
                                        ; implicit-def: $vgpr6
	s_and_saveexec_b64 s[42:43], s[4:5]
	s_cbranch_execz .LBB138_479
; %bb.367:                              ;   in Loop: Header=BB138_18 Depth=1
	v_mov_b32_e32 v4, 1
	s_xor_b64 s[8:9], s[8:9], -1
	s_mov_b64 s[44:45], 0
	v_mov_b32_e32 v5, 0
	v_mov_b32_e32 v6, 1
	s_and_saveexec_b64 s[4:5], s[8:9]
	s_cbranch_execz .LBB138_377
; %bb.368:                              ;   in Loop: Header=BB138_18 Depth=1
	v_cmp_ge_u64_e32 vcc, s[22:23], v[2:3]
                                        ; implicit-def: $sgpr12
                                        ; implicit-def: $sgpr8_sgpr9
	s_and_saveexec_b64 s[10:11], vcc
	s_xor_b64 s[10:11], exec, s[10:11]
	s_cbranch_execz .LBB138_374
; %bb.369:                              ;   in Loop: Header=BB138_18 Depth=1
	ds_read_b64 v[4:5], v15 offset:5120
	s_waitcnt lgkmcnt(0)
	v_cmp_ne_u64_e32 vcc, 0, v[4:5]
	s_cbranch_vccnz .LBB138_373
; %bb.370:                              ;   in Loop: Header=BB138_18 Depth=1
	s_mov_b64 s[8:9], exec
	v_readlane_b32 s12, v43, 32
	v_readlane_b32 s13, v43, 33
	s_and_b64 s[12:13], s[8:9], s[12:13]
	s_mov_b64 exec, s[12:13]
	s_cbranch_execz .LBB138_372
; %bb.371:                              ;   in Loop: Header=BB138_18 Depth=1
	v_pk_mov_b32 v[4:5], s[22:23], s[22:23] op_sel:[0,1]
	ds_write_b64 v15, v[4:5] offset:5128
.LBB138_372:                            ;   in Loop: Header=BB138_18 Depth=1
	s_or_b64 exec, exec, s[8:9]
	s_waitcnt lgkmcnt(0)
	s_barrier
.LBB138_373:                            ;   in Loop: Header=BB138_18 Depth=1
	v_and_b32_e32 v4, s46, v32
	v_lshl_or_b32 v32, 2, s47, v4
	v_or_b32_e32 v31, s94, v31
	s_mov_b64 s[8:9], 0
	s_mov_b32 s12, 5
.LBB138_374:                            ;   in Loop: Header=BB138_18 Depth=1
	s_or_saveexec_b64 s[10:11], s[10:11]
	v_mov_b32_e32 v6, s12
	s_xor_b64 exec, exec, s[10:11]
; %bb.375:                              ;   in Loop: Header=BB138_18 Depth=1
	v_mov_b32_e32 v4, s23
	v_subrev_co_u32_e32 v2, vcc, s22, v2
	v_subb_co_u32_e32 v3, vcc, v3, v4, vcc
	v_mov_b32_e32 v6, 0
	s_or_b64 s[8:9], s[8:9], exec
; %bb.376:                              ;   in Loop: Header=BB138_18 Depth=1
	s_or_b64 exec, exec, s[10:11]
	s_and_b64 s[44:45], s[8:9], exec
	v_pk_mov_b32 v[4:5], v[2:3], v[2:3] op_sel:[0,1]
.LBB138_377:                            ;   in Loop: Header=BB138_18 Depth=1
	s_or_b64 exec, exec, s[4:5]
	s_mov_b64 s[4:5], -1
                                        ; implicit-def: $sgpr8_sgpr9
                                        ; implicit-def: $sgpr10_sgpr11
                                        ; implicit-def: $sgpr12_sgpr13
	s_and_saveexec_b64 s[22:23], s[44:45]
	s_cbranch_execz .LBB138_478
; %bb.378:                              ;   in Loop: Header=BB138_18 Depth=1
	s_cmp_eq_u64 s[18:19], 1
	s_cselect_b64 s[4:5], -1, 0
	v_cmp_eq_u64_e32 vcc, 1, v[4:5]
	s_and_b64 s[50:51], s[4:5], vcc
	s_mov_b64 s[10:11], -1
                                        ; implicit-def: $sgpr8_sgpr9
                                        ; implicit-def: $sgpr44_sgpr45
                                        ; implicit-def: $sgpr80_sgpr81
	s_and_saveexec_b64 s[48:49], s[50:51]
	s_cbranch_execz .LBB138_412
; %bb.379:                              ;   in Loop: Header=BB138_18 Depth=1
	ds_read_b64 v[2:3], v15 offset:5120
	s_waitcnt lgkmcnt(0)
	s_barrier
	v_readfirstlane_b32 s4, v2
	v_readfirstlane_b32 s5, v3
	s_mov_b64 s[8:9], exec
	v_readlane_b32 s10, v43, 48
	v_readlane_b32 s11, v43, 49
	s_and_b64 s[10:11], s[8:9], s[10:11]
	s_mov_b64 exec, s[10:11]
	s_cbranch_execz .LBB138_381
; %bb.380:                              ;   in Loop: Header=BB138_18 Depth=1
	ds_write_b8 v0, v15 offset:3072
.LBB138_381:                            ;   in Loop: Header=BB138_18 Depth=1
	s_or_b64 exec, exec, s[8:9]
	v_and_b32_e32 v2, s46, v32
	v_lshl_or_b32 v32, 1, s47, v2
	v_or_b32_e32 v31, s94, v31
	s_cmp_eq_u64 s[4:5], 0
	s_waitcnt lgkmcnt(0)
	s_barrier
	s_cbranch_scc1 .LBB138_395
; %bb.382:                              ;   in Loop: Header=BB138_18 Depth=1
	v_readlane_b32 s8, v43, 52
	s_add_u32 s12, s8, s4
	v_readlane_b32 s8, v43, 54
	s_addc_u32 s9, s8, s5
	s_mov_b32 s8, s95
	s_cmp_lg_u64 s[8:9], 0
	s_cbranch_scc0 .LBB138_430
; %bb.383:                              ;   in Loop: Header=BB138_18 Depth=1
	v_cvt_f32_u32_e32 v2, s33
	s_sub_u32 s8, 0, s33
	s_subb_u32 s10, 0, 0
	v_mac_f32_e32 v2, 0, v30
	v_rcp_f32_e32 v2, v2
	v_mul_f32_e32 v2, 0x5f7ffffc, v2
	v_mul_f32_e32 v3, 0x2f800000, v2
	v_trunc_f32_e32 v3, v3
	v_mac_f32_e32 v2, 0xcf800000, v3
	v_cvt_u32_f32_e32 v3, v3
	v_cvt_u32_f32_e32 v2, v2
	v_readfirstlane_b32 s11, v3
	v_readfirstlane_b32 s13, v2
	s_mul_i32 s44, s8, s11
	s_mul_hi_u32 s52, s8, s13
	s_mul_i32 s45, s10, s13
	s_add_i32 s44, s52, s44
	s_mul_i32 s53, s8, s13
	s_add_i32 s44, s44, s45
	s_mul_hi_u32 s52, s13, s53
	s_mul_hi_u32 s45, s13, s44
	s_mul_i32 s13, s13, s44
	s_add_u32 s13, s52, s13
	s_addc_u32 s45, 0, s45
	s_mul_hi_u32 s54, s11, s53
	s_mul_i32 s53, s11, s53
	s_add_u32 s13, s13, s53
	s_mul_hi_u32 s52, s11, s44
	s_addc_u32 s13, s45, s54
	s_addc_u32 s45, s52, 0
	s_mul_i32 s44, s11, s44
	s_add_u32 s13, s13, s44
	s_addc_u32 s44, 0, s45
	v_add_co_u32_e32 v2, vcc, s13, v2
	s_cmp_lg_u64 vcc, 0
	s_addc_u32 s11, s11, s44
	v_readfirstlane_b32 s44, v2
	s_mul_i32 s13, s8, s11
	s_mul_hi_u32 s45, s8, s44
	s_add_i32 s13, s45, s13
	s_mul_i32 s10, s10, s44
	s_add_i32 s13, s13, s10
	s_mul_i32 s8, s8, s44
	s_mul_hi_u32 s45, s11, s8
	s_mul_i32 s52, s11, s8
	s_mul_i32 s54, s44, s13
	s_mul_hi_u32 s8, s44, s8
	s_mul_hi_u32 s53, s44, s13
	s_add_u32 s8, s8, s54
	s_addc_u32 s44, 0, s53
	s_add_u32 s8, s8, s52
	s_mul_hi_u32 s10, s11, s13
	s_addc_u32 s8, s44, s45
	s_addc_u32 s10, s10, 0
	s_mul_i32 s13, s11, s13
	s_add_u32 s8, s8, s13
	s_addc_u32 s10, 0, s10
	v_add_co_u32_e32 v2, vcc, s8, v2
	s_cmp_lg_u64 vcc, 0
	s_addc_u32 s8, s11, s10
	v_readfirstlane_b32 s13, v2
	s_mul_i32 s11, s12, s8
	s_mul_hi_u32 s44, s12, s13
	s_mul_hi_u32 s10, s12, s8
	s_add_u32 s11, s44, s11
	s_addc_u32 s10, 0, s10
	s_mul_hi_u32 s45, s9, s13
	s_mul_i32 s13, s9, s13
	s_add_u32 s11, s11, s13
	s_mul_hi_u32 s44, s9, s8
	s_addc_u32 s10, s10, s45
	s_addc_u32 s11, s44, 0
	s_mul_i32 s8, s9, s8
	s_add_u32 s8, s10, s8
	s_addc_u32 s10, 0, s11
	s_mul_hi_u32 s11, s33, s8
	s_mul_i32 s8, s33, s8
	s_mul_i32 s10, s33, s10
	v_mov_b32_e32 v2, s8
	s_add_i32 s11, s11, s10
	v_sub_co_u32_e32 v2, vcc, s12, v2
	s_cmp_lg_u64 vcc, 0
	s_subb_u32 s8, s9, s11
	v_subrev_co_u32_e32 v3, vcc, s33, v2
	s_cmp_lg_u64 vcc, 0
	s_subb_u32 s10, s8, 0
	v_subrev_co_u32_e32 v6, vcc, s33, v3
	s_cmp_lg_u64 vcc, 0
	s_subb_u32 s11, s10, 0
	v_cmp_le_u32_e32 vcc, s33, v3
	s_cmp_eq_u32 s10, 0
	v_cndmask_b32_e64 v7, 0, -1, vcc
	s_cselect_b64 vcc, -1, 0
	v_cndmask_b32_e32 v7, -1, v7, vcc
	v_mov_b32_e32 v8, s10
	v_mov_b32_e32 v9, s11
	v_cmp_ne_u32_e32 vcc, 0, v7
	v_cndmask_b32_e32 v7, v8, v9, vcc
	v_cndmask_b32_e32 v6, v3, v6, vcc
	v_cmp_le_u32_e32 vcc, s33, v2
	s_cmp_eq_u32 s8, 0
	v_cndmask_b32_e64 v3, 0, -1, vcc
	s_cselect_b64 vcc, -1, 0
	v_cndmask_b32_e32 v3, -1, v3, vcc
	v_mov_b32_e32 v8, s8
	v_cmp_ne_u32_e32 vcc, 0, v3
	v_cndmask_b32_e32 v3, v8, v7, vcc
	v_cndmask_b32_e32 v2, v2, v6, vcc
	s_cbranch_execnz .LBB138_385
.LBB138_384:                            ;   in Loop: Header=BB138_18 Depth=1
	v_cvt_f32_u32_e32 v2, s33
	s_sub_i32 s8, 0, s33
	v_rcp_iflag_f32_e32 v2, v2
	v_mul_f32_e32 v2, 0x4f7ffffe, v2
	v_cvt_u32_f32_e32 v2, v2
	v_mul_lo_u32 v3, s8, v2
	v_mul_hi_u32 v3, v2, v3
	v_add_u32_e32 v2, v2, v3
	v_mul_hi_u32 v2, s12, v2
	v_mul_lo_u32 v2, v2, s33
	v_sub_u32_e32 v2, s12, v2
	v_subrev_u32_e32 v3, s33, v2
	v_cmp_le_u32_e32 vcc, s33, v2
	v_cndmask_b32_e32 v2, v2, v3, vcc
	v_subrev_u32_e32 v3, s33, v2
	v_cmp_le_u32_e32 vcc, s33, v2
	v_cndmask_b32_e32 v14, v2, v3, vcc
	v_pk_mov_b32 v[2:3], v[14:15], v[14:15] op_sel:[0,1]
.LBB138_385:                            ;   in Loop: Header=BB138_18 Depth=1
	v_mov_b32_e32 v6, s9
	v_sub_co_u32_e32 v2, vcc, s12, v2
	v_subb_co_u32_e32 v3, vcc, v6, v3, vcc
	v_cmp_gt_u64_e32 vcc, v[2:3], v[0:1]
	s_mov_b64 s[10:11], 0
                                        ; implicit-def: $vgpr33
	s_and_saveexec_b64 s[8:9], vcc
	s_cbranch_execz .LBB138_397
; %bb.386:                              ;   in Loop: Header=BB138_18 Depth=1
	v_mov_b32_e32 v8, v0
	v_pk_mov_b32 v[6:7], v[0:1], v[0:1] op_sel:[0,1]
                                        ; implicit-def: $sgpr12_sgpr13
	s_branch .LBB138_388
.LBB138_387:                            ;   in Loop: Header=BB138_388 Depth=2
	s_or_b64 exec, exec, s[44:45]
	s_waitcnt lgkmcnt(0)
	s_barrier
	ds_read_u16 v9, v15 offset:3072
	v_mov_b32_e32 v14, s92
	v_add_co_u32_e32 v6, vcc, s33, v6
	v_addc_co_u32_e32 v7, vcc, v7, v14, vcc
	s_waitcnt lgkmcnt(0)
	v_cmp_ne_u16_sdwa s[44:45], v9, v15 src0_sel:BYTE_0 src1_sel:DWORD
	v_cmp_ge_u64_e32 vcc, v[6:7], v[2:3]
	s_or_b64 s[52:53], vcc, s[44:45]
	s_and_b64 s[52:53], exec, s[52:53]
	s_or_b64 s[10:11], s[52:53], s[10:11]
	s_andn2_b64 s[12:13], s[12:13], exec
	s_and_b64 s[44:45], s[44:45], exec
	v_add_u32_e32 v8, s33, v8
	s_or_b64 s[12:13], s[12:13], s[44:45]
	s_barrier
	s_andn2_b64 exec, exec, s[10:11]
	s_cbranch_execz .LBB138_396
.LBB138_388:                            ;   Parent Loop BB138_18 Depth=1
                                        ; =>  This Inner Loop Header: Depth=2
	v_cmp_gt_u64_e32 vcc, s[4:5], v[6:7]
	v_mov_b32_e32 v9, 0
	s_and_saveexec_b64 s[44:45], vcc
	s_cbranch_execz .LBB138_390
; %bb.389:                              ;   in Loop: Header=BB138_388 Depth=2
	ds_read_u8 v9, v8
.LBB138_390:                            ;   in Loop: Header=BB138_388 Depth=2
	s_or_b64 exec, exec, s[44:45]
	s_and_saveexec_b64 s[44:45], vcc
	s_cbranch_execz .LBB138_387
; %bb.391:                              ;   in Loop: Header=BB138_388 Depth=2
	s_waitcnt lgkmcnt(0)
	v_add_u32_sdwa v14, sext(v9), s93 dst_sel:DWORD dst_unused:UNUSED_PAD src0_sel:BYTE_0 src1_sel:DWORD
	v_and_b32_e32 v14, v14, v31
	v_cmp_eq_u32_e32 vcc, v14, v32
	s_and_b64 exec, exec, vcc
	s_cbranch_execz .LBB138_387
; %bb.392:                              ;   in Loop: Header=BB138_388 Depth=2
	v_lshlrev_b16_e32 v9, 8, v9
	v_or_b32_e32 v9, 1, v9
	ds_write_b16 v15, v9 offset:3072
	s_branch .LBB138_387
.LBB138_393:                            ;   in Loop: Header=BB138_18 Depth=1
                                        ; implicit-def: $vgpr4_vgpr5
	s_branch .LBB138_338
.LBB138_394:                            ;   in Loop: Header=BB138_18 Depth=1
                                        ; implicit-def: $vgpr4_vgpr5
	s_branch .LBB138_354
.LBB138_395:                            ;   in Loop: Header=BB138_18 Depth=1
	s_mov_b64 s[8:9], -1
	s_mov_b64 s[10:11], 0
                                        ; implicit-def: $sgpr44_sgpr45
                                        ; implicit-def: $vgpr33
	s_mov_b64 s[80:81], s[8:9]
	s_cbranch_execnz .LBB138_398
	s_branch .LBB138_411
.LBB138_396:                            ;   in Loop: Header=BB138_18 Depth=1
	s_or_b64 exec, exec, s[10:11]
	v_lshrrev_b16_e32 v33, 8, v9
	s_and_b64 s[10:11], s[12:13], exec
.LBB138_397:                            ;   in Loop: Header=BB138_18 Depth=1
	s_or_b64 exec, exec, s[8:9]
	s_mov_b64 s[8:9], 0
	s_mov_b64 s[44:45], -1
	s_mov_b64 s[80:81], s[8:9]
	s_branch .LBB138_411
.LBB138_398:                            ;   in Loop: Header=BB138_18 Depth=1
	s_mov_b32 s74, s95
	s_cmp_lg_u64 s[74:75], 0
	s_cbranch_scc0 .LBB138_431
; %bb.399:                              ;   in Loop: Header=BB138_18 Depth=1
	v_cvt_f32_u32_e32 v2, s33
	s_sub_u32 s4, 0, s33
	s_subb_u32 s5, 0, 0
	v_mac_f32_e32 v2, 0, v30
	v_rcp_f32_e32 v2, v2
	v_mul_f32_e32 v2, 0x5f7ffffc, v2
	v_mul_f32_e32 v3, 0x2f800000, v2
	v_trunc_f32_e32 v3, v3
	v_mac_f32_e32 v2, 0xcf800000, v3
	v_cvt_u32_f32_e32 v3, v3
	v_cvt_u32_f32_e32 v2, v2
	v_readfirstlane_b32 s8, v3
	v_readfirstlane_b32 s9, v2
	s_mul_i32 s10, s4, s8
	s_mul_hi_u32 s12, s4, s9
	s_mul_i32 s11, s5, s9
	s_add_i32 s10, s12, s10
	s_mul_i32 s13, s4, s9
	s_add_i32 s10, s10, s11
	s_mul_hi_u32 s12, s9, s13
	s_mul_hi_u32 s11, s9, s10
	s_mul_i32 s9, s9, s10
	s_add_u32 s9, s12, s9
	s_addc_u32 s11, 0, s11
	s_mul_hi_u32 s44, s8, s13
	s_mul_i32 s13, s8, s13
	s_add_u32 s9, s9, s13
	s_mul_hi_u32 s12, s8, s10
	s_addc_u32 s9, s11, s44
	s_addc_u32 s11, s12, 0
	s_mul_i32 s10, s8, s10
	s_add_u32 s9, s9, s10
	s_addc_u32 s10, 0, s11
	v_add_co_u32_e32 v2, vcc, s9, v2
	s_cmp_lg_u64 vcc, 0
	s_addc_u32 s8, s8, s10
	v_readfirstlane_b32 s10, v2
	s_mul_i32 s9, s4, s8
	s_mul_hi_u32 s11, s4, s10
	s_add_i32 s9, s11, s9
	s_mul_i32 s5, s5, s10
	s_add_i32 s9, s9, s5
	s_mul_i32 s4, s4, s10
	s_mul_hi_u32 s11, s8, s4
	s_mul_i32 s12, s8, s4
	s_mul_i32 s44, s10, s9
	s_mul_hi_u32 s4, s10, s4
	s_mul_hi_u32 s13, s10, s9
	s_add_u32 s4, s4, s44
	s_addc_u32 s10, 0, s13
	s_add_u32 s4, s4, s12
	s_mul_hi_u32 s5, s8, s9
	s_addc_u32 s4, s10, s11
	s_addc_u32 s5, s5, 0
	s_mul_i32 s9, s8, s9
	s_add_u32 s4, s4, s9
	s_addc_u32 s5, 0, s5
	v_add_co_u32_e32 v2, vcc, s4, v2
	s_cmp_lg_u64 vcc, 0
	s_addc_u32 s4, s8, s5
	v_readlane_b32 s12, v43, 53
	v_readfirstlane_b32 s9, v2
	s_mul_i32 s8, s12, s4
	s_mul_hi_u32 s10, s12, s9
	s_mul_hi_u32 s5, s12, s4
	s_add_u32 s8, s10, s8
	s_addc_u32 s5, 0, s5
	s_mul_hi_u32 s11, s75, s9
	s_mul_i32 s9, s75, s9
	s_add_u32 s8, s8, s9
	s_mul_hi_u32 s10, s75, s4
	s_addc_u32 s5, s5, s11
	s_addc_u32 s8, s10, 0
	s_mul_i32 s4, s75, s4
	s_add_u32 s4, s5, s4
	s_addc_u32 s5, 0, s8
	s_mul_hi_u32 s8, s33, s4
	s_mul_i32 s4, s33, s4
	s_mul_i32 s5, s33, s5
	v_mov_b32_e32 v2, s4
	s_add_i32 s8, s8, s5
	v_sub_co_u32_e32 v2, vcc, s12, v2
	s_cmp_lg_u64 vcc, 0
	s_subb_u32 s4, s75, s8
	v_subrev_co_u32_e32 v3, vcc, s33, v2
	s_cmp_lg_u64 vcc, 0
	s_subb_u32 s5, s4, 0
	v_subrev_co_u32_e32 v6, vcc, s33, v3
	s_cmp_lg_u64 vcc, 0
	s_subb_u32 s8, s5, 0
	v_cmp_le_u32_e32 vcc, s33, v3
	s_cmp_eq_u32 s5, 0
	v_cndmask_b32_e64 v7, 0, -1, vcc
	s_cselect_b64 vcc, -1, 0
	v_cndmask_b32_e32 v7, -1, v7, vcc
	v_mov_b32_e32 v8, s5
	v_mov_b32_e32 v9, s8
	v_cmp_ne_u32_e32 vcc, 0, v7
	v_cndmask_b32_e32 v7, v8, v9, vcc
	v_cndmask_b32_e32 v6, v3, v6, vcc
	v_cmp_le_u32_e32 vcc, s33, v2
	s_cmp_eq_u32 s4, 0
	v_cndmask_b32_e64 v3, 0, -1, vcc
	s_cselect_b64 vcc, -1, 0
	v_cndmask_b32_e32 v3, -1, v3, vcc
	v_mov_b32_e32 v8, s4
	v_cmp_ne_u32_e32 vcc, 0, v3
	v_cndmask_b32_e32 v3, v8, v7, vcc
	v_cndmask_b32_e32 v2, v2, v6, vcc
	s_cbranch_execnz .LBB138_401
.LBB138_400:                            ;   in Loop: Header=BB138_18 Depth=1
	v_cvt_f32_u32_e32 v2, s33
	s_sub_i32 s4, 0, s33
	v_rcp_iflag_f32_e32 v2, v2
	v_mul_f32_e32 v2, 0x4f7ffffe, v2
	v_cvt_u32_f32_e32 v2, v2
	v_mul_lo_u32 v3, s4, v2
	v_mul_hi_u32 v3, v2, v3
	v_add_u32_e32 v2, v2, v3
	v_readlane_b32 s4, v43, 53
	v_mul_hi_u32 v2, s4, v2
	v_mul_lo_u32 v2, v2, s33
	v_sub_u32_e32 v2, s4, v2
	v_subrev_u32_e32 v3, s33, v2
	v_cmp_le_u32_e32 vcc, s33, v2
	v_cndmask_b32_e32 v2, v2, v3, vcc
	v_subrev_u32_e32 v3, s33, v2
	v_cmp_le_u32_e32 vcc, s33, v2
	v_cndmask_b32_e32 v14, v2, v3, vcc
	v_pk_mov_b32 v[2:3], v[14:15], v[14:15] op_sel:[0,1]
.LBB138_401:                            ;   in Loop: Header=BB138_18 Depth=1
	v_readlane_b32 s4, v43, 53
	v_mov_b32_e32 v6, s75
	v_sub_co_u32_e32 v2, vcc, s4, v2
	v_subb_co_u32_e32 v3, vcc, v6, v3, vcc
	v_cmp_gt_u64_e32 vcc, v[2:3], v[0:1]
	s_mov_b64 s[10:11], 0
                                        ; implicit-def: $vgpr33
	s_and_saveexec_b64 s[4:5], vcc
	s_cbranch_execz .LBB138_410
; %bb.402:                              ;   in Loop: Header=BB138_18 Depth=1
	s_mov_b64 s[8:9], 0
	v_pk_mov_b32 v[6:7], v[0:1], v[0:1] op_sel:[0,1]
                                        ; implicit-def: $sgpr10_sgpr11
	s_branch .LBB138_404
.LBB138_403:                            ;   in Loop: Header=BB138_404 Depth=2
	s_or_b64 exec, exec, s[12:13]
	s_waitcnt lgkmcnt(0)
	s_barrier
	s_waitcnt vmcnt(0)
	ds_read_u16 v8, v15 offset:3072
	v_mov_b32_e32 v9, s92
	v_add_co_u32_e32 v6, vcc, s33, v6
	v_addc_co_u32_e32 v7, vcc, v7, v9, vcc
	s_waitcnt lgkmcnt(0)
	v_cmp_ne_u16_sdwa s[12:13], v8, v15 src0_sel:BYTE_0 src1_sel:DWORD
	v_cmp_ge_u64_e32 vcc, v[6:7], v[2:3]
	s_or_b64 s[44:45], vcc, s[12:13]
	s_and_b64 s[44:45], exec, s[44:45]
	s_or_b64 s[8:9], s[44:45], s[8:9]
	s_andn2_b64 s[10:11], s[10:11], exec
	s_and_b64 s[12:13], s[12:13], exec
	s_or_b64 s[10:11], s[10:11], s[12:13]
	s_barrier
	s_andn2_b64 exec, exec, s[8:9]
	s_cbranch_execz .LBB138_409
.LBB138_404:                            ;   Parent Loop BB138_18 Depth=1
                                        ; =>  This Inner Loop Header: Depth=2
	v_cmp_gt_u64_e32 vcc, s[60:61], v[6:7]
	v_mov_b32_e32 v8, 0
	s_and_saveexec_b64 s[12:13], vcc
	s_cbranch_execz .LBB138_406
; %bb.405:                              ;   in Loop: Header=BB138_404 Depth=2
	v_pk_mov_b32 v[8:9], s[56:57], s[56:57] op_sel:[0,1]
	v_mad_u64_u32 v[8:9], s[44:45], v6, s58, v[8:9]
	v_mul_lo_u32 v14, v6, s59
	v_mul_lo_u32 v20, v7, s58
	v_add3_u32 v9, v20, v9, v14
	global_load_ubyte v8, v[8:9], off
.LBB138_406:                            ;   in Loop: Header=BB138_404 Depth=2
	s_or_b64 exec, exec, s[12:13]
	s_and_saveexec_b64 s[12:13], vcc
	s_cbranch_execz .LBB138_403
; %bb.407:                              ;   in Loop: Header=BB138_404 Depth=2
	s_waitcnt vmcnt(0)
	v_add_u32_sdwa v9, sext(v8), s93 dst_sel:DWORD dst_unused:UNUSED_PAD src0_sel:BYTE_0 src1_sel:DWORD
	v_and_b32_e32 v9, v9, v31
	v_cmp_eq_u32_e32 vcc, v9, v32
	s_and_b64 exec, exec, vcc
	s_cbranch_execz .LBB138_403
; %bb.408:                              ;   in Loop: Header=BB138_404 Depth=2
	v_lshlrev_b16_e32 v8, 8, v8
	v_or_b32_e32 v8, 1, v8
	ds_write_b16 v15, v8 offset:3072
	s_branch .LBB138_403
.LBB138_409:                            ;   in Loop: Header=BB138_18 Depth=1
	s_or_b64 exec, exec, s[8:9]
	v_lshrrev_b16_e32 v33, 8, v8
	s_and_b64 s[10:11], s[10:11], exec
.LBB138_410:                            ;   in Loop: Header=BB138_18 Depth=1
	s_or_b64 exec, exec, s[4:5]
	s_mov_b64 s[44:45], 0
	s_mov_b64 s[8:9], -1
	s_mov_b64 s[80:81], 0
.LBB138_411:                            ;   in Loop: Header=BB138_18 Depth=1
	s_orn2_b64 s[10:11], s[10:11], exec
.LBB138_412:                            ;   in Loop: Header=BB138_18 Depth=1
	s_or_b64 exec, exec, s[48:49]
	s_mov_b64 s[4:5], 0
                                        ; implicit-def: $vgpr6
	s_and_saveexec_b64 s[48:49], s[10:11]
	s_cbranch_execz .LBB138_477
; %bb.413:                              ;   in Loop: Header=BB138_18 Depth=1
	v_mov_b32_e32 v2, 1
	s_xor_b64 s[10:11], s[50:51], -1
	s_mov_b64 s[52:53], 0
	v_mov_b32_e32 v3, 0
	v_mov_b32_e32 v6, 1
	s_and_saveexec_b64 s[4:5], s[10:11]
	s_cbranch_execz .LBB138_423
; %bb.414:                              ;   in Loop: Header=BB138_18 Depth=1
	v_cmp_ge_u64_e32 vcc, s[18:19], v[4:5]
                                        ; implicit-def: $sgpr50
                                        ; implicit-def: $sgpr10_sgpr11
	s_and_saveexec_b64 s[12:13], vcc
	s_xor_b64 s[12:13], exec, s[12:13]
	s_cbranch_execz .LBB138_420
; %bb.415:                              ;   in Loop: Header=BB138_18 Depth=1
	ds_read_b64 v[2:3], v15 offset:5120
	s_waitcnt lgkmcnt(0)
	v_cmp_ne_u64_e32 vcc, 0, v[2:3]
	s_cbranch_vccnz .LBB138_419
; %bb.416:                              ;   in Loop: Header=BB138_18 Depth=1
	s_mov_b64 s[10:11], exec
	v_readlane_b32 s50, v43, 32
	v_readlane_b32 s51, v43, 33
	s_and_b64 s[50:51], s[10:11], s[50:51]
	s_mov_b64 exec, s[50:51]
	s_cbranch_execz .LBB138_418
; %bb.417:                              ;   in Loop: Header=BB138_18 Depth=1
	v_pk_mov_b32 v[2:3], s[18:19], s[18:19] op_sel:[0,1]
	ds_write_b64 v15, v[2:3] offset:5128
.LBB138_418:                            ;   in Loop: Header=BB138_18 Depth=1
	s_or_b64 exec, exec, s[10:11]
	s_waitcnt lgkmcnt(0)
	s_barrier
.LBB138_419:                            ;   in Loop: Header=BB138_18 Depth=1
	v_and_b32_e32 v2, s46, v32
	v_lshl_or_b32 v32, 1, s47, v2
	v_or_b32_e32 v31, s94, v31
	s_mov_b64 s[10:11], 0
	s_mov_b32 s50, 5
.LBB138_420:                            ;   in Loop: Header=BB138_18 Depth=1
	s_or_saveexec_b64 s[12:13], s[12:13]
	v_mov_b32_e32 v6, s50
	s_xor_b64 exec, exec, s[12:13]
; %bb.421:                              ;   in Loop: Header=BB138_18 Depth=1
	v_mov_b32_e32 v2, s19
	v_subrev_co_u32_e32 v4, vcc, s18, v4
	v_subb_co_u32_e32 v5, vcc, v5, v2, vcc
	v_mov_b32_e32 v6, 0
	s_or_b64 s[10:11], s[10:11], exec
; %bb.422:                              ;   in Loop: Header=BB138_18 Depth=1
	s_or_b64 exec, exec, s[12:13]
	s_and_b64 s[52:53], s[10:11], exec
	v_pk_mov_b32 v[2:3], v[4:5], v[4:5] op_sel:[0,1]
.LBB138_423:                            ;   in Loop: Header=BB138_18 Depth=1
	s_or_b64 exec, exec, s[4:5]
	s_mov_b64 s[50:51], -1
                                        ; implicit-def: $sgpr4_sgpr5
                                        ; implicit-def: $sgpr10_sgpr11
                                        ; implicit-def: $sgpr12_sgpr13
	s_and_saveexec_b64 s[18:19], s[52:53]
	s_cbranch_execz .LBB138_476
; %bb.424:                              ;   in Loop: Header=BB138_18 Depth=1
	s_cmp_eq_u64 s[16:17], 1
	s_cselect_b64 s[4:5], -1, 0
	v_cmp_eq_u64_e32 vcc, 1, v[2:3]
	s_and_b64 s[50:51], s[4:5], vcc
	s_mov_b64 s[54:55], -1
                                        ; implicit-def: $sgpr4_sgpr5
                                        ; implicit-def: $sgpr10_sgpr11
                                        ; implicit-def: $sgpr12_sgpr13
	s_and_saveexec_b64 s[52:53], s[50:51]
	s_cbranch_execz .LBB138_463
; %bb.425:                              ;   in Loop: Header=BB138_18 Depth=1
	ds_read_b64 v[4:5], v15 offset:5120
	s_waitcnt lgkmcnt(0)
	s_barrier
	v_readfirstlane_b32 s4, v4
	v_readfirstlane_b32 s5, v5
	s_mov_b64 s[10:11], exec
	v_readlane_b32 s12, v43, 48
	v_readlane_b32 s13, v43, 49
	s_and_b64 s[12:13], s[10:11], s[12:13]
	s_mov_b64 exec, s[12:13]
	s_cbranch_execz .LBB138_427
; %bb.426:                              ;   in Loop: Header=BB138_18 Depth=1
	ds_write_b8 v0, v15 offset:3072
.LBB138_427:                            ;   in Loop: Header=BB138_18 Depth=1
	s_or_b64 exec, exec, s[10:11]
	v_and_b32_e32 v32, s46, v32
	v_or_b32_e32 v31, s94, v31
	s_cmp_eq_u64 s[4:5], 0
	s_waitcnt lgkmcnt(0)
	s_barrier
	s_cbranch_scc1 .LBB138_432
; %bb.428:                              ;   in Loop: Header=BB138_18 Depth=1
	v_readlane_b32 s10, v43, 52
	s_add_u32 s47, s10, s4
	v_readlane_b32 s10, v43, 54
	s_addc_u32 s11, s10, s5
	s_mov_b32 s10, s95
	s_cmp_lg_u64 s[10:11], 0
	s_cbranch_scc0 .LBB138_433
; %bb.429:                              ;   in Loop: Header=BB138_18 Depth=1
	v_cvt_f32_u32_e32 v4, s33
	s_sub_u32 s10, 0, s33
	s_subb_u32 s12, 0, 0
	v_mac_f32_e32 v4, 0, v30
	v_rcp_f32_e32 v4, v4
	v_mul_f32_e32 v4, 0x5f7ffffc, v4
	v_mul_f32_e32 v5, 0x2f800000, v4
	v_trunc_f32_e32 v5, v5
	v_mac_f32_e32 v4, 0xcf800000, v5
	v_cvt_u32_f32_e32 v5, v5
	v_cvt_u32_f32_e32 v4, v4
	v_readfirstlane_b32 s13, v5
	v_readfirstlane_b32 s54, v4
	s_mul_i32 s55, s10, s13
	s_mul_hi_u32 s73, s10, s54
	s_mul_i32 s72, s12, s54
	s_add_i32 s55, s73, s55
	s_mul_i32 s74, s10, s54
	s_add_i32 s55, s55, s72
	s_mul_hi_u32 s73, s54, s74
	s_mul_hi_u32 s72, s54, s55
	s_mul_i32 s54, s54, s55
	s_add_u32 s54, s73, s54
	s_addc_u32 s72, 0, s72
	s_mul_hi_u32 s90, s13, s74
	s_mul_i32 s74, s13, s74
	s_add_u32 s54, s54, s74
	s_mul_hi_u32 s73, s13, s55
	s_addc_u32 s54, s72, s90
	s_addc_u32 s72, s73, 0
	s_mul_i32 s55, s13, s55
	s_add_u32 s54, s54, s55
	s_addc_u32 s55, 0, s72
	v_add_co_u32_e32 v4, vcc, s54, v4
	s_cmp_lg_u64 vcc, 0
	s_addc_u32 s13, s13, s55
	v_readfirstlane_b32 s55, v4
	s_mul_i32 s54, s10, s13
	s_mul_hi_u32 s72, s10, s55
	s_add_i32 s54, s72, s54
	s_mul_i32 s12, s12, s55
	s_add_i32 s54, s54, s12
	s_mul_i32 s10, s10, s55
	s_mul_hi_u32 s72, s13, s10
	s_mul_i32 s73, s13, s10
	s_mul_i32 s90, s55, s54
	s_mul_hi_u32 s10, s55, s10
	s_mul_hi_u32 s74, s55, s54
	s_add_u32 s10, s10, s90
	s_addc_u32 s55, 0, s74
	s_add_u32 s10, s10, s73
	s_mul_hi_u32 s12, s13, s54
	s_addc_u32 s10, s55, s72
	s_addc_u32 s12, s12, 0
	s_mul_i32 s54, s13, s54
	s_add_u32 s10, s10, s54
	s_addc_u32 s12, 0, s12
	v_add_co_u32_e32 v4, vcc, s10, v4
	s_cmp_lg_u64 vcc, 0
	s_addc_u32 s10, s13, s12
	v_readfirstlane_b32 s54, v4
	s_mul_i32 s13, s47, s10
	s_mul_hi_u32 s55, s47, s54
	s_mul_hi_u32 s12, s47, s10
	s_add_u32 s13, s55, s13
	s_addc_u32 s12, 0, s12
	s_mul_hi_u32 s72, s11, s54
	s_mul_i32 s54, s11, s54
	s_add_u32 s13, s13, s54
	s_mul_hi_u32 s55, s11, s10
	s_addc_u32 s12, s12, s72
	s_addc_u32 s13, s55, 0
	s_mul_i32 s10, s11, s10
	s_add_u32 s10, s12, s10
	s_addc_u32 s12, 0, s13
	s_mul_hi_u32 s13, s33, s10
	s_mul_i32 s10, s33, s10
	s_mul_i32 s12, s33, s12
	v_mov_b32_e32 v4, s10
	s_add_i32 s13, s13, s12
	v_sub_co_u32_e32 v4, vcc, s47, v4
	s_cmp_lg_u64 vcc, 0
	s_subb_u32 s10, s11, s13
	v_subrev_co_u32_e32 v5, vcc, s33, v4
	s_cmp_lg_u64 vcc, 0
	s_subb_u32 s12, s10, 0
	v_subrev_co_u32_e32 v6, vcc, s33, v5
	s_cmp_lg_u64 vcc, 0
	s_subb_u32 s13, s12, 0
	v_cmp_le_u32_e32 vcc, s33, v5
	s_cmp_eq_u32 s12, 0
	v_cndmask_b32_e64 v7, 0, -1, vcc
	s_cselect_b64 vcc, -1, 0
	v_cndmask_b32_e32 v7, -1, v7, vcc
	v_mov_b32_e32 v8, s12
	v_mov_b32_e32 v9, s13
	v_cmp_ne_u32_e32 vcc, 0, v7
	v_cndmask_b32_e32 v7, v8, v9, vcc
	v_cndmask_b32_e32 v6, v5, v6, vcc
	v_cmp_le_u32_e32 vcc, s33, v4
	s_cmp_eq_u32 s10, 0
	v_cndmask_b32_e64 v5, 0, -1, vcc
	s_cselect_b64 vcc, -1, 0
	v_cndmask_b32_e32 v5, -1, v5, vcc
	v_mov_b32_e32 v8, s10
	v_cmp_ne_u32_e32 vcc, 0, v5
	v_cndmask_b32_e32 v5, v8, v7, vcc
	v_cndmask_b32_e32 v4, v4, v6, vcc
	s_mov_b64 s[12:13], 0
	s_branch .LBB138_434
.LBB138_430:                            ;   in Loop: Header=BB138_18 Depth=1
                                        ; implicit-def: $vgpr2_vgpr3
	s_branch .LBB138_384
.LBB138_431:                            ;   in Loop: Header=BB138_18 Depth=1
                                        ; implicit-def: $vgpr2_vgpr3
	s_branch .LBB138_400
.LBB138_432:                            ;   in Loop: Header=BB138_18 Depth=1
	s_mov_b64 s[4:5], -1
	s_mov_b64 s[54:55], 0
                                        ; implicit-def: $sgpr10_sgpr11
                                        ; implicit-def: $vgpr33
	s_branch .LBB138_446
.LBB138_433:                            ;   in Loop: Header=BB138_18 Depth=1
	s_mov_b64 s[12:13], -1
                                        ; implicit-def: $vgpr4_vgpr5
.LBB138_434:                            ;   in Loop: Header=BB138_18 Depth=1
	s_andn2_b64 vcc, exec, s[12:13]
	s_cbranch_vccnz .LBB138_436
; %bb.435:                              ;   in Loop: Header=BB138_18 Depth=1
	v_cvt_f32_u32_e32 v4, s33
	s_sub_i32 s10, 0, s33
	v_rcp_iflag_f32_e32 v4, v4
	v_mul_f32_e32 v4, 0x4f7ffffe, v4
	v_cvt_u32_f32_e32 v4, v4
	v_mul_lo_u32 v5, s10, v4
	v_mul_hi_u32 v5, v4, v5
	v_add_u32_e32 v4, v4, v5
	v_mul_hi_u32 v4, s47, v4
	v_mul_lo_u32 v4, v4, s33
	v_sub_u32_e32 v4, s47, v4
	v_subrev_u32_e32 v5, s33, v4
	v_cmp_le_u32_e32 vcc, s33, v4
	v_cndmask_b32_e32 v4, v4, v5, vcc
	v_subrev_u32_e32 v5, s33, v4
	v_cmp_le_u32_e32 vcc, s33, v4
	v_cndmask_b32_e32 v14, v4, v5, vcc
	v_pk_mov_b32 v[4:5], v[14:15], v[14:15] op_sel:[0,1]
.LBB138_436:                            ;   in Loop: Header=BB138_18 Depth=1
	v_mov_b32_e32 v6, s11
	v_sub_co_u32_e32 v4, vcc, s47, v4
	v_subb_co_u32_e32 v5, vcc, v6, v5, vcc
	v_cmp_gt_u64_e32 vcc, v[4:5], v[0:1]
	s_mov_b64 s[54:55], 0
                                        ; implicit-def: $vgpr33
	s_and_saveexec_b64 s[10:11], vcc
	s_cbranch_execz .LBB138_445
; %bb.437:                              ;   in Loop: Header=BB138_18 Depth=1
	s_mov_b64 s[12:13], 0
	v_mov_b32_e32 v8, v0
	v_pk_mov_b32 v[6:7], v[0:1], v[0:1] op_sel:[0,1]
                                        ; implicit-def: $sgpr54_sgpr55
	s_branch .LBB138_439
.LBB138_438:                            ;   in Loop: Header=BB138_439 Depth=2
	s_or_b64 exec, exec, s[72:73]
	s_waitcnt lgkmcnt(0)
	s_barrier
	ds_read_u16 v9, v15 offset:3072
	v_mov_b32_e32 v14, s92
	v_add_co_u32_e32 v6, vcc, s33, v6
	v_addc_co_u32_e32 v7, vcc, v7, v14, vcc
	s_waitcnt lgkmcnt(0)
	v_cmp_ne_u16_sdwa s[72:73], v9, v15 src0_sel:BYTE_0 src1_sel:DWORD
	v_cmp_ge_u64_e32 vcc, v[6:7], v[4:5]
	s_or_b64 s[90:91], vcc, s[72:73]
	s_and_b64 s[90:91], exec, s[90:91]
	s_or_b64 s[12:13], s[90:91], s[12:13]
	s_andn2_b64 s[54:55], s[54:55], exec
	s_and_b64 s[72:73], s[72:73], exec
	v_add_u32_e32 v8, s33, v8
	s_or_b64 s[54:55], s[54:55], s[72:73]
	s_barrier
	s_andn2_b64 exec, exec, s[12:13]
	s_cbranch_execz .LBB138_444
.LBB138_439:                            ;   Parent Loop BB138_18 Depth=1
                                        ; =>  This Inner Loop Header: Depth=2
	v_cmp_gt_u64_e32 vcc, s[4:5], v[6:7]
	v_mov_b32_e32 v9, 0
	s_and_saveexec_b64 s[72:73], vcc
	s_cbranch_execz .LBB138_441
; %bb.440:                              ;   in Loop: Header=BB138_439 Depth=2
	ds_read_u8 v9, v8
.LBB138_441:                            ;   in Loop: Header=BB138_439 Depth=2
	s_or_b64 exec, exec, s[72:73]
	s_and_saveexec_b64 s[72:73], vcc
	s_cbranch_execz .LBB138_438
; %bb.442:                              ;   in Loop: Header=BB138_439 Depth=2
	s_waitcnt lgkmcnt(0)
	v_add_u32_sdwa v14, sext(v9), s93 dst_sel:DWORD dst_unused:UNUSED_PAD src0_sel:BYTE_0 src1_sel:DWORD
	v_and_b32_e32 v14, v14, v31
	v_cmp_eq_u32_e32 vcc, v14, v32
	s_and_b64 exec, exec, vcc
	s_cbranch_execz .LBB138_438
; %bb.443:                              ;   in Loop: Header=BB138_439 Depth=2
	v_lshlrev_b16_e32 v9, 8, v9
	v_or_b32_e32 v9, 1, v9
	ds_write_b16 v15, v9 offset:3072
	s_branch .LBB138_438
.LBB138_444:                            ;   in Loop: Header=BB138_18 Depth=1
	s_or_b64 exec, exec, s[12:13]
	v_lshrrev_b16_e32 v33, 8, v9
	s_and_b64 s[54:55], s[54:55], exec
.LBB138_445:                            ;   in Loop: Header=BB138_18 Depth=1
	s_or_b64 exec, exec, s[10:11]
	s_mov_b64 s[4:5], 0
	s_mov_b64 s[10:11], -1
.LBB138_446:                            ;   in Loop: Header=BB138_18 Depth=1
	s_and_b64 vcc, exec, s[4:5]
	s_mov_b64 s[12:13], s[4:5]
	s_cbranch_vccz .LBB138_462
; %bb.447:                              ;   in Loop: Header=BB138_18 Depth=1
	s_mov_b32 s74, s95
	s_cmp_lg_u64 s[74:75], 0
	s_cbranch_scc0 .LBB138_449
; %bb.448:                              ;   in Loop: Header=BB138_18 Depth=1
	v_cvt_f32_u32_e32 v4, s33
	s_sub_u32 s4, 0, s33
	s_subb_u32 s5, 0, 0
	v_mac_f32_e32 v4, 0, v30
	v_rcp_f32_e32 v4, v4
	v_mul_f32_e32 v4, 0x5f7ffffc, v4
	v_mul_f32_e32 v5, 0x2f800000, v4
	v_trunc_f32_e32 v5, v5
	v_mac_f32_e32 v4, 0xcf800000, v5
	v_cvt_u32_f32_e32 v5, v5
	v_cvt_u32_f32_e32 v4, v4
	v_readfirstlane_b32 s10, v5
	v_readfirstlane_b32 s11, v4
	s_mul_i32 s12, s4, s10
	s_mul_hi_u32 s47, s4, s11
	s_mul_i32 s13, s5, s11
	s_add_i32 s12, s47, s12
	s_mul_i32 s54, s4, s11
	s_add_i32 s12, s12, s13
	s_mul_hi_u32 s47, s11, s54
	s_mul_hi_u32 s13, s11, s12
	s_mul_i32 s11, s11, s12
	s_add_u32 s11, s47, s11
	s_addc_u32 s13, 0, s13
	s_mul_hi_u32 s55, s10, s54
	s_mul_i32 s54, s10, s54
	s_add_u32 s11, s11, s54
	s_mul_hi_u32 s47, s10, s12
	s_addc_u32 s11, s13, s55
	s_addc_u32 s13, s47, 0
	s_mul_i32 s12, s10, s12
	s_add_u32 s11, s11, s12
	s_addc_u32 s12, 0, s13
	v_add_co_u32_e32 v4, vcc, s11, v4
	s_cmp_lg_u64 vcc, 0
	s_addc_u32 s10, s10, s12
	v_readfirstlane_b32 s12, v4
	s_mul_i32 s11, s4, s10
	s_mul_hi_u32 s13, s4, s12
	s_add_i32 s11, s13, s11
	s_mul_i32 s5, s5, s12
	s_add_i32 s11, s11, s5
	s_mul_i32 s4, s4, s12
	s_mul_hi_u32 s13, s10, s4
	s_mul_i32 s47, s10, s4
	s_mul_i32 s55, s12, s11
	s_mul_hi_u32 s4, s12, s4
	s_mul_hi_u32 s54, s12, s11
	s_add_u32 s4, s4, s55
	s_addc_u32 s12, 0, s54
	s_add_u32 s4, s4, s47
	s_mul_hi_u32 s5, s10, s11
	s_addc_u32 s4, s12, s13
	s_addc_u32 s5, s5, 0
	s_mul_i32 s11, s10, s11
	s_add_u32 s4, s4, s11
	s_addc_u32 s5, 0, s5
	v_add_co_u32_e32 v4, vcc, s4, v4
	s_cmp_lg_u64 vcc, 0
	s_addc_u32 s4, s10, s5
	v_readlane_b32 s47, v43, 53
	v_readfirstlane_b32 s11, v4
	s_mul_i32 s10, s47, s4
	s_mul_hi_u32 s12, s47, s11
	s_mul_hi_u32 s5, s47, s4
	s_add_u32 s10, s12, s10
	s_addc_u32 s5, 0, s5
	s_mul_hi_u32 s13, s75, s11
	s_mul_i32 s11, s75, s11
	s_add_u32 s10, s10, s11
	s_mul_hi_u32 s12, s75, s4
	s_addc_u32 s5, s5, s13
	s_addc_u32 s10, s12, 0
	s_mul_i32 s4, s75, s4
	s_add_u32 s4, s5, s4
	s_addc_u32 s5, 0, s10
	s_mul_hi_u32 s10, s33, s4
	s_mul_i32 s4, s33, s4
	s_mul_i32 s5, s33, s5
	v_mov_b32_e32 v4, s4
	s_add_i32 s10, s10, s5
	v_sub_co_u32_e32 v4, vcc, s47, v4
	s_cmp_lg_u64 vcc, 0
	s_subb_u32 s4, s75, s10
	v_subrev_co_u32_e32 v5, vcc, s33, v4
	s_cmp_lg_u64 vcc, 0
	s_subb_u32 s5, s4, 0
	v_subrev_co_u32_e32 v6, vcc, s33, v5
	s_cmp_lg_u64 vcc, 0
	s_subb_u32 s10, s5, 0
	v_cmp_le_u32_e32 vcc, s33, v5
	s_cmp_eq_u32 s5, 0
	v_cndmask_b32_e64 v7, 0, -1, vcc
	s_cselect_b64 vcc, -1, 0
	v_cndmask_b32_e32 v7, -1, v7, vcc
	v_mov_b32_e32 v8, s5
	v_mov_b32_e32 v9, s10
	v_cmp_ne_u32_e32 vcc, 0, v7
	v_cndmask_b32_e32 v7, v8, v9, vcc
	v_cndmask_b32_e32 v6, v5, v6, vcc
	v_cmp_le_u32_e32 vcc, s33, v4
	s_cmp_eq_u32 s4, 0
	v_cndmask_b32_e64 v5, 0, -1, vcc
	s_cselect_b64 vcc, -1, 0
	v_cndmask_b32_e32 v5, -1, v5, vcc
	v_mov_b32_e32 v8, s4
	v_cmp_ne_u32_e32 vcc, 0, v5
	v_cndmask_b32_e32 v5, v8, v7, vcc
	v_cndmask_b32_e32 v4, v4, v6, vcc
	s_mov_b64 s[4:5], 0
	s_branch .LBB138_450
.LBB138_449:                            ;   in Loop: Header=BB138_18 Depth=1
	s_mov_b64 s[4:5], -1
                                        ; implicit-def: $vgpr4_vgpr5
.LBB138_450:                            ;   in Loop: Header=BB138_18 Depth=1
	s_andn2_b64 vcc, exec, s[4:5]
	s_cbranch_vccnz .LBB138_452
; %bb.451:                              ;   in Loop: Header=BB138_18 Depth=1
	v_cvt_f32_u32_e32 v4, s33
	s_sub_i32 s4, 0, s33
	v_rcp_iflag_f32_e32 v4, v4
	v_mul_f32_e32 v4, 0x4f7ffffe, v4
	v_cvt_u32_f32_e32 v4, v4
	v_mul_lo_u32 v5, s4, v4
	v_mul_hi_u32 v5, v4, v5
	v_add_u32_e32 v4, v4, v5
	v_readlane_b32 s4, v43, 53
	v_mul_hi_u32 v4, s4, v4
	v_mul_lo_u32 v4, v4, s33
	v_sub_u32_e32 v4, s4, v4
	v_subrev_u32_e32 v5, s33, v4
	v_cmp_le_u32_e32 vcc, s33, v4
	v_cndmask_b32_e32 v4, v4, v5, vcc
	v_subrev_u32_e32 v5, s33, v4
	v_cmp_le_u32_e32 vcc, s33, v4
	v_cndmask_b32_e32 v14, v4, v5, vcc
	v_pk_mov_b32 v[4:5], v[14:15], v[14:15] op_sel:[0,1]
.LBB138_452:                            ;   in Loop: Header=BB138_18 Depth=1
	v_readlane_b32 s4, v43, 53
	v_mov_b32_e32 v6, s75
	v_sub_co_u32_e32 v4, vcc, s4, v4
	v_subb_co_u32_e32 v5, vcc, v6, v5, vcc
	v_cmp_gt_u64_e32 vcc, v[4:5], v[0:1]
	s_mov_b64 s[54:55], 0
                                        ; implicit-def: $vgpr33
	s_and_saveexec_b64 s[4:5], vcc
	s_cbranch_execz .LBB138_461
; %bb.453:                              ;   in Loop: Header=BB138_18 Depth=1
	s_mov_b64 s[10:11], 0
	v_pk_mov_b32 v[6:7], v[0:1], v[0:1] op_sel:[0,1]
                                        ; implicit-def: $sgpr12_sgpr13
	s_branch .LBB138_455
.LBB138_454:                            ;   in Loop: Header=BB138_455 Depth=2
	s_or_b64 exec, exec, s[54:55]
	s_waitcnt lgkmcnt(0)
	s_barrier
	s_waitcnt vmcnt(0)
	ds_read_u16 v8, v15 offset:3072
	v_mov_b32_e32 v9, s92
	v_add_co_u32_e32 v6, vcc, s33, v6
	v_addc_co_u32_e32 v7, vcc, v7, v9, vcc
	s_waitcnt lgkmcnt(0)
	v_cmp_ne_u16_sdwa s[54:55], v8, v15 src0_sel:BYTE_0 src1_sel:DWORD
	v_cmp_ge_u64_e32 vcc, v[6:7], v[4:5]
	s_or_b64 s[72:73], vcc, s[54:55]
	s_and_b64 s[72:73], exec, s[72:73]
	s_or_b64 s[10:11], s[72:73], s[10:11]
	s_andn2_b64 s[12:13], s[12:13], exec
	s_and_b64 s[54:55], s[54:55], exec
	s_or_b64 s[12:13], s[12:13], s[54:55]
	s_barrier
	s_andn2_b64 exec, exec, s[10:11]
	s_cbranch_execz .LBB138_460
.LBB138_455:                            ;   Parent Loop BB138_18 Depth=1
                                        ; =>  This Inner Loop Header: Depth=2
	v_cmp_gt_u64_e32 vcc, s[60:61], v[6:7]
	v_mov_b32_e32 v8, 0
	s_and_saveexec_b64 s[54:55], vcc
	s_cbranch_execz .LBB138_457
; %bb.456:                              ;   in Loop: Header=BB138_455 Depth=2
	v_pk_mov_b32 v[8:9], s[56:57], s[56:57] op_sel:[0,1]
	v_mad_u64_u32 v[8:9], s[72:73], v6, s58, v[8:9]
	v_mul_lo_u32 v14, v6, s59
	v_mul_lo_u32 v20, v7, s58
	v_add3_u32 v9, v20, v9, v14
	global_load_ubyte v8, v[8:9], off
.LBB138_457:                            ;   in Loop: Header=BB138_455 Depth=2
	s_or_b64 exec, exec, s[54:55]
	s_and_saveexec_b64 s[54:55], vcc
	s_cbranch_execz .LBB138_454
; %bb.458:                              ;   in Loop: Header=BB138_455 Depth=2
	s_waitcnt vmcnt(0)
	v_add_u32_sdwa v9, sext(v8), s93 dst_sel:DWORD dst_unused:UNUSED_PAD src0_sel:BYTE_0 src1_sel:DWORD
	v_and_b32_e32 v9, v9, v31
	v_cmp_eq_u32_e32 vcc, v9, v32
	s_and_b64 exec, exec, vcc
	s_cbranch_execz .LBB138_454
; %bb.459:                              ;   in Loop: Header=BB138_455 Depth=2
	v_lshlrev_b16_e32 v8, 8, v8
	v_or_b32_e32 v8, 1, v8
	ds_write_b16 v15, v8 offset:3072
	s_branch .LBB138_454
.LBB138_460:                            ;   in Loop: Header=BB138_18 Depth=1
	s_or_b64 exec, exec, s[10:11]
	v_lshrrev_b16_e32 v33, 8, v8
	s_and_b64 s[54:55], s[12:13], exec
.LBB138_461:                            ;   in Loop: Header=BB138_18 Depth=1
	s_or_b64 exec, exec, s[4:5]
	s_mov_b64 s[10:11], 0
	s_mov_b64 s[4:5], -1
	s_mov_b64 s[12:13], 0
.LBB138_462:                            ;   in Loop: Header=BB138_18 Depth=1
	s_orn2_b64 s[54:55], s[54:55], exec
.LBB138_463:                            ;   in Loop: Header=BB138_18 Depth=1
	s_or_b64 exec, exec, s[52:53]
	s_mov_b64 s[72:73], 0
                                        ; implicit-def: $vgpr6
                                        ; implicit-def: $vgpr4_vgpr5
	s_and_saveexec_b64 s[52:53], s[54:55]
	s_cbranch_execz .LBB138_475
; %bb.464:                              ;   in Loop: Header=BB138_18 Depth=1
	v_mov_b32_e32 v4, 1
	s_xor_b64 s[54:55], s[50:51], -1
	v_mov_b32_e32 v6, 1
	v_mov_b32_e32 v5, 0
	s_and_saveexec_b64 s[50:51], s[54:55]
	s_cbranch_execz .LBB138_474
; %bb.465:                              ;   in Loop: Header=BB138_18 Depth=1
	v_cmp_ge_u64_e32 vcc, s[16:17], v[2:3]
                                        ; implicit-def: $sgpr47
	s_and_saveexec_b64 s[54:55], vcc
	s_xor_b64 s[54:55], exec, s[54:55]
	s_cbranch_execz .LBB138_471
; %bb.466:                              ;   in Loop: Header=BB138_18 Depth=1
	ds_read_b64 v[4:5], v15 offset:5120
	s_waitcnt lgkmcnt(0)
	v_cmp_ne_u64_e32 vcc, 0, v[4:5]
	s_cbranch_vccnz .LBB138_470
; %bb.467:                              ;   in Loop: Header=BB138_18 Depth=1
	s_mov_b64 s[72:73], exec
	v_readlane_b32 s90, v43, 32
	v_readlane_b32 s91, v43, 33
	s_and_b64 s[90:91], s[72:73], s[90:91]
	s_mov_b64 exec, s[90:91]
	s_cbranch_execz .LBB138_469
; %bb.468:                              ;   in Loop: Header=BB138_18 Depth=1
	v_pk_mov_b32 v[4:5], s[16:17], s[16:17] op_sel:[0,1]
	ds_write_b64 v15, v[4:5] offset:5128
.LBB138_469:                            ;   in Loop: Header=BB138_18 Depth=1
	s_or_b64 exec, exec, s[72:73]
	s_waitcnt lgkmcnt(0)
	s_barrier
.LBB138_470:                            ;   in Loop: Header=BB138_18 Depth=1
	v_and_b32_e32 v32, s46, v32
	v_or_b32_e32 v31, s94, v31
	s_mov_b32 s47, 5
.LBB138_471:                            ;   in Loop: Header=BB138_18 Depth=1
	s_or_saveexec_b64 s[54:55], s[54:55]
	v_mov_b32_e32 v6, s47
	s_xor_b64 exec, exec, s[54:55]
; %bb.472:                              ;   in Loop: Header=BB138_18 Depth=1
	v_mov_b32_e32 v4, s17
	v_subrev_co_u32_e32 v2, vcc, s16, v2
	v_subb_co_u32_e32 v3, vcc, v3, v4, vcc
	v_mov_b32_e32 v6, 5
; %bb.473:                              ;   in Loop: Header=BB138_18 Depth=1
	s_or_b64 exec, exec, s[54:55]
	v_pk_mov_b32 v[4:5], v[2:3], v[2:3] op_sel:[0,1]
.LBB138_474:                            ;   in Loop: Header=BB138_18 Depth=1
	s_or_b64 exec, exec, s[50:51]
	s_mov_b64 s[72:73], exec
.LBB138_475:                            ;   in Loop: Header=BB138_18 Depth=1
	s_or_b64 exec, exec, s[52:53]
	s_orn2_b64 s[50:51], s[72:73], exec
	v_pk_mov_b32 v[2:3], v[4:5], v[4:5] op_sel:[0,1]
.LBB138_476:                            ;   in Loop: Header=BB138_18 Depth=1
	s_or_b64 exec, exec, s[18:19]
	s_andn2_b64 s[8:9], s[8:9], exec
	s_and_b64 s[4:5], s[4:5], exec
	s_or_b64 s[8:9], s[8:9], s[4:5]
	s_andn2_b64 s[4:5], s[44:45], exec
	s_and_b64 s[10:11], s[10:11], exec
	s_or_b64 s[44:45], s[4:5], s[10:11]
	;; [unrolled: 3-line block ×3, first 2 shown]
	s_and_b64 s[4:5], s[50:51], exec
	v_pk_mov_b32 v[4:5], v[2:3], v[2:3] op_sel:[0,1]
.LBB138_477:                            ;   in Loop: Header=BB138_18 Depth=1
	s_or_b64 exec, exec, s[48:49]
	s_and_b64 s[12:13], s[8:9], exec
	s_and_b64 s[10:11], s[44:45], exec
	;; [unrolled: 1-line block ×3, first 2 shown]
	s_orn2_b64 s[4:5], s[4:5], exec
.LBB138_478:                            ;   in Loop: Header=BB138_18 Depth=1
	s_or_b64 exec, exec, s[22:23]
	s_andn2_b64 s[16:17], s[24:25], exec
	s_and_b64 s[12:13], s[12:13], exec
	s_or_b64 s[24:25], s[16:17], s[12:13]
	s_andn2_b64 s[12:13], s[36:37], exec
	s_and_b64 s[10:11], s[10:11], exec
	s_or_b64 s[36:37], s[12:13], s[10:11]
	;; [unrolled: 3-line block ×3, first 2 shown]
	s_and_b64 s[12:13], s[4:5], exec
	v_pk_mov_b32 v[2:3], v[4:5], v[4:5] op_sel:[0,1]
.LBB138_479:                            ;   in Loop: Header=BB138_18 Depth=1
	s_or_b64 exec, exec, s[42:43]
	s_and_b64 s[10:11], s[24:25], exec
	s_and_b64 s[8:9], s[36:37], exec
	;; [unrolled: 1-line block ×3, first 2 shown]
	s_orn2_b64 s[24:25], s[12:13], exec
.LBB138_480:                            ;   in Loop: Header=BB138_18 Depth=1
	s_or_b64 exec, exec, s[6:7]
	s_mov_b64 s[6:7], s[28:29]
	s_mov_b64 s[12:13], s[26:27]
	s_and_saveexec_b64 s[16:17], s[24:25]
; %bb.481:                              ;   in Loop: Header=BB138_18 Depth=1
	v_cmp_ne_u32_e64 s[6:7], 5, v6
	v_cmp_eq_u32_e32 vcc, 5, v6
	s_andn2_b64 s[12:13], s[26:27], exec
	s_and_b64 s[6:7], s[6:7], exec
	s_or_b64 s[12:13], s[12:13], s[6:7]
	s_andn2_b64 s[6:7], s[28:29], exec
	s_and_b64 s[18:19], vcc, exec
	s_andn2_b64 s[10:11], s[10:11], exec
	s_andn2_b64 s[8:9], s[8:9], exec
	;; [unrolled: 1-line block ×3, first 2 shown]
	s_or_b64 s[6:7], s[6:7], s[18:19]
; %bb.482:                              ;   in Loop: Header=BB138_18 Depth=1
	s_or_b64 exec, exec, s[16:17]
	s_andn2_b64 s[14:15], s[14:15], exec
	s_and_b64 s[10:11], s[10:11], exec
	s_or_b64 s[14:15], s[14:15], s[10:11]
	s_andn2_b64 s[10:11], s[38:39], exec
	s_and_b64 s[8:9], s[8:9], exec
	s_or_b64 s[38:39], s[10:11], s[8:9]
	;; [unrolled: 3-line block ×5, first 2 shown]
	v_mov_b32_e32 v8, v32
	v_mov_b32_e32 v9, v31
	;; [unrolled: 1-line block ×3, first 2 shown]
.LBB138_483:                            ;   in Loop: Header=BB138_18 Depth=1
	s_or_b64 exec, exec, s[34:35]
	s_mov_b64 s[36:37], s[20:21]
	s_mov_b64 s[34:35], s[20:21]
	s_and_saveexec_b64 s[4:5], s[28:29]
.LBB138_484:                            ;   in Loop: Header=BB138_18 Depth=1
	v_mov_b32_e32 v6, 0
	s_andn2_b64 s[20:21], s[20:21], exec
	s_andn2_b64 s[14:15], s[14:15], exec
	;; [unrolled: 1-line block ×5, first 2 shown]
	s_or_b64 s[26:27], s[26:27], exec
.LBB138_485:                            ;   in Loop: Header=BB138_18 Depth=1
	s_or_b64 exec, exec, s[4:5]
	s_andn2_b64 s[4:5], s[30:31], exec
	s_and_b64 s[8:9], s[20:21], exec
	s_or_b64 s[30:31], s[4:5], s[8:9]
	s_andn2_b64 s[4:5], s[84:85], exec
	s_and_b64 s[8:9], s[14:15], exec
	s_or_b64 s[84:85], s[4:5], s[8:9]
	;; [unrolled: 3-line block ×4, first 2 shown]
	s_andn2_b64 s[4:5], s[82:83], exec
	s_and_b64 s[8:9], s[34:35], exec
	s_mov_b64 s[6:7], -1
	s_or_b64 s[82:83], s[4:5], s[8:9]
                                        ; implicit-def: $vgpr31
                                        ; implicit-def: $vgpr32
                                        ; implicit-def: $vgpr20_vgpr21
                                        ; implicit-def: $vgpr33
	s_and_saveexec_b64 s[4:5], s[26:27]
	s_xor_b64 s[4:5], exec, s[4:5]
	s_cbranch_execz .LBB138_17
; %bb.486:                              ;   in Loop: Header=BB138_18 Depth=1
	v_cmp_eq_u32_e32 vcc, 0, v6
	s_mov_b64 s[8:9], -1
	s_and_saveexec_b64 s[10:11], vcc
	s_cbranch_execz .LBB138_16
; %bb.487:                              ;   in Loop: Header=BB138_18 Depth=1
	v_readlane_b32 s6, v43, 62
	s_xor_b32 s6, s6, 1
	s_add_i32 s12, s77, -2
	s_cmp_eq_u32 s77, 0
	v_writelane_b32 v43, s6, 62
	s_cselect_b64 s[6:7], -1, 0
	s_xor_b64 s[8:9], exec, -1
	s_orn2_b64 s[6:7], s[6:7], exec
	s_mov_b32 s77, s12
	s_branch .LBB138_16
.LBB138_488:
	s_or_b64 exec, exec, s[86:87]
	s_xor_b64 s[4:5], s[70:71], -1
	s_xor_b64 s[14:15], s[68:69], -1
	;; [unrolled: 1-line block ×5, first 2 shown]
	s_mov_b64 s[8:9], 0
	s_and_saveexec_b64 s[10:11], s[6:7]
	s_xor_b64 s[6:7], exec, s[10:11]
	s_cbranch_execnz .LBB138_493
; %bb.489:
	s_andn2_saveexec_b64 s[0:1], s[6:7]
	s_cbranch_execnz .LBB138_512
.LBB138_490:
	s_or_b64 exec, exec, s[0:1]
	s_and_saveexec_b64 s[0:1], s[8:9]
.LBB138_491:
	; divergent unreachable
.LBB138_492:
	s_endpgm
.LBB138_493:
	s_mov_b64 s[10:11], 0
	s_and_saveexec_b64 s[8:9], s[12:13]
	s_xor_b64 s[8:9], exec, s[8:9]
	s_cbranch_execz .LBB138_510
; %bb.494:
	s_mov_b64 s[12:13], 0
	s_and_saveexec_b64 s[10:11], s[14:15]
	s_xor_b64 s[10:11], exec, s[10:11]
	s_cbranch_execz .LBB138_508
; %bb.495:
	;; [unrolled: 5-line block ×3, first 2 shown]
	s_and_saveexec_b64 s[4:5], s[2:3]
	s_xor_b64 s[2:3], exec, s[4:5]
; %bb.497:
	v_xor_b32_e32 v22, 0xffffff80, v8
; %bb.498:
	s_or_b64 exec, exec, s[2:3]
	s_mov_b64 s[2:3], exec
	v_readlane_b32 s4, v43, 32
	v_readlane_b32 s5, v43, 33
	;; [unrolled: 1-line block ×4, first 2 shown]
	s_and_b64 s[4:5], s[2:3], s[4:5]
	v_readlane_b32 s25, v43, 37
	v_readlane_b32 s18, v43, 34
	;; [unrolled: 1-line block ×4, first 2 shown]
	s_mov_b64 exec, s[4:5]
	s_cbranch_execz .LBB138_500
; %bb.499:
	v_mov_b32_e32 v2, 0
	v_mov_b32_e32 v3, v2
	ds_write_b64 v2, v[2:3] offset:5136
.LBB138_500:
	s_or_b64 exec, exec, s[2:3]
	v_mov_b32_e32 v16, 0
	s_waitcnt lgkmcnt(0)
	s_barrier
	s_mov_b64 s[2:3], exec
	v_readlane_b32 s4, v43, 46
	v_readlane_b32 s5, v43, 47
	s_and_b64 s[4:5], s[2:3], s[4:5]
	s_mov_b64 exec, s[4:5]
	s_cbranch_execz .LBB138_502
; %bb.501:
	global_load_ubyte v16, v[12:13], off
.LBB138_502:
	s_or_b64 exec, exec, s[2:3]
	v_readlane_b32 s28, v43, 24
	s_add_u32 s2, s60, 63
	v_readlane_b32 s30, v43, 26
	v_readlane_b32 s31, v43, 27
	;; [unrolled: 1-line block ×3, first 2 shown]
	s_addc_u32 s15, s61, 0
	s_and_b32 s14, s2, 0xffffffc0
	s_mul_i32 s2, s34, s31
	s_mul_hi_u32 s3, s34, s30
	s_add_i32 s3, s3, s2
	s_mul_i32 s2, s34, s30
	v_readlane_b32 s16, v43, 10
	s_sub_u32 s2, s18, s2
	v_readlane_b32 s17, v43, 11
	s_subb_u32 s3, 0, s3
	s_mul_i32 s4, s2, s17
	s_mul_hi_u32 s5, s2, s16
	s_add_i32 s4, s5, s4
	s_mul_i32 s3, s3, s16
	s_add_i32 s3, s4, s3
	v_readlane_b32 s20, v43, 4
	v_readlane_b32 s4, v43, 0
	;; [unrolled: 1-line block ×4, first 2 shown]
	s_mov_b32 s30, s4
	s_mul_i32 s4, s4, s21
	s_mul_hi_u32 s5, s30, s20
	s_add_i32 s5, s5, s4
	s_mul_i32 s4, s30, s20
	v_readlane_b32 s26, v43, 2
	v_readlane_b32 s36, v43, 18
	;; [unrolled: 1-line block ×3, first 2 shown]
	s_sub_u32 s4, s26, s4
	v_readlane_b32 s38, v43, 20
	v_readlane_b32 s39, v43, 21
	s_mul_i32 s2, s2, s16
	s_subb_u32 s5, s27, s5
	s_mul_i32 s16, s4, s39
	s_mul_hi_u32 s17, s4, s38
	v_readlane_b32 s37, v43, 19
	s_add_i32 s16, s17, s16
	s_mul_i32 s5, s5, s38
	v_readlane_b32 s22, v43, 6
	v_readlane_b32 s23, v43, 7
	s_add_i32 s16, s16, s5
	s_mul_i32 s17, s4, s38
	s_mul_i32 s4, s30, s37
	s_mul_hi_u32 s5, s30, s36
	s_add_i32 s20, s5, s4
	s_mul_i32 s4, s26, s23
	s_mul_hi_u32 s5, s26, s22
	s_add_i32 s5, s5, s4
	s_mul_i32 s4, s26, s22
	v_readlane_b32 s26, v43, 16
	s_sub_u32 s4, s18, s4
	v_readlane_b32 s27, v43, 17
	s_subb_u32 s5, 0, s5
	s_mul_i32 s18, s4, s27
	s_mul_hi_u32 s19, s4, s26
	s_add_i32 s18, s19, s18
	s_mul_i32 s5, s5, s26
	s_add_i32 s22, s18, s5
	s_mul_i32 s23, s4, s26
	v_readlane_b32 s4, v43, 8
	v_readlane_b32 s29, v43, 25
	;; [unrolled: 1-line block ×3, first 2 shown]
	s_mov_b32 s26, s4
	s_mul_i32 s4, s4, s29
	s_mul_hi_u32 s5, s26, s28
	s_mul_i32 s21, s30, s36
	s_add_i32 s5, s5, s4
	s_mul_i32 s4, s26, s28
	v_readlane_b32 s28, v43, 12
	v_readlane_b32 s35, v43, 23
	s_sub_u32 s4, s34, s4
	v_readlane_b32 s30, v43, 14
	v_readlane_b32 s31, v43, 15
	s_subb_u32 s5, s35, s5
	s_mul_i32 s18, s4, s31
	s_mul_hi_u32 s19, s4, s30
	v_readlane_b32 s29, v43, 13
	s_add_i32 s18, s19, s18
	s_mul_i32 s5, s5, s30
	s_add_i32 s5, s18, s5
	s_mul_i32 s18, s26, s29
	s_mul_hi_u32 s19, s26, s28
	s_add_i32 s19, s19, s18
	s_mul_i32 s18, s26, s28
	v_readlane_b32 s26, v43, 30
	v_readlane_b32 s27, v43, 31
	s_add_u32 s21, s26, s21
	s_addc_u32 s20, s27, s20
	s_add_u32 s17, s21, s17
	s_addc_u32 s20, s20, s16
	;; [unrolled: 2-line block ×3, first 2 shown]
	s_lshl_b64 s[18:19], s[18:19], 3
	v_readlane_b32 s20, v43, 28
	s_mul_i32 s4, s4, s30
	v_readlane_b32 s21, v43, 29
	s_add_u32 s18, s20, s18
	s_addc_u32 s19, s21, s19
	s_lshl_b64 s[4:5], s[4:5], 3
	s_add_u32 s4, s18, s4
	s_addc_u32 s5, s19, s5
	s_load_dwordx2 s[18:19], s[24:25], 0x368
	s_load_dwordx2 s[20:21], s[24:25], 0x510
	s_lshl_b64 s[2:3], s[2:3], 3
	s_add_u32 s48, s4, s2
	s_addc_u32 s49, s5, s3
	v_cmp_gt_u64_e32 vcc, s[14:15], v[0:1]
	s_mov_b64 s[24:25], -1
	s_mov_b64 s[2:3], 0
	s_mov_b64 s[4:5], 0
	s_and_saveexec_b64 s[22:23], vcc
	s_cbranch_execnz .LBB138_513
; %bb.503:
	s_or_b64 exec, exec, s[22:23]
	s_and_saveexec_b64 s[22:23], s[24:25]
	s_cbranch_execnz .LBB138_528
.LBB138_504:
	s_or_b64 exec, exec, s[22:23]
	s_and_saveexec_b64 s[0:1], s[4:5]
	s_xor_b64 s[0:1], exec, s[0:1]
	s_cbranch_execnz .LBB138_550
.LBB138_505:
	s_or_b64 exec, exec, s[0:1]
	s_and_b64 s[14:15], s[2:3], exec
.LBB138_506:
	s_andn2_saveexec_b64 s[0:1], s[12:13]
	s_cbranch_execnz .LBB138_553
.LBB138_507:
	s_or_b64 exec, exec, s[0:1]
	s_and_b64 s[12:13], s[14:15], exec
.LBB138_508:
	s_andn2_saveexec_b64 s[0:1], s[10:11]
	s_cbranch_execnz .LBB138_552
.LBB138_509:
	s_or_b64 exec, exec, s[0:1]
	s_and_b64 s[10:11], s[12:13], exec
.LBB138_510:
	s_andn2_saveexec_b64 s[0:1], s[8:9]
	s_cbranch_execnz .LBB138_551
.LBB138_511:
	s_or_b64 exec, exec, s[0:1]
	s_and_b64 s[8:9], s[10:11], exec
	s_andn2_saveexec_b64 s[0:1], s[6:7]
	s_cbranch_execz .LBB138_490
.LBB138_512:
	s_or_b64 s[8:9], s[8:9], exec
	s_trap 2
	s_or_b64 exec, exec, s[0:1]
	s_and_saveexec_b64 s[0:1], s[8:9]
	s_cbranch_execnz .LBB138_491
	s_branch .LBB138_492
.LBB138_513:
	s_movk_i32 s38, 0x80
	v_add_u32_sdwa v17, sext(v22), s38 dst_sel:DWORD dst_unused:UNUSED_PAD src0_sel:BYTE_0 src1_sel:DWORD
	s_mov_b64 s[24:25], 0
	v_mov_b32_e32 v18, s92
	v_mov_b32_e32 v3, 0
	v_pk_mov_b32 v[8:9], v[0:1], v[0:1] op_sel:[0,1]
                                        ; implicit-def: $sgpr26_sgpr27
                                        ; implicit-def: $vgpr6_vgpr7
	s_branch .LBB138_515
.LBB138_514:                            ;   in Loop: Header=BB138_515 Depth=1
	s_or_b64 exec, exec, s[28:29]
	s_xor_b64 s[28:29], s[34:35], -1
	s_and_b64 s[4:5], exec, s[4:5]
	s_or_b64 s[24:25], s[4:5], s[24:25]
	s_andn2_b64 s[4:5], s[26:27], exec
	s_and_b64 s[26:27], s[28:29], exec
	s_or_b64 s[26:27], s[4:5], s[26:27]
	v_mov_b32_e32 v16, v19
	v_pk_mov_b32 v[8:9], v[4:5], v[4:5] op_sel:[0,1]
	s_andn2_b64 exec, exec, s[24:25]
	s_cbranch_execz .LBB138_527
.LBB138_515:                            ; =>This Inner Loop Header: Depth=1
	v_add_co_u32_e32 v4, vcc, s33, v8
	v_addc_co_u32_e32 v5, vcc, v9, v18, vcc
	v_cmp_gt_u64_e32 vcc, s[60:61], v[4:5]
	v_mov_b32_e32 v19, 0
	s_and_saveexec_b64 s[4:5], vcc
	s_cbranch_execz .LBB138_517
; %bb.516:                              ;   in Loop: Header=BB138_515 Depth=1
	v_pk_mov_b32 v[14:15], s[56:57], s[56:57] op_sel:[0,1]
	v_mad_u64_u32 v[14:15], s[28:29], v4, s58, v[14:15]
	v_mul_lo_u32 v2, v4, s59
	v_mul_lo_u32 v19, v5, s58
	v_add3_u32 v15, v19, v15, v2
	global_load_ubyte v19, v[14:15], off
.LBB138_517:                            ;   in Loop: Header=BB138_515 Depth=1
	s_or_b64 exec, exec, s[4:5]
	s_waitcnt vmcnt(0)
	v_add_u32_sdwa v2, sext(v16), s38 dst_sel:DWORD dst_unused:UNUSED_PAD src0_sel:BYTE_0 src1_sel:DWORD
	v_cmp_gt_u32_e64 s[4:5], v2, v17
	v_cndmask_b32_e64 v14, 0, 1, s[4:5]
	v_cmp_lt_u32_e64 s[4:5], v2, v17
	v_cndmask_b32_e64 v2, 0, 1, s[4:5]
	v_cndmask_b32_e64 v2, v2, v14, s[40:41]
	v_and_b32_e32 v2, 1, v2
	v_cmp_gt_u64_e32 vcc, s[60:61], v[8:9]
	v_cmp_eq_u32_e64 s[4:5], 1, v2
	s_and_b64 s[28:29], vcc, s[4:5]
	v_cndmask_b32_e64 v2, 0, 1, s[28:29]
	v_cmp_ne_u32_e32 vcc, 0, v2
	s_cmp_lg_u64 vcc, 0
	s_cselect_b64 s[4:5], -1, 0
	s_and_b64 s[4:5], s[0:1], s[4:5]
	s_and_saveexec_b64 s[30:31], s[4:5]
	s_cbranch_execz .LBB138_521
; %bb.518:                              ;   in Loop: Header=BB138_515 Depth=1
	s_mov_b64 s[36:37], exec
	v_mbcnt_lo_u32_b32 v2, s36, 0
	v_mbcnt_hi_u32_b32 v14, s37, v2
	s_bcnt1_i32_b64 s39, vcc
	v_cmp_eq_u32_e64 s[4:5], 0, v14
                                        ; implicit-def: $vgpr6_vgpr7
	s_and_saveexec_b64 s[34:35], s[4:5]
	s_cbranch_execz .LBB138_520
; %bb.519:                              ;   in Loop: Header=BB138_515 Depth=1
	s_bcnt1_i32_b64 s4, s[36:37]
	s_mul_i32 s4, s39, s4
	v_mov_b32_e32 v2, s4
	s_waitcnt lgkmcnt(0)
	ds_add_rtn_u64 v[6:7], v3, v[2:3] offset:5136
.LBB138_520:                            ;   in Loop: Header=BB138_515 Depth=1
	s_or_b64 exec, exec, s[34:35]
	s_waitcnt lgkmcnt(0)
	v_readfirstlane_b32 s4, v7
	v_readfirstlane_b32 s5, v6
	v_mov_b32_e32 v6, s5
	v_mov_b32_e32 v7, s4
	v_mad_u64_u32 v[6:7], s[4:5], s39, v14, v[6:7]
.LBB138_521:                            ;   in Loop: Header=BB138_515 Depth=1
	s_or_b64 exec, exec, s[30:31]
	s_waitcnt lgkmcnt(0)
	ds_bpermute_b32 v6, v26, v6
	ds_bpermute_b32 v7, v26, v7
	s_mov_b64 s[4:5], -1
	s_mov_b64 s[36:37], -1
                                        ; implicit-def: $sgpr34_sgpr35
	s_and_saveexec_b64 s[30:31], s[28:29]
	s_cbranch_execz .LBB138_525
; %bb.522:                              ;   in Loop: Header=BB138_515 Depth=1
	v_and_b32_e32 v14, vcc_lo, v10
	v_and_b32_e32 v2, vcc_hi, v11
	v_bcnt_u32_b32 v14, v14, 0
	v_bcnt_u32_b32 v2, v2, v14
	s_waitcnt lgkmcnt(0)
	v_add_co_u32_e32 v14, vcc, v6, v2
	v_addc_co_u32_e32 v15, vcc, 0, v7, vcc
	v_cmp_gt_u64_e32 vcc, s[62:63], v[14:15]
	s_mov_b64 s[28:29], 0
	s_and_saveexec_b64 s[34:35], vcc
	s_cbranch_execz .LBB138_524
; %bb.523:                              ;   in Loop: Header=BB138_515 Depth=1
	v_mul_lo_u32 v2, v15, s20
	v_mul_lo_u32 v23, v14, s21
	v_mad_u64_u32 v[20:21], s[36:37], v14, s20, 0
	v_pk_mov_b32 v[24:25], s[16:17], s[16:17] op_sel:[0,1]
	v_add3_u32 v21, v21, v23, v2
	v_mad_u64_u32 v[24:25], s[36:37], v14, s18, v[24:25]
	v_mul_lo_u32 v2, v14, s19
	v_mul_lo_u32 v14, v15, s18
	v_add3_u32 v25, v14, v25, v2
	v_lshlrev_b64 v[14:15], 3, v[20:21]
	v_mov_b32_e32 v2, s49
	v_add_co_u32_e32 v14, vcc, s48, v14
	s_mov_b64 s[28:29], exec
	v_addc_co_u32_e32 v15, vcc, v2, v15, vcc
	global_store_byte v[24:25], v16, off
	global_store_dwordx2 v[14:15], v[8:9], off
.LBB138_524:                            ;   in Loop: Header=BB138_515 Depth=1
	s_or_b64 exec, exec, s[34:35]
	s_mov_b64 s[34:35], -1
	s_orn2_b64 s[36:37], s[28:29], exec
.LBB138_525:                            ;   in Loop: Header=BB138_515 Depth=1
	s_or_b64 exec, exec, s[30:31]
	s_and_saveexec_b64 s[28:29], s[36:37]
	s_cbranch_execz .LBB138_514
; %bb.526:                              ;   in Loop: Header=BB138_515 Depth=1
	v_cmp_le_u64_e32 vcc, s[14:15], v[4:5]
	s_andn2_b64 s[34:35], s[34:35], exec
	s_orn2_b64 s[4:5], vcc, exec
	s_branch .LBB138_514
.LBB138_527:
	s_or_b64 exec, exec, s[24:25]
	s_mov_b64 s[4:5], exec
	s_orn2_b64 s[24:25], s[26:27], exec
	s_or_b64 exec, exec, s[22:23]
	s_and_saveexec_b64 s[22:23], s[24:25]
	s_cbranch_execz .LBB138_504
.LBB138_528:
	v_mov_b32_e32 v3, 0
	v_mov_b32_e32 v8, 0
	s_waitcnt lgkmcnt(0)
	s_barrier
	s_mov_b64 s[2:3], exec
	v_readlane_b32 s24, v43, 46
	v_readlane_b32 s25, v43, 47
	s_and_b64 s[24:25], s[2:3], s[24:25]
	s_mov_b64 exec, s[24:25]
	s_cbranch_execz .LBB138_530
; %bb.529:
	global_load_ubyte v8, v[12:13], off
.LBB138_530:
	s_or_b64 exec, exec, s[2:3]
	s_mov_b64 s[26:27], 0
                                        ; implicit-def: $sgpr24_sgpr25
                                        ; implicit-def: $sgpr28_sgpr29
                                        ; implicit-def: $sgpr30_sgpr31
                                        ; implicit-def: $vgpr4_vgpr5
	s_branch .LBB138_533
.LBB138_531:                            ;   in Loop: Header=BB138_533 Depth=1
	s_or_b64 exec, exec, s[38:39]
	s_andn2_b64 s[30:31], s[30:31], exec
	s_and_b64 s[36:37], s[42:43], exec
	s_andn2_b64 s[28:29], s[28:29], exec
	s_and_b64 s[2:3], s[2:3], exec
	s_or_b64 s[30:31], s[30:31], s[36:37]
	s_or_b64 s[28:29], s[28:29], s[2:3]
	v_pk_mov_b32 v[0:1], v[6:7], v[6:7] op_sel:[0,1]
.LBB138_532:                            ;   in Loop: Header=BB138_533 Depth=1
	s_or_b64 exec, exec, s[34:35]
	s_xor_b64 s[2:3], s[30:31], -1
	s_and_b64 s[34:35], exec, s[28:29]
	s_or_b64 s[26:27], s[34:35], s[26:27]
	s_andn2_b64 s[24:25], s[24:25], exec
	s_and_b64 s[2:3], s[2:3], exec
	s_or_b64 s[24:25], s[24:25], s[2:3]
	s_andn2_b64 exec, exec, s[26:27]
	s_cbranch_execz .LBB138_548
.LBB138_533:                            ; =>This Inner Loop Header: Depth=1
	v_cmp_gt_u64_e32 vcc, s[14:15], v[0:1]
	s_or_b64 s[30:31], s[30:31], exec
	s_or_b64 s[28:29], s[28:29], exec
	s_and_saveexec_b64 s[34:35], vcc
	s_cbranch_execz .LBB138_532
; %bb.534:                              ;   in Loop: Header=BB138_533 Depth=1
	v_mov_b32_e32 v2, s92
	v_add_co_u32_e32 v6, vcc, s33, v0
	v_addc_co_u32_e32 v7, vcc, v1, v2, vcc
	v_cmp_gt_u64_e32 vcc, s[60:61], v[6:7]
	v_mov_b32_e32 v12, 0
	s_and_saveexec_b64 s[2:3], vcc
	s_cbranch_execz .LBB138_536
; %bb.535:                              ;   in Loop: Header=BB138_533 Depth=1
	v_pk_mov_b32 v[12:13], s[56:57], s[56:57] op_sel:[0,1]
	v_mad_u64_u32 v[12:13], s[36:37], v6, s58, v[12:13]
	v_mul_lo_u32 v2, v6, s59
	v_mul_lo_u32 v9, v7, s58
	v_add3_u32 v13, v9, v13, v2
	global_load_ubyte v12, v[12:13], off
.LBB138_536:                            ;   in Loop: Header=BB138_533 Depth=1
	s_or_b64 exec, exec, s[2:3]
	s_waitcnt vmcnt(0)
	v_and_b32_e32 v2, 0xff, v8
	v_cmp_gt_u64_e32 vcc, s[60:61], v[0:1]
	v_cmp_eq_u16_sdwa s[2:3], v2, v22 src0_sel:DWORD src1_sel:BYTE_0
	s_and_b64 s[38:39], vcc, s[2:3]
	v_cndmask_b32_e64 v2, 0, 1, s[38:39]
	v_cmp_ne_u32_e32 vcc, 0, v2
	s_cmp_lg_u64 vcc, 0
	s_cselect_b64 s[2:3], -1, 0
	s_and_b64 s[2:3], s[0:1], s[2:3]
	s_and_saveexec_b64 s[36:37], s[2:3]
	s_cbranch_execz .LBB138_540
; %bb.537:                              ;   in Loop: Header=BB138_533 Depth=1
	s_mov_b64 s[42:43], exec
	v_mbcnt_lo_u32_b32 v2, s42, 0
	v_mbcnt_hi_u32_b32 v9, s43, v2
	s_bcnt1_i32_b64 s44, vcc
	v_cmp_eq_u32_e64 s[2:3], 0, v9
                                        ; implicit-def: $vgpr4_vgpr5
	s_and_saveexec_b64 s[40:41], s[2:3]
	s_cbranch_execz .LBB138_539
; %bb.538:                              ;   in Loop: Header=BB138_533 Depth=1
	s_bcnt1_i32_b64 s2, s[42:43]
	s_mul_i32 s2, s44, s2
	v_mov_b32_e32 v2, s2
	ds_add_rtn_u64 v[4:5], v3, v[2:3] offset:5136
.LBB138_539:                            ;   in Loop: Header=BB138_533 Depth=1
	s_or_b64 exec, exec, s[40:41]
	s_waitcnt lgkmcnt(0)
	v_readfirstlane_b32 s2, v5
	v_readfirstlane_b32 s3, v4
	v_mov_b32_e32 v4, s3
	v_mov_b32_e32 v5, s2
	v_mad_u64_u32 v[4:5], s[2:3], s44, v9, v[4:5]
.LBB138_540:                            ;   in Loop: Header=BB138_533 Depth=1
	s_or_b64 exec, exec, s[36:37]
	ds_bpermute_b32 v4, v26, v4
	ds_bpermute_b32 v5, v26, v5
	s_cmp_eq_u64 vcc, 0
	s_cselect_b64 s[36:37], -1, 0
	s_mov_b64 s[40:41], -1
	s_mov_b64 s[42:43], -1
	s_waitcnt lgkmcnt(0)
	v_cmp_gt_u64_e64 s[2:3], s[62:63], v[4:5]
	s_or_b64 s[36:37], s[36:37], s[2:3]
	v_cndmask_b32_e64 v8, v8, v12, s[36:37]
	s_and_b64 s[44:45], s[38:39], s[36:37]
	s_mov_b64 s[2:3], -1
	s_and_saveexec_b64 s[38:39], s[44:45]
	s_cbranch_execz .LBB138_546
; %bb.541:                              ;   in Loop: Header=BB138_533 Depth=1
	v_and_b32_e32 v8, vcc_lo, v10
	v_and_b32_e32 v2, vcc_hi, v11
	v_bcnt_u32_b32 v8, v8, 0
	v_bcnt_u32_b32 v2, v2, v8
	v_mov_b32_e32 v9, s63
	v_sub_co_u32_e32 v8, vcc, s62, v4
	v_subb_co_u32_e32 v9, vcc, v9, v5, vcc
	v_cmp_le_u64_e64 s[40:41], v[8:9], v[2:3]
	v_cmp_gt_u64_e32 vcc, v[8:9], v[2:3]
	s_mov_b64 s[44:45], -1
	s_and_saveexec_b64 s[42:43], vcc
	s_cbranch_execz .LBB138_545
; %bb.542:                              ;   in Loop: Header=BB138_533 Depth=1
	v_add_co_u32_e32 v8, vcc, v4, v2
	v_addc_co_u32_e32 v9, vcc, 0, v5, vcc
	v_cmp_gt_u64_e32 vcc, s[62:63], v[8:9]
	s_mov_b64 s[46:47], s[40:41]
	s_and_saveexec_b64 s[44:45], vcc
	s_cbranch_execz .LBB138_544
; %bb.543:                              ;   in Loop: Header=BB138_533 Depth=1
	v_mul_lo_u32 v2, v9, s20
	v_mul_lo_u32 v13, v8, s21
	v_mad_u64_u32 v[14:15], s[46:47], v8, s20, 0
	v_pk_mov_b32 v[16:17], s[16:17], s[16:17] op_sel:[0,1]
	v_add3_u32 v15, v15, v13, v2
	v_mad_u64_u32 v[16:17], s[46:47], v8, s18, v[16:17]
	v_mul_lo_u32 v2, v8, s19
	v_mul_lo_u32 v8, v9, s18
	v_add3_u32 v17, v8, v17, v2
	v_lshlrev_b64 v[8:9], 3, v[14:15]
	v_mov_b32_e32 v2, s49
	v_add_co_u32_e32 v8, vcc, s48, v8
	v_addc_co_u32_e32 v9, vcc, v2, v9, vcc
	s_or_b64 s[46:47], s[40:41], exec
	global_store_byte v[16:17], v22, off
	global_store_dwordx2 v[8:9], v[0:1], off
.LBB138_544:                            ;   in Loop: Header=BB138_533 Depth=1
	s_or_b64 exec, exec, s[44:45]
	s_andn2_b64 s[40:41], s[40:41], exec
	s_and_b64 s[46:47], s[46:47], exec
	s_xor_b64 s[44:45], exec, -1
	s_or_b64 s[40:41], s[40:41], s[46:47]
.LBB138_545:                            ;   in Loop: Header=BB138_533 Depth=1
	s_or_b64 exec, exec, s[42:43]
	s_orn2_b64 s[42:43], s[44:45], exec
	s_or_b64 s[36:37], s[36:37], exec
	s_orn2_b64 s[40:41], s[40:41], exec
	v_mov_b32_e32 v8, v12
.LBB138_546:                            ;   in Loop: Header=BB138_533 Depth=1
	s_or_b64 exec, exec, s[38:39]
	s_and_saveexec_b64 s[38:39], s[40:41]
	s_cbranch_execz .LBB138_531
; %bb.547:                              ;   in Loop: Header=BB138_533 Depth=1
	s_xor_b64 s[2:3], s[36:37], -1
	s_or_b64 s[42:43], s[42:43], exec
	s_orn2_b64 s[2:3], s[2:3], exec
	s_branch .LBB138_531
.LBB138_548:
	s_or_b64 exec, exec, s[26:27]
	s_mov_b64 s[0:1], 0
	s_and_saveexec_b64 s[2:3], s[24:25]
	s_xor_b64 s[2:3], exec, s[2:3]
	s_cbranch_execnz .LBB138_554
.LBB138_549:
	s_or_b64 exec, exec, s[2:3]
	s_and_b64 s[2:3], s[0:1], exec
	s_andn2_b64 s[4:5], s[4:5], exec
	s_or_b64 exec, exec, s[22:23]
	s_and_saveexec_b64 s[0:1], s[4:5]
	s_xor_b64 s[0:1], exec, s[0:1]
	s_cbranch_execz .LBB138_505
.LBB138_550:
	s_or_b64 s[2:3], s[2:3], exec
	s_trap 2
	s_branch .LBB138_505
.LBB138_551:
	s_or_b64 s[10:11], s[10:11], exec
	s_trap 2
	s_branch .LBB138_511
.LBB138_552:
	s_or_b64 s[12:13], s[12:13], exec
	s_trap 2
	s_branch .LBB138_509
.LBB138_553:
	s_trap 2
	s_or_b64 s[14:15], s[14:15], exec
	s_branch .LBB138_507
.LBB138_554:
	s_mov_b64 s[0:1], exec
	s_trap 2
	s_branch .LBB138_549
	.section	.rodata,"a",@progbits
	.p2align	6, 0x0
	.amdhsa_kernel _ZN2at6native6sbtopk10gatherTopKIamLi3ELb0EEEvNS_4cuda6detail10TensorInfoIKT_T0_EES8_S8_bS8_S8_NS5_IS6_S8_EES8_NS5_IlS8_EES8_PS6_
		.amdhsa_group_segment_fixed_size 5152
		.amdhsa_private_segment_fixed_size 0
		.amdhsa_kernarg_size 1568
		.amdhsa_user_sgpr_count 6
		.amdhsa_user_sgpr_private_segment_buffer 1
		.amdhsa_user_sgpr_dispatch_ptr 0
		.amdhsa_user_sgpr_queue_ptr 0
		.amdhsa_user_sgpr_kernarg_segment_ptr 1
		.amdhsa_user_sgpr_dispatch_id 0
		.amdhsa_user_sgpr_flat_scratch_init 0
		.amdhsa_user_sgpr_kernarg_preload_length 0
		.amdhsa_user_sgpr_kernarg_preload_offset 0
		.amdhsa_user_sgpr_private_segment_size 0
		.amdhsa_uses_dynamic_stack 0
		.amdhsa_system_sgpr_private_segment_wavefront_offset 0
		.amdhsa_system_sgpr_workgroup_id_x 1
		.amdhsa_system_sgpr_workgroup_id_y 1
		.amdhsa_system_sgpr_workgroup_id_z 1
		.amdhsa_system_sgpr_workgroup_info 0
		.amdhsa_system_vgpr_workitem_id 0
		.amdhsa_next_free_vgpr 44
		.amdhsa_next_free_sgpr 96
		.amdhsa_accum_offset 44
		.amdhsa_reserve_vcc 1
		.amdhsa_reserve_flat_scratch 0
		.amdhsa_float_round_mode_32 0
		.amdhsa_float_round_mode_16_64 0
		.amdhsa_float_denorm_mode_32 3
		.amdhsa_float_denorm_mode_16_64 3
		.amdhsa_dx10_clamp 1
		.amdhsa_ieee_mode 1
		.amdhsa_fp16_overflow 0
		.amdhsa_tg_split 0
		.amdhsa_exception_fp_ieee_invalid_op 0
		.amdhsa_exception_fp_denorm_src 0
		.amdhsa_exception_fp_ieee_div_zero 0
		.amdhsa_exception_fp_ieee_overflow 0
		.amdhsa_exception_fp_ieee_underflow 0
		.amdhsa_exception_fp_ieee_inexact 0
		.amdhsa_exception_int_div_zero 0
	.end_amdhsa_kernel
	.section	.text._ZN2at6native6sbtopk10gatherTopKIamLi3ELb0EEEvNS_4cuda6detail10TensorInfoIKT_T0_EES8_S8_bS8_S8_NS5_IS6_S8_EES8_NS5_IlS8_EES8_PS6_,"axG",@progbits,_ZN2at6native6sbtopk10gatherTopKIamLi3ELb0EEEvNS_4cuda6detail10TensorInfoIKT_T0_EES8_S8_bS8_S8_NS5_IS6_S8_EES8_NS5_IlS8_EES8_PS6_,comdat
.Lfunc_end138:
	.size	_ZN2at6native6sbtopk10gatherTopKIamLi3ELb0EEEvNS_4cuda6detail10TensorInfoIKT_T0_EES8_S8_bS8_S8_NS5_IS6_S8_EES8_NS5_IlS8_EES8_PS6_, .Lfunc_end138-_ZN2at6native6sbtopk10gatherTopKIamLi3ELb0EEEvNS_4cuda6detail10TensorInfoIKT_T0_EES8_S8_bS8_S8_NS5_IS6_S8_EES8_NS5_IlS8_EES8_PS6_
                                        ; -- End function
	.section	.AMDGPU.csdata,"",@progbits
; Kernel info:
; codeLenInByte = 27216
; NumSgprs: 100
; NumVgprs: 44
; NumAgprs: 0
; TotalNumVgprs: 44
; ScratchSize: 0
; MemoryBound: 0
; FloatMode: 240
; IeeeMode: 1
; LDSByteSize: 5152 bytes/workgroup (compile time only)
; SGPRBlocks: 12
; VGPRBlocks: 5
; NumSGPRsForWavesPerEU: 100
; NumVGPRsForWavesPerEU: 44
; AccumOffset: 44
; Occupancy: 8
; WaveLimiterHint : 1
; COMPUTE_PGM_RSRC2:SCRATCH_EN: 0
; COMPUTE_PGM_RSRC2:USER_SGPR: 6
; COMPUTE_PGM_RSRC2:TRAP_HANDLER: 0
; COMPUTE_PGM_RSRC2:TGID_X_EN: 1
; COMPUTE_PGM_RSRC2:TGID_Y_EN: 1
; COMPUTE_PGM_RSRC2:TGID_Z_EN: 1
; COMPUTE_PGM_RSRC2:TIDIG_COMP_CNT: 0
; COMPUTE_PGM_RSRC3_GFX90A:ACCUM_OFFSET: 10
; COMPUTE_PGM_RSRC3_GFX90A:TG_SPLIT: 0
	.section	.text._ZN2at6native6mbtopk23computeBlockDigitCountsIamjLin1EEEvNS_4cuda6detail10TensorInfoIKT_T0_EEjPjjS8_iijT1_PSB_Ps,"axG",@progbits,_ZN2at6native6mbtopk23computeBlockDigitCountsIamjLin1EEEvNS_4cuda6detail10TensorInfoIKT_T0_EEjPjjS8_iijT1_PSB_Ps,comdat
	.protected	_ZN2at6native6mbtopk23computeBlockDigitCountsIamjLin1EEEvNS_4cuda6detail10TensorInfoIKT_T0_EEjPjjS8_iijT1_PSB_Ps ; -- Begin function _ZN2at6native6mbtopk23computeBlockDigitCountsIamjLin1EEEvNS_4cuda6detail10TensorInfoIKT_T0_EEjPjjS8_iijT1_PSB_Ps
	.globl	_ZN2at6native6mbtopk23computeBlockDigitCountsIamjLin1EEEvNS_4cuda6detail10TensorInfoIKT_T0_EEjPjjS8_iijT1_PSB_Ps
	.p2align	8
	.type	_ZN2at6native6mbtopk23computeBlockDigitCountsIamjLin1EEEvNS_4cuda6detail10TensorInfoIKT_T0_EEjPjjS8_iijT1_PSB_Ps,@function
_ZN2at6native6mbtopk23computeBlockDigitCountsIamjLin1EEEvNS_4cuda6detail10TensorInfoIKT_T0_EEjPjjS8_iijT1_PSB_Ps: ; @_ZN2at6native6mbtopk23computeBlockDigitCountsIamjLin1EEEvNS_4cuda6detail10TensorInfoIKT_T0_EEjPjjS8_iijT1_PSB_Ps
; %bb.0:
	s_load_dwordx4 s[12:15], s[4:5], 0x1c0
	s_load_dword s2, s[4:5], 0x1b0
	s_load_dwordx2 s[0:1], s[4:5], 0x1e0
	s_mov_b32 s9, 0
	s_waitcnt lgkmcnt(0)
	v_cvt_f32_u32_e32 v1, s14
	s_sub_i32 s3, 0, s14
	s_mul_i32 s1, s1, s8
	s_add_i32 s1, s1, s7
	v_rcp_iflag_f32_e32 v1, v1
	s_mul_i32 s26, s1, s0
	s_add_i32 s26, s26, s6
	v_mul_f32_e32 v1, 0x4f7ffffe, v1
	v_cvt_u32_f32_e32 v1, v1
	v_readfirstlane_b32 s0, v1
	s_mul_i32 s3, s3, s0
	s_mul_hi_u32 s1, s0, s3
	s_add_i32 s0, s0, s1
	s_mul_hi_u32 s0, s26, s0
	s_mul_i32 s1, s0, s14
	s_sub_i32 s1, s26, s1
	s_add_i32 s3, s0, 1
	s_sub_i32 s6, s1, s14
	s_cmp_ge_u32 s1, s14
	s_cselect_b32 s0, s3, s0
	s_cselect_b32 s1, s6, s1
	s_add_i32 s3, s0, 1
	s_cmp_ge_u32 s1, s14
	s_cselect_b32 s8, s3, s0
	s_cmp_ge_u32 s8, s2
	s_cbranch_scc1 .LBB139_32
; %bb.1:
	s_load_dwordx4 s[0:3], s[4:5], 0x1d0
	s_load_dword s16, s[4:5], 0x198
	s_lshl_b64 s[6:7], s[8:9], 2
	s_mov_b64 s[20:21], s[8:9]
	s_waitcnt lgkmcnt(0)
	s_add_u32 s10, s0, s6
	s_addc_u32 s11, s1, s7
	s_cmp_lt_i32 s16, 2
	s_mov_b64 s[6:7], 0
	s_cbranch_scc1 .LBB139_9
; %bb.2:
	s_add_i32 s9, s16, 1
	s_add_i32 s0, s16, -1
	s_mov_b32 s16, 0
	s_mov_b32 s1, s16
	s_lshl_b64 s[0:1], s[0:1], 3
	s_add_u32 s0, s0, s4
	s_addc_u32 s1, s1, s5
	s_add_u32 s18, s0, 8
	s_addc_u32 s19, s1, 0
.LBB139_3:                              ; =>This Inner Loop Header: Depth=1
	s_load_dwordx2 s[22:23], s[18:19], 0x0
	s_waitcnt lgkmcnt(0)
	s_or_b64 s[0:1], s[20:21], s[22:23]
	s_mov_b32 s17, s1
	s_cmp_lg_u64 s[16:17], 0
	s_cbranch_scc0 .LBB139_8
; %bb.4:                                ;   in Loop: Header=BB139_3 Depth=1
	v_cvt_f32_u32_e32 v1, s22
	v_cvt_f32_u32_e32 v2, s23
	s_sub_u32 s0, 0, s22
	s_subb_u32 s1, 0, s23
	v_mac_f32_e32 v1, 0x4f800000, v2
	v_rcp_f32_e32 v1, v1
	v_mul_f32_e32 v1, 0x5f7ffffc, v1
	v_mul_f32_e32 v2, 0x2f800000, v1
	v_trunc_f32_e32 v2, v2
	v_mac_f32_e32 v1, 0xcf800000, v2
	v_cvt_u32_f32_e32 v2, v2
	v_cvt_u32_f32_e32 v1, v1
	v_readfirstlane_b32 s17, v2
	v_readfirstlane_b32 s24, v1
	s_mul_i32 s25, s0, s17
	s_mul_hi_u32 s28, s0, s24
	s_mul_i32 s27, s1, s24
	s_add_i32 s25, s28, s25
	s_mul_i32 s29, s0, s24
	s_add_i32 s25, s25, s27
	s_mul_hi_u32 s27, s24, s25
	s_mul_i32 s28, s24, s25
	s_mul_hi_u32 s24, s24, s29
	s_add_u32 s24, s24, s28
	s_addc_u32 s27, 0, s27
	s_mul_hi_u32 s30, s17, s29
	s_mul_i32 s29, s17, s29
	s_add_u32 s24, s24, s29
	s_mul_hi_u32 s28, s17, s25
	s_addc_u32 s24, s27, s30
	s_addc_u32 s27, s28, 0
	s_mul_i32 s25, s17, s25
	s_add_u32 s24, s24, s25
	s_addc_u32 s25, 0, s27
	v_add_co_u32_e32 v1, vcc, s24, v1
	s_cmp_lg_u64 vcc, 0
	s_addc_u32 s17, s17, s25
	v_readfirstlane_b32 s25, v1
	s_mul_i32 s24, s0, s17
	s_mul_hi_u32 s27, s0, s25
	s_add_i32 s24, s27, s24
	s_mul_i32 s1, s1, s25
	s_add_i32 s24, s24, s1
	s_mul_i32 s0, s0, s25
	s_mul_hi_u32 s27, s17, s0
	s_mul_i32 s28, s17, s0
	s_mul_i32 s30, s25, s24
	s_mul_hi_u32 s0, s25, s0
	s_mul_hi_u32 s29, s25, s24
	s_add_u32 s0, s0, s30
	s_addc_u32 s25, 0, s29
	s_add_u32 s0, s0, s28
	s_mul_hi_u32 s1, s17, s24
	s_addc_u32 s0, s25, s27
	s_addc_u32 s1, s1, 0
	s_mul_i32 s24, s17, s24
	s_add_u32 s0, s0, s24
	s_addc_u32 s1, 0, s1
	v_add_co_u32_e32 v1, vcc, s0, v1
	s_cmp_lg_u64 vcc, 0
	s_addc_u32 s0, s17, s1
	v_readfirstlane_b32 s24, v1
	s_mul_i32 s17, s20, s0
	s_mul_hi_u32 s25, s20, s24
	s_mul_hi_u32 s1, s20, s0
	s_add_u32 s17, s25, s17
	s_addc_u32 s1, 0, s1
	s_mul_hi_u32 s27, s21, s24
	s_mul_i32 s24, s21, s24
	s_add_u32 s17, s17, s24
	s_mul_hi_u32 s25, s21, s0
	s_addc_u32 s1, s1, s27
	s_addc_u32 s17, s25, 0
	s_mul_i32 s0, s21, s0
	s_add_u32 s24, s1, s0
	s_addc_u32 s17, 0, s17
	s_mul_i32 s0, s22, s17
	s_mul_hi_u32 s1, s22, s24
	s_add_i32 s0, s1, s0
	s_mul_i32 s1, s23, s24
	s_add_i32 s25, s0, s1
	s_mul_i32 s1, s22, s24
	v_mov_b32_e32 v1, s1
	s_sub_i32 s0, s21, s25
	v_sub_co_u32_e32 v1, vcc, s20, v1
	s_cmp_lg_u64 vcc, 0
	s_subb_u32 s27, s0, s23
	v_subrev_co_u32_e64 v2, s[0:1], s22, v1
	s_cmp_lg_u64 s[0:1], 0
	s_subb_u32 s0, s27, 0
	s_cmp_ge_u32 s0, s23
	v_readfirstlane_b32 s27, v2
	s_cselect_b32 s1, -1, 0
	s_cmp_ge_u32 s27, s22
	s_cselect_b32 s27, -1, 0
	s_cmp_eq_u32 s0, s23
	s_cselect_b32 s0, s27, s1
	s_add_u32 s1, s24, 1
	s_addc_u32 s27, s17, 0
	s_add_u32 s28, s24, 2
	s_addc_u32 s29, s17, 0
	s_cmp_lg_u32 s0, 0
	s_cselect_b32 s0, s28, s1
	s_cselect_b32 s1, s29, s27
	s_cmp_lg_u64 vcc, 0
	s_subb_u32 s25, s21, s25
	s_cmp_ge_u32 s25, s23
	v_readfirstlane_b32 s28, v1
	s_cselect_b32 s27, -1, 0
	s_cmp_ge_u32 s28, s22
	s_cselect_b32 s28, -1, 0
	s_cmp_eq_u32 s25, s23
	s_cselect_b32 s25, s28, s27
	s_cmp_lg_u32 s25, 0
	s_cselect_b32 s1, s1, s17
	s_cselect_b32 s0, s0, s24
	s_cbranch_execnz .LBB139_6
.LBB139_5:                              ;   in Loop: Header=BB139_3 Depth=1
	v_cvt_f32_u32_e32 v1, s22
	s_sub_i32 s0, 0, s22
	v_rcp_iflag_f32_e32 v1, v1
	v_mul_f32_e32 v1, 0x4f7ffffe, v1
	v_cvt_u32_f32_e32 v1, v1
	v_readfirstlane_b32 s1, v1
	s_mul_i32 s0, s0, s1
	s_mul_hi_u32 s0, s1, s0
	s_add_i32 s1, s1, s0
	s_mul_hi_u32 s0, s20, s1
	s_mul_i32 s17, s0, s22
	s_sub_i32 s17, s20, s17
	s_add_i32 s1, s0, 1
	s_sub_i32 s24, s17, s22
	s_cmp_ge_u32 s17, s22
	s_cselect_b32 s0, s1, s0
	s_cselect_b32 s17, s24, s17
	s_add_i32 s1, s0, 1
	s_cmp_ge_u32 s17, s22
	s_cselect_b32 s0, s1, s0
	s_mov_b32 s1, s16
.LBB139_6:                              ;   in Loop: Header=BB139_3 Depth=1
	s_mul_i32 s17, s0, s23
	s_mul_hi_u32 s23, s0, s22
	s_load_dwordx2 s[24:25], s[18:19], 0xc8
	s_add_i32 s17, s23, s17
	s_mul_i32 s23, s1, s22
	s_add_i32 s17, s17, s23
	s_mul_i32 s22, s0, s22
	s_sub_u32 s20, s20, s22
	s_subb_u32 s17, s21, s17
	s_waitcnt lgkmcnt(0)
	s_mul_i32 s17, s24, s17
	s_mul_hi_u32 s21, s24, s20
	s_add_i32 s17, s21, s17
	s_mul_i32 s21, s25, s20
	s_add_i32 s17, s17, s21
	s_mul_i32 s20, s24, s20
	s_add_u32 s6, s20, s6
	s_addc_u32 s7, s17, s7
	s_add_i32 s9, s9, -1
	s_add_u32 s18, s18, -8
	s_addc_u32 s19, s19, -1
	s_cmp_gt_u32 s9, 2
	s_cbranch_scc0 .LBB139_10
; %bb.7:                                ;   in Loop: Header=BB139_3 Depth=1
	s_mov_b64 s[20:21], s[0:1]
	s_branch .LBB139_3
.LBB139_8:                              ;   in Loop: Header=BB139_3 Depth=1
                                        ; implicit-def: $sgpr0_sgpr1
	s_branch .LBB139_5
.LBB139_9:
	s_mov_b64 s[0:1], s[20:21]
.LBB139_10:
	s_load_dword s16, s[10:11], 0x0
	s_movk_i32 s9, 0x100
	v_cmp_gt_u32_e32 vcc, s9, v0
	v_lshlrev_b32_e32 v1, 2, v0
	s_and_saveexec_b64 s[10:11], vcc
	s_cbranch_execz .LBB139_12
; %bb.11:
	v_mov_b32_e32 v2, 0
	ds_write_b32 v1, v2
.LBB139_12:
	s_or_b64 exec, exec, s[10:11]
	s_load_dword s10, s[4:5], 0x1a0
	s_mul_i32 s8, s8, s14
	s_sub_i32 s8, s26, s8
	s_add_i32 s9, s8, 1
	s_mul_i32 s8, s13, s8
	s_lshl_b32 s17, s8, 8
	s_waitcnt lgkmcnt(0)
	s_sub_i32 s8, s10, s17
	s_add_u32 s8, s8, 0xff
	s_addc_u32 s11, 0, 0
	v_mov_b32_e32 v2, s8
	v_alignbit_b32 v2, s11, v2, 8
	s_cmp_lt_u32 s9, s14
	v_readfirstlane_b32 s8, v2
	s_cselect_b32 s11, s13, s8
	s_cmp_lt_i32 s11, 1
	s_mov_b32 s13, 0
	s_barrier
	s_cbranch_scc1 .LBB139_28
; %bb.13:
	s_load_dwordx2 s[18:19], s[4:5], 0xd0
	s_load_dwordx2 s[8:9], s[4:5], 0x1b8
	s_load_dwordx2 s[20:21], s[4:5], 0x0
	v_add_u32_e32 v2, s17, v0
	s_waitcnt lgkmcnt(0)
	s_mul_i32 s1, s18, s1
	s_mul_hi_u32 s4, s18, s0
	s_mul_i32 s5, s19, s0
	s_add_i32 s1, s4, s1
	s_add_i32 s1, s1, s5
	s_mul_i32 s0, s18, s0
	s_add_u32 s0, s20, s0
	s_addc_u32 s1, s21, s1
	s_add_u32 s4, s0, s6
	s_addc_u32 s5, s1, s7
	s_and_b32 s12, s12, 0xff
	s_cmp_eq_u32 s11, 1
	s_cbranch_scc1 .LBB139_23
; %bb.14:
	s_and_b32 s13, s11, 0x7ffffffe
	s_mov_b32 s14, 0
	v_mov_b32_e32 v3, 1
	v_mov_b32_e32 v4, v2
	s_branch .LBB139_16
.LBB139_15:                             ;   in Loop: Header=BB139_16 Depth=1
	s_or_b64 exec, exec, s[6:7]
	s_add_i32 s14, s14, 2
	s_cmp_eq_u32 s13, s14
	v_add_u32_e32 v4, 0x200, v4
	s_cbranch_scc1 .LBB139_22
.LBB139_16:                             ; =>This Inner Loop Header: Depth=1
	v_cmp_gt_u32_e64 s[0:1], s10, v4
	s_and_saveexec_b64 s[6:7], s[0:1]
	s_cbranch_execz .LBB139_19
; %bb.17:                               ;   in Loop: Header=BB139_16 Depth=1
	v_pk_mov_b32 v[6:7], s[4:5], s[4:5] op_sel:[0,1]
	v_mad_u64_u32 v[6:7], s[0:1], v4, s8, v[6:7]
	v_mov_b32_e32 v8, v7
	v_mad_u64_u32 v[8:9], s[0:1], v4, s9, v[8:9]
	v_mov_b32_e32 v7, v8
	global_load_sbyte v5, v[6:7], off
	s_waitcnt vmcnt(0)
	v_add_u32_e32 v5, 0x80, v5
	v_xor_b32_e32 v6, s16, v5
	v_and_b32_e32 v6, s15, v6
	v_cmp_eq_u32_e64 s[0:1], 0, v6
	s_and_b64 exec, exec, s[0:1]
	s_cbranch_execz .LBB139_19
; %bb.18:                               ;   in Loop: Header=BB139_16 Depth=1
	v_lshrrev_b32_e32 v5, s12, v5
	v_lshlrev_b32_e32 v5, 2, v5
	ds_add_u32 v5, v3
.LBB139_19:                             ;   in Loop: Header=BB139_16 Depth=1
	s_or_b64 exec, exec, s[6:7]
	v_add_u32_e32 v5, 0x100, v4
	v_cmp_gt_u32_e64 s[0:1], s10, v5
	s_and_saveexec_b64 s[6:7], s[0:1]
	s_cbranch_execz .LBB139_15
; %bb.20:                               ;   in Loop: Header=BB139_16 Depth=1
	v_pk_mov_b32 v[6:7], s[4:5], s[4:5] op_sel:[0,1]
	v_mad_u64_u32 v[6:7], s[0:1], v5, s8, v[6:7]
	v_mov_b32_e32 v8, v7
	v_mad_u64_u32 v[8:9], s[0:1], v5, s9, v[8:9]
	v_mov_b32_e32 v7, v8
	global_load_sbyte v5, v[6:7], off
	s_waitcnt vmcnt(0)
	v_add_u32_e32 v5, 0x80, v5
	v_xor_b32_e32 v6, s16, v5
	v_and_b32_e32 v6, s15, v6
	v_cmp_eq_u32_e64 s[0:1], 0, v6
	s_and_b64 exec, exec, s[0:1]
	s_cbranch_execz .LBB139_15
; %bb.21:                               ;   in Loop: Header=BB139_16 Depth=1
	v_lshrrev_b32_e32 v5, s12, v5
	v_lshlrev_b32_e32 v5, 2, v5
	ds_add_u32 v5, v3
	s_branch .LBB139_15
.LBB139_22:
	s_lshl_b32 s13, s13, 8
.LBB139_23:
	s_bitcmp0_b32 s11, 0
	s_cbranch_scc1 .LBB139_28
; %bb.24:
	v_add_u32_e32 v2, s13, v2
	v_cmp_gt_u32_e64 s[0:1], s10, v2
	s_and_saveexec_b64 s[6:7], s[0:1]
	s_cbranch_execz .LBB139_27
; %bb.25:
	v_pk_mov_b32 v[4:5], s[4:5], s[4:5] op_sel:[0,1]
	v_mad_u64_u32 v[4:5], s[0:1], v2, s8, v[4:5]
	v_mov_b32_e32 v6, v5
	v_mad_u64_u32 v[2:3], s[0:1], v2, s9, v[6:7]
	v_mov_b32_e32 v5, v2
	global_load_sbyte v2, v[4:5], off
	s_waitcnt vmcnt(0)
	v_add_u32_e32 v2, 0x80, v2
	v_xor_b32_e32 v3, s16, v2
	v_and_b32_e32 v3, s15, v3
	v_cmp_eq_u32_e64 s[0:1], 0, v3
	s_and_b64 exec, exec, s[0:1]
	s_cbranch_execz .LBB139_27
; %bb.26:
	v_lshrrev_b32_e32 v2, s12, v2
	v_lshlrev_b32_e32 v2, 2, v2
	v_mov_b32_e32 v3, 1
	ds_add_u32 v2, v3
.LBB139_27:
	s_or_b64 exec, exec, s[6:7]
.LBB139_28:
	v_mov_b32_e32 v2, 0
	s_waitcnt lgkmcnt(0)
	s_barrier
	s_and_saveexec_b64 s[0:1], vcc
	s_cbranch_execz .LBB139_30
; %bb.29:
	ds_read_b32 v2, v1
.LBB139_30:
	s_or_b64 exec, exec, s[0:1]
	s_and_saveexec_b64 s[0:1], vcc
	s_cbranch_execz .LBB139_32
; %bb.31:
	v_lshl_or_b32 v0, s26, 8, v0
	v_mov_b32_e32 v1, 0
	v_lshlrev_b64 v[0:1], 1, v[0:1]
	v_mov_b32_e32 v3, s3
	v_add_co_u32_e32 v0, vcc, s2, v0
	v_addc_co_u32_e32 v1, vcc, v3, v1, vcc
	s_waitcnt lgkmcnt(0)
	global_store_short v[0:1], v2, off
.LBB139_32:
	s_endpgm
	.section	.rodata,"a",@progbits
	.p2align	6, 0x0
	.amdhsa_kernel _ZN2at6native6mbtopk23computeBlockDigitCountsIamjLin1EEEvNS_4cuda6detail10TensorInfoIKT_T0_EEjPjjS8_iijT1_PSB_Ps
		.amdhsa_group_segment_fixed_size 1024
		.amdhsa_private_segment_fixed_size 0
		.amdhsa_kernarg_size 736
		.amdhsa_user_sgpr_count 6
		.amdhsa_user_sgpr_private_segment_buffer 1
		.amdhsa_user_sgpr_dispatch_ptr 0
		.amdhsa_user_sgpr_queue_ptr 0
		.amdhsa_user_sgpr_kernarg_segment_ptr 1
		.amdhsa_user_sgpr_dispatch_id 0
		.amdhsa_user_sgpr_flat_scratch_init 0
		.amdhsa_user_sgpr_kernarg_preload_length 0
		.amdhsa_user_sgpr_kernarg_preload_offset 0
		.amdhsa_user_sgpr_private_segment_size 0
		.amdhsa_uses_dynamic_stack 0
		.amdhsa_system_sgpr_private_segment_wavefront_offset 0
		.amdhsa_system_sgpr_workgroup_id_x 1
		.amdhsa_system_sgpr_workgroup_id_y 1
		.amdhsa_system_sgpr_workgroup_id_z 1
		.amdhsa_system_sgpr_workgroup_info 0
		.amdhsa_system_vgpr_workitem_id 0
		.amdhsa_next_free_vgpr 10
		.amdhsa_next_free_sgpr 31
		.amdhsa_accum_offset 12
		.amdhsa_reserve_vcc 1
		.amdhsa_reserve_flat_scratch 0
		.amdhsa_float_round_mode_32 0
		.amdhsa_float_round_mode_16_64 0
		.amdhsa_float_denorm_mode_32 3
		.amdhsa_float_denorm_mode_16_64 3
		.amdhsa_dx10_clamp 1
		.amdhsa_ieee_mode 1
		.amdhsa_fp16_overflow 0
		.amdhsa_tg_split 0
		.amdhsa_exception_fp_ieee_invalid_op 0
		.amdhsa_exception_fp_denorm_src 0
		.amdhsa_exception_fp_ieee_div_zero 0
		.amdhsa_exception_fp_ieee_overflow 0
		.amdhsa_exception_fp_ieee_underflow 0
		.amdhsa_exception_fp_ieee_inexact 0
		.amdhsa_exception_int_div_zero 0
	.end_amdhsa_kernel
	.section	.text._ZN2at6native6mbtopk23computeBlockDigitCountsIamjLin1EEEvNS_4cuda6detail10TensorInfoIKT_T0_EEjPjjS8_iijT1_PSB_Ps,"axG",@progbits,_ZN2at6native6mbtopk23computeBlockDigitCountsIamjLin1EEEvNS_4cuda6detail10TensorInfoIKT_T0_EEjPjjS8_iijT1_PSB_Ps,comdat
.Lfunc_end139:
	.size	_ZN2at6native6mbtopk23computeBlockDigitCountsIamjLin1EEEvNS_4cuda6detail10TensorInfoIKT_T0_EEjPjjS8_iijT1_PSB_Ps, .Lfunc_end139-_ZN2at6native6mbtopk23computeBlockDigitCountsIamjLin1EEEvNS_4cuda6detail10TensorInfoIKT_T0_EEjPjjS8_iijT1_PSB_Ps
                                        ; -- End function
	.section	.AMDGPU.csdata,"",@progbits
; Kernel info:
; codeLenInByte = 1660
; NumSgprs: 35
; NumVgprs: 10
; NumAgprs: 0
; TotalNumVgprs: 10
; ScratchSize: 0
; MemoryBound: 0
; FloatMode: 240
; IeeeMode: 1
; LDSByteSize: 1024 bytes/workgroup (compile time only)
; SGPRBlocks: 4
; VGPRBlocks: 1
; NumSGPRsForWavesPerEU: 35
; NumVGPRsForWavesPerEU: 10
; AccumOffset: 12
; Occupancy: 8
; WaveLimiterHint : 0
; COMPUTE_PGM_RSRC2:SCRATCH_EN: 0
; COMPUTE_PGM_RSRC2:USER_SGPR: 6
; COMPUTE_PGM_RSRC2:TRAP_HANDLER: 0
; COMPUTE_PGM_RSRC2:TGID_X_EN: 1
; COMPUTE_PGM_RSRC2:TGID_Y_EN: 1
; COMPUTE_PGM_RSRC2:TGID_Z_EN: 1
; COMPUTE_PGM_RSRC2:TIDIG_COMP_CNT: 0
; COMPUTE_PGM_RSRC3_GFX90A:ACCUM_OFFSET: 2
; COMPUTE_PGM_RSRC3_GFX90A:TG_SPLIT: 0
	.section	.text._ZN2at6native6mbtopk10gatherTopKIamLin1EEEvNS_4cuda6detail10TensorInfoIKT_T0_EES8_S8_bjS8_NS5_IS6_S8_EES8_NS5_IlS8_EES8_jjPS6_PjSD_j,"axG",@progbits,_ZN2at6native6mbtopk10gatherTopKIamLin1EEEvNS_4cuda6detail10TensorInfoIKT_T0_EES8_S8_bjS8_NS5_IS6_S8_EES8_NS5_IlS8_EES8_jjPS6_PjSD_j,comdat
	.protected	_ZN2at6native6mbtopk10gatherTopKIamLin1EEEvNS_4cuda6detail10TensorInfoIKT_T0_EES8_S8_bjS8_NS5_IS6_S8_EES8_NS5_IlS8_EES8_jjPS6_PjSD_j ; -- Begin function _ZN2at6native6mbtopk10gatherTopKIamLin1EEEvNS_4cuda6detail10TensorInfoIKT_T0_EES8_S8_bjS8_NS5_IS6_S8_EES8_NS5_IlS8_EES8_jjPS6_PjSD_j
	.globl	_ZN2at6native6mbtopk10gatherTopKIamLin1EEEvNS_4cuda6detail10TensorInfoIKT_T0_EES8_S8_bjS8_NS5_IS6_S8_EES8_NS5_IlS8_EES8_jjPS6_PjSD_j
	.p2align	8
	.type	_ZN2at6native6mbtopk10gatherTopKIamLin1EEEvNS_4cuda6detail10TensorInfoIKT_T0_EES8_S8_bjS8_NS5_IS6_S8_EES8_NS5_IlS8_EES8_jjPS6_PjSD_j,@function
_ZN2at6native6mbtopk10gatherTopKIamLin1EEEvNS_4cuda6detail10TensorInfoIKT_T0_EES8_S8_bjS8_NS5_IS6_S8_EES8_NS5_IlS8_EES8_jjPS6_PjSD_j: ; @_ZN2at6native6mbtopk10gatherTopKIamLin1EEEvNS_4cuda6detail10TensorInfoIKT_T0_EES8_S8_bjS8_NS5_IS6_S8_EES8_NS5_IlS8_EES8_jjPS6_PjSD_j
; %bb.0:
	s_load_dwordx2 s[0:1], s[4:5], 0x538
	s_load_dword s2, s[4:5], 0x530
	s_waitcnt lgkmcnt(0)
	s_mul_i32 s1, s1, s8
	s_add_i32 s1, s1, s7
	s_mul_i32 s0, s1, s0
	s_add_i32 s0, s0, s6
	s_cmp_ge_u32 s0, s2
	s_cbranch_scc1 .LBB140_67
; %bb.1:
	s_load_dwordx2 s[20:21], s[4:5], 0x510
	s_load_dwordx4 s[8:11], s[4:5], 0x1a0
	s_mov_b32 s3, 0
	s_waitcnt lgkmcnt(0)
	v_cvt_f32_u32_e32 v1, s21
	s_sub_i32 s2, 0, s21
	s_lshl_b32 s1, s20, 8
	v_rcp_iflag_f32_e32 v1, v1
	v_mul_f32_e32 v1, 0x4f7ffffe, v1
	v_cvt_u32_f32_e32 v1, v1
	v_readfirstlane_b32 s6, v1
	s_mul_i32 s2, s2, s6
	s_mul_hi_u32 s2, s6, s2
	s_add_i32 s6, s6, s2
	s_mul_hi_u32 s2, s0, s6
	s_mul_i32 s6, s2, s21
	s_sub_i32 s6, s0, s6
	s_add_i32 s7, s2, 1
	s_sub_i32 s12, s6, s21
	s_cmp_ge_u32 s6, s21
	s_cselect_b32 s2, s7, s2
	s_cselect_b32 s6, s12, s6
	s_add_i32 s7, s2, 1
	s_cmp_ge_u32 s6, s21
	s_cselect_b32 s2, s7, s2
	s_mul_i32 s22, s2, s21
	s_sub_i32 s54, s0, s22
	s_add_i32 s0, s54, 1
	s_cmp_lt_u32 s0, s21
	s_mul_i32 s33, s54, s1
	s_cbranch_scc1 .LBB140_3
; %bb.2:
	s_sub_u32 s0, s8, s33
	s_subb_u32 s1, s9, 0
	s_add_u32 s0, s0, 0xff
	s_addc_u32 s1, s1, 0
	s_ashr_i32 s6, s1, 31
	s_lshr_b32 s6, s6, 24
	s_add_u32 s0, s0, s6
	s_addc_u32 s1, s1, 0
	v_mov_b32_e32 v1, s0
	v_alignbit_b32 v1, s1, v1, 8
	v_readfirstlane_b32 s20, v1
.LBB140_3:
	s_load_dword s0, s[4:5], 0x198
	s_mov_b64 s[6:7], 0
	s_mov_b64 s[24:25], s[2:3]
	s_waitcnt lgkmcnt(0)
	s_cmp_lt_i32 s0, 2
	s_cbranch_scc1 .LBB140_11
; %bb.4:
	s_mov_b32 s12, 0
	s_add_i32 s23, s0, 1
	s_add_i32 s0, s0, -1
	s_mov_b32 s1, s12
	s_lshl_b64 s[0:1], s[0:1], 3
	s_add_u32 s0, s0, s4
	s_addc_u32 s1, s1, s5
	s_add_u32 s14, s0, 8
	s_addc_u32 s15, s1, 0
	s_mov_b64 s[16:17], s[2:3]
.LBB140_5:                              ; =>This Inner Loop Header: Depth=1
	s_load_dwordx2 s[18:19], s[14:15], 0x0
	s_waitcnt lgkmcnt(0)
	s_or_b64 s[0:1], s[16:17], s[18:19]
	s_mov_b32 s13, s1
	s_cmp_lg_u64 s[12:13], 0
	s_cbranch_scc0 .LBB140_10
; %bb.6:                                ;   in Loop: Header=BB140_5 Depth=1
	v_cvt_f32_u32_e32 v1, s18
	v_cvt_f32_u32_e32 v2, s19
	s_sub_u32 s0, 0, s18
	s_subb_u32 s1, 0, s19
	v_mac_f32_e32 v1, 0x4f800000, v2
	v_rcp_f32_e32 v1, v1
	v_mul_f32_e32 v1, 0x5f7ffffc, v1
	v_mul_f32_e32 v2, 0x2f800000, v1
	v_trunc_f32_e32 v2, v2
	v_mac_f32_e32 v1, 0xcf800000, v2
	v_cvt_u32_f32_e32 v2, v2
	v_cvt_u32_f32_e32 v1, v1
	v_readfirstlane_b32 s13, v2
	v_readfirstlane_b32 s24, v1
	s_mul_i32 s25, s0, s13
	s_mul_hi_u32 s27, s0, s24
	s_mul_i32 s26, s1, s24
	s_add_i32 s25, s27, s25
	s_mul_i32 s28, s0, s24
	s_add_i32 s25, s25, s26
	s_mul_hi_u32 s26, s24, s25
	s_mul_i32 s27, s24, s25
	s_mul_hi_u32 s24, s24, s28
	s_add_u32 s24, s24, s27
	s_addc_u32 s26, 0, s26
	s_mul_hi_u32 s29, s13, s28
	s_mul_i32 s28, s13, s28
	s_add_u32 s24, s24, s28
	s_mul_hi_u32 s27, s13, s25
	s_addc_u32 s24, s26, s29
	s_addc_u32 s26, s27, 0
	s_mul_i32 s25, s13, s25
	s_add_u32 s24, s24, s25
	s_addc_u32 s25, 0, s26
	v_add_co_u32_e32 v1, vcc, s24, v1
	s_cmp_lg_u64 vcc, 0
	s_addc_u32 s13, s13, s25
	v_readfirstlane_b32 s25, v1
	s_mul_i32 s24, s0, s13
	s_mul_hi_u32 s26, s0, s25
	s_add_i32 s24, s26, s24
	s_mul_i32 s1, s1, s25
	s_add_i32 s24, s24, s1
	s_mul_i32 s0, s0, s25
	s_mul_hi_u32 s26, s13, s0
	s_mul_i32 s27, s13, s0
	s_mul_i32 s29, s25, s24
	s_mul_hi_u32 s0, s25, s0
	s_mul_hi_u32 s28, s25, s24
	s_add_u32 s0, s0, s29
	s_addc_u32 s25, 0, s28
	s_add_u32 s0, s0, s27
	s_mul_hi_u32 s1, s13, s24
	s_addc_u32 s0, s25, s26
	s_addc_u32 s1, s1, 0
	s_mul_i32 s24, s13, s24
	s_add_u32 s0, s0, s24
	s_addc_u32 s1, 0, s1
	v_add_co_u32_e32 v1, vcc, s0, v1
	s_cmp_lg_u64 vcc, 0
	s_addc_u32 s0, s13, s1
	v_readfirstlane_b32 s24, v1
	s_mul_i32 s13, s16, s0
	s_mul_hi_u32 s25, s16, s24
	s_mul_hi_u32 s1, s16, s0
	s_add_u32 s13, s25, s13
	s_addc_u32 s1, 0, s1
	s_mul_hi_u32 s26, s17, s24
	s_mul_i32 s24, s17, s24
	s_add_u32 s13, s13, s24
	s_mul_hi_u32 s25, s17, s0
	s_addc_u32 s1, s1, s26
	s_addc_u32 s13, s25, 0
	s_mul_i32 s0, s17, s0
	s_add_u32 s24, s1, s0
	s_addc_u32 s13, 0, s13
	s_mul_i32 s0, s18, s13
	s_mul_hi_u32 s1, s18, s24
	s_add_i32 s0, s1, s0
	s_mul_i32 s1, s19, s24
	s_add_i32 s25, s0, s1
	s_mul_i32 s1, s18, s24
	v_mov_b32_e32 v1, s1
	s_sub_i32 s0, s17, s25
	v_sub_co_u32_e32 v1, vcc, s16, v1
	s_cmp_lg_u64 vcc, 0
	s_subb_u32 s26, s0, s19
	v_subrev_co_u32_e64 v2, s[0:1], s18, v1
	s_cmp_lg_u64 s[0:1], 0
	s_subb_u32 s0, s26, 0
	s_cmp_ge_u32 s0, s19
	v_readfirstlane_b32 s26, v2
	s_cselect_b32 s1, -1, 0
	s_cmp_ge_u32 s26, s18
	s_cselect_b32 s26, -1, 0
	s_cmp_eq_u32 s0, s19
	s_cselect_b32 s0, s26, s1
	s_add_u32 s1, s24, 1
	s_addc_u32 s26, s13, 0
	s_add_u32 s27, s24, 2
	s_addc_u32 s28, s13, 0
	s_cmp_lg_u32 s0, 0
	s_cselect_b32 s0, s27, s1
	s_cselect_b32 s1, s28, s26
	s_cmp_lg_u64 vcc, 0
	s_subb_u32 s25, s17, s25
	s_cmp_ge_u32 s25, s19
	v_readfirstlane_b32 s27, v1
	s_cselect_b32 s26, -1, 0
	s_cmp_ge_u32 s27, s18
	s_cselect_b32 s27, -1, 0
	s_cmp_eq_u32 s25, s19
	s_cselect_b32 s25, s27, s26
	s_cmp_lg_u32 s25, 0
	s_cselect_b32 s25, s1, s13
	s_cselect_b32 s24, s0, s24
	s_cbranch_execnz .LBB140_8
.LBB140_7:                              ;   in Loop: Header=BB140_5 Depth=1
	v_cvt_f32_u32_e32 v1, s18
	s_sub_i32 s0, 0, s18
	s_mov_b32 s25, s12
	v_rcp_iflag_f32_e32 v1, v1
	v_mul_f32_e32 v1, 0x4f7ffffe, v1
	v_cvt_u32_f32_e32 v1, v1
	v_readfirstlane_b32 s1, v1
	s_mul_i32 s0, s0, s1
	s_mul_hi_u32 s0, s1, s0
	s_add_i32 s1, s1, s0
	s_mul_hi_u32 s0, s16, s1
	s_mul_i32 s13, s0, s18
	s_sub_i32 s13, s16, s13
	s_add_i32 s1, s0, 1
	s_sub_i32 s24, s13, s18
	s_cmp_ge_u32 s13, s18
	s_cselect_b32 s0, s1, s0
	s_cselect_b32 s13, s24, s13
	s_add_i32 s1, s0, 1
	s_cmp_ge_u32 s13, s18
	s_cselect_b32 s24, s1, s0
.LBB140_8:                              ;   in Loop: Header=BB140_5 Depth=1
	s_mul_i32 s0, s24, s19
	s_mul_hi_u32 s1, s24, s18
	s_add_i32 s13, s1, s0
	s_load_dwordx2 s[0:1], s[14:15], 0xc8
	s_mul_i32 s19, s25, s18
	s_add_i32 s13, s13, s19
	s_mul_i32 s18, s24, s18
	s_sub_u32 s16, s16, s18
	s_subb_u32 s13, s17, s13
	s_waitcnt lgkmcnt(0)
	s_mul_i32 s13, s0, s13
	s_mul_hi_u32 s17, s0, s16
	s_add_i32 s13, s17, s13
	s_mul_i32 s1, s1, s16
	s_add_i32 s13, s13, s1
	s_mul_i32 s0, s0, s16
	s_add_u32 s6, s0, s6
	s_addc_u32 s7, s13, s7
	s_add_i32 s23, s23, -1
	s_add_u32 s14, s14, -8
	s_addc_u32 s15, s15, -1
	s_cmp_gt_u32 s23, 2
	s_cbranch_scc0 .LBB140_11
; %bb.9:                                ;   in Loop: Header=BB140_5 Depth=1
	s_mov_b64 s[16:17], s[24:25]
	s_branch .LBB140_5
.LBB140_10:                             ;   in Loop: Header=BB140_5 Depth=1
                                        ; implicit-def: $sgpr24_sgpr25
	s_branch .LBB140_7
.LBB140_11:
	s_load_dword s0, s[4:5], 0x358
	s_load_dwordx2 s[28:29], s[4:5], 0xd0
	s_add_u32 s12, s4, 0x1c0
	s_addc_u32 s13, s5, 0
	s_mov_b64 s[26:27], 0
	s_waitcnt lgkmcnt(0)
	s_cmp_lt_i32 s0, 2
	s_mov_b64 s[30:31], s[2:3]
	s_cbranch_scc1 .LBB140_19
; %bb.12:
	s_mov_b32 s14, 0
	s_add_i32 s23, s0, 1
	s_add_i32 s0, s0, -1
	s_mov_b32 s1, s14
	s_lshl_b64 s[0:1], s[0:1], 3
	s_add_u32 s0, s0, s12
	s_addc_u32 s1, s1, s13
	s_add_u32 s16, s0, 8
	s_addc_u32 s17, s1, 0
	s_mov_b64 s[18:19], s[2:3]
.LBB140_13:                             ; =>This Inner Loop Header: Depth=1
	s_load_dwordx2 s[34:35], s[16:17], 0x0
	s_waitcnt lgkmcnt(0)
	s_or_b64 s[0:1], s[18:19], s[34:35]
	s_mov_b32 s15, s1
	s_cmp_lg_u64 s[14:15], 0
	s_cbranch_scc0 .LBB140_18
; %bb.14:                               ;   in Loop: Header=BB140_13 Depth=1
	v_cvt_f32_u32_e32 v1, s34
	v_cvt_f32_u32_e32 v2, s35
	s_sub_u32 s0, 0, s34
	s_subb_u32 s1, 0, s35
	v_mac_f32_e32 v1, 0x4f800000, v2
	v_rcp_f32_e32 v1, v1
	v_mul_f32_e32 v1, 0x5f7ffffc, v1
	v_mul_f32_e32 v2, 0x2f800000, v1
	v_trunc_f32_e32 v2, v2
	v_mac_f32_e32 v1, 0xcf800000, v2
	v_cvt_u32_f32_e32 v2, v2
	v_cvt_u32_f32_e32 v1, v1
	v_readfirstlane_b32 s15, v2
	v_readfirstlane_b32 s30, v1
	s_mul_i32 s31, s0, s15
	s_mul_hi_u32 s37, s0, s30
	s_mul_i32 s36, s1, s30
	s_add_i32 s31, s37, s31
	s_mul_i32 s38, s0, s30
	s_add_i32 s31, s31, s36
	s_mul_hi_u32 s36, s30, s31
	s_mul_i32 s37, s30, s31
	s_mul_hi_u32 s30, s30, s38
	s_add_u32 s30, s30, s37
	s_addc_u32 s36, 0, s36
	s_mul_hi_u32 s39, s15, s38
	s_mul_i32 s38, s15, s38
	s_add_u32 s30, s30, s38
	s_mul_hi_u32 s37, s15, s31
	s_addc_u32 s30, s36, s39
	s_addc_u32 s36, s37, 0
	s_mul_i32 s31, s15, s31
	s_add_u32 s30, s30, s31
	s_addc_u32 s31, 0, s36
	v_add_co_u32_e32 v1, vcc, s30, v1
	s_cmp_lg_u64 vcc, 0
	s_addc_u32 s15, s15, s31
	v_readfirstlane_b32 s31, v1
	s_mul_i32 s30, s0, s15
	s_mul_hi_u32 s36, s0, s31
	s_add_i32 s30, s36, s30
	s_mul_i32 s1, s1, s31
	s_add_i32 s30, s30, s1
	s_mul_i32 s0, s0, s31
	s_mul_hi_u32 s36, s15, s0
	s_mul_i32 s37, s15, s0
	s_mul_i32 s39, s31, s30
	s_mul_hi_u32 s0, s31, s0
	s_mul_hi_u32 s38, s31, s30
	s_add_u32 s0, s0, s39
	s_addc_u32 s31, 0, s38
	s_add_u32 s0, s0, s37
	s_mul_hi_u32 s1, s15, s30
	s_addc_u32 s0, s31, s36
	s_addc_u32 s1, s1, 0
	s_mul_i32 s30, s15, s30
	s_add_u32 s0, s0, s30
	s_addc_u32 s1, 0, s1
	v_add_co_u32_e32 v1, vcc, s0, v1
	s_cmp_lg_u64 vcc, 0
	s_addc_u32 s0, s15, s1
	v_readfirstlane_b32 s30, v1
	s_mul_i32 s15, s18, s0
	s_mul_hi_u32 s31, s18, s30
	s_mul_hi_u32 s1, s18, s0
	s_add_u32 s15, s31, s15
	s_addc_u32 s1, 0, s1
	s_mul_hi_u32 s36, s19, s30
	s_mul_i32 s30, s19, s30
	s_add_u32 s15, s15, s30
	s_mul_hi_u32 s31, s19, s0
	s_addc_u32 s1, s1, s36
	s_addc_u32 s15, s31, 0
	s_mul_i32 s0, s19, s0
	s_add_u32 s30, s1, s0
	s_addc_u32 s15, 0, s15
	s_mul_i32 s0, s34, s15
	s_mul_hi_u32 s1, s34, s30
	s_add_i32 s0, s1, s0
	s_mul_i32 s1, s35, s30
	s_add_i32 s31, s0, s1
	s_mul_i32 s1, s34, s30
	v_mov_b32_e32 v1, s1
	s_sub_i32 s0, s19, s31
	v_sub_co_u32_e32 v1, vcc, s18, v1
	s_cmp_lg_u64 vcc, 0
	s_subb_u32 s36, s0, s35
	v_subrev_co_u32_e64 v2, s[0:1], s34, v1
	s_cmp_lg_u64 s[0:1], 0
	s_subb_u32 s0, s36, 0
	s_cmp_ge_u32 s0, s35
	v_readfirstlane_b32 s36, v2
	s_cselect_b32 s1, -1, 0
	s_cmp_ge_u32 s36, s34
	s_cselect_b32 s36, -1, 0
	s_cmp_eq_u32 s0, s35
	s_cselect_b32 s0, s36, s1
	s_add_u32 s1, s30, 1
	s_addc_u32 s36, s15, 0
	s_add_u32 s37, s30, 2
	s_addc_u32 s38, s15, 0
	s_cmp_lg_u32 s0, 0
	s_cselect_b32 s0, s37, s1
	s_cselect_b32 s1, s38, s36
	s_cmp_lg_u64 vcc, 0
	s_subb_u32 s31, s19, s31
	s_cmp_ge_u32 s31, s35
	v_readfirstlane_b32 s37, v1
	s_cselect_b32 s36, -1, 0
	s_cmp_ge_u32 s37, s34
	s_cselect_b32 s37, -1, 0
	s_cmp_eq_u32 s31, s35
	s_cselect_b32 s31, s37, s36
	s_cmp_lg_u32 s31, 0
	s_cselect_b32 s31, s1, s15
	s_cselect_b32 s30, s0, s30
	s_cbranch_execnz .LBB140_16
.LBB140_15:                             ;   in Loop: Header=BB140_13 Depth=1
	v_cvt_f32_u32_e32 v1, s34
	s_sub_i32 s0, 0, s34
	s_mov_b32 s31, s14
	v_rcp_iflag_f32_e32 v1, v1
	v_mul_f32_e32 v1, 0x4f7ffffe, v1
	v_cvt_u32_f32_e32 v1, v1
	v_readfirstlane_b32 s1, v1
	s_mul_i32 s0, s0, s1
	s_mul_hi_u32 s0, s1, s0
	s_add_i32 s1, s1, s0
	s_mul_hi_u32 s0, s18, s1
	s_mul_i32 s15, s0, s34
	s_sub_i32 s15, s18, s15
	s_add_i32 s1, s0, 1
	s_sub_i32 s30, s15, s34
	s_cmp_ge_u32 s15, s34
	s_cselect_b32 s0, s1, s0
	s_cselect_b32 s15, s30, s15
	s_add_i32 s1, s0, 1
	s_cmp_ge_u32 s15, s34
	s_cselect_b32 s30, s1, s0
.LBB140_16:                             ;   in Loop: Header=BB140_13 Depth=1
	s_mul_i32 s0, s30, s35
	s_mul_hi_u32 s1, s30, s34
	s_add_i32 s15, s1, s0
	s_load_dwordx2 s[0:1], s[16:17], 0xc8
	s_mul_i32 s35, s31, s34
	s_add_i32 s15, s15, s35
	s_mul_i32 s34, s30, s34
	s_sub_u32 s18, s18, s34
	s_subb_u32 s15, s19, s15
	s_waitcnt lgkmcnt(0)
	s_mul_i32 s15, s0, s15
	s_mul_hi_u32 s19, s0, s18
	s_add_i32 s15, s19, s15
	s_mul_i32 s1, s1, s18
	s_add_i32 s15, s15, s1
	s_mul_i32 s0, s0, s18
	s_add_u32 s26, s0, s26
	s_addc_u32 s27, s15, s27
	s_add_i32 s23, s23, -1
	s_add_u32 s16, s16, -8
	s_addc_u32 s17, s17, -1
	s_cmp_gt_u32 s23, 2
	s_cbranch_scc0 .LBB140_19
; %bb.17:                               ;   in Loop: Header=BB140_13 Depth=1
	s_mov_b64 s[18:19], s[30:31]
	s_branch .LBB140_13
.LBB140_18:                             ;   in Loop: Header=BB140_13 Depth=1
                                        ; implicit-def: $sgpr30_sgpr31
	s_branch .LBB140_15
.LBB140_19:
	s_load_dword s14, s[4:5], 0x500
	s_load_dwordx2 s[36:37], s[12:13], 0xd0
	s_add_u32 s0, s4, 0x368
	s_addc_u32 s1, s5, 0
	s_mov_b64 s[34:35], 0
	s_waitcnt lgkmcnt(0)
	s_cmp_lt_i32 s14, 2
	s_cbranch_scc1 .LBB140_27
; %bb.20:
	s_mov_b32 s12, 0
	s_add_i32 s23, s14, 1
	s_add_i32 s14, s14, -1
	s_mov_b32 s15, s12
	s_lshl_b64 s[14:15], s[14:15], 3
	s_add_u32 s0, s14, s0
	s_addc_u32 s1, s15, s1
	s_add_u32 s14, s0, 8
	s_addc_u32 s15, s1, 0
	s_mov_b64 s[16:17], s[2:3]
.LBB140_21:                             ; =>This Inner Loop Header: Depth=1
	s_load_dwordx2 s[18:19], s[14:15], 0x0
	s_waitcnt lgkmcnt(0)
	s_or_b64 s[0:1], s[16:17], s[18:19]
	s_mov_b32 s13, s1
	s_cmp_lg_u64 s[12:13], 0
	s_cbranch_scc0 .LBB140_26
; %bb.22:                               ;   in Loop: Header=BB140_21 Depth=1
	v_cvt_f32_u32_e32 v1, s18
	v_cvt_f32_u32_e32 v2, s19
	s_sub_u32 s0, 0, s18
	s_subb_u32 s1, 0, s19
	v_mac_f32_e32 v1, 0x4f800000, v2
	v_rcp_f32_e32 v1, v1
	v_mul_f32_e32 v1, 0x5f7ffffc, v1
	v_mul_f32_e32 v2, 0x2f800000, v1
	v_trunc_f32_e32 v2, v2
	v_mac_f32_e32 v1, 0xcf800000, v2
	v_cvt_u32_f32_e32 v2, v2
	v_cvt_u32_f32_e32 v1, v1
	v_readfirstlane_b32 s3, v2
	v_readfirstlane_b32 s13, v1
	s_mul_i32 s38, s0, s3
	s_mul_hi_u32 s40, s0, s13
	s_mul_i32 s39, s1, s13
	s_add_i32 s38, s40, s38
	s_mul_i32 s41, s0, s13
	s_add_i32 s38, s38, s39
	s_mul_hi_u32 s39, s13, s38
	s_mul_i32 s40, s13, s38
	s_mul_hi_u32 s13, s13, s41
	s_add_u32 s13, s13, s40
	s_addc_u32 s39, 0, s39
	s_mul_hi_u32 s42, s3, s41
	s_mul_i32 s41, s3, s41
	s_add_u32 s13, s13, s41
	s_mul_hi_u32 s40, s3, s38
	s_addc_u32 s13, s39, s42
	s_addc_u32 s39, s40, 0
	s_mul_i32 s38, s3, s38
	s_add_u32 s13, s13, s38
	s_addc_u32 s38, 0, s39
	v_add_co_u32_e32 v1, vcc, s13, v1
	s_cmp_lg_u64 vcc, 0
	s_addc_u32 s3, s3, s38
	v_readfirstlane_b32 s38, v1
	s_mul_i32 s13, s0, s3
	s_mul_hi_u32 s39, s0, s38
	s_add_i32 s13, s39, s13
	s_mul_i32 s1, s1, s38
	s_add_i32 s13, s13, s1
	s_mul_i32 s0, s0, s38
	s_mul_hi_u32 s39, s3, s0
	s_mul_i32 s40, s3, s0
	s_mul_i32 s42, s38, s13
	s_mul_hi_u32 s0, s38, s0
	s_mul_hi_u32 s41, s38, s13
	s_add_u32 s0, s0, s42
	s_addc_u32 s38, 0, s41
	s_add_u32 s0, s0, s40
	s_mul_hi_u32 s1, s3, s13
	s_addc_u32 s0, s38, s39
	s_addc_u32 s1, s1, 0
	s_mul_i32 s13, s3, s13
	s_add_u32 s0, s0, s13
	s_addc_u32 s1, 0, s1
	v_add_co_u32_e32 v1, vcc, s0, v1
	s_cmp_lg_u64 vcc, 0
	s_addc_u32 s0, s3, s1
	v_readfirstlane_b32 s13, v1
	s_mul_i32 s3, s16, s0
	s_mul_hi_u32 s38, s16, s13
	s_mul_hi_u32 s1, s16, s0
	s_add_u32 s3, s38, s3
	s_addc_u32 s1, 0, s1
	s_mul_hi_u32 s39, s17, s13
	s_mul_i32 s13, s17, s13
	s_add_u32 s3, s3, s13
	s_mul_hi_u32 s38, s17, s0
	s_addc_u32 s1, s1, s39
	s_addc_u32 s3, s38, 0
	s_mul_i32 s0, s17, s0
	s_add_u32 s13, s1, s0
	s_addc_u32 s3, 0, s3
	s_mul_i32 s0, s18, s3
	s_mul_hi_u32 s1, s18, s13
	s_add_i32 s0, s1, s0
	s_mul_i32 s1, s19, s13
	s_add_i32 s38, s0, s1
	s_mul_i32 s1, s18, s13
	v_mov_b32_e32 v1, s1
	s_sub_i32 s0, s17, s38
	v_sub_co_u32_e32 v1, vcc, s16, v1
	s_cmp_lg_u64 vcc, 0
	s_subb_u32 s39, s0, s19
	v_subrev_co_u32_e64 v2, s[0:1], s18, v1
	s_cmp_lg_u64 s[0:1], 0
	s_subb_u32 s0, s39, 0
	s_cmp_ge_u32 s0, s19
	v_readfirstlane_b32 s39, v2
	s_cselect_b32 s1, -1, 0
	s_cmp_ge_u32 s39, s18
	s_cselect_b32 s39, -1, 0
	s_cmp_eq_u32 s0, s19
	s_cselect_b32 s0, s39, s1
	s_add_u32 s1, s13, 1
	s_addc_u32 s39, s3, 0
	s_add_u32 s40, s13, 2
	s_addc_u32 s41, s3, 0
	s_cmp_lg_u32 s0, 0
	s_cselect_b32 s0, s40, s1
	s_cselect_b32 s1, s41, s39
	s_cmp_lg_u64 vcc, 0
	s_subb_u32 s38, s17, s38
	s_cmp_ge_u32 s38, s19
	v_readfirstlane_b32 s40, v1
	s_cselect_b32 s39, -1, 0
	s_cmp_ge_u32 s40, s18
	s_cselect_b32 s40, -1, 0
	s_cmp_eq_u32 s38, s19
	s_cselect_b32 s38, s40, s39
	s_cmp_lg_u32 s38, 0
	s_cselect_b32 s39, s1, s3
	s_cselect_b32 s38, s0, s13
	s_cbranch_execnz .LBB140_24
.LBB140_23:                             ;   in Loop: Header=BB140_21 Depth=1
	v_cvt_f32_u32_e32 v1, s18
	s_sub_i32 s0, 0, s18
	s_mov_b32 s39, s12
	v_rcp_iflag_f32_e32 v1, v1
	v_mul_f32_e32 v1, 0x4f7ffffe, v1
	v_cvt_u32_f32_e32 v1, v1
	v_readfirstlane_b32 s1, v1
	s_mul_i32 s0, s0, s1
	s_mul_hi_u32 s0, s1, s0
	s_add_i32 s1, s1, s0
	s_mul_hi_u32 s0, s16, s1
	s_mul_i32 s3, s0, s18
	s_sub_i32 s3, s16, s3
	s_add_i32 s1, s0, 1
	s_sub_i32 s13, s3, s18
	s_cmp_ge_u32 s3, s18
	s_cselect_b32 s0, s1, s0
	s_cselect_b32 s3, s13, s3
	s_add_i32 s1, s0, 1
	s_cmp_ge_u32 s3, s18
	s_cselect_b32 s38, s1, s0
.LBB140_24:                             ;   in Loop: Header=BB140_21 Depth=1
	s_mul_i32 s0, s38, s19
	s_mul_hi_u32 s1, s38, s18
	s_add_i32 s3, s1, s0
	s_load_dwordx2 s[0:1], s[14:15], 0xc8
	s_mul_i32 s13, s39, s18
	s_add_i32 s3, s3, s13
	s_mul_i32 s13, s38, s18
	s_sub_u32 s13, s16, s13
	s_subb_u32 s3, s17, s3
	s_waitcnt lgkmcnt(0)
	s_mul_i32 s3, s0, s3
	s_mul_hi_u32 s16, s0, s13
	s_add_i32 s3, s16, s3
	s_mul_i32 s1, s1, s13
	s_add_i32 s3, s3, s1
	s_mul_i32 s0, s0, s13
	s_add_u32 s34, s0, s34
	s_addc_u32 s35, s3, s35
	s_add_i32 s23, s23, -1
	s_add_u32 s14, s14, -8
	s_addc_u32 s15, s15, -1
	s_cmp_gt_u32 s23, 2
	s_cbranch_scc0 .LBB140_28
; %bb.25:                               ;   in Loop: Header=BB140_21 Depth=1
	s_mov_b64 s[16:17], s[38:39]
	s_branch .LBB140_21
.LBB140_26:                             ;   in Loop: Header=BB140_21 Depth=1
                                        ; implicit-def: $sgpr38_sgpr39
	s_branch .LBB140_23
.LBB140_27:
	s_mov_b64 s[38:39], s[2:3]
.LBB140_28:
	s_load_dwordx4 s[12:15], s[4:5], 0x518
	v_mov_b32_e32 v1, 0
	s_mov_b32 s23, 0
	s_waitcnt lgkmcnt(0)
	s_add_u32 s0, s12, s2
	s_addc_u32 s1, s13, 0
	global_load_ubyte v5, v1, s[0:1]
	s_load_dwordx2 s[12:13], s[4:5], 0x0
	s_load_dwordx2 s[42:43], s[4:5], 0x1c0
	;; [unrolled: 1-line block ×4, first 2 shown]
	v_cmp_ne_u32_e64 s[0:1], 0, v0
	v_cmp_eq_u32_e64 s[2:3], 0, v0
	s_and_saveexec_b64 s[46:47], s[2:3]
	s_cbranch_execz .LBB140_44
; %bb.29:
	s_load_dwordx2 s[48:49], s[4:5], 0x528
	s_lshl_b64 s[50:51], s[22:23], 2
	s_add_u32 s16, s14, s50
	s_addc_u32 s17, s15, s51
	s_mov_b32 s22, 0
	s_waitcnt lgkmcnt(0)
	s_add_u32 s18, s48, s50
	s_addc_u32 s19, s49, s51
	s_mov_b32 s55, 0
	s_cmp_lt_u32 s21, 4
	s_cbranch_scc1 .LBB140_41
; %bb.30:
	s_mov_b32 s56, 0
.LBB140_31:                             ; =>This Inner Loop Header: Depth=1
	s_add_u32 s16, s14, s50
	s_addc_u32 s17, s15, s51
	s_load_dwordx4 s[16:19], s[16:17], 0x0
	s_add_u32 s52, s48, s50
	s_addc_u32 s53, s49, s51
	s_cmp_ge_u32 s56, s54
	s_cbranch_scc0 .LBB140_38
; %bb.32:                               ;   in Loop: Header=BB140_31 Depth=1
	s_add_i32 s57, s56, 1
	s_cmp_ge_u32 s57, s54
	s_cbranch_scc0 .LBB140_39
.LBB140_33:                             ;   in Loop: Header=BB140_31 Depth=1
	s_add_i32 s57, s57, 1
	s_cmp_ge_u32 s57, s54
	s_cbranch_scc0 .LBB140_40
.LBB140_34:                             ;   in Loop: Header=BB140_31 Depth=1
	s_add_i32 s57, s57, 1
	s_cmp_ge_u32 s57, s54
	s_cbranch_scc1 .LBB140_36
.LBB140_35:                             ;   in Loop: Header=BB140_31 Depth=1
	s_load_dword s52, s[52:53], 0xc
	s_waitcnt lgkmcnt(0)
	s_add_i32 s23, s23, s19
	s_add_i32 s22, s52, s22
.LBB140_36:                             ;   in Loop: Header=BB140_31 Depth=1
	s_waitcnt lgkmcnt(0)
	s_add_i32 s16, s16, s55
	s_add_i32 s16, s16, s17
	;; [unrolled: 1-line block ×4, first 2 shown]
	s_add_u32 s14, s14, 16
	s_addc_u32 s15, s15, 0
	s_add_u32 s48, s48, 16
	s_addc_u32 s49, s49, 0
	s_add_i32 s53, s57, 4
	s_add_u32 s18, s48, s50
	s_addc_u32 s19, s49, s51
	s_add_u32 s16, s14, s50
	s_addc_u32 s17, s15, s51
	s_add_i32 s52, s57, 1
	s_cmp_ge_u32 s53, s21
	s_cbranch_scc1 .LBB140_42
; %bb.37:                               ;   in Loop: Header=BB140_31 Depth=1
	s_mov_b32 s56, s52
	s_branch .LBB140_31
.LBB140_38:                             ;   in Loop: Header=BB140_31 Depth=1
	s_load_dword s57, s[52:53], 0x0
	s_waitcnt lgkmcnt(0)
	s_add_i32 s23, s16, s23
	s_add_i32 s22, s57, s22
	;; [unrolled: 1-line block ×3, first 2 shown]
	s_cmp_ge_u32 s57, s54
	s_cbranch_scc1 .LBB140_33
.LBB140_39:                             ;   in Loop: Header=BB140_31 Depth=1
	s_load_dword s58, s[52:53], 0x4
	s_waitcnt lgkmcnt(0)
	s_add_i32 s23, s23, s17
	s_add_i32 s22, s58, s22
	;; [unrolled: 1-line block ×3, first 2 shown]
	s_cmp_ge_u32 s57, s54
	s_cbranch_scc1 .LBB140_34
.LBB140_40:                             ;   in Loop: Header=BB140_31 Depth=1
	s_load_dword s58, s[52:53], 0x8
	s_waitcnt lgkmcnt(0)
	s_add_i32 s23, s23, s18
	s_add_i32 s22, s58, s22
	s_add_i32 s57, s57, 1
	s_cmp_ge_u32 s57, s54
	s_cbranch_scc0 .LBB140_35
	s_branch .LBB140_36
.LBB140_41:
	s_mov_b32 s14, 0
	s_cmp_ge_u32 s14, s21
	s_cbranch_scc0 .LBB140_65
	s_branch .LBB140_43
.LBB140_42:
	s_add_i32 s14, s56, 4
	s_cmp_ge_u32 s14, s21
	s_cbranch_scc0 .LBB140_65
.LBB140_43:
	v_mov_b32_e32 v2, s22
	v_mov_b32_e32 v3, s55
	;; [unrolled: 1-line block ×4, first 2 shown]
	ds_write_b96 v1, v[2:4] offset:1056
.LBB140_44:
	s_or_b64 exec, exec, s[46:47]
	s_cmp_eq_u32 s20, 0
	s_waitcnt lgkmcnt(0)
	s_barrier
	s_cbranch_scc1 .LBB140_67
; %bb.45:
	s_mul_i32 s16, s28, s25
	s_mul_hi_u32 s17, s28, s24
	s_add_i32 s16, s17, s16
	s_mul_i32 s17, s29, s24
	s_mul_i32 s14, s36, s31
	s_mul_hi_u32 s15, s36, s30
	s_add_i32 s18, s16, s17
	s_mul_i32 s16, s44, s39
	s_mul_hi_u32 s17, s44, s38
	s_add_i32 s14, s15, s14
	s_mul_i32 s15, s37, s30
	s_add_i32 s16, s17, s16
	s_mul_i32 s17, s45, s38
	;; [unrolled: 2-line block ×3, first 2 shown]
	s_add_i32 s17, s16, s17
	s_add_u32 s12, s12, s19
	s_addc_u32 s13, s13, s18
	s_add_u32 s12, s12, s6
	s_mul_i32 s15, s36, s30
	s_addc_u32 s13, s13, s7
	s_add_u32 s6, s42, s15
	v_mov_b32_e32 v1, 0
	s_addc_u32 s7, s43, s14
	ds_read_b96 v[2:4], v1 offset:1056
	s_mul_i32 s16, s44, s38
	s_add_u32 s14, s6, s26
	s_addc_u32 s15, s7, s27
	s_lshl_b64 s[6:7], s[16:17], 3
	s_add_u32 s16, s40, s6
	s_addc_u32 s17, s41, s7
	s_lshl_b64 s[6:7], s[34:35], 3
	s_add_u32 s21, s16, s6
	s_load_dword s6, s[4:5], 0x1b0
	s_waitcnt lgkmcnt(0)
	v_add_u32_e32 v2, v2, v3
	v_lshrrev_b32_e32 v3, 5, v0
	s_addc_u32 s26, s17, s7
	s_load_dwordx2 s[16:17], s[4:5], 0x1b8
	s_load_dwordx2 s[18:19], s[4:5], 0x360
	;; [unrolled: 1-line block ×3, first 2 shown]
	v_add_lshl_u32 v9, v3, v0, 2
	v_lshlrev_b32_e32 v3, 2, v0
	v_lshrrev_b32_e32 v6, 3, v0
	v_add_lshl_u32 v10, v6, v3, 2
	v_add_u32_e32 v3, -1, v0
	v_lshrrev_b32_e32 v6, 5, v3
	v_add_lshl_u32 v11, v6, v3, 2
	v_mbcnt_lo_u32_b32 v3, -1, 0
	s_movk_i32 s27, 0x80
	s_bitcmp1_b32 s6, 0
	v_mbcnt_hi_u32_b32 v12, -1, v3
	s_waitcnt vmcnt(0)
	v_add_u32_sdwa v8, sext(v5), s27 dst_sel:DWORD dst_unused:UNUSED_PAD src0_sel:BYTE_0 src1_sel:DWORD
	s_cselect_b64 s[4:5], -1, 0
	v_cmp_gt_u32_e64 s[6:7], 64, v0
	v_add_u32_e32 v0, s33, v0
	v_and_b32_e32 v13, 15, v12
	v_bfe_i32 v14, v12, 4, 1
	v_add_u32_e32 v15, -1, v12
	v_and_b32_e32 v16, 64, v12
                                        ; implicit-def: $vgpr17
	s_branch .LBB140_48
.LBB140_46:                             ;   in Loop: Header=BB140_48 Depth=1
	s_or_b64 exec, exec, s[24:25]
	v_add_u32_e32 v2, v3, v2
.LBB140_47:                             ;   in Loop: Header=BB140_48 Depth=1
	s_add_i32 s20, s20, -1
	v_add_u32_e32 v4, v18, v4
	s_cmp_lg_u32 s20, 0
	v_add_u32_e32 v0, 0x100, v0
	s_cbranch_scc0 .LBB140_67
.LBB140_48:                             ; =>This Inner Loop Header: Depth=1
	v_cmp_gt_u64_e32 vcc, s[8:9], v[0:1]
	v_mov_b32_e32 v3, v1
	v_mov_b32_e32 v6, v1
	s_and_saveexec_b64 s[24:25], vcc
	s_cbranch_execz .LBB140_50
; %bb.49:                               ;   in Loop: Header=BB140_48 Depth=1
	v_pk_mov_b32 v[6:7], s[12:13], s[12:13] op_sel:[0,1]
	s_waitcnt lgkmcnt(0)
	v_mad_u64_u32 v[6:7], s[28:29], v0, s16, v[6:7]
	v_mov_b32_e32 v18, v7
	v_mad_u64_u32 v[18:19], s[28:29], v0, s17, v[18:19]
	v_mov_b32_e32 v7, v18
	global_load_ubyte v17, v[6:7], off
	s_waitcnt vmcnt(0)
	v_add_u32_sdwa v3, sext(v17), s27 dst_sel:DWORD dst_unused:UNUSED_PAD src0_sel:BYTE_0 src1_sel:DWORD
	v_cmp_gt_u32_e32 vcc, v3, v8
	v_cndmask_b32_e64 v6, 0, 1, vcc
	v_cmp_lt_u32_e32 vcc, v3, v8
	v_cndmask_b32_e64 v3, 0, 1, vcc
	v_cndmask_b32_e64 v3, v3, v6, s[4:5]
	v_cmp_eq_u16_sdwa s[28:29], v17, v5 src0_sel:DWORD src1_sel:BYTE_0
	v_and_b32_e32 v3, 1, v3
	v_cndmask_b32_e64 v6, 0, 1, s[28:29]
.LBB140_50:                             ;   in Loop: Header=BB140_48 Depth=1
	s_or_b64 exec, exec, s[24:25]
	ds_write_b32 v9, v3
	s_waitcnt lgkmcnt(0)
	s_barrier
	s_and_saveexec_b64 s[24:25], s[6:7]
	s_cbranch_execz .LBB140_52
; %bb.51:                               ;   in Loop: Header=BB140_48 Depth=1
	ds_read2_b32 v[18:19], v10 offset1:1
	ds_read2_b32 v[20:21], v10 offset0:2 offset1:3
	v_cmp_ne_u32_e32 vcc, 0, v13
	; wave barrier
	s_waitcnt lgkmcnt(1)
	v_add_u32_e32 v7, v19, v18
	s_waitcnt lgkmcnt(0)
	v_add3_u32 v7, v7, v20, v21
	s_nop 1
	v_mov_b32_dpp v19, v7 row_shr:1 row_mask:0xf bank_mask:0xf
	v_cndmask_b32_e32 v19, 0, v19, vcc
	v_add_u32_e32 v7, v19, v7
	v_cmp_lt_u32_e32 vcc, 1, v13
	s_nop 0
	v_mov_b32_dpp v19, v7 row_shr:2 row_mask:0xf bank_mask:0xf
	v_cndmask_b32_e32 v19, 0, v19, vcc
	v_add_u32_e32 v7, v7, v19
	v_cmp_lt_u32_e32 vcc, 3, v13
	;; [unrolled: 5-line block ×4, first 2 shown]
	s_nop 0
	v_mov_b32_dpp v19, v7 row_bcast:15 row_mask:0xf bank_mask:0xf
	v_and_b32_e32 v19, v14, v19
	v_add_u32_e32 v7, v7, v19
	s_nop 1
	v_mov_b32_dpp v19, v7 row_bcast:31 row_mask:0xf bank_mask:0xf
	v_cndmask_b32_e32 v19, 0, v19, vcc
	v_cmp_lt_i32_e32 vcc, v15, v16
	v_add_u32_e32 v7, v7, v19
	v_cndmask_b32_e32 v19, v15, v12, vcc
	v_lshlrev_b32_e32 v19, 2, v19
	ds_bpermute_b32 v7, v19, v7
	s_waitcnt lgkmcnt(0)
	v_add_u32_e32 v7, v7, v18
	v_cndmask_b32_e64 v7, v7, v3, s[2:3]
	ds_write_b32 v10, v7
	; wave barrier
	ds_read2_b32 v[18:19], v10 offset0:1 offset1:2
	ds_read_b32 v20, v10 offset:12
	s_waitcnt lgkmcnt(1)
	v_add_u32_e32 v7, v18, v7
	v_add_u32_e32 v18, v19, v7
	ds_write2_b32 v10, v7, v18 offset0:1 offset1:2
	s_waitcnt lgkmcnt(1)
	v_add_u32_e32 v7, v20, v18
	ds_write_b32 v10, v7 offset:12
.LBB140_52:                             ;   in Loop: Header=BB140_48 Depth=1
	s_or_b64 exec, exec, s[24:25]
	v_mov_b32_e32 v7, 0
	s_waitcnt lgkmcnt(0)
	s_barrier
	s_and_saveexec_b64 s[24:25], s[0:1]
	s_cbranch_execz .LBB140_54
; %bb.53:                               ;   in Loop: Header=BB140_48 Depth=1
	ds_read_b32 v7, v11
.LBB140_54:                             ;   in Loop: Header=BB140_48 Depth=1
	s_or_b64 exec, exec, s[24:25]
	ds_read_b32 v18, v1 offset:1048
	v_cmp_ne_u32_e32 vcc, 0, v3
	s_waitcnt lgkmcnt(0)
	s_barrier
	s_and_saveexec_b64 s[24:25], vcc
	s_cbranch_execz .LBB140_56
; %bb.55:                               ;   in Loop: Header=BB140_48 Depth=1
	v_add_u32_e32 v3, v7, v4
	v_pk_mov_b32 v[20:21], s[14:15], s[14:15] op_sel:[0,1]
	v_mad_u64_u32 v[20:21], s[28:29], v3, s18, v[20:21]
	v_mov_b32_e32 v22, v21
	v_mad_u64_u32 v[22:23], s[28:29], v3, s19, v[22:23]
	v_mov_b32_e32 v21, v22
	global_store_byte v[20:21], v17, off
	v_mad_u64_u32 v[20:21], s[28:29], v3, s22, 0
	v_mov_b32_e32 v22, v21
	v_mad_u64_u32 v[22:23], s[28:29], v3, s23, v[22:23]
	v_mov_b32_e32 v21, v22
	v_lshlrev_b64 v[20:21], 3, v[20:21]
	v_mov_b32_e32 v3, s26
	v_add_co_u32_e32 v20, vcc, s21, v20
	v_addc_co_u32_e32 v21, vcc, v3, v21, vcc
	global_store_dwordx2 v[20:21], v[0:1], off
.LBB140_56:                             ;   in Loop: Header=BB140_48 Depth=1
	s_or_b64 exec, exec, s[24:25]
	v_mov_b32_e32 v3, v1
	v_cmp_le_u64_e32 vcc, s[10:11], v[2:3]
	s_cbranch_vccnz .LBB140_47
; %bb.57:                               ;   in Loop: Header=BB140_48 Depth=1
	ds_write_b32 v9, v6
	s_waitcnt lgkmcnt(0)
	s_barrier
	s_and_saveexec_b64 s[24:25], s[6:7]
	s_cbranch_execz .LBB140_59
; %bb.58:                               ;   in Loop: Header=BB140_48 Depth=1
	ds_read2_b32 v[20:21], v10 offset1:1
	ds_read2_b32 v[22:23], v10 offset0:2 offset1:3
	v_cmp_ne_u32_e32 vcc, 0, v13
	; wave barrier
	s_waitcnt lgkmcnt(1)
	v_add_u32_e32 v3, v21, v20
	s_waitcnt lgkmcnt(0)
	v_add3_u32 v3, v3, v22, v23
	s_nop 1
	v_mov_b32_dpp v7, v3 row_shr:1 row_mask:0xf bank_mask:0xf
	v_cndmask_b32_e32 v7, 0, v7, vcc
	v_add_u32_e32 v3, v7, v3
	v_cmp_lt_u32_e32 vcc, 1, v13
	s_nop 0
	v_mov_b32_dpp v7, v3 row_shr:2 row_mask:0xf bank_mask:0xf
	v_cndmask_b32_e32 v7, 0, v7, vcc
	v_add_u32_e32 v3, v3, v7
	v_cmp_lt_u32_e32 vcc, 3, v13
	;; [unrolled: 5-line block ×4, first 2 shown]
	s_nop 0
	v_mov_b32_dpp v7, v3 row_bcast:15 row_mask:0xf bank_mask:0xf
	v_and_b32_e32 v7, v14, v7
	v_add_u32_e32 v3, v3, v7
	s_nop 1
	v_mov_b32_dpp v7, v3 row_bcast:31 row_mask:0xf bank_mask:0xf
	v_cndmask_b32_e32 v7, 0, v7, vcc
	v_cmp_lt_i32_e32 vcc, v15, v16
	v_add_u32_e32 v3, v3, v7
	v_cndmask_b32_e32 v7, v15, v12, vcc
	v_lshlrev_b32_e32 v7, 2, v7
	ds_bpermute_b32 v3, v7, v3
	s_waitcnt lgkmcnt(0)
	v_add_u32_e32 v3, v3, v20
	v_cndmask_b32_e64 v3, v3, v6, s[2:3]
	ds_write_b32 v10, v3
	; wave barrier
	ds_read2_b32 v[20:21], v10 offset0:1 offset1:2
	ds_read_b32 v7, v10 offset:12
	s_waitcnt lgkmcnt(1)
	v_add_u32_e32 v3, v20, v3
	v_add_u32_e32 v19, v21, v3
	ds_write2_b32 v10, v3, v19 offset0:1 offset1:2
	s_waitcnt lgkmcnt(1)
	v_add_u32_e32 v3, v7, v19
	ds_write_b32 v10, v3 offset:12
.LBB140_59:                             ;   in Loop: Header=BB140_48 Depth=1
	s_or_b64 exec, exec, s[24:25]
	v_mov_b32_e32 v7, 0
	s_waitcnt lgkmcnt(0)
	s_barrier
	s_and_saveexec_b64 s[24:25], s[0:1]
	s_cbranch_execz .LBB140_61
; %bb.60:                               ;   in Loop: Header=BB140_48 Depth=1
	ds_read_b32 v7, v11
.LBB140_61:                             ;   in Loop: Header=BB140_48 Depth=1
	s_or_b64 exec, exec, s[24:25]
	ds_read_b32 v3, v1 offset:1048
	v_cmp_ne_u32_e32 vcc, 0, v6
	s_waitcnt lgkmcnt(0)
	s_barrier
	s_and_saveexec_b64 s[24:25], vcc
	s_cbranch_execz .LBB140_46
; %bb.62:                               ;   in Loop: Header=BB140_48 Depth=1
	v_add_u32_e32 v6, v7, v2
	v_mov_b32_e32 v7, v1
	v_cmp_gt_u64_e32 vcc, s[10:11], v[6:7]
	s_and_b64 exec, exec, vcc
	s_cbranch_execz .LBB140_46
; %bb.63:                               ;   in Loop: Header=BB140_48 Depth=1
	v_pk_mov_b32 v[20:21], s[14:15], s[14:15] op_sel:[0,1]
	v_mad_u64_u32 v[20:21], s[28:29], v6, s18, v[20:21]
	v_mov_b32_e32 v22, v21
	v_mad_u64_u32 v[22:23], s[28:29], v6, s19, v[22:23]
	v_mov_b32_e32 v21, v22
	global_store_byte v[20:21], v17, off
	v_mad_u64_u32 v[20:21], s[28:29], v6, s22, 0
	v_mov_b32_e32 v22, v21
	v_mad_u64_u32 v[6:7], s[28:29], v6, s23, v[22:23]
	v_mov_b32_e32 v21, v6
	v_lshlrev_b64 v[6:7], 3, v[20:21]
	v_mov_b32_e32 v19, s26
	v_add_co_u32_e32 v6, vcc, s21, v6
	v_addc_co_u32_e32 v7, vcc, v19, v7, vcc
	global_store_dwordx2 v[6:7], v[0:1], off
	s_branch .LBB140_46
.LBB140_64:                             ;   in Loop: Header=BB140_65 Depth=1
	s_add_u32 s16, s16, 4
	s_addc_u32 s17, s17, 0
	s_waitcnt lgkmcnt(0)
	s_add_i32 s55, s15, s55
	s_add_u32 s18, s18, 4
	s_addc_u32 s19, s19, 0
	s_add_i32 s14, s14, 1
	s_cmp_lt_u32 s14, s21
	s_cbranch_scc0 .LBB140_43
.LBB140_65:                             ; =>This Inner Loop Header: Depth=1
	s_load_dword s15, s[16:17], 0x0
	s_cmp_ge_u32 s14, s54
	s_cbranch_scc1 .LBB140_64
; %bb.66:                               ;   in Loop: Header=BB140_65 Depth=1
	s_load_dword s48, s[18:19], 0x0
	s_waitcnt lgkmcnt(0)
	s_add_i32 s23, s15, s23
	s_add_i32 s22, s48, s22
	s_branch .LBB140_64
.LBB140_67:
	s_endpgm
	.section	.rodata,"a",@progbits
	.p2align	6, 0x0
	.amdhsa_kernel _ZN2at6native6mbtopk10gatherTopKIamLin1EEEvNS_4cuda6detail10TensorInfoIKT_T0_EES8_S8_bjS8_NS5_IS6_S8_EES8_NS5_IlS8_EES8_jjPS6_PjSD_j
		.amdhsa_group_segment_fixed_size 1068
		.amdhsa_private_segment_fixed_size 0
		.amdhsa_kernarg_size 1592
		.amdhsa_user_sgpr_count 6
		.amdhsa_user_sgpr_private_segment_buffer 1
		.amdhsa_user_sgpr_dispatch_ptr 0
		.amdhsa_user_sgpr_queue_ptr 0
		.amdhsa_user_sgpr_kernarg_segment_ptr 1
		.amdhsa_user_sgpr_dispatch_id 0
		.amdhsa_user_sgpr_flat_scratch_init 0
		.amdhsa_user_sgpr_kernarg_preload_length 0
		.amdhsa_user_sgpr_kernarg_preload_offset 0
		.amdhsa_user_sgpr_private_segment_size 0
		.amdhsa_uses_dynamic_stack 0
		.amdhsa_system_sgpr_private_segment_wavefront_offset 0
		.amdhsa_system_sgpr_workgroup_id_x 1
		.amdhsa_system_sgpr_workgroup_id_y 1
		.amdhsa_system_sgpr_workgroup_id_z 1
		.amdhsa_system_sgpr_workgroup_info 0
		.amdhsa_system_vgpr_workitem_id 0
		.amdhsa_next_free_vgpr 24
		.amdhsa_next_free_sgpr 59
		.amdhsa_accum_offset 24
		.amdhsa_reserve_vcc 1
		.amdhsa_reserve_flat_scratch 0
		.amdhsa_float_round_mode_32 0
		.amdhsa_float_round_mode_16_64 0
		.amdhsa_float_denorm_mode_32 3
		.amdhsa_float_denorm_mode_16_64 3
		.amdhsa_dx10_clamp 1
		.amdhsa_ieee_mode 1
		.amdhsa_fp16_overflow 0
		.amdhsa_tg_split 0
		.amdhsa_exception_fp_ieee_invalid_op 0
		.amdhsa_exception_fp_denorm_src 0
		.amdhsa_exception_fp_ieee_div_zero 0
		.amdhsa_exception_fp_ieee_overflow 0
		.amdhsa_exception_fp_ieee_underflow 0
		.amdhsa_exception_fp_ieee_inexact 0
		.amdhsa_exception_int_div_zero 0
	.end_amdhsa_kernel
	.section	.text._ZN2at6native6mbtopk10gatherTopKIamLin1EEEvNS_4cuda6detail10TensorInfoIKT_T0_EES8_S8_bjS8_NS5_IS6_S8_EES8_NS5_IlS8_EES8_jjPS6_PjSD_j,"axG",@progbits,_ZN2at6native6mbtopk10gatherTopKIamLin1EEEvNS_4cuda6detail10TensorInfoIKT_T0_EES8_S8_bjS8_NS5_IS6_S8_EES8_NS5_IlS8_EES8_jjPS6_PjSD_j,comdat
.Lfunc_end140:
	.size	_ZN2at6native6mbtopk10gatherTopKIamLin1EEEvNS_4cuda6detail10TensorInfoIKT_T0_EES8_S8_bjS8_NS5_IS6_S8_EES8_NS5_IlS8_EES8_jjPS6_PjSD_j, .Lfunc_end140-_ZN2at6native6mbtopk10gatherTopKIamLin1EEEvNS_4cuda6detail10TensorInfoIKT_T0_EES8_S8_bjS8_NS5_IS6_S8_EES8_NS5_IlS8_EES8_jjPS6_PjSD_j
                                        ; -- End function
	.section	.AMDGPU.csdata,"",@progbits
; Kernel info:
; codeLenInByte = 4584
; NumSgprs: 63
; NumVgprs: 24
; NumAgprs: 0
; TotalNumVgprs: 24
; ScratchSize: 0
; MemoryBound: 0
; FloatMode: 240
; IeeeMode: 1
; LDSByteSize: 1068 bytes/workgroup (compile time only)
; SGPRBlocks: 7
; VGPRBlocks: 2
; NumSGPRsForWavesPerEU: 63
; NumVGPRsForWavesPerEU: 24
; AccumOffset: 24
; Occupancy: 8
; WaveLimiterHint : 1
; COMPUTE_PGM_RSRC2:SCRATCH_EN: 0
; COMPUTE_PGM_RSRC2:USER_SGPR: 6
; COMPUTE_PGM_RSRC2:TRAP_HANDLER: 0
; COMPUTE_PGM_RSRC2:TGID_X_EN: 1
; COMPUTE_PGM_RSRC2:TGID_Y_EN: 1
; COMPUTE_PGM_RSRC2:TGID_Z_EN: 1
; COMPUTE_PGM_RSRC2:TIDIG_COMP_CNT: 0
; COMPUTE_PGM_RSRC3_GFX90A:ACCUM_OFFSET: 5
; COMPUTE_PGM_RSRC3_GFX90A:TG_SPLIT: 0
	.section	.text._ZN2at6native6sbtopk10gatherTopKIamLin1ELb0EEEvNS_4cuda6detail10TensorInfoIKT_T0_EES8_S8_bS8_S8_NS5_IS6_S8_EES8_NS5_IlS8_EES8_PS6_,"axG",@progbits,_ZN2at6native6sbtopk10gatherTopKIamLin1ELb0EEEvNS_4cuda6detail10TensorInfoIKT_T0_EES8_S8_bS8_S8_NS5_IS6_S8_EES8_NS5_IlS8_EES8_PS6_,comdat
	.protected	_ZN2at6native6sbtopk10gatherTopKIamLin1ELb0EEEvNS_4cuda6detail10TensorInfoIKT_T0_EES8_S8_bS8_S8_NS5_IS6_S8_EES8_NS5_IlS8_EES8_PS6_ ; -- Begin function _ZN2at6native6sbtopk10gatherTopKIamLin1ELb0EEEvNS_4cuda6detail10TensorInfoIKT_T0_EES8_S8_bS8_S8_NS5_IS6_S8_EES8_NS5_IlS8_EES8_PS6_
	.globl	_ZN2at6native6sbtopk10gatherTopKIamLin1ELb0EEEvNS_4cuda6detail10TensorInfoIKT_T0_EES8_S8_bS8_S8_NS5_IS6_S8_EES8_NS5_IlS8_EES8_PS6_
	.p2align	8
	.type	_ZN2at6native6sbtopk10gatherTopKIamLin1ELb0EEEvNS_4cuda6detail10TensorInfoIKT_T0_EES8_S8_bS8_S8_NS5_IS6_S8_EES8_NS5_IlS8_EES8_PS6_,@function
_ZN2at6native6sbtopk10gatherTopKIamLin1ELb0EEEvNS_4cuda6detail10TensorInfoIKT_T0_EES8_S8_bS8_S8_NS5_IS6_S8_EES8_NS5_IlS8_EES8_PS6_: ; @_ZN2at6native6sbtopk10gatherTopKIamLin1ELb0EEEvNS_4cuda6detail10TensorInfoIKT_T0_EES8_S8_bS8_S8_NS5_IS6_S8_EES8_NS5_IlS8_EES8_PS6_
; %bb.0:
	s_load_dwordx4 s[56:59], s[4:5], 0x1b8
	s_load_dwordx2 s[34:35], s[4:5], 0x520
	s_add_u32 s2, s4, 0x520
	s_addc_u32 s3, s5, 0
	s_mov_b32 s11, 0
	s_waitcnt lgkmcnt(0)
	v_mov_b32_e32 v2, s56
	s_mul_i32 s0, s35, s8
	s_add_i32 s0, s0, s7
	s_mul_i32 s0, s0, s34
	v_mov_b32_e32 v3, s57
	s_add_i32 s10, s0, s6
	v_cmp_ge_u64_e32 vcc, s[10:11], v[2:3]
	s_cbranch_vccnz .LBB141_505
; %bb.1:
	s_load_dword s0, s[4:5], 0x198
	s_mov_b64 s[8:9], 0
	s_mov_b64 s[12:13], s[10:11]
	s_waitcnt lgkmcnt(0)
	s_cmp_lt_i32 s0, 2
	s_cbranch_scc1 .LBB141_9
; %bb.2:
	s_mov_b32 s14, 0
	s_add_i32 s25, s0, 1
	s_add_i32 s0, s0, -1
	s_mov_b32 s1, s14
	s_lshl_b64 s[0:1], s[0:1], 3
	s_add_u32 s0, s0, s4
	s_addc_u32 s1, s1, s5
	s_add_u32 s16, s0, 8
	s_addc_u32 s17, s1, 0
	s_mov_b64 s[18:19], s[10:11]
.LBB141_3:                              ; =>This Inner Loop Header: Depth=1
	s_load_dwordx2 s[20:21], s[16:17], 0x0
	s_waitcnt lgkmcnt(0)
	s_or_b64 s[0:1], s[18:19], s[20:21]
	s_mov_b32 s15, s1
	s_cmp_lg_u64 s[14:15], 0
	s_cbranch_scc0 .LBB141_8
; %bb.4:                                ;   in Loop: Header=BB141_3 Depth=1
	v_cvt_f32_u32_e32 v1, s20
	v_cvt_f32_u32_e32 v2, s21
	s_sub_u32 s0, 0, s20
	s_subb_u32 s1, 0, s21
	v_mac_f32_e32 v1, 0x4f800000, v2
	v_rcp_f32_e32 v1, v1
	v_mul_f32_e32 v1, 0x5f7ffffc, v1
	v_mul_f32_e32 v2, 0x2f800000, v1
	v_trunc_f32_e32 v2, v2
	v_mac_f32_e32 v1, 0xcf800000, v2
	v_cvt_u32_f32_e32 v2, v2
	v_cvt_u32_f32_e32 v1, v1
	v_readfirstlane_b32 s7, v2
	v_readfirstlane_b32 s12, v1
	s_mul_i32 s13, s0, s7
	s_mul_hi_u32 s22, s0, s12
	s_mul_i32 s15, s1, s12
	s_add_i32 s13, s22, s13
	s_mul_i32 s23, s0, s12
	s_add_i32 s13, s13, s15
	s_mul_hi_u32 s15, s12, s13
	s_mul_i32 s22, s12, s13
	s_mul_hi_u32 s12, s12, s23
	s_add_u32 s12, s12, s22
	s_addc_u32 s15, 0, s15
	s_mul_hi_u32 s24, s7, s23
	s_mul_i32 s23, s7, s23
	s_add_u32 s12, s12, s23
	s_mul_hi_u32 s22, s7, s13
	s_addc_u32 s12, s15, s24
	s_addc_u32 s15, s22, 0
	s_mul_i32 s13, s7, s13
	s_add_u32 s12, s12, s13
	s_addc_u32 s13, 0, s15
	v_add_co_u32_e32 v1, vcc, s12, v1
	s_cmp_lg_u64 vcc, 0
	s_addc_u32 s7, s7, s13
	v_readfirstlane_b32 s13, v1
	s_mul_i32 s12, s0, s7
	s_mul_hi_u32 s15, s0, s13
	s_add_i32 s12, s15, s12
	s_mul_i32 s1, s1, s13
	s_add_i32 s12, s12, s1
	s_mul_i32 s0, s0, s13
	s_mul_hi_u32 s15, s7, s0
	s_mul_i32 s22, s7, s0
	s_mul_i32 s24, s13, s12
	s_mul_hi_u32 s0, s13, s0
	s_mul_hi_u32 s23, s13, s12
	s_add_u32 s0, s0, s24
	s_addc_u32 s13, 0, s23
	s_add_u32 s0, s0, s22
	s_mul_hi_u32 s1, s7, s12
	s_addc_u32 s0, s13, s15
	s_addc_u32 s1, s1, 0
	s_mul_i32 s12, s7, s12
	s_add_u32 s0, s0, s12
	s_addc_u32 s1, 0, s1
	v_add_co_u32_e32 v1, vcc, s0, v1
	s_cmp_lg_u64 vcc, 0
	s_addc_u32 s0, s7, s1
	v_readfirstlane_b32 s12, v1
	s_mul_i32 s7, s18, s0
	s_mul_hi_u32 s13, s18, s12
	s_mul_hi_u32 s1, s18, s0
	s_add_u32 s7, s13, s7
	s_addc_u32 s1, 0, s1
	s_mul_hi_u32 s15, s19, s12
	s_mul_i32 s12, s19, s12
	s_add_u32 s7, s7, s12
	s_mul_hi_u32 s13, s19, s0
	s_addc_u32 s1, s1, s15
	s_addc_u32 s7, s13, 0
	s_mul_i32 s0, s19, s0
	s_add_u32 s12, s1, s0
	s_addc_u32 s7, 0, s7
	s_mul_i32 s0, s20, s7
	s_mul_hi_u32 s1, s20, s12
	s_add_i32 s0, s1, s0
	s_mul_i32 s1, s21, s12
	s_add_i32 s13, s0, s1
	s_mul_i32 s1, s20, s12
	v_mov_b32_e32 v1, s1
	s_sub_i32 s0, s19, s13
	v_sub_co_u32_e32 v1, vcc, s18, v1
	s_cmp_lg_u64 vcc, 0
	s_subb_u32 s15, s0, s21
	v_subrev_co_u32_e64 v2, s[0:1], s20, v1
	s_cmp_lg_u64 s[0:1], 0
	s_subb_u32 s0, s15, 0
	s_cmp_ge_u32 s0, s21
	v_readfirstlane_b32 s15, v2
	s_cselect_b32 s1, -1, 0
	s_cmp_ge_u32 s15, s20
	s_cselect_b32 s15, -1, 0
	s_cmp_eq_u32 s0, s21
	s_cselect_b32 s0, s15, s1
	s_add_u32 s1, s12, 1
	s_addc_u32 s15, s7, 0
	s_add_u32 s22, s12, 2
	s_addc_u32 s23, s7, 0
	s_cmp_lg_u32 s0, 0
	s_cselect_b32 s0, s22, s1
	s_cselect_b32 s1, s23, s15
	s_cmp_lg_u64 vcc, 0
	s_subb_u32 s13, s19, s13
	s_cmp_ge_u32 s13, s21
	v_readfirstlane_b32 s22, v1
	s_cselect_b32 s15, -1, 0
	s_cmp_ge_u32 s22, s20
	s_cselect_b32 s22, -1, 0
	s_cmp_eq_u32 s13, s21
	s_cselect_b32 s13, s22, s15
	s_cmp_lg_u32 s13, 0
	s_cselect_b32 s13, s1, s7
	s_cselect_b32 s12, s0, s12
	s_cbranch_execnz .LBB141_6
.LBB141_5:                              ;   in Loop: Header=BB141_3 Depth=1
	v_cvt_f32_u32_e32 v1, s20
	s_sub_i32 s0, 0, s20
	s_mov_b32 s13, s14
	v_rcp_iflag_f32_e32 v1, v1
	v_mul_f32_e32 v1, 0x4f7ffffe, v1
	v_cvt_u32_f32_e32 v1, v1
	v_readfirstlane_b32 s1, v1
	s_mul_i32 s0, s0, s1
	s_mul_hi_u32 s0, s1, s0
	s_add_i32 s1, s1, s0
	s_mul_hi_u32 s0, s18, s1
	s_mul_i32 s7, s0, s20
	s_sub_i32 s7, s18, s7
	s_add_i32 s1, s0, 1
	s_sub_i32 s12, s7, s20
	s_cmp_ge_u32 s7, s20
	s_cselect_b32 s0, s1, s0
	s_cselect_b32 s7, s12, s7
	s_add_i32 s1, s0, 1
	s_cmp_ge_u32 s7, s20
	s_cselect_b32 s12, s1, s0
.LBB141_6:                              ;   in Loop: Header=BB141_3 Depth=1
	s_mul_i32 s0, s12, s21
	s_mul_hi_u32 s1, s12, s20
	s_add_i32 s7, s1, s0
	s_load_dwordx2 s[0:1], s[16:17], 0xc8
	s_mul_i32 s15, s13, s20
	s_add_i32 s7, s7, s15
	s_mul_i32 s15, s12, s20
	s_sub_u32 s15, s18, s15
	s_subb_u32 s7, s19, s7
	s_waitcnt lgkmcnt(0)
	s_mul_i32 s7, s0, s7
	s_mul_hi_u32 s18, s0, s15
	s_add_i32 s7, s18, s7
	s_mul_i32 s1, s1, s15
	s_add_i32 s7, s7, s1
	s_mul_i32 s0, s0, s15
	s_add_u32 s8, s0, s8
	s_addc_u32 s9, s7, s9
	s_add_i32 s25, s25, -1
	s_add_u32 s16, s16, -8
	s_addc_u32 s17, s17, -1
	s_cmp_gt_u32 s25, 2
	s_cbranch_scc0 .LBB141_9
; %bb.7:                                ;   in Loop: Header=BB141_3 Depth=1
	s_mov_b64 s[18:19], s[12:13]
	s_branch .LBB141_3
.LBB141_8:                              ;   in Loop: Header=BB141_3 Depth=1
                                        ; implicit-def: $sgpr12_sgpr13
	s_branch .LBB141_5
.LBB141_9:
	s_load_dword s0, s[4:5], 0x360
	s_load_dwordx2 s[14:15], s[4:5], 0xd0
	s_add_u32 s16, s4, 0x1c8
	s_addc_u32 s17, s5, 0
	s_mov_b64 s[56:57], 0
	s_waitcnt lgkmcnt(0)
	s_cmp_lt_i32 s0, 2
	s_mov_b64 s[28:29], s[10:11]
	s_cbranch_scc1 .LBB141_17
; %bb.10:
	s_mov_b32 s18, 0
	s_add_i32 s31, s0, 1
	s_add_i32 s0, s0, -1
	s_mov_b32 s1, s18
	s_lshl_b64 s[0:1], s[0:1], 3
	s_add_u32 s0, s0, s16
	s_addc_u32 s1, s1, s17
	s_add_u32 s20, s0, 8
	s_addc_u32 s21, s1, 0
	s_mov_b64 s[22:23], s[10:11]
.LBB141_11:                             ; =>This Inner Loop Header: Depth=1
	s_load_dwordx2 s[24:25], s[20:21], 0x0
	s_waitcnt lgkmcnt(0)
	s_or_b64 s[0:1], s[22:23], s[24:25]
	s_mov_b32 s19, s1
	s_cmp_lg_u64 s[18:19], 0
	s_cbranch_scc0 .LBB141_16
; %bb.12:                               ;   in Loop: Header=BB141_11 Depth=1
	v_cvt_f32_u32_e32 v1, s24
	v_cvt_f32_u32_e32 v2, s25
	s_sub_u32 s0, 0, s24
	s_subb_u32 s1, 0, s25
	v_mac_f32_e32 v1, 0x4f800000, v2
	v_rcp_f32_e32 v1, v1
	v_mul_f32_e32 v1, 0x5f7ffffc, v1
	v_mul_f32_e32 v2, 0x2f800000, v1
	v_trunc_f32_e32 v2, v2
	v_mac_f32_e32 v1, 0xcf800000, v2
	v_cvt_u32_f32_e32 v2, v2
	v_cvt_u32_f32_e32 v1, v1
	v_readfirstlane_b32 s7, v2
	v_readfirstlane_b32 s19, v1
	s_mul_i32 s26, s0, s7
	s_mul_hi_u32 s28, s0, s19
	s_mul_i32 s27, s1, s19
	s_add_i32 s26, s28, s26
	s_mul_i32 s29, s0, s19
	s_add_i32 s26, s26, s27
	s_mul_hi_u32 s27, s19, s26
	s_mul_i32 s28, s19, s26
	s_mul_hi_u32 s19, s19, s29
	s_add_u32 s19, s19, s28
	s_addc_u32 s27, 0, s27
	s_mul_hi_u32 s30, s7, s29
	s_mul_i32 s29, s7, s29
	s_add_u32 s19, s19, s29
	s_mul_hi_u32 s28, s7, s26
	s_addc_u32 s19, s27, s30
	s_addc_u32 s27, s28, 0
	s_mul_i32 s26, s7, s26
	s_add_u32 s19, s19, s26
	s_addc_u32 s26, 0, s27
	v_add_co_u32_e32 v1, vcc, s19, v1
	s_cmp_lg_u64 vcc, 0
	s_addc_u32 s7, s7, s26
	v_readfirstlane_b32 s26, v1
	s_mul_i32 s19, s0, s7
	s_mul_hi_u32 s27, s0, s26
	s_add_i32 s19, s27, s19
	s_mul_i32 s1, s1, s26
	s_add_i32 s19, s19, s1
	s_mul_i32 s0, s0, s26
	s_mul_hi_u32 s27, s7, s0
	s_mul_i32 s28, s7, s0
	s_mul_i32 s30, s26, s19
	s_mul_hi_u32 s0, s26, s0
	s_mul_hi_u32 s29, s26, s19
	s_add_u32 s0, s0, s30
	s_addc_u32 s26, 0, s29
	s_add_u32 s0, s0, s28
	s_mul_hi_u32 s1, s7, s19
	s_addc_u32 s0, s26, s27
	s_addc_u32 s1, s1, 0
	s_mul_i32 s19, s7, s19
	s_add_u32 s0, s0, s19
	s_addc_u32 s1, 0, s1
	v_add_co_u32_e32 v1, vcc, s0, v1
	s_cmp_lg_u64 vcc, 0
	s_addc_u32 s0, s7, s1
	v_readfirstlane_b32 s19, v1
	s_mul_i32 s7, s22, s0
	s_mul_hi_u32 s26, s22, s19
	s_mul_hi_u32 s1, s22, s0
	s_add_u32 s7, s26, s7
	s_addc_u32 s1, 0, s1
	s_mul_hi_u32 s27, s23, s19
	s_mul_i32 s19, s23, s19
	s_add_u32 s7, s7, s19
	s_mul_hi_u32 s26, s23, s0
	s_addc_u32 s1, s1, s27
	s_addc_u32 s7, s26, 0
	s_mul_i32 s0, s23, s0
	s_add_u32 s19, s1, s0
	s_addc_u32 s7, 0, s7
	s_mul_i32 s0, s24, s7
	s_mul_hi_u32 s1, s24, s19
	s_add_i32 s0, s1, s0
	s_mul_i32 s1, s25, s19
	s_add_i32 s26, s0, s1
	s_mul_i32 s1, s24, s19
	v_mov_b32_e32 v1, s1
	s_sub_i32 s0, s23, s26
	v_sub_co_u32_e32 v1, vcc, s22, v1
	s_cmp_lg_u64 vcc, 0
	s_subb_u32 s27, s0, s25
	v_subrev_co_u32_e64 v2, s[0:1], s24, v1
	s_cmp_lg_u64 s[0:1], 0
	s_subb_u32 s0, s27, 0
	s_cmp_ge_u32 s0, s25
	v_readfirstlane_b32 s27, v2
	s_cselect_b32 s1, -1, 0
	s_cmp_ge_u32 s27, s24
	s_cselect_b32 s27, -1, 0
	s_cmp_eq_u32 s0, s25
	s_cselect_b32 s0, s27, s1
	s_add_u32 s1, s19, 1
	s_addc_u32 s27, s7, 0
	s_add_u32 s28, s19, 2
	s_addc_u32 s29, s7, 0
	s_cmp_lg_u32 s0, 0
	s_cselect_b32 s0, s28, s1
	s_cselect_b32 s1, s29, s27
	s_cmp_lg_u64 vcc, 0
	s_subb_u32 s26, s23, s26
	s_cmp_ge_u32 s26, s25
	v_readfirstlane_b32 s28, v1
	s_cselect_b32 s27, -1, 0
	s_cmp_ge_u32 s28, s24
	s_cselect_b32 s28, -1, 0
	s_cmp_eq_u32 s26, s25
	s_cselect_b32 s26, s28, s27
	s_cmp_lg_u32 s26, 0
	s_cselect_b32 s29, s1, s7
	s_cselect_b32 s28, s0, s19
	s_cbranch_execnz .LBB141_14
.LBB141_13:                             ;   in Loop: Header=BB141_11 Depth=1
	v_cvt_f32_u32_e32 v1, s24
	s_sub_i32 s0, 0, s24
	s_mov_b32 s29, s18
	v_rcp_iflag_f32_e32 v1, v1
	v_mul_f32_e32 v1, 0x4f7ffffe, v1
	v_cvt_u32_f32_e32 v1, v1
	v_readfirstlane_b32 s1, v1
	s_mul_i32 s0, s0, s1
	s_mul_hi_u32 s0, s1, s0
	s_add_i32 s1, s1, s0
	s_mul_hi_u32 s0, s22, s1
	s_mul_i32 s7, s0, s24
	s_sub_i32 s7, s22, s7
	s_add_i32 s1, s0, 1
	s_sub_i32 s19, s7, s24
	s_cmp_ge_u32 s7, s24
	s_cselect_b32 s0, s1, s0
	s_cselect_b32 s7, s19, s7
	s_add_i32 s1, s0, 1
	s_cmp_ge_u32 s7, s24
	s_cselect_b32 s28, s1, s0
.LBB141_14:                             ;   in Loop: Header=BB141_11 Depth=1
	s_mul_i32 s0, s28, s25
	s_mul_hi_u32 s1, s28, s24
	s_add_i32 s7, s1, s0
	s_load_dwordx2 s[0:1], s[20:21], 0xc8
	s_mul_i32 s19, s29, s24
	s_add_i32 s7, s7, s19
	s_mul_i32 s19, s28, s24
	s_sub_u32 s19, s22, s19
	s_subb_u32 s7, s23, s7
	s_waitcnt lgkmcnt(0)
	s_mul_i32 s7, s0, s7
	s_mul_hi_u32 s22, s0, s19
	s_add_i32 s7, s22, s7
	s_mul_i32 s1, s1, s19
	s_add_i32 s7, s7, s1
	s_mul_i32 s0, s0, s19
	s_add_u32 s56, s0, s56
	s_addc_u32 s57, s7, s57
	s_add_i32 s31, s31, -1
	s_add_u32 s20, s20, -8
	s_addc_u32 s21, s21, -1
	s_cmp_gt_u32 s31, 2
	s_cbranch_scc0 .LBB141_17
; %bb.15:                               ;   in Loop: Header=BB141_11 Depth=1
	s_mov_b64 s[22:23], s[28:29]
	s_branch .LBB141_11
.LBB141_16:                             ;   in Loop: Header=BB141_11 Depth=1
                                        ; implicit-def: $sgpr28_sgpr29
	s_branch .LBB141_13
.LBB141_17:
	s_load_dword s7, s[4:5], 0x508
	s_load_dwordx2 s[0:1], s[16:17], 0xd0
                                        ; implicit-def: $vgpr52 : SGPR spill to VGPR lane
	s_mov_b64 s[70:71], 0
                                        ; kill: killed $sgpr16 killed $sgpr17
	s_waitcnt lgkmcnt(0)
	v_writelane_b32 v52, s0, 0
	v_writelane_b32 v52, s1, 1
	s_add_u32 s0, s4, 0x370
	s_addc_u32 s1, s5, 0
	s_cmp_lt_i32 s7, 2
	s_cbranch_scc1 .LBB141_25
; %bb.18:
	s_mov_b32 s16, 0
	s_add_i32 s18, s7, -1
	s_mov_b32 s19, s16
	s_add_i32 s27, s7, 1
	s_lshl_b64 s[18:19], s[18:19], 3
	s_add_u32 s0, s18, s0
	s_addc_u32 s1, s19, s1
	s_add_u32 s18, s0, 8
	s_addc_u32 s19, s1, 0
.LBB141_19:                             ; =>This Inner Loop Header: Depth=1
	s_load_dwordx2 s[20:21], s[18:19], 0x0
	s_waitcnt lgkmcnt(0)
	s_or_b64 s[0:1], s[10:11], s[20:21]
	s_mov_b32 s17, s1
	s_cmp_lg_u64 s[16:17], 0
	s_cbranch_scc0 .LBB141_24
; %bb.20:                               ;   in Loop: Header=BB141_19 Depth=1
	v_cvt_f32_u32_e32 v1, s20
	v_cvt_f32_u32_e32 v2, s21
	s_sub_u32 s0, 0, s20
	s_subb_u32 s1, 0, s21
	v_mac_f32_e32 v1, 0x4f800000, v2
	v_rcp_f32_e32 v1, v1
	v_mul_f32_e32 v1, 0x5f7ffffc, v1
	v_mul_f32_e32 v2, 0x2f800000, v1
	v_trunc_f32_e32 v2, v2
	v_mac_f32_e32 v1, 0xcf800000, v2
	v_cvt_u32_f32_e32 v2, v2
	v_cvt_u32_f32_e32 v1, v1
	v_readfirstlane_b32 s7, v2
	v_readfirstlane_b32 s17, v1
	s_mul_i32 s22, s0, s7
	s_mul_hi_u32 s24, s0, s17
	s_mul_i32 s23, s1, s17
	s_add_i32 s22, s24, s22
	s_mul_i32 s25, s0, s17
	s_add_i32 s22, s22, s23
	s_mul_hi_u32 s23, s17, s22
	s_mul_i32 s24, s17, s22
	s_mul_hi_u32 s17, s17, s25
	s_add_u32 s17, s17, s24
	s_addc_u32 s23, 0, s23
	s_mul_hi_u32 s26, s7, s25
	s_mul_i32 s25, s7, s25
	s_add_u32 s17, s17, s25
	s_mul_hi_u32 s24, s7, s22
	s_addc_u32 s17, s23, s26
	s_addc_u32 s23, s24, 0
	s_mul_i32 s22, s7, s22
	s_add_u32 s17, s17, s22
	s_addc_u32 s22, 0, s23
	v_add_co_u32_e32 v1, vcc, s17, v1
	s_cmp_lg_u64 vcc, 0
	s_addc_u32 s7, s7, s22
	v_readfirstlane_b32 s22, v1
	s_mul_i32 s17, s0, s7
	s_mul_hi_u32 s23, s0, s22
	s_add_i32 s17, s23, s17
	s_mul_i32 s1, s1, s22
	s_add_i32 s17, s17, s1
	s_mul_i32 s0, s0, s22
	s_mul_hi_u32 s23, s7, s0
	s_mul_i32 s24, s7, s0
	s_mul_i32 s26, s22, s17
	s_mul_hi_u32 s0, s22, s0
	s_mul_hi_u32 s25, s22, s17
	s_add_u32 s0, s0, s26
	s_addc_u32 s22, 0, s25
	s_add_u32 s0, s0, s24
	s_mul_hi_u32 s1, s7, s17
	s_addc_u32 s0, s22, s23
	s_addc_u32 s1, s1, 0
	s_mul_i32 s17, s7, s17
	s_add_u32 s0, s0, s17
	s_addc_u32 s1, 0, s1
	v_add_co_u32_e32 v1, vcc, s0, v1
	s_cmp_lg_u64 vcc, 0
	s_addc_u32 s0, s7, s1
	v_readfirstlane_b32 s17, v1
	s_mul_i32 s7, s10, s0
	s_mul_hi_u32 s22, s10, s17
	s_mul_hi_u32 s1, s10, s0
	s_add_u32 s7, s22, s7
	s_addc_u32 s1, 0, s1
	s_mul_hi_u32 s23, s11, s17
	s_mul_i32 s17, s11, s17
	s_add_u32 s7, s7, s17
	s_mul_hi_u32 s22, s11, s0
	s_addc_u32 s1, s1, s23
	s_addc_u32 s7, s22, 0
	s_mul_i32 s0, s11, s0
	s_add_u32 s17, s1, s0
	s_addc_u32 s7, 0, s7
	s_mul_i32 s0, s20, s7
	s_mul_hi_u32 s1, s20, s17
	s_add_i32 s0, s1, s0
	s_mul_i32 s1, s21, s17
	s_add_i32 s22, s0, s1
	s_mul_i32 s1, s20, s17
	v_mov_b32_e32 v1, s1
	s_sub_i32 s0, s11, s22
	v_sub_co_u32_e32 v1, vcc, s10, v1
	s_cmp_lg_u64 vcc, 0
	s_subb_u32 s23, s0, s21
	v_subrev_co_u32_e64 v2, s[0:1], s20, v1
	s_cmp_lg_u64 s[0:1], 0
	s_subb_u32 s0, s23, 0
	s_cmp_ge_u32 s0, s21
	v_readfirstlane_b32 s23, v2
	s_cselect_b32 s1, -1, 0
	s_cmp_ge_u32 s23, s20
	s_cselect_b32 s23, -1, 0
	s_cmp_eq_u32 s0, s21
	s_cselect_b32 s0, s23, s1
	s_add_u32 s1, s17, 1
	s_addc_u32 s23, s7, 0
	s_add_u32 s24, s17, 2
	s_addc_u32 s25, s7, 0
	s_cmp_lg_u32 s0, 0
	s_cselect_b32 s0, s24, s1
	s_cselect_b32 s1, s25, s23
	s_cmp_lg_u64 vcc, 0
	s_subb_u32 s22, s11, s22
	s_cmp_ge_u32 s22, s21
	v_readfirstlane_b32 s24, v1
	s_cselect_b32 s23, -1, 0
	s_cmp_ge_u32 s24, s20
	s_cselect_b32 s24, -1, 0
	s_cmp_eq_u32 s22, s21
	s_cselect_b32 s22, s24, s23
	s_cmp_lg_u32 s22, 0
	s_cselect_b32 s73, s1, s7
	s_cselect_b32 s72, s0, s17
	s_cbranch_execnz .LBB141_22
.LBB141_21:                             ;   in Loop: Header=BB141_19 Depth=1
	v_cvt_f32_u32_e32 v1, s20
	s_sub_i32 s0, 0, s20
	s_mov_b32 s73, s16
	v_rcp_iflag_f32_e32 v1, v1
	v_mul_f32_e32 v1, 0x4f7ffffe, v1
	v_cvt_u32_f32_e32 v1, v1
	v_readfirstlane_b32 s1, v1
	s_mul_i32 s0, s0, s1
	s_mul_hi_u32 s0, s1, s0
	s_add_i32 s1, s1, s0
	s_mul_hi_u32 s0, s10, s1
	s_mul_i32 s7, s0, s20
	s_sub_i32 s7, s10, s7
	s_add_i32 s1, s0, 1
	s_sub_i32 s17, s7, s20
	s_cmp_ge_u32 s7, s20
	s_cselect_b32 s0, s1, s0
	s_cselect_b32 s7, s17, s7
	s_add_i32 s1, s0, 1
	s_cmp_ge_u32 s7, s20
	s_cselect_b32 s72, s1, s0
.LBB141_22:                             ;   in Loop: Header=BB141_19 Depth=1
	s_mul_i32 s0, s72, s21
	s_mul_hi_u32 s1, s72, s20
	s_add_i32 s7, s1, s0
	s_load_dwordx2 s[0:1], s[18:19], 0xc8
	s_mul_i32 s17, s73, s20
	s_add_i32 s7, s7, s17
	s_mul_i32 s17, s72, s20
	s_sub_u32 s10, s10, s17
	s_subb_u32 s7, s11, s7
	s_waitcnt lgkmcnt(0)
	s_mul_i32 s7, s0, s7
	s_mul_hi_u32 s11, s0, s10
	s_add_i32 s7, s11, s7
	s_mul_i32 s1, s1, s10
	s_add_i32 s7, s7, s1
	s_mul_i32 s0, s0, s10
	s_add_u32 s70, s0, s70
	s_addc_u32 s71, s7, s71
	s_add_i32 s27, s27, -1
	s_add_u32 s18, s18, -8
	s_addc_u32 s19, s19, -1
	s_cmp_gt_u32 s27, 2
	s_cbranch_scc0 .LBB141_26
; %bb.23:                               ;   in Loop: Header=BB141_19 Depth=1
	s_mov_b64 s[10:11], s[72:73]
	s_branch .LBB141_19
.LBB141_24:                             ;   in Loop: Header=BB141_19 Depth=1
                                        ; implicit-def: $sgpr72_sgpr73
	s_branch .LBB141_21
.LBB141_25:
	s_mov_b64 s[72:73], s[10:11]
.LBB141_26:
	s_load_dwordx4 s[60:63], s[4:5], 0x1a0
	s_load_dwordx2 s[16:17], s[4:5], 0x0
	s_load_dwordx2 s[0:1], s[4:5], 0x1c8
	v_writelane_b32 v52, s28, 2
	v_writelane_b32 v52, s29, 3
	s_mov_b32 s81, 0
	v_cmp_eq_u32_e64 s[10:11], 0, v0
	s_waitcnt lgkmcnt(0)
	v_writelane_b32 v52, s0, 4
	v_writelane_b32 v52, s1, 5
	s_load_dwordx2 s[0:1], s[4:5], 0x440
	s_waitcnt lgkmcnt(0)
	v_writelane_b32 v52, s0, 6
	v_writelane_b32 v52, s1, 7
	s_load_dwordx2 s[0:1], s[4:5], 0x370
	s_waitcnt lgkmcnt(0)
	v_writelane_b32 v52, s0, 8
	v_writelane_b32 v52, s1, 9
	s_mov_b64 s[0:1], exec
	v_writelane_b32 v52, s10, 10
	v_writelane_b32 v52, s11, 11
	s_and_b64 s[10:11], s[0:1], s[10:11]
	s_mov_b64 exec, s[10:11]
	s_cbranch_execz .LBB141_28
; %bb.27:
	v_mov_b32_e32 v2, 0
	v_mov_b32_e32 v4, s60
	;; [unrolled: 1-line block ×4, first 2 shown]
	ds_write_b32 v2, v2 offset:5144
	ds_write_b128 v2, v[2:5] offset:5120
.LBB141_28:
	s_or_b64 exec, exec, s[0:1]
	s_mul_i32 s0, s14, s13
	s_mul_hi_u32 s1, s14, s12
	s_add_i32 s0, s1, s0
	s_mul_i32 s1, s15, s12
	s_add_i32 s13, s0, s1
	s_mul_i32 s7, s14, s12
	v_writelane_b32 v52, s4, 12
	s_load_dword s0, s[4:5], 0x1b0
	s_add_u32 s1, s16, s7
	s_addc_u32 s10, s17, s13
	s_add_u32 s82, s1, s8
	s_addc_u32 s83, s10, s9
	s_waitcnt lgkmcnt(0)
	s_bitcmp1_b32 s0, 0
	v_writelane_b32 v52, s5, 13
	s_cselect_b64 s[0:1], -1, 0
	v_writelane_b32 v52, s0, 14
	v_writelane_b32 v52, s1, 15
	s_xor_b64 s[0:1], s[0:1], -1
	v_mbcnt_lo_u32_b32 v1, -1, 0
	v_writelane_b32 v52, s0, 16
	v_mbcnt_hi_u32_b32 v37, -1, v1
	v_writelane_b32 v52, s1, 17
	v_cmp_eq_u32_e64 s[0:1], 0, v37
	v_writelane_b32 v52, s0, 18
	v_cmp_gt_u32_e32 vcc, 64, v0
	v_cmp_gt_i32_e64 s[10:11], 4, v37
	v_writelane_b32 v52, s1, 19
	s_and_b64 s[0:1], vcc, s[10:11]
	v_mov_b32_e32 v2, 0xc00
	v_writelane_b32 v52, s0, 20
	v_mov_b32_e32 v3, 0
	v_writelane_b32 v52, s1, 21
	v_cmp_gt_u64_e64 s[0:1], s[60:61], v[2:3]
	v_mov_b32_e32 v15, 0
	v_writelane_b32 v52, s0, 22
	v_pk_mov_b32 v[4:5], s[82:83], s[82:83] op_sel:[0,1]
	v_writelane_b32 v52, s1, 23
	v_mov_b32_e32 v1, v15
	v_mad_u64_u32 v[2:3], s[0:1], v0, s58, 0
	v_mad_u64_u32 v[12:13], s[0:1], v0, s58, v[4:5]
	v_cmp_gt_u64_e64 s[0:1], s[60:61], v[0:1]
	v_writelane_b32 v52, s0, 24
	v_writelane_b32 v52, s1, 25
	v_cmp_gt_u32_e64 s[0:1], 2, v0
	v_writelane_b32 v52, s0, 26
	s_barrier
	v_writelane_b32 v52, s1, 27
	s_load_dword s0, s[2:3], 0xc
	v_lshrrev_b32_e32 v4, 4, v0
	v_and_b32_e32 v38, 60, v4
	v_lshlrev_b32_e32 v4, 2, v37
	v_lshlrev_b32_e32 v16, 2, v0
	s_waitcnt lgkmcnt(0)
	s_and_b32 s33, s0, 0xffff
	s_bfe_u32 s1, s0, 0xa0006
	v_cmp_gt_u16_e64 s[4:5], s0, 63
	v_writelane_b32 v52, s4, 28
	s_add_u32 s0, s33, -1
	v_writelane_b32 v52, s5, 29
	s_addc_u32 s4, 0, -1
	v_writelane_b32 v52, s0, 30
	s_add_u32 s0, s0, s60
	s_addc_u32 s5, s4, s61
	v_writelane_b32 v52, s0, 31
	s_cmp_lt_u32 s6, s34
	v_writelane_b32 v52, s4, 32
	s_cselect_b32 s0, 12, 18
	v_writelane_b32 v52, s4, 33
	s_add_u32 s2, s2, s0
	v_writelane_b32 v52, s5, 34
	s_addc_u32 s3, s3, 0
	v_writelane_b32 v52, s2, 35
	v_writelane_b32 v52, s3, 36
	s_add_i32 s0, s1, -1
	s_bfe_u32 s2, s33, 0x30006
	s_mov_b32 s3, 6
	s_cmp_gt_u32 s0, 6
	v_writelane_b32 v52, s3, 37
	s_cselect_b64 s[4:5], -1, 0
	v_writelane_b32 v52, s4, 38
	s_and_b32 s30, s1, 0x3f8
	v_writelane_b32 v52, s5, 39
	s_cmp_lg_u32 s2, 0
	v_writelane_b32 v52, s2, 40
	s_cselect_b64 s[0:1], -1, 0
	v_writelane_b32 v52, s0, 41
	v_writelane_b32 v52, s1, 42
	s_add_u32 s0, s8, s7
	s_addc_u32 s1, s9, s13
	v_writelane_b32 v52, s0, 43
	v_and_b32_e32 v36, 0x100, v4
	v_lshlrev_b64 v[4:5], v37, -1
	s_add_u32 s2, s16, s0
	v_writelane_b32 v52, s16, 44
	v_not_b32_e32 v11, v5
	v_writelane_b32 v52, s17, 45
	v_or_b32_e32 v5, 3, v16
	v_writelane_b32 v52, s1, 46
	s_addc_u32 s3, s17, s1
	v_mad_u64_u32 v[18:19], s[0:1], s58, v5, 0
	v_not_b32_e32 v10, v4
	v_mov_b32_e32 v4, v19
	v_mad_u64_u32 v[4:5], s[0:1], s59, v5, v[4:5]
	s_lshl_b64 s[0:1], s[58:59], 2
	v_writelane_b32 v52, s0, 47
	v_or_b32_e32 v5, 2, v16
	v_writelane_b32 v52, s1, 48
	v_mad_u64_u32 v[20:21], s[0:1], s58, v5, 0
	v_mov_b32_e32 v19, v4
	v_mov_b32_e32 v4, v21
	v_mul_lo_u32 v6, v0, s59
	v_mad_u64_u32 v[4:5], s[0:1], s59, v5, v[4:5]
	v_add_u32_e32 v3, v3, v6
	v_mov_b32_e32 v21, v4
	v_pk_mov_b32 v[4:5], s[58:59], s[58:59] op_sel:[0,1]
	v_mad_u64_u32 v[22:23], s[0:1], s58, v16, v[4:5]
	v_lshlrev_b64 v[24:25], 2, v[2:3]
	v_mov_b32_e32 v2, 0xc00
	v_mov_b32_e32 v4, v23
	v_lshl_or_b32 v39, v37, 3, v2
	v_writelane_b32 v52, s2, 49
	v_pk_mov_b32 v[2:3], s[2:3], s[2:3] op_sel:[0,1]
	v_mad_u64_u32 v[4:5], s[0:1], s59, v16, v[4:5]
	v_mad_u64_u32 v[26:27], s[0:1], v0, s58, v[2:3]
	s_mul_i32 s0, s59, s33
	s_mul_hi_u32 s1, s58, s33
	v_writelane_b32 v52, s3, 50
	s_add_i32 s65, s1, s0
	s_mul_i32 s0, s58, s33
	v_add_u32_e32 v13, v6, v13
	v_mov_b32_e32 v17, v15
	s_mov_b32 s64, s81
	v_mov_b32_e32 v23, v4
	v_add_u32_e32 v27, v6, v27
	v_writelane_b32 v52, s0, 51
	s_mov_b64 s[78:79], 0
	v_pk_mov_b32 v[28:29], s[62:63], s[62:63] op_sel:[0,1]
	s_movk_i32 s31, 0x80
	v_mov_b32_e32 v40, 0x4f800000
	v_mov_b32_e32 v43, 0
	s_mov_b32 s0, 0
	v_mov_b32_e32 v42, 0
	v_mov_b32_e32 v41, 0
                                        ; implicit-def: $sgpr66_sgpr67
                                        ; implicit-def: $sgpr2_sgpr3
                                        ; implicit-def: $sgpr74_sgpr75
                                        ; implicit-def: $sgpr76_sgpr77
                                        ; implicit-def: $sgpr94_sgpr95
                                        ; implicit-def: $sgpr22_sgpr23
                                        ; implicit-def: $sgpr24_sgpr25
	v_writelane_b32 v52, s0, 52
                                        ; implicit-def: $sgpr10_sgpr11
                                        ; implicit-def: $sgpr88_sgpr89
                                        ; implicit-def: $sgpr12_sgpr13
	s_branch .LBB141_31
.LBB141_29:                             ;   in Loop: Header=BB141_31 Depth=1
	s_or_b64 exec, exec, s[14:15]
	s_andn2_b64 s[8:9], s[12:13], exec
	s_and_b64 s[6:7], s[6:7], exec
	s_or_b64 s[12:13], s[8:9], s[6:7]
	s_andn2_b64 s[88:89], s[88:89], exec
	s_andn2_b64 s[10:11], s[10:11], exec
	;; [unrolled: 1-line block ×4, first 2 shown]
	s_orn2_b64 s[4:5], s[4:5], exec
	v_mov_b32_e32 v41, v31
	v_mov_b32_e32 v42, v30
	v_pk_mov_b32 v[28:29], v[2:3], v[2:3] op_sel:[0,1]
	v_mov_b32_e32 v43, v32
.LBB141_30:                             ;   in Loop: Header=BB141_31 Depth=1
	s_or_b64 exec, exec, s[0:1]
	s_and_b64 s[0:1], exec, s[4:5]
	s_or_b64 s[78:79], s[0:1], s[78:79]
	s_andn2_b64 s[0:1], s[94:95], exec
	s_and_b64 s[4:5], s[12:13], exec
	s_or_b64 s[94:95], s[0:1], s[4:5]
	s_andn2_b64 s[0:1], s[76:77], exec
	s_and_b64 s[4:5], s[88:89], exec
	;; [unrolled: 3-line block ×5, first 2 shown]
	s_or_b64 s[66:67], s[0:1], s[4:5]
	s_andn2_b64 exec, exec, s[78:79]
	s_cbranch_execz .LBB141_501
.LBB141_31:                             ; =>This Loop Header: Depth=1
                                        ;     Child Loop BB141_36 Depth 2
                                        ;     Child Loop BB141_51 Depth 2
                                        ;     Child Loop BB141_78 Depth 2
                                        ;     Child Loop BB141_82 Depth 2
                                        ;     Child Loop BB141_64 Depth 2
                                        ;     Child Loop BB141_71 Depth 2
                                        ;     Child Loop BB141_91 Depth 2
                                        ;     Child Loop BB141_97 Depth 2
                                        ;     Child Loop BB141_129 Depth 2
                                        ;     Child Loop BB141_110 Depth 2
                                        ;     Child Loop BB141_175 Depth 2
                                        ;     Child Loop BB141_159 Depth 2
                                        ;     Child Loop BB141_221 Depth 2
                                        ;     Child Loop BB141_205 Depth 2
                                        ;     Child Loop BB141_256 Depth 2
                                        ;     Child Loop BB141_272 Depth 2
                                        ;     Child Loop BB141_325 Depth 2
                                        ;     Child Loop BB141_311 Depth 2
                                        ;     Child Loop BB141_371 Depth 2
                                        ;     Child Loop BB141_355 Depth 2
                                        ;     Child Loop BB141_417 Depth 2
                                        ;     Child Loop BB141_401 Depth 2
                                        ;     Child Loop BB141_452 Depth 2
                                        ;     Child Loop BB141_468 Depth 2
	ds_read_b128 v[2:5], v15 offset:5120
	s_waitcnt lgkmcnt(0)
	v_readfirstlane_b32 s69, v3
	v_readfirstlane_b32 s68, v2
	s_cmp_lg_u64 s[68:69], 0
	s_cbranch_scc1 .LBB141_58
; %bb.32:                               ;   in Loop: Header=BB141_31 Depth=1
	v_readlane_b32 s0, v52, 22
	v_readlane_b32 s1, v52, 23
	s_and_b64 vcc, exec, s[0:1]
	s_cbranch_vccz .LBB141_44
; %bb.33:                               ;   in Loop: Header=BB141_31 Depth=1
	s_mov_b64 s[0:1], 0xc01
	v_cmp_gt_u64_e32 vcc, s[0:1], v[4:5]
	s_mov_b64 s[68:69], 0
	s_mov_b64 s[0:1], 0
	s_cbranch_vccz .LBB141_45
; %bb.34:                               ;   in Loop: Header=BB141_31 Depth=1
	v_readlane_b32 s0, v52, 35
	v_readlane_b32 s1, v52, 36
	s_nop 4
	global_load_ushort v6, v15, s[0:1]
	global_load_ubyte v7, v[12:13], off
	v_readlane_b32 s0, v52, 49
	v_readlane_b32 s1, v52, 50
	v_pk_mov_b32 v[2:3], s[0:1], s[0:1] op_sel:[0,1]
	s_mov_b64 s[0:1], 0
	s_waitcnt vmcnt(1)
	v_readfirstlane_b32 s4, v6
	s_and_b32 s4, 0xffff, s4
	v_add_u32_e32 v5, s4, v0
	s_mul_i32 s6, s59, s4
	s_mul_hi_u32 s7, s58, s4
	s_mul_i32 s8, s58, s4
	v_mad_u64_u32 v[2:3], s[4:5], s58, v5, v[2:3]
	v_mov_b32_e32 v4, v3
	v_mad_u64_u32 v[4:5], s[4:5], s59, v5, v[4:5]
	s_add_i32 s9, s7, s6
	v_mov_b32_e32 v3, v4
	v_pk_mov_b32 v[4:5], v[0:1], v[0:1] op_sel:[0,1]
	s_branch .LBB141_36
.LBB141_35:                             ;   in Loop: Header=BB141_36 Depth=2
	s_or_b64 exec, exec, s[4:5]
	v_mov_b32_e32 v7, s9
	v_add_co_u32_e32 v2, vcc, s8, v2
	v_addc_co_u32_e32 v3, vcc, v3, v7, vcc
	v_mov_b32_e32 v7, v8
	s_andn2_b64 exec, exec, s[0:1]
	s_cbranch_execz .LBB141_117
.LBB141_36:                             ;   Parent Loop BB141_31 Depth=1
                                        ; =>  This Inner Loop Header: Depth=2
	v_add_co_u32_sdwa v4, vcc, v4, v6 dst_sel:DWORD dst_unused:UNUSED_PAD src0_sel:DWORD src1_sel:WORD_0
	v_addc_co_u32_e32 v5, vcc, 0, v5, vcc
	v_cmp_gt_u64_e64 s[6:7], s[60:61], v[4:5]
	v_cmp_le_u64_e32 vcc, s[60:61], v[4:5]
	s_waitcnt lgkmcnt(0)
	v_mov_b32_e32 v9, 0
	v_mov_b32_e32 v8, 0
	s_and_saveexec_b64 s[4:5], s[6:7]
	s_cbranch_execz .LBB141_38
; %bb.37:                               ;   in Loop: Header=BB141_36 Depth=2
	global_load_ubyte v8, v[2:3], off
.LBB141_38:                             ;   in Loop: Header=BB141_36 Depth=2
	s_or_b64 exec, exec, s[4:5]
	s_waitcnt vmcnt(0)
	v_add_u32_sdwa v14, sext(v7), s31 dst_sel:DWORD dst_unused:UNUSED_PAD src0_sel:BYTE_0 src1_sel:DWORD
	v_and_b32_e32 v14, v14, v41
	v_cmp_eq_u32_e64 s[14:15], v14, v42
	s_cmp_lg_u64 s[14:15], 0
	v_readlane_b32 s6, v52, 18
	s_cselect_b64 s[4:5], -1, 0
	v_readlane_b32 s7, v52, 19
	s_and_b64 s[6:7], s[6:7], s[4:5]
	s_and_saveexec_b64 s[4:5], s[6:7]
	s_cbranch_execz .LBB141_42
; %bb.39:                               ;   in Loop: Header=BB141_36 Depth=2
	s_mov_b64 s[18:19], exec
	v_mbcnt_lo_u32_b32 v9, s18, 0
	v_mbcnt_hi_u32_b32 v9, s19, v9
	s_bcnt1_i32_b64 s20, s[14:15]
	v_cmp_eq_u32_e64 s[6:7], 0, v9
                                        ; implicit-def: $vgpr14
	s_and_saveexec_b64 s[16:17], s[6:7]
	s_cbranch_execz .LBB141_41
; %bb.40:                               ;   in Loop: Header=BB141_36 Depth=2
	s_bcnt1_i32_b64 s6, s[18:19]
	s_mul_i32 s6, s20, s6
	v_mov_b32_e32 v14, s6
	ds_add_rtn_u32 v14, v15, v14 offset:5144
.LBB141_41:                             ;   in Loop: Header=BB141_36 Depth=2
	s_or_b64 exec, exec, s[16:17]
	s_waitcnt lgkmcnt(0)
	v_readfirstlane_b32 s6, v14
	v_mov_b32_e32 v14, s6
	v_mad_u32_u24 v9, s20, v9, v14
.LBB141_42:                             ;   in Loop: Header=BB141_36 Depth=2
	s_or_b64 exec, exec, s[4:5]
	ds_bpermute_b32 v9, v36, v9
	s_and_b64 s[4:5], exec, vcc
	s_or_b64 s[0:1], s[4:5], s[0:1]
	s_and_saveexec_b64 s[4:5], s[14:15]
	s_cbranch_execz .LBB141_35
; %bb.43:                               ;   in Loop: Header=BB141_36 Depth=2
	v_and_b32_e32 v30, s14, v10
	v_and_b32_e32 v14, s15, v11
	v_bcnt_u32_b32 v30, v30, 0
	v_bcnt_u32_b32 v14, v14, v30
	s_waitcnt lgkmcnt(0)
	v_add_u32_e32 v9, v9, v14
	ds_write_b8 v9, v7
	s_branch .LBB141_35
.LBB141_44:                             ;   in Loop: Header=BB141_31 Depth=1
	s_mov_b64 s[68:69], -1
	s_mov_b64 s[0:1], 0
.LBB141_45:                             ;   in Loop: Header=BB141_31 Depth=1
	s_and_b64 vcc, exec, s[68:69]
	s_cbranch_vccz .LBB141_56
.LBB141_46:                             ;   in Loop: Header=BB141_31 Depth=1
	v_mov_b32_e32 v6, 0
	s_mov_b64 s[0:1], exec
	v_readlane_b32 s4, v52, 24
	v_readlane_b32 s5, v52, 25
	s_and_b64 s[4:5], s[0:1], s[4:5]
	s_mov_b64 exec, s[4:5]
	s_cbranch_execz .LBB141_48
; %bb.47:                               ;   in Loop: Header=BB141_31 Depth=1
	global_load_ubyte v6, v[12:13], off
.LBB141_48:                             ;   in Loop: Header=BB141_31 Depth=1
	s_or_b64 exec, exec, s[0:1]
	s_mov_b64 s[0:1], exec
	v_readlane_b32 s4, v52, 24
	v_readlane_b32 s5, v52, 25
	s_and_b64 s[4:5], s[0:1], s[4:5]
	s_mov_b64 exec, s[4:5]
	s_cbranch_execz .LBB141_53
; %bb.49:                               ;   in Loop: Header=BB141_31 Depth=1
	v_readlane_b32 s4, v52, 35
	v_readlane_b32 s5, v52, 36
	v_mov_b32_e32 v8, v0
	s_nop 3
	global_load_ushort v7, v15, s[4:5]
	v_readlane_b32 s4, v52, 49
	v_readlane_b32 s5, v52, 50
	v_pk_mov_b32 v[2:3], s[4:5], s[4:5] op_sel:[0,1]
	s_mov_b64 s[4:5], 0
	s_waitcnt vmcnt(0)
	v_readfirstlane_b32 s6, v7
	s_and_b32 s8, 0xffff, s6
	v_add_u32_e32 v5, s8, v0
	v_mad_u64_u32 v[2:3], s[6:7], s58, v5, v[2:3]
	v_mov_b32_e32 v4, v3
	s_mul_i32 s14, s59, s8
	s_mul_hi_u32 s15, s58, s8
	v_mad_u64_u32 v[4:5], s[6:7], s59, v5, v[4:5]
	s_mul_i32 s9, s58, s8
	s_add_i32 s16, s15, s14
	v_mov_b32_e32 v3, v4
	v_pk_mov_b32 v[4:5], v[0:1], v[0:1] op_sel:[0,1]
	s_branch .LBB141_51
.LBB141_50:                             ;   in Loop: Header=BB141_51 Depth=2
	s_or_b64 exec, exec, s[14:15]
	s_and_b64 s[6:7], exec, vcc
	ds_write_b8 v8, v6
	v_mov_b32_e32 v6, s16
	v_add_co_u32_e32 v2, vcc, s9, v2
	s_or_b64 s[4:5], s[6:7], s[4:5]
	v_add_u32_e32 v8, s8, v8
	v_addc_co_u32_e32 v3, vcc, v3, v6, vcc
	s_waitcnt vmcnt(0)
	v_mov_b32_e32 v6, v9
	s_andn2_b64 exec, exec, s[4:5]
	s_cbranch_execz .LBB141_53
.LBB141_51:                             ;   Parent Loop BB141_31 Depth=1
                                        ; =>  This Inner Loop Header: Depth=2
	v_add_co_u32_sdwa v4, vcc, v4, v7 dst_sel:DWORD dst_unused:UNUSED_PAD src0_sel:DWORD src1_sel:WORD_0
	v_addc_co_u32_e32 v5, vcc, 0, v5, vcc
	v_cmp_gt_u64_e64 s[6:7], s[60:61], v[4:5]
	v_cmp_le_u64_e32 vcc, s[60:61], v[4:5]
	v_mov_b32_e32 v9, 0
	s_and_saveexec_b64 s[14:15], s[6:7]
	s_cbranch_execz .LBB141_50
; %bb.52:                               ;   in Loop: Header=BB141_51 Depth=2
	global_load_ubyte v9, v[2:3], off
	s_branch .LBB141_50
.LBB141_53:                             ;   in Loop: Header=BB141_31 Depth=1
	s_or_b64 exec, exec, s[0:1]
	s_waitcnt lgkmcnt(0)
	s_barrier
	s_mov_b64 s[0:1], exec
	v_readlane_b32 s4, v52, 10
	v_readlane_b32 s5, v52, 11
	s_and_b64 s[4:5], s[0:1], s[4:5]
	s_mov_b64 exec, s[4:5]
	s_cbranch_execz .LBB141_55
; %bb.54:                               ;   in Loop: Header=BB141_31 Depth=1
	v_pk_mov_b32 v[2:3], s[60:61], s[60:61] op_sel:[0,1]
	ds_write_b64 v15, v[2:3] offset:5120
.LBB141_55:                             ;   in Loop: Header=BB141_31 Depth=1
	s_or_b64 exec, exec, s[0:1]
	s_mov_b64 s[0:1], -1
	s_waitcnt lgkmcnt(0)
	s_barrier
                                        ; implicit-def: $sgpr68_sgpr69
.LBB141_56:                             ;   in Loop: Header=BB141_31 Depth=1
	s_and_b64 vcc, exec, s[0:1]
	s_cbranch_vccz .LBB141_58
; %bb.57:                               ;   in Loop: Header=BB141_31 Depth=1
	ds_read_b64 v[2:3], v15 offset:5120
	s_waitcnt lgkmcnt(0)
	v_readfirstlane_b32 s68, v2
.LBB141_58:                             ;   in Loop: Header=BB141_31 Depth=1
	v_writelane_b32 v52, s22, 53
	v_writelane_b32 v52, s23, 54
	s_cmp_lt_i32 s68, 1
	v_writelane_b32 v52, s24, 55
	v_writelane_b32 v52, s25, 56
	s_cbranch_scc0 .LBB141_73
; %bb.59:                               ;   in Loop: Header=BB141_31 Depth=1
	v_readlane_b32 s0, v52, 35
	v_readlane_b32 s1, v52, 36
	s_nop 4
	global_load_ushort v4, v15, s[0:1]
	s_mov_b32 s0, s81
	s_waitcnt vmcnt(0)
	v_readfirstlane_b32 s1, v4
	s_and_b32 s1, 0xffff, s1
	s_lshl_b32 s69, s1, 2
	s_mov_b32 s1, s61
	s_cmp_lg_u64 s[0:1], 0
	s_cbranch_scc0 .LBB141_93
; %bb.60:                               ;   in Loop: Header=BB141_31 Depth=1
	v_cvt_f32_u32_e32 v2, s69
	s_sub_u32 s0, 0, s69
	s_subb_u32 s1, 0, 0
	v_mac_f32_e32 v2, 0, v40
	v_rcp_f32_e32 v2, v2
	v_mul_f32_e32 v2, 0x5f7ffffc, v2
	v_mul_f32_e32 v3, 0x2f800000, v2
	v_trunc_f32_e32 v3, v3
	v_mac_f32_e32 v2, 0xcf800000, v3
	v_cvt_u32_f32_e32 v3, v3
	v_cvt_u32_f32_e32 v2, v2
	v_readfirstlane_b32 s4, v3
	v_readfirstlane_b32 s5, v2
	s_mul_i32 s6, s0, s4
	s_mul_hi_u32 s8, s0, s5
	s_mul_i32 s7, s1, s5
	s_add_i32 s6, s8, s6
	s_mul_i32 s9, s0, s5
	s_add_i32 s6, s6, s7
	s_mul_hi_u32 s8, s5, s9
	s_mul_hi_u32 s7, s5, s6
	s_mul_i32 s5, s5, s6
	s_add_u32 s5, s8, s5
	s_addc_u32 s7, 0, s7
	s_mul_hi_u32 s14, s4, s9
	s_mul_i32 s9, s4, s9
	s_add_u32 s5, s5, s9
	s_mul_hi_u32 s8, s4, s6
	s_addc_u32 s5, s7, s14
	s_addc_u32 s7, s8, 0
	s_mul_i32 s6, s4, s6
	s_add_u32 s5, s5, s6
	s_addc_u32 s6, 0, s7
	v_add_co_u32_e32 v2, vcc, s5, v2
	s_cmp_lg_u64 vcc, 0
	s_addc_u32 s4, s4, s6
	v_readfirstlane_b32 s6, v2
	s_mul_i32 s5, s0, s4
	s_mul_hi_u32 s7, s0, s6
	s_add_i32 s5, s7, s5
	s_mul_i32 s1, s1, s6
	s_add_i32 s5, s5, s1
	s_mul_i32 s0, s0, s6
	s_mul_hi_u32 s7, s4, s0
	s_mul_i32 s8, s4, s0
	s_mul_i32 s14, s6, s5
	s_mul_hi_u32 s0, s6, s0
	s_mul_hi_u32 s9, s6, s5
	s_add_u32 s0, s0, s14
	s_addc_u32 s6, 0, s9
	s_add_u32 s0, s0, s8
	s_mul_hi_u32 s1, s4, s5
	s_addc_u32 s0, s6, s7
	s_addc_u32 s1, s1, 0
	s_mul_i32 s5, s4, s5
	s_add_u32 s0, s0, s5
	s_addc_u32 s1, 0, s1
	v_add_co_u32_e32 v2, vcc, s0, v2
	s_cmp_lg_u64 vcc, 0
	s_addc_u32 s0, s4, s1
	v_readfirstlane_b32 s5, v2
	s_mul_i32 s4, s60, s0
	s_mul_hi_u32 s6, s60, s5
	s_mul_hi_u32 s1, s60, s0
	s_add_u32 s4, s6, s4
	s_addc_u32 s1, 0, s1
	s_mul_hi_u32 s7, s61, s5
	s_mul_i32 s5, s61, s5
	s_add_u32 s4, s4, s5
	s_mul_hi_u32 s6, s61, s0
	s_addc_u32 s1, s1, s7
	s_addc_u32 s4, s6, 0
	s_mul_i32 s0, s61, s0
	s_add_u32 s0, s1, s0
	s_addc_u32 s1, 0, s4
	s_mul_hi_u32 s4, s69, s0
	s_mul_i32 s0, s69, s0
	s_mul_i32 s1, s69, s1
	v_mov_b32_e32 v2, s0
	s_add_i32 s4, s4, s1
	v_sub_co_u32_e32 v2, vcc, s60, v2
	s_cmp_lg_u64 vcc, 0
	s_subb_u32 s0, s61, s4
	v_subrev_co_u32_e32 v3, vcc, s69, v2
	s_cmp_lg_u64 vcc, 0
	s_subb_u32 s1, s0, 0
	v_subrev_co_u32_e32 v5, vcc, s69, v3
	s_cmp_lg_u64 vcc, 0
	s_subb_u32 s4, s1, 0
	v_cmp_le_u32_e32 vcc, s69, v3
	s_cmp_eq_u32 s1, 0
	v_cndmask_b32_e64 v6, 0, -1, vcc
	s_cselect_b64 vcc, -1, 0
	v_cndmask_b32_e32 v6, -1, v6, vcc
	v_mov_b32_e32 v7, s1
	v_mov_b32_e32 v8, s4
	v_cmp_ne_u32_e32 vcc, 0, v6
	v_cndmask_b32_e32 v6, v7, v8, vcc
	v_cndmask_b32_e32 v5, v3, v5, vcc
	v_cmp_le_u32_e32 vcc, s69, v2
	s_cmp_eq_u32 s0, 0
	v_cndmask_b32_e64 v3, 0, -1, vcc
	s_cselect_b64 vcc, -1, 0
	v_cndmask_b32_e32 v3, -1, v3, vcc
	v_mov_b32_e32 v7, s0
	v_cmp_ne_u32_e32 vcc, 0, v3
	v_cndmask_b32_e32 v3, v7, v6, vcc
	v_cndmask_b32_e32 v2, v2, v5, vcc
	s_cbranch_execnz .LBB141_62
.LBB141_61:                             ;   in Loop: Header=BB141_31 Depth=1
	v_cvt_f32_u32_e32 v2, s69
	s_sub_i32 s0, 0, s69
	v_rcp_iflag_f32_e32 v2, v2
	v_mul_f32_e32 v2, 0x4f7ffffe, v2
	v_cvt_u32_f32_e32 v2, v2
	v_mul_lo_u32 v3, s0, v2
	v_mul_hi_u32 v3, v2, v3
	v_add_u32_e32 v2, v2, v3
	v_mul_hi_u32 v2, s60, v2
	v_mul_lo_u32 v2, v2, s69
	v_sub_u32_e32 v2, s60, v2
	v_subrev_u32_e32 v3, s69, v2
	v_cmp_le_u32_e32 vcc, s69, v2
	v_cndmask_b32_e32 v2, v2, v3, vcc
	v_subrev_u32_e32 v3, s69, v2
	v_cmp_le_u32_e32 vcc, s69, v2
	v_cndmask_b32_e32 v14, v2, v3, vcc
	v_pk_mov_b32 v[2:3], v[14:15], v[14:15] op_sel:[0,1]
.LBB141_62:                             ;   in Loop: Header=BB141_31 Depth=1
	v_and_b32_e32 v14, 0xffff, v4
	v_mov_b32_e32 v4, s61
	v_sub_co_u32_e32 v30, vcc, s60, v2
	v_subb_co_u32_e32 v31, vcc, v4, v3, vcc
	v_pk_mov_b32 v[2:3], 0, 0
	v_cmp_gt_u64_e32 vcc, v[30:31], v[16:17]
	s_mov_b64 s[84:85], 0
	v_pk_mov_b32 v[4:5], v[2:3], v[2:3] op_sel:[0,1]
	v_pk_mov_b32 v[6:7], v[2:3], v[2:3] op_sel:[0,1]
	;; [unrolled: 1-line block ×3, first 2 shown]
	s_and_saveexec_b64 s[4:5], vcc
	s_cbranch_execz .LBB141_66
; %bb.63:                               ;   in Loop: Header=BB141_31 Depth=1
	v_readlane_b32 s0, v52, 37
	s_and_b32 s80, s0, 0xfe
	v_readlane_b32 s0, v52, 47
	v_readlane_b32 s1, v52, 48
	v_mul_lo_u32 v2, s1, v14
	v_mul_hi_u32 v3, s0, v14
	v_add_u32_e32 v44, v3, v2
	v_mul_lo_u32 v45, s0, v14
	v_pk_mov_b32 v[32:33], s[82:83], s[82:83] op_sel:[0,1]
	s_mov_b64 s[86:87], 0
	s_mov_b64 s[92:93], 0
	;; [unrolled: 1-line block ×4, first 2 shown]
	v_pk_mov_b32 v[34:35], v[16:17], v[16:17] op_sel:[0,1]
.LBB141_64:                             ;   Parent Loop BB141_31 Depth=1
                                        ; =>  This Inner Loop Header: Depth=2
	v_add_co_u32_e32 v2, vcc, v32, v24
	v_addc_co_u32_e32 v3, vcc, v33, v25, vcc
	v_add_co_u32_e32 v4, vcc, v32, v22
	v_addc_co_u32_e32 v5, vcc, v33, v23, vcc
	;; [unrolled: 2-line block ×4, first 2 shown]
	global_load_sbyte v2, v[2:3], off
	s_nop 0
	global_load_sbyte v3, v[4:5], off
	s_nop 0
	global_load_sbyte v4, v[6:7], off
	global_load_sbyte v5, v[8:9], off
	v_add_co_u32_e32 v34, vcc, s69, v34
	v_addc_co_u32_e32 v35, vcc, 0, v35, vcc
	v_add_co_u32_e32 v32, vcc, v32, v45
	v_addc_co_u32_e32 v33, vcc, v33, v44, vcc
	v_cmp_ge_u64_e32 vcc, v[34:35], v[30:31]
	s_waitcnt vmcnt(3)
	v_add_u32_e32 v2, 0x80, v2
	s_waitcnt vmcnt(2)
	v_add_u32_e32 v3, 0x80, v3
	v_and_b32_e32 v6, v2, v41
	v_bfe_u32 v2, v2, s80, 2
	s_waitcnt vmcnt(1)
	v_add_u32_e32 v4, 0x80, v4
	v_and_b32_e32 v7, v3, v41
	v_bfe_u32 v3, v3, s80, 2
	v_cmp_eq_u32_e64 s[20:21], v6, v42
	v_cmp_eq_u32_e64 s[6:7], 0, v2
	s_waitcnt vmcnt(0)
	v_add_u32_e32 v5, 0x80, v5
	v_and_b32_e32 v8, v4, v41
	v_bfe_u32 v4, v4, s80, 2
	v_cmp_eq_u32_e64 s[18:19], v7, v42
	v_cmp_eq_u32_e64 s[34:35], 0, v3
	s_and_b64 s[6:7], s[20:21], s[6:7]
	v_and_b32_e32 v9, v5, v41
	v_bfe_u32 v5, v5, s80, 2
	v_cmp_eq_u32_e64 s[16:17], v8, v42
	v_cmp_eq_u32_e64 s[36:37], 0, v4
	;; [unrolled: 1-line block ×5, first 2 shown]
	v_cndmask_b32_e64 v2, 0, 1, s[6:7]
	s_and_b64 s[6:7], s[18:19], s[34:35]
	v_cmp_eq_u32_e64 s[14:15], v9, v42
	v_cmp_eq_u32_e64 s[38:39], 0, v5
	v_cmp_eq_u32_e64 s[42:43], 1, v3
	v_cmp_eq_u32_e64 s[50:51], 2, v3
	v_cmp_eq_u32_e64 s[26:27], 3, v3
	v_cndmask_b32_e64 v3, 0, 1, s[6:7]
	s_and_b64 s[6:7], s[16:17], s[36:37]
	v_cmp_eq_u32_e64 s[44:45], 1, v4
	v_cmp_eq_u32_e64 s[52:53], 2, v4
	;; [unrolled: 1-line block ×3, first 2 shown]
	v_cndmask_b32_e64 v4, 0, 1, s[6:7]
	s_and_b64 s[6:7], s[14:15], s[38:39]
	v_cmp_eq_u32_e64 s[46:47], 1, v5
	v_cmp_eq_u32_e64 s[54:55], 2, v5
	;; [unrolled: 1-line block ×3, first 2 shown]
	v_cndmask_b32_e64 v5, 0, 1, s[6:7]
	v_cmp_ne_u32_e64 s[6:7], 0, v2
	v_cmp_ne_u32_e64 s[34:35], 0, v3
	v_cmp_ne_u32_e64 s[36:37], 0, v4
	v_cmp_ne_u32_e64 s[38:39], 0, v5
	s_bcnt1_i32_b64 s6, s[6:7]
	s_bcnt1_i32_b64 s7, s[34:35]
	s_bcnt1_i32_b64 s8, s[36:37]
	s_bcnt1_i32_b64 s9, s[38:39]
	s_add_u32 s0, s6, s0
	s_addc_u32 s1, 0, s1
	s_add_u32 s0, s0, s7
	s_addc_u32 s1, s1, 0
	s_add_u32 s0, s0, s8
	s_addc_u32 s1, s1, 0
	s_add_u32 s0, s0, s9
	s_addc_u32 s1, s1, 0
	s_and_b64 s[6:7], s[20:21], s[40:41]
	v_cndmask_b32_e64 v4, 0, 1, s[6:7]
	s_and_b64 s[6:7], s[18:19], s[42:43]
	v_cndmask_b32_e64 v5, 0, 1, s[6:7]
	s_and_b64 s[6:7], s[16:17], s[44:45]
	v_cndmask_b32_e64 v6, 0, 1, s[6:7]
	s_and_b64 s[6:7], s[14:15], s[46:47]
	v_cndmask_b32_e64 v7, 0, 1, s[6:7]
	v_cmp_ne_u32_e64 s[6:7], 0, v4
	v_cmp_ne_u32_e64 s[34:35], 0, v5
	v_cmp_ne_u32_e64 s[36:37], 0, v6
	v_cmp_ne_u32_e64 s[38:39], 0, v7
	s_bcnt1_i32_b64 s6, s[6:7]
	s_bcnt1_i32_b64 s7, s[34:35]
	s_bcnt1_i32_b64 s8, s[36:37]
	s_bcnt1_i32_b64 s9, s[38:39]
	s_add_u32 s6, s6, s90
	s_addc_u32 s34, 0, s91
	s_add_u32 s6, s6, s7
	s_addc_u32 s7, s34, 0
	s_add_u32 s6, s6, s8
	s_addc_u32 s7, s7, 0
	s_add_u32 s90, s6, s9
	s_addc_u32 s91, s7, 0
	s_and_b64 s[6:7], s[20:21], s[48:49]
	v_cndmask_b32_e64 v6, 0, 1, s[6:7]
	s_and_b64 s[6:7], s[18:19], s[50:51]
	v_cndmask_b32_e64 v7, 0, 1, s[6:7]
	s_and_b64 s[6:7], s[16:17], s[52:53]
	v_cndmask_b32_e64 v8, 0, 1, s[6:7]
	s_and_b64 s[6:7], s[14:15], s[54:55]
	;; [unrolled: 24-line block ×3, first 2 shown]
	v_cndmask_b32_e64 v47, 0, 1, s[6:7]
	v_cmp_ne_u32_e64 s[6:7], 0, v8
	v_cmp_ne_u32_e64 s[14:15], 0, v9
	;; [unrolled: 1-line block ×4, first 2 shown]
	s_bcnt1_i32_b64 s6, s[6:7]
	s_bcnt1_i32_b64 s7, s[14:15]
	s_bcnt1_i32_b64 s8, s[16:17]
	s_bcnt1_i32_b64 s9, s[18:19]
	s_add_u32 s6, s6, s86
	s_addc_u32 s14, 0, s87
	s_add_u32 s6, s6, s7
	s_addc_u32 s7, s14, 0
	;; [unrolled: 2-line block ×4, first 2 shown]
	v_pk_mov_b32 v[2:3], s[0:1], s[0:1] op_sel:[0,1]
	v_pk_mov_b32 v[4:5], s[90:91], s[90:91] op_sel:[0,1]
	;; [unrolled: 1-line block ×3, first 2 shown]
	s_or_b64 s[84:85], vcc, s[84:85]
	v_pk_mov_b32 v[8:9], s[86:87], s[86:87] op_sel:[0,1]
	s_andn2_b64 exec, exec, s[84:85]
	s_cbranch_execnz .LBB141_64
; %bb.65:                               ;   in Loop: Header=BB141_31 Depth=1
	s_or_b64 exec, exec, s[84:85]
.LBB141_66:                             ;   in Loop: Header=BB141_31 Depth=1
	s_or_b64 exec, exec, s[4:5]
	v_add_co_u32_e32 v30, vcc, v30, v0
	v_addc_co_u32_e32 v31, vcc, 0, v31, vcc
	v_cmp_gt_u64_e32 vcc, s[60:61], v[30:31]
	v_mov_b32_e32 v32, 0
	s_and_saveexec_b64 s[0:1], vcc
	s_cbranch_execz .LBB141_68
; %bb.67:                               ;   in Loop: Header=BB141_31 Depth=1
	v_pk_mov_b32 v[32:33], s[82:83], s[82:83] op_sel:[0,1]
	v_mad_u64_u32 v[32:33], s[4:5], v30, s58, v[32:33]
	v_mul_lo_u32 v34, v30, s59
	v_mul_lo_u32 v35, v31, s58
	v_add3_u32 v33, v35, v33, v34
	global_load_ubyte v32, v[32:33], off
.LBB141_68:                             ;   in Loop: Header=BB141_31 Depth=1
	s_or_b64 exec, exec, s[0:1]
	s_and_saveexec_b64 s[0:1], vcc
	s_cbranch_execz .LBB141_75
; %bb.69:                               ;   in Loop: Header=BB141_31 Depth=1
	v_readlane_b32 s4, v52, 37
	s_and_b32 s8, s4, 0xfe
	s_mov_b64 s[4:5], 0
	s_branch .LBB141_71
.LBB141_70:                             ;   in Loop: Header=BB141_71 Depth=2
	s_or_b64 exec, exec, s[14:15]
	s_waitcnt vmcnt(0)
	v_add_u32_sdwa v32, sext(v32), s31 dst_sel:DWORD dst_unused:UNUSED_PAD src0_sel:BYTE_0 src1_sel:DWORD
	s_and_b64 s[6:7], exec, vcc
	v_and_b32_e32 v34, v32, v41
	v_bfe_u32 v32, v32, s8, 2
	s_or_b64 s[4:5], s[6:7], s[4:5]
	v_cmp_eq_u32_e32 vcc, v34, v42
	v_cmp_eq_u32_e64 s[6:7], 0, v32
	s_and_b64 s[6:7], vcc, s[6:7]
	v_cndmask_b32_e64 v34, 0, 1, s[6:7]
	v_cmp_ne_u32_e64 s[6:7], 0, v34
	s_bcnt1_i32_b64 s6, s[6:7]
	v_add_co_u32_e64 v2, s[6:7], s6, v2
	v_addc_co_u32_e64 v3, s[6:7], 0, v3, s[6:7]
	v_cmp_eq_u32_e64 s[6:7], 1, v32
	s_and_b64 s[6:7], vcc, s[6:7]
	v_cndmask_b32_e64 v34, 0, 1, s[6:7]
	v_cmp_ne_u32_e64 s[6:7], 0, v34
	s_bcnt1_i32_b64 s6, s[6:7]
	v_add_co_u32_e64 v4, s[6:7], s6, v4
	v_addc_co_u32_e64 v5, s[6:7], 0, v5, s[6:7]
	;; [unrolled: 7-line block ×3, first 2 shown]
	v_cmp_eq_u32_e64 s[6:7], 3, v32
	s_and_b64 s[6:7], vcc, s[6:7]
	v_cndmask_b32_e64 v32, 0, 1, s[6:7]
	v_cmp_ne_u32_e32 vcc, 0, v32
	s_bcnt1_i32_b64 s6, vcc
	v_add_co_u32_e32 v8, vcc, s6, v8
	v_addc_co_u32_e32 v9, vcc, 0, v9, vcc
	v_mov_b32_e32 v32, v33
	s_andn2_b64 exec, exec, s[4:5]
	s_cbranch_execz .LBB141_74
.LBB141_71:                             ;   Parent Loop BB141_31 Depth=1
                                        ; =>  This Inner Loop Header: Depth=2
	v_add_co_u32_e32 v30, vcc, v30, v14
	v_addc_co_u32_e32 v31, vcc, 0, v31, vcc
	v_cmp_gt_u64_e64 s[6:7], s[60:61], v[30:31]
	v_cmp_le_u64_e32 vcc, s[60:61], v[30:31]
	v_mov_b32_e32 v33, 0
	s_and_saveexec_b64 s[14:15], s[6:7]
	s_cbranch_execz .LBB141_70
; %bb.72:                               ;   in Loop: Header=BB141_71 Depth=2
	v_pk_mov_b32 v[34:35], s[82:83], s[82:83] op_sel:[0,1]
	v_mad_u64_u32 v[34:35], s[6:7], v30, s58, v[34:35]
	v_mul_lo_u32 v33, v30, s59
	v_mul_lo_u32 v44, v31, s58
	v_add3_u32 v35, v44, v35, v33
	global_load_ubyte v33, v[34:35], off
	s_branch .LBB141_70
.LBB141_73:                             ;   in Loop: Header=BB141_31 Depth=1
                                        ; implicit-def: $vgpr8_vgpr9
                                        ; implicit-def: $vgpr4_vgpr5
	s_cbranch_execnz .LBB141_76
	s_branch .LBB141_85
.LBB141_74:                             ;   in Loop: Header=BB141_31 Depth=1
	s_or_b64 exec, exec, s[4:5]
.LBB141_75:                             ;   in Loop: Header=BB141_31 Depth=1
	s_or_b64 exec, exec, s[0:1]
	s_branch .LBB141_85
.LBB141_76:                             ;   in Loop: Header=BB141_31 Depth=1
	v_readlane_b32 s0, v52, 35
	v_readlane_b32 s1, v52, 36
	s_mov_b64 s[4:5], 0
	s_nop 3
	global_load_ushort v14, v15, s[0:1]
	s_waitcnt vmcnt(0)
	v_readfirstlane_b32 s0, v14
	s_and_b32 s0, 0xffff, s0
	s_lshl_b32 s69, s0, 2
	v_cvt_f32_u32_e32 v2, s69
	s_sub_i32 s0, 0, s69
	v_rcp_iflag_f32_e32 v4, v2
	v_pk_mov_b32 v[2:3], 0, 0
	v_pk_mov_b32 v[6:7], v[2:3], v[2:3] op_sel:[0,1]
	v_mul_f32_e32 v4, 0x4f7ffffe, v4
	v_cvt_u32_f32_e32 v8, v4
	v_pk_mov_b32 v[4:5], v[2:3], v[2:3] op_sel:[0,1]
	v_readfirstlane_b32 s1, v8
	s_mul_i32 s0, s0, s1
	s_mul_hi_u32 s0, s1, s0
	s_add_i32 s1, s1, s0
	s_mul_hi_u32 s0, s68, s1
	s_mul_i32 s0, s0, s69
	s_sub_i32 s0, s68, s0
	s_sub_i32 s1, s0, s69
	s_cmp_ge_u32 s0, s69
	s_cselect_b32 s0, s1, s0
	s_sub_i32 s1, s0, s69
	s_cmp_ge_u32 s0, s69
	s_cselect_b32 s0, s1, s0
	s_sub_i32 s80, s68, s0
	v_cmp_gt_u32_e32 vcc, s80, v16
	v_pk_mov_b32 v[8:9], v[2:3], v[2:3] op_sel:[0,1]
	s_and_saveexec_b64 s[0:1], vcc
	s_cbranch_execz .LBB141_80
; %bb.77:                               ;   in Loop: Header=BB141_31 Depth=1
	v_readlane_b32 s6, v52, 37
	s_and_b32 s8, s6, 0xfe
	v_mov_b32_e32 v32, v16
	s_mov_b64 s[84:85], 0
	s_mov_b64 s[86:87], 0
	;; [unrolled: 1-line block ×4, first 2 shown]
	v_pk_mov_b32 v[30:31], v[16:17], v[16:17] op_sel:[0,1]
.LBB141_78:                             ;   Parent Loop BB141_31 Depth=1
                                        ; =>  This Inner Loop Header: Depth=2
	ds_read_b32 v2, v32
	v_add_co_u32_e32 v30, vcc, s69, v30
	v_addc_co_u32_e32 v31, vcc, 0, v31, vcc
	s_waitcnt lgkmcnt(0)
	v_add_u32_sdwa v3, sext(v2), s31 dst_sel:DWORD dst_unused:UNUSED_PAD src0_sel:BYTE_0 src1_sel:DWORD
	v_add_u32_sdwa v4, sext(v2), s31 dst_sel:DWORD dst_unused:UNUSED_PAD src0_sel:BYTE_1 src1_sel:DWORD
	v_and_b32_e32 v6, v3, v41
	v_bfe_u32 v3, v3, s8, 2
	v_add_u32_sdwa v5, sext(v2), s31 dst_sel:DWORD dst_unused:UNUSED_PAD src0_sel:BYTE_2 src1_sel:DWORD
	v_add_u32_sdwa v2, sext(v2), s31 dst_sel:DWORD dst_unused:UNUSED_PAD src0_sel:BYTE_3 src1_sel:DWORD
	v_and_b32_e32 v7, v4, v41
	v_bfe_u32 v4, v4, s8, 2
	v_cmp_eq_u32_e64 s[20:21], v6, v42
	v_cmp_eq_u32_e64 s[6:7], 0, v3
	v_and_b32_e32 v8, v5, v41
	v_and_b32_e32 v9, v2, v41
	v_bfe_u32 v5, v5, s8, 2
	v_bfe_u32 v2, v2, s8, 2
	v_cmp_eq_u32_e64 s[18:19], v7, v42
	v_cmp_eq_u32_e64 s[34:35], 0, v4
	s_and_b64 s[6:7], s[20:21], s[6:7]
	v_cmp_eq_u32_e64 s[16:17], v8, v42
	v_cmp_eq_u32_e64 s[36:37], 0, v5
	;; [unrolled: 1-line block ×6, first 2 shown]
	v_cndmask_b32_e64 v2, 0, 1, s[6:7]
	s_and_b64 s[6:7], s[18:19], s[34:35]
	v_cmp_eq_u32_e64 s[14:15], v9, v42
	v_cmp_eq_u32_e64 s[40:41], 1, v3
	;; [unrolled: 1-line block ×4, first 2 shown]
	v_cndmask_b32_e64 v3, 0, 1, s[6:7]
	s_and_b64 s[6:7], s[16:17], s[36:37]
	v_cmp_eq_u32_e64 s[42:43], 1, v4
	v_cmp_eq_u32_e64 s[50:51], 2, v4
	;; [unrolled: 1-line block ×3, first 2 shown]
	v_cndmask_b32_e64 v4, 0, 1, s[6:7]
	s_and_b64 s[6:7], s[14:15], s[38:39]
	v_cmp_eq_u32_e64 s[44:45], 1, v5
	v_cmp_eq_u32_e64 s[52:53], 2, v5
	;; [unrolled: 1-line block ×3, first 2 shown]
	v_cndmask_b32_e64 v5, 0, 1, s[6:7]
	v_cmp_ne_u32_e64 s[6:7], 0, v2
	v_cmp_ne_u32_e64 s[34:35], 0, v3
	v_cmp_ne_u32_e64 s[36:37], 0, v4
	v_cmp_ne_u32_e64 s[38:39], 0, v5
	s_bcnt1_i32_b64 s6, s[6:7]
	s_bcnt1_i32_b64 s7, s[34:35]
	s_bcnt1_i32_b64 s9, s[36:37]
	s_bcnt1_i32_b64 s34, s[38:39]
	s_add_u32 s6, s6, s92
	s_addc_u32 s35, 0, s93
	s_add_u32 s6, s6, s7
	s_addc_u32 s7, s35, 0
	s_add_u32 s6, s6, s9
	s_addc_u32 s7, s7, 0
	s_add_u32 s92, s6, s34
	s_addc_u32 s93, s7, 0
	s_and_b64 s[6:7], s[20:21], s[40:41]
	v_cndmask_b32_e64 v4, 0, 1, s[6:7]
	s_and_b64 s[6:7], s[18:19], s[42:43]
	v_cndmask_b32_e64 v5, 0, 1, s[6:7]
	s_and_b64 s[6:7], s[16:17], s[44:45]
	v_cndmask_b32_e64 v6, 0, 1, s[6:7]
	s_and_b64 s[6:7], s[14:15], s[46:47]
	v_cndmask_b32_e64 v7, 0, 1, s[6:7]
	v_cmp_ne_u32_e64 s[6:7], 0, v4
	v_cmp_ne_u32_e64 s[34:35], 0, v5
	v_cmp_ne_u32_e64 s[36:37], 0, v6
	v_cmp_ne_u32_e64 s[38:39], 0, v7
	s_bcnt1_i32_b64 s6, s[6:7]
	s_bcnt1_i32_b64 s7, s[34:35]
	s_bcnt1_i32_b64 s9, s[36:37]
	s_bcnt1_i32_b64 s34, s[38:39]
	s_add_u32 s6, s6, s90
	s_addc_u32 s35, 0, s91
	s_add_u32 s6, s6, s7
	s_addc_u32 s7, s35, 0
	s_add_u32 s6, s6, s9
	s_addc_u32 s7, s7, 0
	s_add_u32 s90, s6, s34
	s_addc_u32 s91, s7, 0
	s_and_b64 s[6:7], s[20:21], s[48:49]
	v_cndmask_b32_e64 v6, 0, 1, s[6:7]
	s_and_b64 s[6:7], s[18:19], s[50:51]
	v_cndmask_b32_e64 v7, 0, 1, s[6:7]
	s_and_b64 s[6:7], s[16:17], s[52:53]
	v_cndmask_b32_e64 v8, 0, 1, s[6:7]
	s_and_b64 s[6:7], s[14:15], s[54:55]
	;; [unrolled: 24-line block ×3, first 2 shown]
	v_cndmask_b32_e64 v34, 0, 1, s[6:7]
	v_cmp_ne_u32_e64 s[6:7], 0, v8
	v_cmp_ne_u32_e64 s[14:15], 0, v9
	;; [unrolled: 1-line block ×4, first 2 shown]
	s_bcnt1_i32_b64 s6, s[6:7]
	s_bcnt1_i32_b64 s7, s[14:15]
	;; [unrolled: 1-line block ×4, first 2 shown]
	s_add_u32 s6, s6, s84
	s_addc_u32 s15, 0, s85
	s_add_u32 s6, s6, s7
	s_addc_u32 s7, s15, 0
	;; [unrolled: 2-line block ×3, first 2 shown]
	s_add_u32 s84, s6, s14
	v_cmp_le_u64_e32 vcc, s[80:81], v[30:31]
	s_addc_u32 s85, s7, 0
	v_add_u32_e32 v32, s69, v32
	v_pk_mov_b32 v[2:3], s[92:93], s[92:93] op_sel:[0,1]
	v_pk_mov_b32 v[4:5], s[90:91], s[90:91] op_sel:[0,1]
	;; [unrolled: 1-line block ×3, first 2 shown]
	s_or_b64 s[4:5], vcc, s[4:5]
	v_pk_mov_b32 v[8:9], s[84:85], s[84:85] op_sel:[0,1]
	s_andn2_b64 exec, exec, s[4:5]
	s_cbranch_execnz .LBB141_78
; %bb.79:                               ;   in Loop: Header=BB141_31 Depth=1
	s_or_b64 exec, exec, s[4:5]
.LBB141_80:                             ;   in Loop: Header=BB141_31 Depth=1
	s_or_b64 exec, exec, s[0:1]
	v_and_b32_e32 v32, 0xffff, v14
	v_add_u32_e32 v14, s80, v0
	v_cmp_gt_u32_e32 vcc, s68, v14
	s_and_saveexec_b64 s[0:1], vcc
	s_cbranch_execz .LBB141_84
; %bb.81:                               ;   in Loop: Header=BB141_31 Depth=1
	v_readlane_b32 s4, v52, 37
	s_and_b32 s80, s68, 0x7fffffff
	s_and_b32 s8, s4, 0xfe
	s_mov_b64 s[4:5], 0
	v_pk_mov_b32 v[30:31], v[14:15], v[14:15] op_sel:[0,1]
.LBB141_82:                             ;   Parent Loop BB141_31 Depth=1
                                        ; =>  This Inner Loop Header: Depth=2
	ds_read_i8 v33, v14
	v_add_co_u32_e32 v30, vcc, v30, v32
	v_addc_co_u32_e32 v31, vcc, 0, v31, vcc
	s_waitcnt lgkmcnt(0)
	v_add_u32_e32 v33, 0x80, v33
	v_and_b32_e32 v34, v33, v41
	v_bfe_u32 v33, v33, s8, 2
	v_cmp_eq_u32_e64 s[6:7], v34, v42
	v_cmp_eq_u32_e64 s[14:15], 0, v33
	;; [unrolled: 1-line block ×3, first 2 shown]
	s_and_b64 s[14:15], s[6:7], s[14:15]
	v_cmp_eq_u32_e64 s[18:19], 2, v33
	v_cmp_eq_u32_e64 s[20:21], 3, v33
	v_cndmask_b32_e64 v33, 0, 1, s[14:15]
	s_and_b64 s[14:15], s[6:7], s[16:17]
	v_cndmask_b32_e64 v34, 0, 1, s[14:15]
	s_and_b64 s[14:15], s[6:7], s[18:19]
	s_and_b64 s[6:7], s[6:7], s[20:21]
	v_cndmask_b32_e64 v35, 0, 1, s[14:15]
	v_cndmask_b32_e64 v44, 0, 1, s[6:7]
	v_cmp_ne_u32_e64 s[6:7], 0, v33
	v_cmp_ne_u32_e64 s[14:15], 0, v34
	;; [unrolled: 1-line block ×4, first 2 shown]
	v_cmp_le_u64_e32 vcc, s[80:81], v[30:31]
	s_bcnt1_i32_b64 s6, s[6:7]
	s_bcnt1_i32_b64 s7, s[14:15]
	s_bcnt1_i32_b64 s9, s[16:17]
	s_bcnt1_i32_b64 s14, s[18:19]
	s_or_b64 s[4:5], vcc, s[4:5]
	v_add_co_u32_e32 v2, vcc, s6, v2
	v_addc_co_u32_e32 v3, vcc, 0, v3, vcc
	v_add_co_u32_e32 v4, vcc, s7, v4
	v_addc_co_u32_e32 v5, vcc, 0, v5, vcc
	;; [unrolled: 2-line block ×3, first 2 shown]
	v_add_co_u32_e32 v8, vcc, s14, v8
	v_add_u32_e32 v14, v14, v32
	v_addc_co_u32_e32 v9, vcc, 0, v9, vcc
	s_andn2_b64 exec, exec, s[4:5]
	s_cbranch_execnz .LBB141_82
; %bb.83:                               ;   in Loop: Header=BB141_31 Depth=1
	s_or_b64 exec, exec, s[4:5]
.LBB141_84:                             ;   in Loop: Header=BB141_31 Depth=1
	s_or_b64 exec, exec, s[0:1]
.LBB141_85:                             ;   in Loop: Header=BB141_31 Depth=1
	v_readlane_b32 s0, v52, 52
	s_lshl_b32 s4, s0, 6
	s_mov_b64 s[0:1], exec
	v_readlane_b32 s6, v52, 18
	v_readlane_b32 s7, v52, 19
	s_and_b64 s[6:7], s[0:1], s[6:7]
	s_mov_b64 exec, s[6:7]
	s_cbranch_execz .LBB141_87
; %bb.86:                               ;   in Loop: Header=BB141_31 Depth=1
	v_or_b32_e32 v14, s4, v38
	v_lshlrev_b32_e32 v14, 3, v14
	ds_write_b128 v14, v[2:5] offset:3072
	s_waitcnt vmcnt(0)
	ds_write_b128 v14, v[6:9] offset:3088
.LBB141_87:                             ;   in Loop: Header=BB141_31 Depth=1
	s_or_b64 exec, exec, s[0:1]
	s_waitcnt lgkmcnt(0)
	s_barrier
	s_mov_b64 s[0:1], exec
	v_readlane_b32 s6, v52, 20
	v_readlane_b32 s7, v52, 21
	s_and_b64 s[6:7], s[0:1], s[6:7]
	s_mov_b64 exec, s[6:7]
	s_cbranch_execz .LBB141_99
; %bb.88:                               ;   in Loop: Header=BB141_31 Depth=1
	v_readlane_b32 s6, v52, 28
	v_readlane_b32 s7, v52, 29
	s_andn2_b64 vcc, exec, s[6:7]
	v_pk_mov_b32 v[2:3], 0, 0
	s_cbranch_vccnz .LBB141_98
; %bb.89:                               ;   in Loop: Header=BB141_31 Depth=1
	v_readlane_b32 s6, v52, 38
	v_readlane_b32 s7, v52, 39
	s_andn2_b64 vcc, exec, s[6:7]
	s_cbranch_vccnz .LBB141_94
; %bb.90:                               ;   in Loop: Header=BB141_31 Depth=1
	v_readlane_b32 s5, v52, 52
	v_lshl_add_u32 v4, s5, 9, v39
	s_mov_b32 s5, 0
	v_pk_mov_b32 v[2:3], 0, 0
.LBB141_91:                             ;   Parent Loop BB141_31 Depth=1
                                        ; =>  This Inner Loop Header: Depth=2
	s_waitcnt vmcnt(0)
	ds_read2_b64 v[6:9], v4 offset1:4
	ds_read2_b64 v[30:33], v4 offset0:8 offset1:12
	ds_read2_b64 v[44:47], v4 offset0:16 offset1:20
	ds_read2_b64 v[48:51], v4 offset0:24 offset1:28
	s_add_i32 s5, s5, 8
	s_waitcnt lgkmcnt(3)
	v_add_co_u32_e32 v2, vcc, v6, v2
	v_addc_co_u32_e32 v3, vcc, v7, v3, vcc
	v_add_co_u32_e32 v2, vcc, v8, v2
	v_addc_co_u32_e32 v3, vcc, v9, v3, vcc
	s_waitcnt lgkmcnt(2)
	v_add_co_u32_e32 v2, vcc, v30, v2
	v_addc_co_u32_e32 v3, vcc, v31, v3, vcc
	v_add_co_u32_e32 v2, vcc, v32, v2
	v_addc_co_u32_e32 v3, vcc, v33, v3, vcc
	;; [unrolled: 5-line block ×3, first 2 shown]
	s_waitcnt lgkmcnt(0)
	v_add_co_u32_e32 v2, vcc, v48, v2
	v_addc_co_u32_e32 v3, vcc, v49, v3, vcc
	v_add_co_u32_e32 v2, vcc, v50, v2
	v_add_u32_e32 v4, 0x100, v4
	s_cmp_eq_u32 s30, s5
	v_addc_co_u32_e32 v3, vcc, v51, v3, vcc
	s_cbranch_scc0 .LBB141_91
; %bb.92:                               ;   in Loop: Header=BB141_31 Depth=1
	s_mov_b32 s5, s30
	s_branch .LBB141_95
.LBB141_93:                             ;   in Loop: Header=BB141_31 Depth=1
                                        ; implicit-def: $vgpr2_vgpr3
	s_branch .LBB141_61
.LBB141_94:                             ;   in Loop: Header=BB141_31 Depth=1
	s_mov_b32 s5, 0
	v_pk_mov_b32 v[2:3], 0, 0
.LBB141_95:                             ;   in Loop: Header=BB141_31 Depth=1
	v_readlane_b32 s6, v52, 41
	v_readlane_b32 s7, v52, 42
	s_andn2_b64 vcc, exec, s[6:7]
	s_cbranch_vccnz .LBB141_98
; %bb.96:                               ;   in Loop: Header=BB141_31 Depth=1
	v_readlane_b32 s6, v52, 52
	s_lshl_b32 s6, s6, 9
	s_lshl_b32 s5, s5, 5
	s_add_i32 s6, s6, s5
	v_add_u32_e32 v4, s6, v39
	v_readlane_b32 s5, v52, 40
.LBB141_97:                             ;   Parent Loop BB141_31 Depth=1
                                        ; =>  This Inner Loop Header: Depth=2
	s_waitcnt vmcnt(0)
	ds_read_b64 v[6:7], v4
	s_add_i32 s5, s5, -1
	v_add_u32_e32 v4, 32, v4
	s_cmp_lg_u32 s5, 0
	s_waitcnt lgkmcnt(0)
	v_add_co_u32_e32 v2, vcc, v6, v2
	v_addc_co_u32_e32 v3, vcc, v7, v3, vcc
	s_cbranch_scc1 .LBB141_97
.LBB141_98:                             ;   in Loop: Header=BB141_31 Depth=1
	v_add_lshl_u32 v4, s4, v37, 3
	ds_write_b64 v4, v[2:3] offset:3072
.LBB141_99:                             ;   in Loop: Header=BB141_31 Depth=1
	s_or_b64 exec, exec, s[0:1]
	s_lshl_b32 s0, s4, 3
	s_waitcnt vmcnt(0)
	v_mov_b32_e32 v6, s0
	v_readlane_b32 s0, v52, 37
	s_and_b32 s0, s0, 0xfe
	s_waitcnt lgkmcnt(0)
	s_barrier
	ds_read_b128 v[2:5], v6 offset:3072
	ds_read_b128 v[6:9], v6 offset:3088
	s_lshl_b32 s80, 3, s0
	v_writelane_b32 v52, s0, 57
	s_not_b32 s0, s80
	v_writelane_b32 v52, s0, 58
	v_readlane_b32 s0, v52, 16
	v_readlane_b32 s1, v52, 17
	s_waitcnt lgkmcnt(1)
	v_readfirstlane_b32 s17, v3
	v_readfirstlane_b32 s16, v2
	;; [unrolled: 1-line block ×4, first 2 shown]
	s_waitcnt lgkmcnt(0)
	v_readfirstlane_b32 s23, v7
	v_readfirstlane_b32 s22, v6
	;; [unrolled: 1-line block ×4, first 2 shown]
	s_andn2_b64 vcc, exec, s[0:1]
	v_cmp_eq_u64_e64 s[14:15], 1, v[28:29]
	s_cbranch_vccnz .LBB141_115
; %bb.100:                              ;   in Loop: Header=BB141_31 Depth=1
	s_cmp_eq_u64 s[16:17], 1
	s_cselect_b64 s[0:1], -1, 0
	s_and_b64 s[6:7], s[0:1], s[14:15]
	s_mov_b64 s[0:1], -1
	v_mov_b32_e32 v30, v42
	v_mov_b32_e32 v31, v41
	;; [unrolled: 1-line block ×3, first 2 shown]
                                        ; implicit-def: $sgpr20_sgpr21
                                        ; implicit-def: $sgpr36_sgpr37
                                        ; implicit-def: $sgpr34_sgpr35
	s_and_saveexec_b64 s[26:27], s[6:7]
	s_cbranch_execz .LBB141_137
; %bb.101:                              ;   in Loop: Header=BB141_31 Depth=1
	ds_read_b64 v[2:3], v15 offset:5120
	s_waitcnt lgkmcnt(0)
	s_barrier
	v_readfirstlane_b32 s0, v2
	v_readfirstlane_b32 s1, v3
	s_mov_b64 s[4:5], exec
	v_readlane_b32 s8, v52, 26
	v_readlane_b32 s9, v52, 27
	s_and_b64 s[8:9], s[4:5], s[8:9]
	s_mov_b64 exec, s[8:9]
	s_cbranch_execz .LBB141_103
; %bb.102:                              ;   in Loop: Header=BB141_31 Depth=1
	ds_write_b8 v0, v15 offset:3072
.LBB141_103:                            ;   in Loop: Header=BB141_31 Depth=1
	s_or_b64 exec, exec, s[4:5]
	v_readlane_b32 s4, v52, 58
	v_and_b32_e32 v30, s4, v42
	v_or_b32_e32 v31, s80, v41
	s_cmp_eq_u64 s[0:1], 0
	s_waitcnt lgkmcnt(0)
	s_barrier
	s_cbranch_scc1 .LBB141_120
; %bb.104:                              ;   in Loop: Header=BB141_31 Depth=1
	v_readlane_b32 s4, v52, 30
	s_add_u32 s8, s4, s0
	v_readlane_b32 s4, v52, 32
	s_addc_u32 s5, s4, s1
	s_mov_b32 s4, s81
	s_cmp_lg_u64 s[4:5], 0
	s_cbranch_scc0 .LBB141_164
; %bb.105:                              ;   in Loop: Header=BB141_31 Depth=1
	v_cvt_f32_u32_e32 v2, s33
	s_sub_u32 s4, 0, s33
	s_subb_u32 s9, 0, 0
	v_mac_f32_e32 v2, 0, v40
	v_rcp_f32_e32 v2, v2
	v_mul_f32_e32 v2, 0x5f7ffffc, v2
	v_mul_f32_e32 v3, 0x2f800000, v2
	v_trunc_f32_e32 v3, v3
	v_mac_f32_e32 v2, 0xcf800000, v3
	v_cvt_u32_f32_e32 v3, v3
	v_cvt_u32_f32_e32 v2, v2
	v_readfirstlane_b32 s20, v3
	v_readfirstlane_b32 s21, v2
	s_mul_i32 s28, s4, s20
	s_mul_hi_u32 s34, s4, s21
	s_mul_i32 s29, s9, s21
	s_add_i32 s28, s34, s28
	s_mul_i32 s35, s4, s21
	s_add_i32 s28, s28, s29
	s_mul_hi_u32 s34, s21, s35
	s_mul_hi_u32 s29, s21, s28
	s_mul_i32 s21, s21, s28
	s_add_u32 s21, s34, s21
	s_addc_u32 s29, 0, s29
	s_mul_hi_u32 s36, s20, s35
	s_mul_i32 s35, s20, s35
	s_add_u32 s21, s21, s35
	s_mul_hi_u32 s34, s20, s28
	s_addc_u32 s21, s29, s36
	s_addc_u32 s29, s34, 0
	s_mul_i32 s28, s20, s28
	s_add_u32 s21, s21, s28
	s_addc_u32 s28, 0, s29
	v_add_co_u32_e32 v2, vcc, s21, v2
	s_cmp_lg_u64 vcc, 0
	s_addc_u32 s20, s20, s28
	v_readfirstlane_b32 s28, v2
	s_mul_i32 s21, s4, s20
	s_mul_hi_u32 s29, s4, s28
	s_add_i32 s21, s29, s21
	s_mul_i32 s9, s9, s28
	s_add_i32 s21, s21, s9
	s_mul_i32 s4, s4, s28
	s_mul_hi_u32 s29, s20, s4
	s_mul_i32 s34, s20, s4
	s_mul_i32 s36, s28, s21
	s_mul_hi_u32 s4, s28, s4
	s_mul_hi_u32 s35, s28, s21
	s_add_u32 s4, s4, s36
	s_addc_u32 s28, 0, s35
	s_add_u32 s4, s4, s34
	s_mul_hi_u32 s9, s20, s21
	s_addc_u32 s4, s28, s29
	s_addc_u32 s9, s9, 0
	s_mul_i32 s21, s20, s21
	s_add_u32 s4, s4, s21
	s_addc_u32 s9, 0, s9
	v_add_co_u32_e32 v2, vcc, s4, v2
	s_cmp_lg_u64 vcc, 0
	s_addc_u32 s4, s20, s9
	v_readfirstlane_b32 s21, v2
	s_mul_i32 s20, s8, s4
	s_mul_hi_u32 s28, s8, s21
	s_mul_hi_u32 s9, s8, s4
	s_add_u32 s20, s28, s20
	s_addc_u32 s9, 0, s9
	s_mul_hi_u32 s29, s5, s21
	s_mul_i32 s21, s5, s21
	s_add_u32 s20, s20, s21
	s_mul_hi_u32 s28, s5, s4
	s_addc_u32 s9, s9, s29
	s_addc_u32 s20, s28, 0
	s_mul_i32 s4, s5, s4
	s_add_u32 s4, s9, s4
	s_addc_u32 s9, 0, s20
	s_mul_hi_u32 s20, s33, s4
	s_mul_i32 s4, s33, s4
	s_mul_i32 s9, s33, s9
	v_mov_b32_e32 v2, s4
	s_add_i32 s20, s20, s9
	v_sub_co_u32_e32 v2, vcc, s8, v2
	s_cmp_lg_u64 vcc, 0
	s_subb_u32 s4, s5, s20
	v_subrev_co_u32_e32 v3, vcc, s33, v2
	s_cmp_lg_u64 vcc, 0
	s_subb_u32 s9, s4, 0
	v_subrev_co_u32_e32 v4, vcc, s33, v3
	s_cmp_lg_u64 vcc, 0
	s_subb_u32 s20, s9, 0
	v_cmp_le_u32_e32 vcc, s33, v3
	s_cmp_eq_u32 s9, 0
	v_cndmask_b32_e64 v5, 0, -1, vcc
	s_cselect_b64 vcc, -1, 0
	v_cndmask_b32_e32 v5, -1, v5, vcc
	v_mov_b32_e32 v6, s9
	v_mov_b32_e32 v7, s20
	v_cmp_ne_u32_e32 vcc, 0, v5
	v_cndmask_b32_e32 v5, v6, v7, vcc
	v_cndmask_b32_e32 v4, v3, v4, vcc
	v_cmp_le_u32_e32 vcc, s33, v2
	s_cmp_eq_u32 s4, 0
	v_cndmask_b32_e64 v3, 0, -1, vcc
	s_cselect_b64 vcc, -1, 0
	v_cndmask_b32_e32 v3, -1, v3, vcc
	v_mov_b32_e32 v6, s4
	v_cmp_ne_u32_e32 vcc, 0, v3
	v_cndmask_b32_e32 v3, v6, v5, vcc
	v_cndmask_b32_e32 v2, v2, v4, vcc
	s_cbranch_execnz .LBB141_107
.LBB141_106:                            ;   in Loop: Header=BB141_31 Depth=1
	v_cvt_f32_u32_e32 v2, s33
	s_sub_i32 s4, 0, s33
	v_rcp_iflag_f32_e32 v2, v2
	v_mul_f32_e32 v2, 0x4f7ffffe, v2
	v_cvt_u32_f32_e32 v2, v2
	v_mul_lo_u32 v3, s4, v2
	v_mul_hi_u32 v3, v2, v3
	v_add_u32_e32 v2, v2, v3
	v_mul_hi_u32 v2, s8, v2
	v_mul_lo_u32 v2, v2, s33
	v_sub_u32_e32 v2, s8, v2
	v_subrev_u32_e32 v3, s33, v2
	v_cmp_le_u32_e32 vcc, s33, v2
	v_cndmask_b32_e32 v2, v2, v3, vcc
	v_subrev_u32_e32 v3, s33, v2
	v_cmp_le_u32_e32 vcc, s33, v2
	v_cndmask_b32_e32 v14, v2, v3, vcc
	v_pk_mov_b32 v[2:3], v[14:15], v[14:15] op_sel:[0,1]
.LBB141_107:                            ;   in Loop: Header=BB141_31 Depth=1
	v_mov_b32_e32 v4, s5
	v_sub_co_u32_e32 v2, vcc, s8, v2
	v_subb_co_u32_e32 v3, vcc, v4, v3, vcc
	v_cmp_gt_u64_e32 vcc, v[2:3], v[0:1]
	s_mov_b64 s[4:5], 0
                                        ; implicit-def: $vgpr32
	s_and_saveexec_b64 s[20:21], vcc
	s_cbranch_execz .LBB141_122
; %bb.108:                              ;   in Loop: Header=BB141_31 Depth=1
	v_mov_b32_e32 v6, v0
	v_pk_mov_b32 v[4:5], v[0:1], v[0:1] op_sel:[0,1]
                                        ; implicit-def: $sgpr28_sgpr29
	s_branch .LBB141_110
.LBB141_109:                            ;   in Loop: Header=BB141_110 Depth=2
	s_or_b64 exec, exec, s[34:35]
	s_waitcnt lgkmcnt(0)
	s_barrier
	ds_read_u16 v7, v15 offset:3072
	v_mov_b32_e32 v8, s64
	v_add_co_u32_e32 v4, vcc, s33, v4
	v_addc_co_u32_e32 v5, vcc, v5, v8, vcc
	s_waitcnt lgkmcnt(0)
	v_cmp_ne_u16_sdwa s[8:9], v7, v15 src0_sel:BYTE_0 src1_sel:DWORD
	v_cmp_ge_u64_e32 vcc, v[4:5], v[2:3]
	s_or_b64 s[34:35], vcc, s[8:9]
	s_and_b64 s[34:35], exec, s[34:35]
	s_or_b64 s[4:5], s[34:35], s[4:5]
	s_andn2_b64 s[28:29], s[28:29], exec
	s_and_b64 s[8:9], s[8:9], exec
	v_add_u32_e32 v6, s33, v6
	s_or_b64 s[28:29], s[28:29], s[8:9]
	s_barrier
	s_andn2_b64 exec, exec, s[4:5]
	s_cbranch_execz .LBB141_121
.LBB141_110:                            ;   Parent Loop BB141_31 Depth=1
                                        ; =>  This Inner Loop Header: Depth=2
	v_cmp_gt_u64_e32 vcc, s[0:1], v[4:5]
	v_mov_b32_e32 v7, 0
	s_and_saveexec_b64 s[34:35], vcc
	s_cbranch_execz .LBB141_112
; %bb.111:                              ;   in Loop: Header=BB141_110 Depth=2
	ds_read_u8 v7, v6
.LBB141_112:                            ;   in Loop: Header=BB141_110 Depth=2
	s_or_b64 exec, exec, s[34:35]
	s_and_saveexec_b64 s[34:35], vcc
	s_cbranch_execz .LBB141_109
; %bb.113:                              ;   in Loop: Header=BB141_110 Depth=2
	s_waitcnt lgkmcnt(0)
	v_add_u32_sdwa v8, sext(v7), s31 dst_sel:DWORD dst_unused:UNUSED_PAD src0_sel:BYTE_0 src1_sel:DWORD
	v_and_b32_e32 v8, v8, v31
	v_cmp_eq_u32_e32 vcc, v8, v30
	s_and_b64 exec, exec, vcc
	s_cbranch_execz .LBB141_109
; %bb.114:                              ;   in Loop: Header=BB141_110 Depth=2
	v_lshlrev_b16_e32 v7, 8, v7
	v_or_b32_e32 v7, 1, v7
	ds_write_b16 v15, v7 offset:3072
	s_branch .LBB141_109
.LBB141_115:                            ;   in Loop: Header=BB141_31 Depth=1
	s_mov_b64 s[28:29], 0
	s_mov_b64 s[26:27], 0
                                        ; implicit-def: $sgpr34_sgpr35
                                        ; implicit-def: $sgpr36_sgpr37
                                        ; implicit-def: $sgpr20_sgpr21
                                        ; implicit-def: $vgpr6
                                        ; implicit-def: $vgpr2_vgpr3
                                        ; implicit-def: $vgpr30
                                        ; implicit-def: $vgpr31
                                        ; implicit-def: $vgpr32
	s_cbranch_execnz .LBB141_301
.LBB141_116:                            ;   in Loop: Header=BB141_31 Depth=1
	s_mov_b64 s[14:15], s[20:21]
	s_mov_b64 s[38:39], s[20:21]
	s_and_saveexec_b64 s[0:1], s[28:29]
	s_cbranch_execnz .LBB141_497
	s_branch .LBB141_498
.LBB141_117:                            ;   in Loop: Header=BB141_31 Depth=1
	s_or_b64 exec, exec, s[0:1]
	s_waitcnt lgkmcnt(0)
	s_barrier
	s_mov_b64 s[0:1], exec
	v_readlane_b32 s4, v52, 10
	v_readlane_b32 s5, v52, 11
	s_and_b64 s[4:5], s[0:1], s[4:5]
	s_mov_b64 exec, s[4:5]
	s_cbranch_execz .LBB141_119
; %bb.118:                              ;   in Loop: Header=BB141_31 Depth=1
	ds_read_b32 v2, v15 offset:5144
	s_waitcnt lgkmcnt(0)
	v_ashrrev_i32_e32 v3, 31, v2
	ds_write_b64 v15, v[2:3] offset:5120
.LBB141_119:                            ;   in Loop: Header=BB141_31 Depth=1
	s_or_b64 exec, exec, s[0:1]
	s_waitcnt lgkmcnt(0)
	s_barrier
	s_mov_b64 s[0:1], -1
	s_and_b64 vcc, exec, s[68:69]
	s_cbranch_vccnz .LBB141_46
	s_branch .LBB141_56
.LBB141_120:                            ;   in Loop: Header=BB141_31 Depth=1
	s_mov_b64 s[20:21], -1
	s_mov_b64 s[4:5], 0
                                        ; implicit-def: $sgpr34_sgpr35
                                        ; implicit-def: $vgpr32
	s_mov_b64 s[36:37], s[20:21]
	s_cbranch_execnz .LBB141_123
	s_branch .LBB141_136
.LBB141_121:                            ;   in Loop: Header=BB141_31 Depth=1
	s_or_b64 exec, exec, s[4:5]
	v_lshrrev_b16_e32 v32, 8, v7
	s_and_b64 s[4:5], s[28:29], exec
.LBB141_122:                            ;   in Loop: Header=BB141_31 Depth=1
	s_or_b64 exec, exec, s[20:21]
	s_mov_b64 s[34:35], -1
	s_mov_b64 s[20:21], 0
	s_mov_b64 s[36:37], s[20:21]
	s_branch .LBB141_136
.LBB141_123:                            ;   in Loop: Header=BB141_31 Depth=1
	v_readlane_b32 s28, v52, 33
	v_readlane_b32 s29, v52, 34
	s_mov_b32 s28, s81
	s_cmp_lg_u64 s[28:29], 0
	v_writelane_b32 v52, s28, 33
	v_writelane_b32 v52, s29, 34
	s_cbranch_scc0 .LBB141_165
; %bb.124:                              ;   in Loop: Header=BB141_31 Depth=1
	v_cvt_f32_u32_e32 v2, s33
	s_sub_u32 s0, 0, s33
	s_subb_u32 s1, 0, 0
	v_mac_f32_e32 v2, 0, v40
	v_rcp_f32_e32 v2, v2
	v_mul_f32_e32 v2, 0x5f7ffffc, v2
	v_mul_f32_e32 v3, 0x2f800000, v2
	v_trunc_f32_e32 v3, v3
	v_mac_f32_e32 v2, 0xcf800000, v3
	v_cvt_u32_f32_e32 v3, v3
	v_cvt_u32_f32_e32 v2, v2
	v_readfirstlane_b32 s4, v3
	v_readfirstlane_b32 s5, v2
	s_mul_i32 s8, s0, s4
	s_mul_hi_u32 s20, s0, s5
	s_mul_i32 s9, s1, s5
	s_add_i32 s8, s20, s8
	s_mul_i32 s21, s0, s5
	s_add_i32 s8, s8, s9
	s_mul_hi_u32 s20, s5, s21
	s_mul_hi_u32 s9, s5, s8
	s_mul_i32 s5, s5, s8
	s_add_u32 s5, s20, s5
	s_addc_u32 s9, 0, s9
	s_mul_hi_u32 s28, s4, s21
	s_mul_i32 s21, s4, s21
	s_add_u32 s5, s5, s21
	s_mul_hi_u32 s20, s4, s8
	s_addc_u32 s5, s9, s28
	s_addc_u32 s9, s20, 0
	s_mul_i32 s8, s4, s8
	s_add_u32 s5, s5, s8
	s_addc_u32 s8, 0, s9
	v_add_co_u32_e32 v2, vcc, s5, v2
	s_cmp_lg_u64 vcc, 0
	s_addc_u32 s4, s4, s8
	v_readfirstlane_b32 s8, v2
	s_mul_i32 s5, s0, s4
	s_mul_hi_u32 s9, s0, s8
	s_add_i32 s5, s9, s5
	s_mul_i32 s1, s1, s8
	s_add_i32 s5, s5, s1
	s_mul_i32 s0, s0, s8
	s_mul_hi_u32 s9, s4, s0
	s_mul_i32 s20, s4, s0
	s_mul_i32 s28, s8, s5
	s_mul_hi_u32 s0, s8, s0
	s_mul_hi_u32 s21, s8, s5
	s_add_u32 s0, s0, s28
	s_addc_u32 s8, 0, s21
	s_add_u32 s0, s0, s20
	s_mul_hi_u32 s1, s4, s5
	s_addc_u32 s0, s8, s9
	s_addc_u32 s1, s1, 0
	s_mul_i32 s5, s4, s5
	s_add_u32 s0, s0, s5
	s_addc_u32 s1, 0, s1
	v_add_co_u32_e32 v2, vcc, s0, v2
	s_cmp_lg_u64 vcc, 0
	s_addc_u32 s0, s4, s1
	v_readlane_b32 s20, v52, 31
	v_readfirstlane_b32 s5, v2
	s_mul_i32 s4, s20, s0
	s_mul_hi_u32 s8, s20, s5
	s_mul_hi_u32 s1, s20, s0
	s_add_u32 s4, s8, s4
	s_addc_u32 s1, 0, s1
	s_mul_hi_u32 s9, s29, s5
	s_mul_i32 s5, s29, s5
	s_add_u32 s4, s4, s5
	s_mul_hi_u32 s8, s29, s0
	s_addc_u32 s1, s1, s9
	s_addc_u32 s4, s8, 0
	s_mul_i32 s0, s29, s0
	s_add_u32 s0, s1, s0
	s_addc_u32 s1, 0, s4
	s_mul_hi_u32 s4, s33, s0
	s_mul_i32 s0, s33, s0
	s_mul_i32 s1, s33, s1
	v_mov_b32_e32 v2, s0
	s_add_i32 s4, s4, s1
	v_sub_co_u32_e32 v2, vcc, s20, v2
	s_cmp_lg_u64 vcc, 0
	s_subb_u32 s0, s29, s4
	v_subrev_co_u32_e32 v3, vcc, s33, v2
	s_cmp_lg_u64 vcc, 0
	s_subb_u32 s1, s0, 0
	v_subrev_co_u32_e32 v4, vcc, s33, v3
	s_cmp_lg_u64 vcc, 0
	s_subb_u32 s4, s1, 0
	v_cmp_le_u32_e32 vcc, s33, v3
	s_cmp_eq_u32 s1, 0
	v_cndmask_b32_e64 v5, 0, -1, vcc
	s_cselect_b64 vcc, -1, 0
	v_cndmask_b32_e32 v5, -1, v5, vcc
	v_mov_b32_e32 v6, s1
	v_mov_b32_e32 v7, s4
	v_cmp_ne_u32_e32 vcc, 0, v5
	v_cndmask_b32_e32 v5, v6, v7, vcc
	v_cndmask_b32_e32 v4, v3, v4, vcc
	v_cmp_le_u32_e32 vcc, s33, v2
	s_cmp_eq_u32 s0, 0
	v_cndmask_b32_e64 v3, 0, -1, vcc
	s_cselect_b64 vcc, -1, 0
	v_cndmask_b32_e32 v3, -1, v3, vcc
	v_mov_b32_e32 v6, s0
	v_cmp_ne_u32_e32 vcc, 0, v3
	v_cndmask_b32_e32 v3, v6, v5, vcc
	v_cndmask_b32_e32 v2, v2, v4, vcc
	s_cbranch_execnz .LBB141_126
.LBB141_125:                            ;   in Loop: Header=BB141_31 Depth=1
	v_cvt_f32_u32_e32 v2, s33
	s_sub_i32 s0, 0, s33
	v_rcp_iflag_f32_e32 v2, v2
	v_mul_f32_e32 v2, 0x4f7ffffe, v2
	v_cvt_u32_f32_e32 v2, v2
	v_mul_lo_u32 v3, s0, v2
	v_mul_hi_u32 v3, v2, v3
	v_add_u32_e32 v2, v2, v3
	v_readlane_b32 s0, v52, 31
	v_mul_hi_u32 v2, s0, v2
	v_mul_lo_u32 v2, v2, s33
	v_sub_u32_e32 v2, s0, v2
	v_subrev_u32_e32 v3, s33, v2
	v_cmp_le_u32_e32 vcc, s33, v2
	v_cndmask_b32_e32 v2, v2, v3, vcc
	v_subrev_u32_e32 v3, s33, v2
	v_cmp_le_u32_e32 vcc, s33, v2
	v_cndmask_b32_e32 v14, v2, v3, vcc
	v_pk_mov_b32 v[2:3], v[14:15], v[14:15] op_sel:[0,1]
.LBB141_126:                            ;   in Loop: Header=BB141_31 Depth=1
	v_readlane_b32 s0, v52, 33
	v_readlane_b32 s1, v52, 34
	;; [unrolled: 1-line block ×3, first 2 shown]
	v_mov_b32_e32 v4, s1
	v_sub_co_u32_e32 v2, vcc, s0, v2
	v_subb_co_u32_e32 v3, vcc, v4, v3, vcc
	v_cmp_gt_u64_e32 vcc, v[2:3], v[0:1]
	s_mov_b64 s[4:5], 0
                                        ; implicit-def: $vgpr32
	s_and_saveexec_b64 s[0:1], vcc
	s_cbranch_execz .LBB141_135
; %bb.127:                              ;   in Loop: Header=BB141_31 Depth=1
	v_pk_mov_b32 v[4:5], v[26:27], v[26:27] op_sel:[0,1]
	v_pk_mov_b32 v[6:7], v[0:1], v[0:1] op_sel:[0,1]
                                        ; implicit-def: $sgpr20_sgpr21
	s_branch .LBB141_129
.LBB141_128:                            ;   in Loop: Header=BB141_129 Depth=2
	s_or_b64 exec, exec, s[28:29]
	s_waitcnt lgkmcnt(0)
	s_barrier
	s_waitcnt vmcnt(0)
	ds_read_u16 v8, v15 offset:3072
	v_mov_b32_e32 v9, s64
	v_add_co_u32_e32 v6, vcc, s33, v6
	v_addc_co_u32_e32 v7, vcc, v7, v9, vcc
	s_waitcnt lgkmcnt(0)
	v_cmp_ne_u16_sdwa s[8:9], v8, v15 src0_sel:BYTE_0 src1_sel:DWORD
	v_cmp_ge_u64_e32 vcc, v[6:7], v[2:3]
	s_or_b64 s[28:29], vcc, s[8:9]
	s_and_b64 s[28:29], exec, s[28:29]
	s_mul_i32 s34, s58, s33
	s_or_b64 s[4:5], s[28:29], s[4:5]
	v_mov_b32_e32 v9, s65
	v_add_co_u32_e32 v4, vcc, s34, v4
	s_andn2_b64 s[20:21], s[20:21], exec
	s_and_b64 s[8:9], s[8:9], exec
	v_addc_co_u32_e32 v5, vcc, v5, v9, vcc
	s_or_b64 s[20:21], s[20:21], s[8:9]
	s_barrier
	s_andn2_b64 exec, exec, s[4:5]
	s_cbranch_execz .LBB141_134
.LBB141_129:                            ;   Parent Loop BB141_31 Depth=1
                                        ; =>  This Inner Loop Header: Depth=2
	v_cmp_gt_u64_e32 vcc, s[60:61], v[6:7]
	v_mov_b32_e32 v8, 0
	s_and_saveexec_b64 s[28:29], vcc
	s_cbranch_execz .LBB141_131
; %bb.130:                              ;   in Loop: Header=BB141_129 Depth=2
	global_load_ubyte v8, v[4:5], off
.LBB141_131:                            ;   in Loop: Header=BB141_129 Depth=2
	s_or_b64 exec, exec, s[28:29]
	s_and_saveexec_b64 s[28:29], vcc
	s_cbranch_execz .LBB141_128
; %bb.132:                              ;   in Loop: Header=BB141_129 Depth=2
	s_waitcnt vmcnt(0)
	v_add_u32_sdwa v9, sext(v8), s31 dst_sel:DWORD dst_unused:UNUSED_PAD src0_sel:BYTE_0 src1_sel:DWORD
	v_and_b32_e32 v9, v9, v31
	v_cmp_eq_u32_e32 vcc, v9, v30
	s_and_b64 exec, exec, vcc
	s_cbranch_execz .LBB141_128
; %bb.133:                              ;   in Loop: Header=BB141_129 Depth=2
	v_lshlrev_b16_e32 v8, 8, v8
	v_or_b32_e32 v8, 1, v8
	ds_write_b16 v15, v8 offset:3072
	s_branch .LBB141_128
.LBB141_134:                            ;   in Loop: Header=BB141_31 Depth=1
	s_or_b64 exec, exec, s[4:5]
	v_lshrrev_b16_e32 v32, 8, v8
	s_and_b64 s[4:5], s[20:21], exec
.LBB141_135:                            ;   in Loop: Header=BB141_31 Depth=1
	s_or_b64 exec, exec, s[0:1]
	s_mov_b64 s[36:37], -1
	s_mov_b64 s[20:21], 0
	s_mov_b64 s[34:35], 0
.LBB141_136:                            ;   in Loop: Header=BB141_31 Depth=1
	s_orn2_b64 s[0:1], s[4:5], exec
.LBB141_137:                            ;   in Loop: Header=BB141_31 Depth=1
	s_or_b64 exec, exec, s[26:27]
	s_mov_b64 s[38:39], 0
	s_mov_b64 s[28:29], 0
	;; [unrolled: 1-line block ×3, first 2 shown]
                                        ; implicit-def: $vgpr6
                                        ; implicit-def: $vgpr2_vgpr3
	s_and_saveexec_b64 s[40:41], s[0:1]
	s_cbranch_execz .LBB141_300
; %bb.138:                              ;   in Loop: Header=BB141_31 Depth=1
	v_mov_b32_e32 v2, 1
	s_xor_b64 s[4:5], s[6:7], -1
	s_mov_b64 s[6:7], 0
	v_mov_b32_e32 v3, 0
	v_mov_b32_e32 v6, 1
	s_and_saveexec_b64 s[0:1], s[4:5]
	s_cbranch_execz .LBB141_148
; %bb.139:                              ;   in Loop: Header=BB141_31 Depth=1
	v_cmp_ge_u64_e32 vcc, s[16:17], v[28:29]
                                        ; implicit-def: $sgpr8
                                        ; implicit-def: $sgpr4_sgpr5
	s_and_saveexec_b64 s[6:7], vcc
	s_xor_b64 s[6:7], exec, s[6:7]
	s_cbranch_execz .LBB141_145
; %bb.140:                              ;   in Loop: Header=BB141_31 Depth=1
	ds_read_b64 v[2:3], v15 offset:5120
	s_waitcnt lgkmcnt(0)
	v_cmp_ne_u64_e32 vcc, 0, v[2:3]
	s_cbranch_vccnz .LBB141_144
; %bb.141:                              ;   in Loop: Header=BB141_31 Depth=1
	s_mov_b64 s[4:5], exec
	v_readlane_b32 s8, v52, 10
	v_readlane_b32 s9, v52, 11
	s_and_b64 s[8:9], s[4:5], s[8:9]
	s_mov_b64 exec, s[8:9]
	s_cbranch_execz .LBB141_143
; %bb.142:                              ;   in Loop: Header=BB141_31 Depth=1
	v_pk_mov_b32 v[2:3], s[16:17], s[16:17] op_sel:[0,1]
	ds_write_b64 v15, v[2:3] offset:5128
.LBB141_143:                            ;   in Loop: Header=BB141_31 Depth=1
	s_or_b64 exec, exec, s[4:5]
	s_waitcnt lgkmcnt(0)
	s_barrier
.LBB141_144:                            ;   in Loop: Header=BB141_31 Depth=1
	v_readlane_b32 s4, v52, 58
	v_and_b32_e32 v30, s4, v30
	v_or_b32_e32 v31, s80, v31
	s_mov_b64 s[4:5], 0
	s_mov_b32 s8, 8
.LBB141_145:                            ;   in Loop: Header=BB141_31 Depth=1
	s_or_saveexec_b64 s[6:7], s[6:7]
	v_mov_b32_e32 v6, s8
	v_pk_mov_b32 v[2:3], v[28:29], v[28:29] op_sel:[0,1]
	s_xor_b64 exec, exec, s[6:7]
; %bb.146:                              ;   in Loop: Header=BB141_31 Depth=1
	v_mov_b32_e32 v3, s17
	v_subrev_co_u32_e32 v2, vcc, s16, v28
	v_subb_co_u32_e32 v3, vcc, v29, v3, vcc
	v_mov_b32_e32 v6, 0
	s_or_b64 s[4:5], s[4:5], exec
; %bb.147:                              ;   in Loop: Header=BB141_31 Depth=1
	s_or_b64 exec, exec, s[6:7]
	s_and_b64 s[6:7], s[4:5], exec
.LBB141_148:                            ;   in Loop: Header=BB141_31 Depth=1
	s_or_b64 exec, exec, s[0:1]
	s_mov_b64 s[42:43], -1
                                        ; implicit-def: $sgpr0_sgpr1
                                        ; implicit-def: $sgpr4_sgpr5
                                        ; implicit-def: $sgpr26_sgpr27
	s_and_saveexec_b64 s[8:9], s[6:7]
	s_xor_b64 s[6:7], exec, s[8:9]
	s_cbranch_execz .LBB141_297
; %bb.149:                              ;   in Loop: Header=BB141_31 Depth=1
	s_cmp_eq_u64 s[18:19], 1
	s_cselect_b64 s[0:1], -1, 0
	v_cmp_eq_u64_e32 vcc, 1, v[2:3]
	s_and_b64 s[46:47], s[0:1], vcc
	s_mov_b64 s[0:1], -1
                                        ; implicit-def: $sgpr26_sgpr27
                                        ; implicit-def: $sgpr42_sgpr43
                                        ; implicit-def: $sgpr28_sgpr29
	s_and_saveexec_b64 s[44:45], s[46:47]
	s_cbranch_execz .LBB141_183
; %bb.150:                              ;   in Loop: Header=BB141_31 Depth=1
	ds_read_b64 v[4:5], v15 offset:5120
	s_waitcnt lgkmcnt(0)
	s_barrier
	v_readfirstlane_b32 s0, v4
	v_readfirstlane_b32 s1, v5
	s_mov_b64 s[4:5], exec
	v_readlane_b32 s8, v52, 26
	v_readlane_b32 s9, v52, 27
	s_and_b64 s[8:9], s[4:5], s[8:9]
	s_mov_b64 exec, s[8:9]
	s_cbranch_execz .LBB141_152
; %bb.151:                              ;   in Loop: Header=BB141_31 Depth=1
	ds_write_b8 v0, v15 offset:3072
.LBB141_152:                            ;   in Loop: Header=BB141_31 Depth=1
	s_or_b64 exec, exec, s[4:5]
	v_readlane_b32 s4, v52, 58
	v_and_b32_e32 v4, s4, v30
	v_readlane_b32 s4, v52, 57
	v_lshl_or_b32 v30, 1, s4, v4
	v_or_b32_e32 v31, s80, v31
	s_cmp_eq_u64 s[0:1], 0
	s_waitcnt lgkmcnt(0)
	s_barrier
	s_cbranch_scc1 .LBB141_166
; %bb.153:                              ;   in Loop: Header=BB141_31 Depth=1
	v_readlane_b32 s4, v52, 30
	s_add_u32 s8, s4, s0
	v_readlane_b32 s4, v52, 32
	s_addc_u32 s5, s4, s1
	s_mov_b32 s4, s81
	s_cmp_lg_u64 s[4:5], 0
	s_cbranch_scc0 .LBB141_210
; %bb.154:                              ;   in Loop: Header=BB141_31 Depth=1
	v_cvt_f32_u32_e32 v4, s33
	s_sub_u32 s4, 0, s33
	s_subb_u32 s9, 0, 0
	v_mac_f32_e32 v4, 0, v40
	v_rcp_f32_e32 v4, v4
	v_mul_f32_e32 v4, 0x5f7ffffc, v4
	v_mul_f32_e32 v5, 0x2f800000, v4
	v_trunc_f32_e32 v5, v5
	v_mac_f32_e32 v4, 0xcf800000, v5
	v_cvt_u32_f32_e32 v5, v5
	v_cvt_u32_f32_e32 v4, v4
	v_readfirstlane_b32 s26, v5
	v_readfirstlane_b32 s27, v4
	s_mul_i32 s28, s4, s26
	s_mul_hi_u32 s42, s4, s27
	s_mul_i32 s29, s9, s27
	s_add_i32 s28, s42, s28
	s_mul_i32 s43, s4, s27
	s_add_i32 s28, s28, s29
	s_mul_hi_u32 s42, s27, s43
	s_mul_hi_u32 s29, s27, s28
	s_mul_i32 s27, s27, s28
	s_add_u32 s27, s42, s27
	s_addc_u32 s29, 0, s29
	s_mul_hi_u32 s48, s26, s43
	s_mul_i32 s43, s26, s43
	s_add_u32 s27, s27, s43
	s_mul_hi_u32 s42, s26, s28
	s_addc_u32 s27, s29, s48
	s_addc_u32 s29, s42, 0
	s_mul_i32 s28, s26, s28
	s_add_u32 s27, s27, s28
	s_addc_u32 s28, 0, s29
	v_add_co_u32_e32 v4, vcc, s27, v4
	s_cmp_lg_u64 vcc, 0
	s_addc_u32 s26, s26, s28
	v_readfirstlane_b32 s28, v4
	s_mul_i32 s27, s4, s26
	s_mul_hi_u32 s29, s4, s28
	s_add_i32 s27, s29, s27
	s_mul_i32 s9, s9, s28
	s_add_i32 s27, s27, s9
	s_mul_i32 s4, s4, s28
	s_mul_hi_u32 s29, s26, s4
	s_mul_i32 s42, s26, s4
	s_mul_i32 s48, s28, s27
	s_mul_hi_u32 s4, s28, s4
	s_mul_hi_u32 s43, s28, s27
	s_add_u32 s4, s4, s48
	s_addc_u32 s28, 0, s43
	s_add_u32 s4, s4, s42
	s_mul_hi_u32 s9, s26, s27
	s_addc_u32 s4, s28, s29
	s_addc_u32 s9, s9, 0
	s_mul_i32 s27, s26, s27
	s_add_u32 s4, s4, s27
	s_addc_u32 s9, 0, s9
	v_add_co_u32_e32 v4, vcc, s4, v4
	s_cmp_lg_u64 vcc, 0
	s_addc_u32 s4, s26, s9
	v_readfirstlane_b32 s27, v4
	s_mul_i32 s26, s8, s4
	s_mul_hi_u32 s28, s8, s27
	s_mul_hi_u32 s9, s8, s4
	s_add_u32 s26, s28, s26
	s_addc_u32 s9, 0, s9
	s_mul_hi_u32 s29, s5, s27
	s_mul_i32 s27, s5, s27
	s_add_u32 s26, s26, s27
	s_mul_hi_u32 s28, s5, s4
	s_addc_u32 s9, s9, s29
	s_addc_u32 s26, s28, 0
	s_mul_i32 s4, s5, s4
	s_add_u32 s4, s9, s4
	s_addc_u32 s9, 0, s26
	s_mul_hi_u32 s26, s33, s4
	s_mul_i32 s4, s33, s4
	s_mul_i32 s9, s33, s9
	v_mov_b32_e32 v4, s4
	s_add_i32 s26, s26, s9
	v_sub_co_u32_e32 v4, vcc, s8, v4
	s_cmp_lg_u64 vcc, 0
	s_subb_u32 s4, s5, s26
	v_subrev_co_u32_e32 v5, vcc, s33, v4
	s_cmp_lg_u64 vcc, 0
	s_subb_u32 s9, s4, 0
	v_subrev_co_u32_e32 v6, vcc, s33, v5
	s_cmp_lg_u64 vcc, 0
	s_subb_u32 s26, s9, 0
	v_cmp_le_u32_e32 vcc, s33, v5
	s_cmp_eq_u32 s9, 0
	v_cndmask_b32_e64 v7, 0, -1, vcc
	s_cselect_b64 vcc, -1, 0
	v_cndmask_b32_e32 v7, -1, v7, vcc
	v_mov_b32_e32 v8, s9
	v_mov_b32_e32 v9, s26
	v_cmp_ne_u32_e32 vcc, 0, v7
	v_cndmask_b32_e32 v7, v8, v9, vcc
	v_cndmask_b32_e32 v6, v5, v6, vcc
	v_cmp_le_u32_e32 vcc, s33, v4
	s_cmp_eq_u32 s4, 0
	v_cndmask_b32_e64 v5, 0, -1, vcc
	s_cselect_b64 vcc, -1, 0
	v_cndmask_b32_e32 v5, -1, v5, vcc
	v_mov_b32_e32 v8, s4
	v_cmp_ne_u32_e32 vcc, 0, v5
	v_cndmask_b32_e32 v5, v8, v7, vcc
	v_cndmask_b32_e32 v4, v4, v6, vcc
	s_cbranch_execnz .LBB141_156
.LBB141_155:                            ;   in Loop: Header=BB141_31 Depth=1
	v_cvt_f32_u32_e32 v4, s33
	s_sub_i32 s4, 0, s33
	v_rcp_iflag_f32_e32 v4, v4
	v_mul_f32_e32 v4, 0x4f7ffffe, v4
	v_cvt_u32_f32_e32 v4, v4
	v_mul_lo_u32 v5, s4, v4
	v_mul_hi_u32 v5, v4, v5
	v_add_u32_e32 v4, v4, v5
	v_mul_hi_u32 v4, s8, v4
	v_mul_lo_u32 v4, v4, s33
	v_sub_u32_e32 v4, s8, v4
	v_subrev_u32_e32 v5, s33, v4
	v_cmp_le_u32_e32 vcc, s33, v4
	v_cndmask_b32_e32 v4, v4, v5, vcc
	v_subrev_u32_e32 v5, s33, v4
	v_cmp_le_u32_e32 vcc, s33, v4
	v_cndmask_b32_e32 v14, v4, v5, vcc
	v_pk_mov_b32 v[4:5], v[14:15], v[14:15] op_sel:[0,1]
.LBB141_156:                            ;   in Loop: Header=BB141_31 Depth=1
	v_mov_b32_e32 v6, s5
	v_sub_co_u32_e32 v4, vcc, s8, v4
	v_subb_co_u32_e32 v5, vcc, v6, v5, vcc
	v_cmp_gt_u64_e32 vcc, v[4:5], v[0:1]
	s_mov_b64 s[4:5], 0
                                        ; implicit-def: $vgpr32
	s_and_saveexec_b64 s[26:27], vcc
	s_cbranch_execz .LBB141_168
; %bb.157:                              ;   in Loop: Header=BB141_31 Depth=1
	v_mov_b32_e32 v8, v0
	v_pk_mov_b32 v[6:7], v[0:1], v[0:1] op_sel:[0,1]
                                        ; implicit-def: $sgpr28_sgpr29
	s_branch .LBB141_159
.LBB141_158:                            ;   in Loop: Header=BB141_159 Depth=2
	s_or_b64 exec, exec, s[42:43]
	s_waitcnt lgkmcnt(0)
	s_barrier
	ds_read_u16 v9, v15 offset:3072
	v_mov_b32_e32 v14, s64
	v_add_co_u32_e32 v6, vcc, s33, v6
	v_addc_co_u32_e32 v7, vcc, v7, v14, vcc
	s_waitcnt lgkmcnt(0)
	v_cmp_ne_u16_sdwa s[8:9], v9, v15 src0_sel:BYTE_0 src1_sel:DWORD
	v_cmp_ge_u64_e32 vcc, v[6:7], v[4:5]
	s_or_b64 s[42:43], vcc, s[8:9]
	s_and_b64 s[42:43], exec, s[42:43]
	s_or_b64 s[4:5], s[42:43], s[4:5]
	s_andn2_b64 s[28:29], s[28:29], exec
	s_and_b64 s[8:9], s[8:9], exec
	v_add_u32_e32 v8, s33, v8
	s_or_b64 s[28:29], s[28:29], s[8:9]
	s_barrier
	s_andn2_b64 exec, exec, s[4:5]
	s_cbranch_execz .LBB141_167
.LBB141_159:                            ;   Parent Loop BB141_31 Depth=1
                                        ; =>  This Inner Loop Header: Depth=2
	v_cmp_gt_u64_e32 vcc, s[0:1], v[6:7]
	v_mov_b32_e32 v9, 0
	s_and_saveexec_b64 s[42:43], vcc
	s_cbranch_execz .LBB141_161
; %bb.160:                              ;   in Loop: Header=BB141_159 Depth=2
	ds_read_u8 v9, v8
.LBB141_161:                            ;   in Loop: Header=BB141_159 Depth=2
	s_or_b64 exec, exec, s[42:43]
	s_and_saveexec_b64 s[42:43], vcc
	s_cbranch_execz .LBB141_158
; %bb.162:                              ;   in Loop: Header=BB141_159 Depth=2
	s_waitcnt lgkmcnt(0)
	v_add_u32_sdwa v14, sext(v9), s31 dst_sel:DWORD dst_unused:UNUSED_PAD src0_sel:BYTE_0 src1_sel:DWORD
	v_and_b32_e32 v14, v14, v31
	v_cmp_eq_u32_e32 vcc, v14, v30
	s_and_b64 exec, exec, vcc
	s_cbranch_execz .LBB141_158
; %bb.163:                              ;   in Loop: Header=BB141_159 Depth=2
	v_lshlrev_b16_e32 v9, 8, v9
	v_or_b32_e32 v9, 1, v9
	ds_write_b16 v15, v9 offset:3072
	s_branch .LBB141_158
.LBB141_164:                            ;   in Loop: Header=BB141_31 Depth=1
                                        ; implicit-def: $vgpr2_vgpr3
	s_branch .LBB141_106
.LBB141_165:                            ;   in Loop: Header=BB141_31 Depth=1
                                        ; implicit-def: $vgpr2_vgpr3
	s_branch .LBB141_125
.LBB141_166:                            ;   in Loop: Header=BB141_31 Depth=1
	s_mov_b64 s[26:27], -1
	s_mov_b64 s[4:5], 0
                                        ; implicit-def: $sgpr28_sgpr29
                                        ; implicit-def: $vgpr32
	s_mov_b64 s[42:43], s[26:27]
	s_cbranch_execnz .LBB141_169
	s_branch .LBB141_182
.LBB141_167:                            ;   in Loop: Header=BB141_31 Depth=1
	s_or_b64 exec, exec, s[4:5]
	v_lshrrev_b16_e32 v32, 8, v9
	s_and_b64 s[4:5], s[28:29], exec
.LBB141_168:                            ;   in Loop: Header=BB141_31 Depth=1
	s_or_b64 exec, exec, s[26:27]
	s_mov_b64 s[28:29], -1
	s_mov_b64 s[26:27], 0
	s_mov_b64 s[42:43], s[26:27]
	s_branch .LBB141_182
.LBB141_169:                            ;   in Loop: Header=BB141_31 Depth=1
	v_readlane_b32 s28, v52, 33
	v_readlane_b32 s29, v52, 34
	s_mov_b32 s28, s81
	s_cmp_lg_u64 s[28:29], 0
	v_writelane_b32 v52, s28, 33
	v_writelane_b32 v52, s29, 34
	s_cbranch_scc0 .LBB141_211
; %bb.170:                              ;   in Loop: Header=BB141_31 Depth=1
	v_cvt_f32_u32_e32 v4, s33
	s_sub_u32 s0, 0, s33
	s_subb_u32 s1, 0, 0
	v_mac_f32_e32 v4, 0, v40
	v_rcp_f32_e32 v4, v4
	v_mul_f32_e32 v4, 0x5f7ffffc, v4
	v_mul_f32_e32 v5, 0x2f800000, v4
	v_trunc_f32_e32 v5, v5
	v_mac_f32_e32 v4, 0xcf800000, v5
	v_cvt_u32_f32_e32 v5, v5
	v_cvt_u32_f32_e32 v4, v4
	v_readfirstlane_b32 s4, v5
	v_readfirstlane_b32 s5, v4
	s_mul_i32 s8, s0, s4
	s_mul_hi_u32 s26, s0, s5
	s_mul_i32 s9, s1, s5
	s_add_i32 s8, s26, s8
	s_mul_i32 s27, s0, s5
	s_add_i32 s8, s8, s9
	s_mul_hi_u32 s26, s5, s27
	s_mul_hi_u32 s9, s5, s8
	s_mul_i32 s5, s5, s8
	s_add_u32 s5, s26, s5
	s_addc_u32 s9, 0, s9
	s_mul_hi_u32 s28, s4, s27
	s_mul_i32 s27, s4, s27
	s_add_u32 s5, s5, s27
	s_mul_hi_u32 s26, s4, s8
	s_addc_u32 s5, s9, s28
	s_addc_u32 s9, s26, 0
	s_mul_i32 s8, s4, s8
	s_add_u32 s5, s5, s8
	s_addc_u32 s8, 0, s9
	v_add_co_u32_e32 v4, vcc, s5, v4
	s_cmp_lg_u64 vcc, 0
	s_addc_u32 s4, s4, s8
	v_readfirstlane_b32 s8, v4
	s_mul_i32 s5, s0, s4
	s_mul_hi_u32 s9, s0, s8
	s_add_i32 s5, s9, s5
	s_mul_i32 s1, s1, s8
	s_add_i32 s5, s5, s1
	s_mul_i32 s0, s0, s8
	s_mul_hi_u32 s9, s4, s0
	s_mul_i32 s26, s4, s0
	s_mul_i32 s28, s8, s5
	s_mul_hi_u32 s0, s8, s0
	s_mul_hi_u32 s27, s8, s5
	s_add_u32 s0, s0, s28
	s_addc_u32 s8, 0, s27
	s_add_u32 s0, s0, s26
	s_mul_hi_u32 s1, s4, s5
	s_addc_u32 s0, s8, s9
	s_addc_u32 s1, s1, 0
	s_mul_i32 s5, s4, s5
	s_add_u32 s0, s0, s5
	s_addc_u32 s1, 0, s1
	v_add_co_u32_e32 v4, vcc, s0, v4
	s_cmp_lg_u64 vcc, 0
	s_addc_u32 s0, s4, s1
	v_readlane_b32 s26, v52, 31
	v_readfirstlane_b32 s5, v4
	s_mul_i32 s4, s26, s0
	s_mul_hi_u32 s8, s26, s5
	s_mul_hi_u32 s1, s26, s0
	s_add_u32 s4, s8, s4
	s_addc_u32 s1, 0, s1
	s_mul_hi_u32 s9, s29, s5
	s_mul_i32 s5, s29, s5
	s_add_u32 s4, s4, s5
	s_mul_hi_u32 s8, s29, s0
	s_addc_u32 s1, s1, s9
	s_addc_u32 s4, s8, 0
	s_mul_i32 s0, s29, s0
	s_add_u32 s0, s1, s0
	s_addc_u32 s1, 0, s4
	s_mul_hi_u32 s4, s33, s0
	s_mul_i32 s0, s33, s0
	s_mul_i32 s1, s33, s1
	v_mov_b32_e32 v4, s0
	s_add_i32 s4, s4, s1
	v_sub_co_u32_e32 v4, vcc, s26, v4
	s_cmp_lg_u64 vcc, 0
	s_subb_u32 s0, s29, s4
	v_subrev_co_u32_e32 v5, vcc, s33, v4
	s_cmp_lg_u64 vcc, 0
	s_subb_u32 s1, s0, 0
	v_subrev_co_u32_e32 v6, vcc, s33, v5
	s_cmp_lg_u64 vcc, 0
	s_subb_u32 s4, s1, 0
	v_cmp_le_u32_e32 vcc, s33, v5
	s_cmp_eq_u32 s1, 0
	v_cndmask_b32_e64 v7, 0, -1, vcc
	s_cselect_b64 vcc, -1, 0
	v_cndmask_b32_e32 v7, -1, v7, vcc
	v_mov_b32_e32 v8, s1
	v_mov_b32_e32 v9, s4
	v_cmp_ne_u32_e32 vcc, 0, v7
	v_cndmask_b32_e32 v7, v8, v9, vcc
	v_cndmask_b32_e32 v6, v5, v6, vcc
	v_cmp_le_u32_e32 vcc, s33, v4
	s_cmp_eq_u32 s0, 0
	v_cndmask_b32_e64 v5, 0, -1, vcc
	s_cselect_b64 vcc, -1, 0
	v_cndmask_b32_e32 v5, -1, v5, vcc
	v_mov_b32_e32 v8, s0
	v_cmp_ne_u32_e32 vcc, 0, v5
	v_cndmask_b32_e32 v5, v8, v7, vcc
	v_cndmask_b32_e32 v4, v4, v6, vcc
	s_cbranch_execnz .LBB141_172
.LBB141_171:                            ;   in Loop: Header=BB141_31 Depth=1
	v_cvt_f32_u32_e32 v4, s33
	s_sub_i32 s0, 0, s33
	v_rcp_iflag_f32_e32 v4, v4
	v_mul_f32_e32 v4, 0x4f7ffffe, v4
	v_cvt_u32_f32_e32 v4, v4
	v_mul_lo_u32 v5, s0, v4
	v_mul_hi_u32 v5, v4, v5
	v_add_u32_e32 v4, v4, v5
	v_readlane_b32 s0, v52, 31
	v_mul_hi_u32 v4, s0, v4
	v_mul_lo_u32 v4, v4, s33
	v_sub_u32_e32 v4, s0, v4
	v_subrev_u32_e32 v5, s33, v4
	v_cmp_le_u32_e32 vcc, s33, v4
	v_cndmask_b32_e32 v4, v4, v5, vcc
	v_subrev_u32_e32 v5, s33, v4
	v_cmp_le_u32_e32 vcc, s33, v4
	v_cndmask_b32_e32 v14, v4, v5, vcc
	v_pk_mov_b32 v[4:5], v[14:15], v[14:15] op_sel:[0,1]
.LBB141_172:                            ;   in Loop: Header=BB141_31 Depth=1
	v_readlane_b32 s0, v52, 33
	v_readlane_b32 s1, v52, 34
	v_readlane_b32 s0, v52, 31
	v_mov_b32_e32 v6, s1
	v_sub_co_u32_e32 v4, vcc, s0, v4
	v_subb_co_u32_e32 v5, vcc, v6, v5, vcc
	v_cmp_gt_u64_e32 vcc, v[4:5], v[0:1]
	s_mov_b64 s[4:5], 0
                                        ; implicit-def: $vgpr32
	s_and_saveexec_b64 s[0:1], vcc
	s_cbranch_execz .LBB141_181
; %bb.173:                              ;   in Loop: Header=BB141_31 Depth=1
	v_pk_mov_b32 v[6:7], v[26:27], v[26:27] op_sel:[0,1]
	v_pk_mov_b32 v[8:9], v[0:1], v[0:1] op_sel:[0,1]
                                        ; implicit-def: $sgpr26_sgpr27
	s_branch .LBB141_175
.LBB141_174:                            ;   in Loop: Header=BB141_175 Depth=2
	s_or_b64 exec, exec, s[28:29]
	s_waitcnt lgkmcnt(0)
	s_barrier
	s_waitcnt vmcnt(0)
	ds_read_u16 v14, v15 offset:3072
	v_mov_b32_e32 v32, s64
	v_add_co_u32_e32 v8, vcc, s33, v8
	v_addc_co_u32_e32 v9, vcc, v9, v32, vcc
	s_waitcnt lgkmcnt(0)
	v_cmp_ne_u16_sdwa s[8:9], v14, v15 src0_sel:BYTE_0 src1_sel:DWORD
	v_cmp_ge_u64_e32 vcc, v[8:9], v[4:5]
	s_or_b64 s[28:29], vcc, s[8:9]
	s_and_b64 s[28:29], exec, s[28:29]
	s_mul_i32 s42, s58, s33
	s_or_b64 s[4:5], s[28:29], s[4:5]
	v_mov_b32_e32 v32, s65
	v_add_co_u32_e32 v6, vcc, s42, v6
	s_andn2_b64 s[26:27], s[26:27], exec
	s_and_b64 s[8:9], s[8:9], exec
	v_addc_co_u32_e32 v7, vcc, v7, v32, vcc
	s_or_b64 s[26:27], s[26:27], s[8:9]
	s_barrier
	s_andn2_b64 exec, exec, s[4:5]
	s_cbranch_execz .LBB141_180
.LBB141_175:                            ;   Parent Loop BB141_31 Depth=1
                                        ; =>  This Inner Loop Header: Depth=2
	v_cmp_gt_u64_e32 vcc, s[60:61], v[8:9]
	v_mov_b32_e32 v14, 0
	s_and_saveexec_b64 s[28:29], vcc
	s_cbranch_execz .LBB141_177
; %bb.176:                              ;   in Loop: Header=BB141_175 Depth=2
	global_load_ubyte v14, v[6:7], off
.LBB141_177:                            ;   in Loop: Header=BB141_175 Depth=2
	s_or_b64 exec, exec, s[28:29]
	s_and_saveexec_b64 s[28:29], vcc
	s_cbranch_execz .LBB141_174
; %bb.178:                              ;   in Loop: Header=BB141_175 Depth=2
	s_waitcnt vmcnt(0)
	v_add_u32_sdwa v32, sext(v14), s31 dst_sel:DWORD dst_unused:UNUSED_PAD src0_sel:BYTE_0 src1_sel:DWORD
	v_and_b32_e32 v32, v32, v31
	v_cmp_eq_u32_e32 vcc, v32, v30
	s_and_b64 exec, exec, vcc
	s_cbranch_execz .LBB141_174
; %bb.179:                              ;   in Loop: Header=BB141_175 Depth=2
	v_lshlrev_b16_e32 v14, 8, v14
	v_or_b32_e32 v14, 1, v14
	ds_write_b16 v15, v14 offset:3072
	s_branch .LBB141_174
.LBB141_180:                            ;   in Loop: Header=BB141_31 Depth=1
	s_or_b64 exec, exec, s[4:5]
	v_lshrrev_b16_e32 v32, 8, v14
	s_and_b64 s[4:5], s[26:27], exec
.LBB141_181:                            ;   in Loop: Header=BB141_31 Depth=1
	s_or_b64 exec, exec, s[0:1]
	s_mov_b64 s[42:43], -1
	s_mov_b64 s[26:27], 0
	s_mov_b64 s[28:29], 0
.LBB141_182:                            ;   in Loop: Header=BB141_31 Depth=1
	s_orn2_b64 s[0:1], s[4:5], exec
.LBB141_183:                            ;   in Loop: Header=BB141_31 Depth=1
	s_or_b64 exec, exec, s[44:45]
	s_mov_b64 s[48:49], 0
                                        ; implicit-def: $vgpr6
	s_and_saveexec_b64 s[44:45], s[0:1]
	s_cbranch_execz .LBB141_296
; %bb.184:                              ;   in Loop: Header=BB141_31 Depth=1
	v_mov_b32_e32 v4, 1
	s_xor_b64 s[4:5], s[46:47], -1
	s_mov_b64 s[50:51], 0
	v_mov_b32_e32 v5, 0
	v_mov_b32_e32 v6, 1
	s_and_saveexec_b64 s[0:1], s[4:5]
	s_cbranch_execz .LBB141_194
; %bb.185:                              ;   in Loop: Header=BB141_31 Depth=1
	v_cmp_ge_u64_e32 vcc, s[18:19], v[2:3]
                                        ; implicit-def: $sgpr8
                                        ; implicit-def: $sgpr4_sgpr5
	s_and_saveexec_b64 s[46:47], vcc
	s_xor_b64 s[46:47], exec, s[46:47]
	s_cbranch_execz .LBB141_191
; %bb.186:                              ;   in Loop: Header=BB141_31 Depth=1
	ds_read_b64 v[4:5], v15 offset:5120
	s_waitcnt lgkmcnt(0)
	v_cmp_ne_u64_e32 vcc, 0, v[4:5]
	s_cbranch_vccnz .LBB141_190
; %bb.187:                              ;   in Loop: Header=BB141_31 Depth=1
	s_mov_b64 s[4:5], exec
	v_readlane_b32 s8, v52, 10
	v_readlane_b32 s9, v52, 11
	s_and_b64 s[8:9], s[4:5], s[8:9]
	s_mov_b64 exec, s[8:9]
	s_cbranch_execz .LBB141_189
; %bb.188:                              ;   in Loop: Header=BB141_31 Depth=1
	v_pk_mov_b32 v[4:5], s[18:19], s[18:19] op_sel:[0,1]
	ds_write_b64 v15, v[4:5] offset:5128
.LBB141_189:                            ;   in Loop: Header=BB141_31 Depth=1
	s_or_b64 exec, exec, s[4:5]
	s_waitcnt lgkmcnt(0)
	s_barrier
.LBB141_190:                            ;   in Loop: Header=BB141_31 Depth=1
	v_readlane_b32 s4, v52, 58
	v_and_b32_e32 v4, s4, v30
	v_readlane_b32 s4, v52, 57
	v_lshl_or_b32 v30, 1, s4, v4
	v_or_b32_e32 v31, s80, v31
	s_mov_b64 s[4:5], 0
	s_mov_b32 s8, 8
.LBB141_191:                            ;   in Loop: Header=BB141_31 Depth=1
	s_or_saveexec_b64 s[46:47], s[46:47]
	v_mov_b32_e32 v6, s8
	s_xor_b64 exec, exec, s[46:47]
; %bb.192:                              ;   in Loop: Header=BB141_31 Depth=1
	v_mov_b32_e32 v4, s19
	v_subrev_co_u32_e32 v2, vcc, s18, v2
	v_subb_co_u32_e32 v3, vcc, v3, v4, vcc
	v_mov_b32_e32 v6, 0
	s_or_b64 s[4:5], s[4:5], exec
; %bb.193:                              ;   in Loop: Header=BB141_31 Depth=1
	s_or_b64 exec, exec, s[46:47]
	s_and_b64 s[50:51], s[4:5], exec
	v_pk_mov_b32 v[4:5], v[2:3], v[2:3] op_sel:[0,1]
.LBB141_194:                            ;   in Loop: Header=BB141_31 Depth=1
	s_or_b64 exec, exec, s[0:1]
	s_mov_b64 s[0:1], -1
                                        ; implicit-def: $sgpr4_sgpr5
                                        ; implicit-def: $sgpr48_sgpr49
                                        ; implicit-def: $sgpr54_sgpr55
	s_and_saveexec_b64 s[46:47], s[50:51]
	s_cbranch_execz .LBB141_295
; %bb.195:                              ;   in Loop: Header=BB141_31 Depth=1
	s_cmp_eq_u64 s[22:23], 1
	s_cselect_b64 s[0:1], -1, 0
	v_cmp_eq_u64_e32 vcc, 1, v[4:5]
	s_and_b64 s[68:69], s[0:1], vcc
	s_mov_b64 s[4:5], -1
                                        ; implicit-def: $sgpr48_sgpr49
                                        ; implicit-def: $sgpr52_sgpr53
                                        ; implicit-def: $sgpr50_sgpr51
	s_and_saveexec_b64 s[54:55], s[68:69]
	s_cbranch_execz .LBB141_229
; %bb.196:                              ;   in Loop: Header=BB141_31 Depth=1
	ds_read_b64 v[2:3], v15 offset:5120
	s_waitcnt lgkmcnt(0)
	s_barrier
	v_readfirstlane_b32 s0, v2
	v_readfirstlane_b32 s1, v3
	s_mov_b64 s[4:5], exec
	v_readlane_b32 s8, v52, 26
	v_readlane_b32 s9, v52, 27
	s_and_b64 s[8:9], s[4:5], s[8:9]
	s_mov_b64 exec, s[8:9]
	s_cbranch_execz .LBB141_198
; %bb.197:                              ;   in Loop: Header=BB141_31 Depth=1
	ds_write_b8 v0, v15 offset:3072
.LBB141_198:                            ;   in Loop: Header=BB141_31 Depth=1
	s_or_b64 exec, exec, s[4:5]
	v_readlane_b32 s4, v52, 58
	v_and_b32_e32 v2, s4, v30
	v_readlane_b32 s4, v52, 57
	v_lshl_or_b32 v30, 2, s4, v2
	v_or_b32_e32 v31, s80, v31
	s_cmp_eq_u64 s[0:1], 0
	s_waitcnt lgkmcnt(0)
	s_barrier
	s_cbranch_scc1 .LBB141_212
; %bb.199:                              ;   in Loop: Header=BB141_31 Depth=1
	v_readlane_b32 s4, v52, 30
	s_add_u32 s8, s4, s0
	v_readlane_b32 s4, v52, 32
	s_addc_u32 s5, s4, s1
	s_mov_b32 s4, s81
	s_cmp_lg_u64 s[4:5], 0
	s_cbranch_scc0 .LBB141_247
; %bb.200:                              ;   in Loop: Header=BB141_31 Depth=1
	v_cvt_f32_u32_e32 v2, s33
	s_sub_u32 s4, 0, s33
	s_subb_u32 s9, 0, 0
	v_mac_f32_e32 v2, 0, v40
	v_rcp_f32_e32 v2, v2
	v_mul_f32_e32 v2, 0x5f7ffffc, v2
	v_mul_f32_e32 v3, 0x2f800000, v2
	v_trunc_f32_e32 v3, v3
	v_mac_f32_e32 v2, 0xcf800000, v3
	v_cvt_u32_f32_e32 v3, v3
	v_cvt_u32_f32_e32 v2, v2
	v_readfirstlane_b32 s48, v3
	v_readfirstlane_b32 s49, v2
	s_mul_i32 s50, s4, s48
	s_mul_hi_u32 s52, s4, s49
	s_mul_i32 s51, s9, s49
	s_add_i32 s50, s52, s50
	s_mul_i32 s53, s4, s49
	s_add_i32 s50, s50, s51
	s_mul_hi_u32 s52, s49, s53
	s_mul_hi_u32 s51, s49, s50
	s_mul_i32 s49, s49, s50
	s_add_u32 s49, s52, s49
	s_addc_u32 s51, 0, s51
	s_mul_hi_u32 s84, s48, s53
	s_mul_i32 s53, s48, s53
	s_add_u32 s49, s49, s53
	s_mul_hi_u32 s52, s48, s50
	s_addc_u32 s49, s51, s84
	s_addc_u32 s51, s52, 0
	s_mul_i32 s50, s48, s50
	s_add_u32 s49, s49, s50
	s_addc_u32 s50, 0, s51
	v_add_co_u32_e32 v2, vcc, s49, v2
	s_cmp_lg_u64 vcc, 0
	s_addc_u32 s48, s48, s50
	v_readfirstlane_b32 s50, v2
	s_mul_i32 s49, s4, s48
	s_mul_hi_u32 s51, s4, s50
	s_add_i32 s49, s51, s49
	s_mul_i32 s9, s9, s50
	s_add_i32 s49, s49, s9
	s_mul_i32 s4, s4, s50
	s_mul_hi_u32 s51, s48, s4
	s_mul_i32 s52, s48, s4
	s_mul_i32 s84, s50, s49
	s_mul_hi_u32 s4, s50, s4
	s_mul_hi_u32 s53, s50, s49
	s_add_u32 s4, s4, s84
	s_addc_u32 s50, 0, s53
	s_add_u32 s4, s4, s52
	s_mul_hi_u32 s9, s48, s49
	s_addc_u32 s4, s50, s51
	s_addc_u32 s9, s9, 0
	s_mul_i32 s49, s48, s49
	s_add_u32 s4, s4, s49
	s_addc_u32 s9, 0, s9
	v_add_co_u32_e32 v2, vcc, s4, v2
	s_cmp_lg_u64 vcc, 0
	s_addc_u32 s4, s48, s9
	v_readfirstlane_b32 s49, v2
	s_mul_i32 s48, s8, s4
	s_mul_hi_u32 s50, s8, s49
	s_mul_hi_u32 s9, s8, s4
	s_add_u32 s48, s50, s48
	s_addc_u32 s9, 0, s9
	s_mul_hi_u32 s51, s5, s49
	s_mul_i32 s49, s5, s49
	s_add_u32 s48, s48, s49
	s_mul_hi_u32 s50, s5, s4
	s_addc_u32 s9, s9, s51
	s_addc_u32 s48, s50, 0
	s_mul_i32 s4, s5, s4
	s_add_u32 s4, s9, s4
	s_addc_u32 s9, 0, s48
	s_mul_hi_u32 s48, s33, s4
	s_mul_i32 s4, s33, s4
	s_mul_i32 s9, s33, s9
	v_mov_b32_e32 v2, s4
	s_add_i32 s48, s48, s9
	v_sub_co_u32_e32 v2, vcc, s8, v2
	s_cmp_lg_u64 vcc, 0
	s_subb_u32 s4, s5, s48
	v_subrev_co_u32_e32 v3, vcc, s33, v2
	s_cmp_lg_u64 vcc, 0
	s_subb_u32 s9, s4, 0
	v_subrev_co_u32_e32 v6, vcc, s33, v3
	s_cmp_lg_u64 vcc, 0
	s_subb_u32 s48, s9, 0
	v_cmp_le_u32_e32 vcc, s33, v3
	s_cmp_eq_u32 s9, 0
	v_cndmask_b32_e64 v7, 0, -1, vcc
	s_cselect_b64 vcc, -1, 0
	v_cndmask_b32_e32 v7, -1, v7, vcc
	v_mov_b32_e32 v8, s9
	v_mov_b32_e32 v9, s48
	v_cmp_ne_u32_e32 vcc, 0, v7
	v_cndmask_b32_e32 v7, v8, v9, vcc
	v_cndmask_b32_e32 v6, v3, v6, vcc
	v_cmp_le_u32_e32 vcc, s33, v2
	s_cmp_eq_u32 s4, 0
	v_cndmask_b32_e64 v3, 0, -1, vcc
	s_cselect_b64 vcc, -1, 0
	v_cndmask_b32_e32 v3, -1, v3, vcc
	v_mov_b32_e32 v8, s4
	v_cmp_ne_u32_e32 vcc, 0, v3
	v_cndmask_b32_e32 v3, v8, v7, vcc
	v_cndmask_b32_e32 v2, v2, v6, vcc
	s_cbranch_execnz .LBB141_202
.LBB141_201:                            ;   in Loop: Header=BB141_31 Depth=1
	v_cvt_f32_u32_e32 v2, s33
	s_sub_i32 s4, 0, s33
	v_rcp_iflag_f32_e32 v2, v2
	v_mul_f32_e32 v2, 0x4f7ffffe, v2
	v_cvt_u32_f32_e32 v2, v2
	v_mul_lo_u32 v3, s4, v2
	v_mul_hi_u32 v3, v2, v3
	v_add_u32_e32 v2, v2, v3
	v_mul_hi_u32 v2, s8, v2
	v_mul_lo_u32 v2, v2, s33
	v_sub_u32_e32 v2, s8, v2
	v_subrev_u32_e32 v3, s33, v2
	v_cmp_le_u32_e32 vcc, s33, v2
	v_cndmask_b32_e32 v2, v2, v3, vcc
	v_subrev_u32_e32 v3, s33, v2
	v_cmp_le_u32_e32 vcc, s33, v2
	v_cndmask_b32_e32 v14, v2, v3, vcc
	v_pk_mov_b32 v[2:3], v[14:15], v[14:15] op_sel:[0,1]
.LBB141_202:                            ;   in Loop: Header=BB141_31 Depth=1
	v_mov_b32_e32 v6, s5
	v_sub_co_u32_e32 v2, vcc, s8, v2
	v_subb_co_u32_e32 v3, vcc, v6, v3, vcc
	v_cmp_gt_u64_e32 vcc, v[2:3], v[0:1]
	s_mov_b64 s[4:5], 0
                                        ; implicit-def: $vgpr32
	s_and_saveexec_b64 s[48:49], vcc
	s_cbranch_execz .LBB141_214
; %bb.203:                              ;   in Loop: Header=BB141_31 Depth=1
	v_mov_b32_e32 v8, v0
	v_pk_mov_b32 v[6:7], v[0:1], v[0:1] op_sel:[0,1]
                                        ; implicit-def: $sgpr50_sgpr51
	s_branch .LBB141_205
.LBB141_204:                            ;   in Loop: Header=BB141_205 Depth=2
	s_or_b64 exec, exec, s[52:53]
	s_waitcnt lgkmcnt(0)
	s_barrier
	ds_read_u16 v9, v15 offset:3072
	v_mov_b32_e32 v14, s64
	v_add_co_u32_e32 v6, vcc, s33, v6
	v_addc_co_u32_e32 v7, vcc, v7, v14, vcc
	s_waitcnt lgkmcnt(0)
	v_cmp_ne_u16_sdwa s[8:9], v9, v15 src0_sel:BYTE_0 src1_sel:DWORD
	v_cmp_ge_u64_e32 vcc, v[6:7], v[2:3]
	s_or_b64 s[52:53], vcc, s[8:9]
	s_and_b64 s[52:53], exec, s[52:53]
	s_or_b64 s[4:5], s[52:53], s[4:5]
	s_andn2_b64 s[50:51], s[50:51], exec
	s_and_b64 s[8:9], s[8:9], exec
	v_add_u32_e32 v8, s33, v8
	s_or_b64 s[50:51], s[50:51], s[8:9]
	s_barrier
	s_andn2_b64 exec, exec, s[4:5]
	s_cbranch_execz .LBB141_213
.LBB141_205:                            ;   Parent Loop BB141_31 Depth=1
                                        ; =>  This Inner Loop Header: Depth=2
	v_cmp_gt_u64_e32 vcc, s[0:1], v[6:7]
	v_mov_b32_e32 v9, 0
	s_and_saveexec_b64 s[52:53], vcc
	s_cbranch_execz .LBB141_207
; %bb.206:                              ;   in Loop: Header=BB141_205 Depth=2
	ds_read_u8 v9, v8
.LBB141_207:                            ;   in Loop: Header=BB141_205 Depth=2
	s_or_b64 exec, exec, s[52:53]
	s_and_saveexec_b64 s[52:53], vcc
	s_cbranch_execz .LBB141_204
; %bb.208:                              ;   in Loop: Header=BB141_205 Depth=2
	s_waitcnt lgkmcnt(0)
	v_add_u32_sdwa v14, sext(v9), s31 dst_sel:DWORD dst_unused:UNUSED_PAD src0_sel:BYTE_0 src1_sel:DWORD
	v_and_b32_e32 v14, v14, v31
	v_cmp_eq_u32_e32 vcc, v14, v30
	s_and_b64 exec, exec, vcc
	s_cbranch_execz .LBB141_204
; %bb.209:                              ;   in Loop: Header=BB141_205 Depth=2
	v_lshlrev_b16_e32 v9, 8, v9
	v_or_b32_e32 v9, 1, v9
	ds_write_b16 v15, v9 offset:3072
	s_branch .LBB141_204
.LBB141_210:                            ;   in Loop: Header=BB141_31 Depth=1
                                        ; implicit-def: $vgpr4_vgpr5
	s_branch .LBB141_155
.LBB141_211:                            ;   in Loop: Header=BB141_31 Depth=1
                                        ; implicit-def: $vgpr4_vgpr5
	s_branch .LBB141_171
.LBB141_212:                            ;   in Loop: Header=BB141_31 Depth=1
	s_mov_b64 s[48:49], -1
	s_mov_b64 s[4:5], 0
                                        ; implicit-def: $sgpr50_sgpr51
                                        ; implicit-def: $vgpr32
	s_mov_b64 s[52:53], s[48:49]
	s_cbranch_execnz .LBB141_215
	s_branch .LBB141_228
.LBB141_213:                            ;   in Loop: Header=BB141_31 Depth=1
	s_or_b64 exec, exec, s[4:5]
	v_lshrrev_b16_e32 v32, 8, v9
	s_and_b64 s[4:5], s[50:51], exec
.LBB141_214:                            ;   in Loop: Header=BB141_31 Depth=1
	s_or_b64 exec, exec, s[48:49]
	s_mov_b64 s[50:51], -1
	s_mov_b64 s[48:49], 0
	s_mov_b64 s[52:53], s[48:49]
	s_branch .LBB141_228
.LBB141_215:                            ;   in Loop: Header=BB141_31 Depth=1
	v_readlane_b32 s50, v52, 33
	v_readlane_b32 s51, v52, 34
	s_mov_b32 s50, s81
	s_cmp_lg_u64 s[50:51], 0
	v_writelane_b32 v52, s50, 33
	v_writelane_b32 v52, s51, 34
	s_cbranch_scc0 .LBB141_248
; %bb.216:                              ;   in Loop: Header=BB141_31 Depth=1
	v_cvt_f32_u32_e32 v2, s33
	s_sub_u32 s0, 0, s33
	s_subb_u32 s1, 0, 0
	v_mac_f32_e32 v2, 0, v40
	v_rcp_f32_e32 v2, v2
	v_mul_f32_e32 v2, 0x5f7ffffc, v2
	v_mul_f32_e32 v3, 0x2f800000, v2
	v_trunc_f32_e32 v3, v3
	v_mac_f32_e32 v2, 0xcf800000, v3
	v_cvt_u32_f32_e32 v3, v3
	v_cvt_u32_f32_e32 v2, v2
	v_readfirstlane_b32 s4, v3
	v_readfirstlane_b32 s5, v2
	s_mul_i32 s8, s0, s4
	s_mul_hi_u32 s48, s0, s5
	s_mul_i32 s9, s1, s5
	s_add_i32 s8, s48, s8
	s_mul_i32 s49, s0, s5
	s_add_i32 s8, s8, s9
	s_mul_hi_u32 s48, s5, s49
	s_mul_hi_u32 s9, s5, s8
	s_mul_i32 s5, s5, s8
	s_add_u32 s5, s48, s5
	s_addc_u32 s9, 0, s9
	s_mul_hi_u32 s50, s4, s49
	s_mul_i32 s49, s4, s49
	s_add_u32 s5, s5, s49
	s_mul_hi_u32 s48, s4, s8
	s_addc_u32 s5, s9, s50
	s_addc_u32 s9, s48, 0
	s_mul_i32 s8, s4, s8
	s_add_u32 s5, s5, s8
	s_addc_u32 s8, 0, s9
	v_add_co_u32_e32 v2, vcc, s5, v2
	s_cmp_lg_u64 vcc, 0
	s_addc_u32 s4, s4, s8
	v_readfirstlane_b32 s8, v2
	s_mul_i32 s5, s0, s4
	s_mul_hi_u32 s9, s0, s8
	s_add_i32 s5, s9, s5
	s_mul_i32 s1, s1, s8
	s_add_i32 s5, s5, s1
	s_mul_i32 s0, s0, s8
	s_mul_hi_u32 s9, s4, s0
	s_mul_i32 s48, s4, s0
	s_mul_i32 s50, s8, s5
	s_mul_hi_u32 s0, s8, s0
	s_mul_hi_u32 s49, s8, s5
	s_add_u32 s0, s0, s50
	s_addc_u32 s8, 0, s49
	s_add_u32 s0, s0, s48
	s_mul_hi_u32 s1, s4, s5
	s_addc_u32 s0, s8, s9
	s_addc_u32 s1, s1, 0
	s_mul_i32 s5, s4, s5
	s_add_u32 s0, s0, s5
	s_addc_u32 s1, 0, s1
	v_add_co_u32_e32 v2, vcc, s0, v2
	s_cmp_lg_u64 vcc, 0
	s_addc_u32 s0, s4, s1
	v_readlane_b32 s48, v52, 31
	v_readfirstlane_b32 s5, v2
	s_mul_i32 s4, s48, s0
	s_mul_hi_u32 s8, s48, s5
	s_mul_hi_u32 s1, s48, s0
	s_add_u32 s4, s8, s4
	s_addc_u32 s1, 0, s1
	s_mul_hi_u32 s9, s51, s5
	s_mul_i32 s5, s51, s5
	s_add_u32 s4, s4, s5
	s_mul_hi_u32 s8, s51, s0
	s_addc_u32 s1, s1, s9
	s_addc_u32 s4, s8, 0
	s_mul_i32 s0, s51, s0
	s_add_u32 s0, s1, s0
	s_addc_u32 s1, 0, s4
	s_mul_hi_u32 s4, s33, s0
	s_mul_i32 s0, s33, s0
	s_mul_i32 s1, s33, s1
	v_mov_b32_e32 v2, s0
	s_add_i32 s4, s4, s1
	v_sub_co_u32_e32 v2, vcc, s48, v2
	s_cmp_lg_u64 vcc, 0
	s_subb_u32 s0, s51, s4
	v_subrev_co_u32_e32 v3, vcc, s33, v2
	s_cmp_lg_u64 vcc, 0
	s_subb_u32 s1, s0, 0
	v_subrev_co_u32_e32 v6, vcc, s33, v3
	s_cmp_lg_u64 vcc, 0
	s_subb_u32 s4, s1, 0
	v_cmp_le_u32_e32 vcc, s33, v3
	s_cmp_eq_u32 s1, 0
	v_cndmask_b32_e64 v7, 0, -1, vcc
	s_cselect_b64 vcc, -1, 0
	v_cndmask_b32_e32 v7, -1, v7, vcc
	v_mov_b32_e32 v8, s1
	v_mov_b32_e32 v9, s4
	v_cmp_ne_u32_e32 vcc, 0, v7
	v_cndmask_b32_e32 v7, v8, v9, vcc
	v_cndmask_b32_e32 v6, v3, v6, vcc
	v_cmp_le_u32_e32 vcc, s33, v2
	s_cmp_eq_u32 s0, 0
	v_cndmask_b32_e64 v3, 0, -1, vcc
	s_cselect_b64 vcc, -1, 0
	v_cndmask_b32_e32 v3, -1, v3, vcc
	v_mov_b32_e32 v8, s0
	v_cmp_ne_u32_e32 vcc, 0, v3
	v_cndmask_b32_e32 v3, v8, v7, vcc
	v_cndmask_b32_e32 v2, v2, v6, vcc
	s_cbranch_execnz .LBB141_218
.LBB141_217:                            ;   in Loop: Header=BB141_31 Depth=1
	v_cvt_f32_u32_e32 v2, s33
	s_sub_i32 s0, 0, s33
	v_rcp_iflag_f32_e32 v2, v2
	v_mul_f32_e32 v2, 0x4f7ffffe, v2
	v_cvt_u32_f32_e32 v2, v2
	v_mul_lo_u32 v3, s0, v2
	v_mul_hi_u32 v3, v2, v3
	v_add_u32_e32 v2, v2, v3
	v_readlane_b32 s0, v52, 31
	v_mul_hi_u32 v2, s0, v2
	v_mul_lo_u32 v2, v2, s33
	v_sub_u32_e32 v2, s0, v2
	v_subrev_u32_e32 v3, s33, v2
	v_cmp_le_u32_e32 vcc, s33, v2
	v_cndmask_b32_e32 v2, v2, v3, vcc
	v_subrev_u32_e32 v3, s33, v2
	v_cmp_le_u32_e32 vcc, s33, v2
	v_cndmask_b32_e32 v14, v2, v3, vcc
	v_pk_mov_b32 v[2:3], v[14:15], v[14:15] op_sel:[0,1]
.LBB141_218:                            ;   in Loop: Header=BB141_31 Depth=1
	v_readlane_b32 s0, v52, 33
	v_readlane_b32 s1, v52, 34
	;; [unrolled: 1-line block ×3, first 2 shown]
	v_mov_b32_e32 v6, s1
	v_sub_co_u32_e32 v2, vcc, s0, v2
	v_subb_co_u32_e32 v3, vcc, v6, v3, vcc
	v_cmp_gt_u64_e32 vcc, v[2:3], v[0:1]
	s_mov_b64 s[4:5], 0
                                        ; implicit-def: $vgpr32
	s_and_saveexec_b64 s[0:1], vcc
	s_cbranch_execz .LBB141_227
; %bb.219:                              ;   in Loop: Header=BB141_31 Depth=1
	v_pk_mov_b32 v[6:7], v[26:27], v[26:27] op_sel:[0,1]
	v_pk_mov_b32 v[8:9], v[0:1], v[0:1] op_sel:[0,1]
                                        ; implicit-def: $sgpr48_sgpr49
	s_branch .LBB141_221
.LBB141_220:                            ;   in Loop: Header=BB141_221 Depth=2
	s_or_b64 exec, exec, s[50:51]
	s_waitcnt lgkmcnt(0)
	s_barrier
	s_waitcnt vmcnt(0)
	ds_read_u16 v14, v15 offset:3072
	v_mov_b32_e32 v32, s64
	v_add_co_u32_e32 v8, vcc, s33, v8
	v_addc_co_u32_e32 v9, vcc, v9, v32, vcc
	s_waitcnt lgkmcnt(0)
	v_cmp_ne_u16_sdwa s[8:9], v14, v15 src0_sel:BYTE_0 src1_sel:DWORD
	v_cmp_ge_u64_e32 vcc, v[8:9], v[2:3]
	s_or_b64 s[50:51], vcc, s[8:9]
	s_and_b64 s[50:51], exec, s[50:51]
	s_mul_i32 s52, s58, s33
	s_or_b64 s[4:5], s[50:51], s[4:5]
	v_mov_b32_e32 v32, s65
	v_add_co_u32_e32 v6, vcc, s52, v6
	s_andn2_b64 s[48:49], s[48:49], exec
	s_and_b64 s[8:9], s[8:9], exec
	v_addc_co_u32_e32 v7, vcc, v7, v32, vcc
	s_or_b64 s[48:49], s[48:49], s[8:9]
	s_barrier
	s_andn2_b64 exec, exec, s[4:5]
	s_cbranch_execz .LBB141_226
.LBB141_221:                            ;   Parent Loop BB141_31 Depth=1
                                        ; =>  This Inner Loop Header: Depth=2
	v_cmp_gt_u64_e32 vcc, s[60:61], v[8:9]
	v_mov_b32_e32 v14, 0
	s_and_saveexec_b64 s[50:51], vcc
	s_cbranch_execz .LBB141_223
; %bb.222:                              ;   in Loop: Header=BB141_221 Depth=2
	global_load_ubyte v14, v[6:7], off
.LBB141_223:                            ;   in Loop: Header=BB141_221 Depth=2
	s_or_b64 exec, exec, s[50:51]
	s_and_saveexec_b64 s[50:51], vcc
	s_cbranch_execz .LBB141_220
; %bb.224:                              ;   in Loop: Header=BB141_221 Depth=2
	s_waitcnt vmcnt(0)
	v_add_u32_sdwa v32, sext(v14), s31 dst_sel:DWORD dst_unused:UNUSED_PAD src0_sel:BYTE_0 src1_sel:DWORD
	v_and_b32_e32 v32, v32, v31
	v_cmp_eq_u32_e32 vcc, v32, v30
	s_and_b64 exec, exec, vcc
	s_cbranch_execz .LBB141_220
; %bb.225:                              ;   in Loop: Header=BB141_221 Depth=2
	v_lshlrev_b16_e32 v14, 8, v14
	v_or_b32_e32 v14, 1, v14
	ds_write_b16 v15, v14 offset:3072
	s_branch .LBB141_220
.LBB141_226:                            ;   in Loop: Header=BB141_31 Depth=1
	s_or_b64 exec, exec, s[4:5]
	v_lshrrev_b16_e32 v32, 8, v14
	s_and_b64 s[4:5], s[48:49], exec
.LBB141_227:                            ;   in Loop: Header=BB141_31 Depth=1
	s_or_b64 exec, exec, s[0:1]
	s_mov_b64 s[52:53], -1
	s_mov_b64 s[48:49], 0
	s_mov_b64 s[50:51], 0
.LBB141_228:                            ;   in Loop: Header=BB141_31 Depth=1
	s_orn2_b64 s[4:5], s[4:5], exec
.LBB141_229:                            ;   in Loop: Header=BB141_31 Depth=1
	s_or_b64 exec, exec, s[54:55]
	s_mov_b64 s[0:1], 0
                                        ; implicit-def: $vgpr6
	s_and_saveexec_b64 s[54:55], s[4:5]
	s_cbranch_execz .LBB141_294
; %bb.230:                              ;   in Loop: Header=BB141_31 Depth=1
	v_mov_b32_e32 v2, 1
	s_xor_b64 s[4:5], s[68:69], -1
	s_mov_b64 s[90:91], 0
	v_mov_b32_e32 v3, 0
	v_mov_b32_e32 v6, 1
	s_and_saveexec_b64 s[0:1], s[4:5]
	s_cbranch_execz .LBB141_240
; %bb.231:                              ;   in Loop: Header=BB141_31 Depth=1
	v_cmp_ge_u64_e32 vcc, s[22:23], v[4:5]
                                        ; implicit-def: $sgpr8
                                        ; implicit-def: $sgpr4_sgpr5
	s_and_saveexec_b64 s[68:69], vcc
	s_xor_b64 s[68:69], exec, s[68:69]
	s_cbranch_execz .LBB141_237
; %bb.232:                              ;   in Loop: Header=BB141_31 Depth=1
	ds_read_b64 v[2:3], v15 offset:5120
	s_waitcnt lgkmcnt(0)
	v_cmp_ne_u64_e32 vcc, 0, v[2:3]
	s_cbranch_vccnz .LBB141_236
; %bb.233:                              ;   in Loop: Header=BB141_31 Depth=1
	s_mov_b64 s[4:5], exec
	v_readlane_b32 s8, v52, 10
	v_readlane_b32 s9, v52, 11
	s_and_b64 s[8:9], s[4:5], s[8:9]
	s_mov_b64 exec, s[8:9]
	s_cbranch_execz .LBB141_235
; %bb.234:                              ;   in Loop: Header=BB141_31 Depth=1
	v_pk_mov_b32 v[2:3], s[22:23], s[22:23] op_sel:[0,1]
	ds_write_b64 v15, v[2:3] offset:5128
.LBB141_235:                            ;   in Loop: Header=BB141_31 Depth=1
	s_or_b64 exec, exec, s[4:5]
	s_waitcnt lgkmcnt(0)
	s_barrier
.LBB141_236:                            ;   in Loop: Header=BB141_31 Depth=1
	v_readlane_b32 s4, v52, 58
	v_and_b32_e32 v2, s4, v30
	v_readlane_b32 s4, v52, 57
	v_lshl_or_b32 v30, 2, s4, v2
	v_or_b32_e32 v31, s80, v31
	s_mov_b64 s[4:5], 0
	s_mov_b32 s8, 8
.LBB141_237:                            ;   in Loop: Header=BB141_31 Depth=1
	s_or_saveexec_b64 s[68:69], s[68:69]
	v_mov_b32_e32 v6, s8
	s_xor_b64 exec, exec, s[68:69]
; %bb.238:                              ;   in Loop: Header=BB141_31 Depth=1
	v_mov_b32_e32 v2, s23
	v_subrev_co_u32_e32 v4, vcc, s22, v4
	v_subb_co_u32_e32 v5, vcc, v5, v2, vcc
	v_mov_b32_e32 v6, 0
	s_or_b64 s[4:5], s[4:5], exec
; %bb.239:                              ;   in Loop: Header=BB141_31 Depth=1
	s_or_b64 exec, exec, s[68:69]
	s_and_b64 s[90:91], s[4:5], exec
	v_pk_mov_b32 v[2:3], v[4:5], v[4:5] op_sel:[0,1]
.LBB141_240:                            ;   in Loop: Header=BB141_31 Depth=1
	s_or_b64 exec, exec, s[0:1]
	s_mov_b64 s[86:87], -1
                                        ; implicit-def: $sgpr0_sgpr1
                                        ; implicit-def: $sgpr84_sgpr85
                                        ; implicit-def: $sgpr4_sgpr5
	s_and_saveexec_b64 s[68:69], s[90:91]
	s_cbranch_execz .LBB141_293
; %bb.241:                              ;   in Loop: Header=BB141_31 Depth=1
	s_cmp_eq_u64 s[24:25], 1
	s_cselect_b64 s[0:1], -1, 0
	v_cmp_eq_u64_e32 vcc, 1, v[2:3]
	s_and_b64 vcc, s[0:1], vcc
	s_mov_b64 s[90:91], -1
                                        ; implicit-def: $sgpr0_sgpr1
                                        ; implicit-def: $sgpr84_sgpr85
                                        ; implicit-def: $sgpr4_sgpr5
	s_and_saveexec_b64 s[92:93], vcc
	s_cbranch_execz .LBB141_280
; %bb.242:                              ;   in Loop: Header=BB141_31 Depth=1
	ds_read_b64 v[4:5], v15 offset:5120
	s_waitcnt lgkmcnt(0)
	s_barrier
	v_readfirstlane_b32 s0, v4
	v_readfirstlane_b32 s1, v5
	s_mov_b64 s[4:5], exec
	v_readlane_b32 s8, v52, 26
	v_readlane_b32 s9, v52, 27
	s_and_b64 s[8:9], s[4:5], s[8:9]
	s_mov_b64 exec, s[8:9]
	s_cbranch_execz .LBB141_244
; %bb.243:                              ;   in Loop: Header=BB141_31 Depth=1
	ds_write_b8 v0, v15 offset:3072
.LBB141_244:                            ;   in Loop: Header=BB141_31 Depth=1
	s_or_b64 exec, exec, s[4:5]
	v_or_b32_e32 v30, s80, v30
	v_or_b32_e32 v31, s80, v31
	s_cmp_eq_u64 s[0:1], 0
	v_writelane_b32 v52, vcc_lo, 59
	s_waitcnt lgkmcnt(0)
	s_barrier
	v_writelane_b32 v52, vcc_hi, 60
	s_cbranch_scc1 .LBB141_249
; %bb.245:                              ;   in Loop: Header=BB141_31 Depth=1
	v_writelane_b32 v52, s92, 61
	v_writelane_b32 v52, s93, 62
	v_readlane_b32 s4, v52, 30
	s_add_u32 s8, s4, s0
	v_readlane_b32 s4, v52, 32
	s_addc_u32 s5, s4, s1
	s_mov_b32 s4, s81
	s_cmp_lg_u64 s[4:5], 0
	s_cbranch_scc0 .LBB141_250
; %bb.246:                              ;   in Loop: Header=BB141_31 Depth=1
	v_cvt_f32_u32_e32 v4, s33
	s_sub_u32 s4, 0, s33
	s_subb_u32 s9, 0, 0
	v_mac_f32_e32 v4, 0, v40
	v_rcp_f32_e32 v4, v4
	v_mul_f32_e32 v4, 0x5f7ffffc, v4
	v_mul_f32_e32 v5, 0x2f800000, v4
	v_trunc_f32_e32 v5, v5
	v_mac_f32_e32 v4, 0xcf800000, v5
	v_cvt_u32_f32_e32 v5, v5
	v_cvt_u32_f32_e32 v4, v4
	v_readfirstlane_b32 s84, v5
	v_readfirstlane_b32 s85, v4
	s_mul_i32 s86, s4, s84
	s_mul_hi_u32 s90, s4, s85
	s_mul_i32 s87, s9, s85
	s_add_i32 s86, s90, s86
	s_mul_i32 s91, s4, s85
	s_add_i32 s86, s86, s87
	s_mul_hi_u32 s90, s85, s91
	s_mul_hi_u32 s87, s85, s86
	s_mul_i32 s85, s85, s86
	s_add_u32 s85, s90, s85
	s_addc_u32 s87, 0, s87
	s_mul_hi_u32 s92, s84, s91
	s_mul_i32 s91, s84, s91
	s_add_u32 s85, s85, s91
	s_mul_hi_u32 s90, s84, s86
	s_addc_u32 s85, s87, s92
	s_addc_u32 s87, s90, 0
	s_mul_i32 s86, s84, s86
	s_add_u32 s85, s85, s86
	s_addc_u32 s86, 0, s87
	v_add_co_u32_e32 v4, vcc, s85, v4
	s_cmp_lg_u64 vcc, 0
	s_addc_u32 s84, s84, s86
	v_readfirstlane_b32 s86, v4
	s_mul_i32 s85, s4, s84
	s_mul_hi_u32 s87, s4, s86
	s_add_i32 s85, s87, s85
	s_mul_i32 s9, s9, s86
	s_add_i32 s85, s85, s9
	s_mul_i32 s4, s4, s86
	s_mul_hi_u32 s87, s84, s4
	s_mul_i32 s90, s84, s4
	s_mul_i32 s92, s86, s85
	s_mul_hi_u32 s4, s86, s4
	s_mul_hi_u32 s91, s86, s85
	s_add_u32 s4, s4, s92
	s_addc_u32 s86, 0, s91
	s_add_u32 s4, s4, s90
	s_mul_hi_u32 s9, s84, s85
	s_addc_u32 s4, s86, s87
	s_addc_u32 s9, s9, 0
	s_mul_i32 s85, s84, s85
	s_add_u32 s4, s4, s85
	s_addc_u32 s9, 0, s9
	v_add_co_u32_e32 v4, vcc, s4, v4
	s_cmp_lg_u64 vcc, 0
	s_addc_u32 s4, s84, s9
	v_readfirstlane_b32 s85, v4
	s_mul_i32 s84, s8, s4
	s_mul_hi_u32 s86, s8, s85
	s_mul_hi_u32 s9, s8, s4
	s_add_u32 s84, s86, s84
	s_addc_u32 s9, 0, s9
	s_mul_hi_u32 s87, s5, s85
	s_mul_i32 s85, s5, s85
	s_add_u32 s84, s84, s85
	s_mul_hi_u32 s86, s5, s4
	s_addc_u32 s9, s9, s87
	s_addc_u32 s84, s86, 0
	s_mul_i32 s4, s5, s4
	s_add_u32 s4, s9, s4
	s_addc_u32 s9, 0, s84
	s_mul_hi_u32 s84, s33, s4
	s_mul_i32 s4, s33, s4
	s_mul_i32 s9, s33, s9
	v_mov_b32_e32 v4, s4
	s_add_i32 s84, s84, s9
	v_sub_co_u32_e32 v4, vcc, s8, v4
	s_cmp_lg_u64 vcc, 0
	s_subb_u32 s4, s5, s84
	v_subrev_co_u32_e32 v5, vcc, s33, v4
	s_cmp_lg_u64 vcc, 0
	s_subb_u32 s9, s4, 0
	v_subrev_co_u32_e32 v6, vcc, s33, v5
	s_cmp_lg_u64 vcc, 0
	s_subb_u32 s84, s9, 0
	v_cmp_le_u32_e32 vcc, s33, v5
	s_cmp_eq_u32 s9, 0
	v_cndmask_b32_e64 v7, 0, -1, vcc
	s_cselect_b64 vcc, -1, 0
	v_cndmask_b32_e32 v7, -1, v7, vcc
	v_mov_b32_e32 v8, s9
	v_mov_b32_e32 v9, s84
	v_cmp_ne_u32_e32 vcc, 0, v7
	v_cndmask_b32_e32 v7, v8, v9, vcc
	v_cndmask_b32_e32 v6, v5, v6, vcc
	v_cmp_le_u32_e32 vcc, s33, v4
	s_cmp_eq_u32 s4, 0
	v_cndmask_b32_e64 v5, 0, -1, vcc
	s_cselect_b64 vcc, -1, 0
	v_cndmask_b32_e32 v5, -1, v5, vcc
	v_mov_b32_e32 v8, s4
	v_cmp_ne_u32_e32 vcc, 0, v5
	v_cndmask_b32_e32 v5, v8, v7, vcc
	v_cndmask_b32_e32 v4, v4, v6, vcc
	s_mov_b64 s[84:85], 0
	s_branch .LBB141_251
.LBB141_247:                            ;   in Loop: Header=BB141_31 Depth=1
                                        ; implicit-def: $vgpr2_vgpr3
	s_branch .LBB141_201
.LBB141_248:                            ;   in Loop: Header=BB141_31 Depth=1
                                        ; implicit-def: $vgpr2_vgpr3
	s_branch .LBB141_217
.LBB141_249:                            ;   in Loop: Header=BB141_31 Depth=1
	s_mov_b64 s[0:1], -1
	s_mov_b64 s[86:87], 0
                                        ; implicit-def: $sgpr4_sgpr5
                                        ; implicit-def: $vgpr32
	s_branch .LBB141_263
.LBB141_250:                            ;   in Loop: Header=BB141_31 Depth=1
	s_mov_b64 s[84:85], -1
                                        ; implicit-def: $vgpr4_vgpr5
.LBB141_251:                            ;   in Loop: Header=BB141_31 Depth=1
	s_andn2_b64 vcc, exec, s[84:85]
	s_cbranch_vccnz .LBB141_253
; %bb.252:                              ;   in Loop: Header=BB141_31 Depth=1
	v_cvt_f32_u32_e32 v4, s33
	s_sub_i32 s4, 0, s33
	v_rcp_iflag_f32_e32 v4, v4
	v_mul_f32_e32 v4, 0x4f7ffffe, v4
	v_cvt_u32_f32_e32 v4, v4
	v_mul_lo_u32 v5, s4, v4
	v_mul_hi_u32 v5, v4, v5
	v_add_u32_e32 v4, v4, v5
	v_mul_hi_u32 v4, s8, v4
	v_mul_lo_u32 v4, v4, s33
	v_sub_u32_e32 v4, s8, v4
	v_subrev_u32_e32 v5, s33, v4
	v_cmp_le_u32_e32 vcc, s33, v4
	v_cndmask_b32_e32 v4, v4, v5, vcc
	v_subrev_u32_e32 v5, s33, v4
	v_cmp_le_u32_e32 vcc, s33, v4
	v_cndmask_b32_e32 v14, v4, v5, vcc
	v_pk_mov_b32 v[4:5], v[14:15], v[14:15] op_sel:[0,1]
.LBB141_253:                            ;   in Loop: Header=BB141_31 Depth=1
	v_mov_b32_e32 v6, s5
	v_sub_co_u32_e32 v4, vcc, s8, v4
	v_subb_co_u32_e32 v5, vcc, v6, v5, vcc
	v_cmp_gt_u64_e32 vcc, v[4:5], v[0:1]
	s_mov_b64 s[86:87], 0
                                        ; implicit-def: $vgpr32
	s_and_saveexec_b64 s[4:5], vcc
	v_readlane_b32 s92, v52, 61
	v_readlane_b32 s93, v52, 62
	s_cbranch_execz .LBB141_262
; %bb.254:                              ;   in Loop: Header=BB141_31 Depth=1
	s_mov_b64 s[84:85], 0
	v_mov_b32_e32 v8, v0
	v_pk_mov_b32 v[6:7], v[0:1], v[0:1] op_sel:[0,1]
                                        ; implicit-def: $sgpr86_sgpr87
	s_branch .LBB141_256
.LBB141_255:                            ;   in Loop: Header=BB141_256 Depth=2
	s_or_b64 exec, exec, s[90:91]
	s_waitcnt lgkmcnt(0)
	s_barrier
	ds_read_u16 v9, v15 offset:3072
	v_mov_b32_e32 v14, s64
	v_add_co_u32_e32 v6, vcc, s33, v6
	v_addc_co_u32_e32 v7, vcc, v7, v14, vcc
	s_waitcnt lgkmcnt(0)
	v_cmp_ne_u16_sdwa s[8:9], v9, v15 src0_sel:BYTE_0 src1_sel:DWORD
	v_cmp_ge_u64_e32 vcc, v[6:7], v[4:5]
	s_or_b64 s[90:91], vcc, s[8:9]
	s_and_b64 s[90:91], exec, s[90:91]
	s_or_b64 s[84:85], s[90:91], s[84:85]
	s_andn2_b64 s[86:87], s[86:87], exec
	s_and_b64 s[8:9], s[8:9], exec
	v_add_u32_e32 v8, s33, v8
	s_or_b64 s[86:87], s[86:87], s[8:9]
	s_barrier
	s_andn2_b64 exec, exec, s[84:85]
	s_cbranch_execz .LBB141_261
.LBB141_256:                            ;   Parent Loop BB141_31 Depth=1
                                        ; =>  This Inner Loop Header: Depth=2
	v_cmp_gt_u64_e32 vcc, s[0:1], v[6:7]
	v_mov_b32_e32 v9, 0
	s_and_saveexec_b64 s[90:91], vcc
	s_cbranch_execz .LBB141_258
; %bb.257:                              ;   in Loop: Header=BB141_256 Depth=2
	ds_read_u8 v9, v8
.LBB141_258:                            ;   in Loop: Header=BB141_256 Depth=2
	s_or_b64 exec, exec, s[90:91]
	s_and_saveexec_b64 s[90:91], vcc
	s_cbranch_execz .LBB141_255
; %bb.259:                              ;   in Loop: Header=BB141_256 Depth=2
	s_waitcnt lgkmcnt(0)
	v_add_u32_sdwa v14, sext(v9), s31 dst_sel:DWORD dst_unused:UNUSED_PAD src0_sel:BYTE_0 src1_sel:DWORD
	v_and_b32_e32 v14, v14, v31
	v_cmp_eq_u32_e32 vcc, v14, v30
	s_and_b64 exec, exec, vcc
	s_cbranch_execz .LBB141_255
; %bb.260:                              ;   in Loop: Header=BB141_256 Depth=2
	v_lshlrev_b16_e32 v9, 8, v9
	v_or_b32_e32 v9, 1, v9
	ds_write_b16 v15, v9 offset:3072
	s_branch .LBB141_255
.LBB141_261:                            ;   in Loop: Header=BB141_31 Depth=1
	s_or_b64 exec, exec, s[84:85]
	v_lshrrev_b16_e32 v32, 8, v9
	s_and_b64 s[86:87], s[86:87], exec
.LBB141_262:                            ;   in Loop: Header=BB141_31 Depth=1
	s_or_b64 exec, exec, s[4:5]
	s_mov_b64 s[4:5], -1
	s_mov_b64 s[0:1], 0
.LBB141_263:                            ;   in Loop: Header=BB141_31 Depth=1
	s_and_b64 vcc, exec, s[0:1]
	s_mov_b64 s[84:85], s[0:1]
	s_cbranch_vccz .LBB141_279
; %bb.264:                              ;   in Loop: Header=BB141_31 Depth=1
	v_readlane_b32 s86, v52, 33
	v_readlane_b32 s87, v52, 34
	s_mov_b32 s86, s81
	s_cmp_lg_u64 s[86:87], 0
	v_writelane_b32 v52, s86, 33
	v_writelane_b32 v52, s87, 34
	s_cbranch_scc0 .LBB141_266
; %bb.265:                              ;   in Loop: Header=BB141_31 Depth=1
	v_cvt_f32_u32_e32 v4, s33
	s_sub_u32 s0, 0, s33
	s_subb_u32 s1, 0, 0
	v_mac_f32_e32 v4, 0, v40
	v_rcp_f32_e32 v4, v4
	v_mul_f32_e32 v4, 0x5f7ffffc, v4
	v_mul_f32_e32 v5, 0x2f800000, v4
	v_trunc_f32_e32 v5, v5
	v_mac_f32_e32 v4, 0xcf800000, v5
	v_cvt_u32_f32_e32 v5, v5
	v_cvt_u32_f32_e32 v4, v4
	v_readfirstlane_b32 s4, v5
	v_readfirstlane_b32 s5, v4
	s_mul_i32 s8, s0, s4
	s_mul_hi_u32 s84, s0, s5
	s_mul_i32 s9, s1, s5
	s_add_i32 s8, s84, s8
	s_mul_i32 s85, s0, s5
	s_add_i32 s8, s8, s9
	s_mul_hi_u32 s84, s5, s85
	s_mul_hi_u32 s9, s5, s8
	s_mul_i32 s5, s5, s8
	s_add_u32 s5, s84, s5
	s_addc_u32 s9, 0, s9
	s_mul_hi_u32 s86, s4, s85
	s_mul_i32 s85, s4, s85
	s_add_u32 s5, s5, s85
	s_mul_hi_u32 s84, s4, s8
	s_addc_u32 s5, s9, s86
	s_addc_u32 s9, s84, 0
	s_mul_i32 s8, s4, s8
	s_add_u32 s5, s5, s8
	s_addc_u32 s8, 0, s9
	v_add_co_u32_e32 v4, vcc, s5, v4
	s_cmp_lg_u64 vcc, 0
	s_addc_u32 s4, s4, s8
	v_readfirstlane_b32 s8, v4
	s_mul_i32 s5, s0, s4
	s_mul_hi_u32 s9, s0, s8
	s_add_i32 s5, s9, s5
	s_mul_i32 s1, s1, s8
	s_add_i32 s5, s5, s1
	s_mul_i32 s0, s0, s8
	s_mul_hi_u32 s9, s4, s0
	s_mul_i32 s84, s4, s0
	s_mul_i32 s86, s8, s5
	s_mul_hi_u32 s0, s8, s0
	s_mul_hi_u32 s85, s8, s5
	s_add_u32 s0, s0, s86
	s_addc_u32 s8, 0, s85
	s_add_u32 s0, s0, s84
	s_mul_hi_u32 s1, s4, s5
	s_addc_u32 s0, s8, s9
	s_addc_u32 s1, s1, 0
	s_mul_i32 s5, s4, s5
	s_add_u32 s0, s0, s5
	s_addc_u32 s1, 0, s1
	v_add_co_u32_e32 v4, vcc, s0, v4
	s_cmp_lg_u64 vcc, 0
	s_addc_u32 s0, s4, s1
	v_readlane_b32 s84, v52, 31
	v_readfirstlane_b32 s5, v4
	s_mul_i32 s4, s84, s0
	s_mul_hi_u32 s8, s84, s5
	s_mul_hi_u32 s1, s84, s0
	s_add_u32 s4, s8, s4
	s_addc_u32 s1, 0, s1
	s_mul_hi_u32 s9, s87, s5
	s_mul_i32 s5, s87, s5
	s_add_u32 s4, s4, s5
	s_mul_hi_u32 s8, s87, s0
	s_addc_u32 s1, s1, s9
	s_addc_u32 s4, s8, 0
	s_mul_i32 s0, s87, s0
	s_add_u32 s0, s1, s0
	s_addc_u32 s1, 0, s4
	s_mul_hi_u32 s4, s33, s0
	s_mul_i32 s0, s33, s0
	s_mul_i32 s1, s33, s1
	v_mov_b32_e32 v4, s0
	s_add_i32 s4, s4, s1
	v_sub_co_u32_e32 v4, vcc, s84, v4
	s_cmp_lg_u64 vcc, 0
	s_subb_u32 s0, s87, s4
	v_subrev_co_u32_e32 v5, vcc, s33, v4
	s_cmp_lg_u64 vcc, 0
	s_subb_u32 s1, s0, 0
	v_subrev_co_u32_e32 v6, vcc, s33, v5
	s_cmp_lg_u64 vcc, 0
	s_subb_u32 s4, s1, 0
	v_cmp_le_u32_e32 vcc, s33, v5
	s_cmp_eq_u32 s1, 0
	v_cndmask_b32_e64 v7, 0, -1, vcc
	s_cselect_b64 vcc, -1, 0
	v_cndmask_b32_e32 v7, -1, v7, vcc
	v_mov_b32_e32 v8, s1
	v_mov_b32_e32 v9, s4
	v_cmp_ne_u32_e32 vcc, 0, v7
	v_cndmask_b32_e32 v7, v8, v9, vcc
	v_cndmask_b32_e32 v6, v5, v6, vcc
	v_cmp_le_u32_e32 vcc, s33, v4
	s_cmp_eq_u32 s0, 0
	v_cndmask_b32_e64 v5, 0, -1, vcc
	s_cselect_b64 vcc, -1, 0
	v_cndmask_b32_e32 v5, -1, v5, vcc
	v_mov_b32_e32 v8, s0
	v_cmp_ne_u32_e32 vcc, 0, v5
	v_cndmask_b32_e32 v5, v8, v7, vcc
	v_cndmask_b32_e32 v4, v4, v6, vcc
	s_mov_b64 s[0:1], 0
	s_branch .LBB141_267
.LBB141_266:                            ;   in Loop: Header=BB141_31 Depth=1
	s_mov_b64 s[0:1], -1
                                        ; implicit-def: $vgpr4_vgpr5
.LBB141_267:                            ;   in Loop: Header=BB141_31 Depth=1
	s_andn2_b64 vcc, exec, s[0:1]
	s_cbranch_vccnz .LBB141_269
; %bb.268:                              ;   in Loop: Header=BB141_31 Depth=1
	v_cvt_f32_u32_e32 v4, s33
	s_sub_i32 s0, 0, s33
	v_rcp_iflag_f32_e32 v4, v4
	v_mul_f32_e32 v4, 0x4f7ffffe, v4
	v_cvt_u32_f32_e32 v4, v4
	v_mul_lo_u32 v5, s0, v4
	v_mul_hi_u32 v5, v4, v5
	v_add_u32_e32 v4, v4, v5
	v_readlane_b32 s0, v52, 31
	v_mul_hi_u32 v4, s0, v4
	v_mul_lo_u32 v4, v4, s33
	v_sub_u32_e32 v4, s0, v4
	v_subrev_u32_e32 v5, s33, v4
	v_cmp_le_u32_e32 vcc, s33, v4
	v_cndmask_b32_e32 v4, v4, v5, vcc
	v_subrev_u32_e32 v5, s33, v4
	v_cmp_le_u32_e32 vcc, s33, v4
	v_cndmask_b32_e32 v14, v4, v5, vcc
	v_pk_mov_b32 v[4:5], v[14:15], v[14:15] op_sel:[0,1]
.LBB141_269:                            ;   in Loop: Header=BB141_31 Depth=1
	v_readlane_b32 s0, v52, 33
	v_readlane_b32 s1, v52, 34
	;; [unrolled: 1-line block ×3, first 2 shown]
	v_mov_b32_e32 v6, s1
	v_sub_co_u32_e32 v4, vcc, s0, v4
	v_subb_co_u32_e32 v5, vcc, v6, v5, vcc
	v_cmp_gt_u64_e32 vcc, v[4:5], v[0:1]
	s_mov_b64 s[86:87], 0
                                        ; implicit-def: $vgpr32
	s_and_saveexec_b64 s[0:1], vcc
	s_cbranch_execz .LBB141_278
; %bb.270:                              ;   in Loop: Header=BB141_31 Depth=1
	s_mov_b64 s[4:5], 0
	v_pk_mov_b32 v[6:7], v[26:27], v[26:27] op_sel:[0,1]
	v_pk_mov_b32 v[8:9], v[0:1], v[0:1] op_sel:[0,1]
                                        ; implicit-def: $sgpr84_sgpr85
	s_branch .LBB141_272
.LBB141_271:                            ;   in Loop: Header=BB141_272 Depth=2
	s_or_b64 exec, exec, s[86:87]
	s_waitcnt lgkmcnt(0)
	s_barrier
	s_waitcnt vmcnt(0)
	ds_read_u16 v14, v15 offset:3072
	v_mov_b32_e32 v32, s64
	v_add_co_u32_e32 v8, vcc, s33, v8
	v_addc_co_u32_e32 v9, vcc, v9, v32, vcc
	s_waitcnt lgkmcnt(0)
	v_cmp_ne_u16_sdwa s[8:9], v14, v15 src0_sel:BYTE_0 src1_sel:DWORD
	v_cmp_ge_u64_e32 vcc, v[8:9], v[4:5]
	s_or_b64 s[86:87], vcc, s[8:9]
	s_and_b64 s[86:87], exec, s[86:87]
	s_mul_i32 s90, s58, s33
	s_or_b64 s[4:5], s[86:87], s[4:5]
	v_mov_b32_e32 v32, s65
	v_add_co_u32_e32 v6, vcc, s90, v6
	s_andn2_b64 s[84:85], s[84:85], exec
	s_and_b64 s[8:9], s[8:9], exec
	v_addc_co_u32_e32 v7, vcc, v7, v32, vcc
	s_or_b64 s[84:85], s[84:85], s[8:9]
	s_barrier
	s_andn2_b64 exec, exec, s[4:5]
	s_cbranch_execz .LBB141_277
.LBB141_272:                            ;   Parent Loop BB141_31 Depth=1
                                        ; =>  This Inner Loop Header: Depth=2
	v_cmp_gt_u64_e32 vcc, s[60:61], v[8:9]
	v_mov_b32_e32 v14, 0
	s_and_saveexec_b64 s[86:87], vcc
	s_cbranch_execz .LBB141_274
; %bb.273:                              ;   in Loop: Header=BB141_272 Depth=2
	global_load_ubyte v14, v[6:7], off
.LBB141_274:                            ;   in Loop: Header=BB141_272 Depth=2
	s_or_b64 exec, exec, s[86:87]
	s_and_saveexec_b64 s[86:87], vcc
	s_cbranch_execz .LBB141_271
; %bb.275:                              ;   in Loop: Header=BB141_272 Depth=2
	s_waitcnt vmcnt(0)
	v_add_u32_sdwa v32, sext(v14), s31 dst_sel:DWORD dst_unused:UNUSED_PAD src0_sel:BYTE_0 src1_sel:DWORD
	v_and_b32_e32 v32, v32, v31
	v_cmp_eq_u32_e32 vcc, v32, v30
	s_and_b64 exec, exec, vcc
	s_cbranch_execz .LBB141_271
; %bb.276:                              ;   in Loop: Header=BB141_272 Depth=2
	v_lshlrev_b16_e32 v14, 8, v14
	v_or_b32_e32 v14, 1, v14
	ds_write_b16 v15, v14 offset:3072
	s_branch .LBB141_271
.LBB141_277:                            ;   in Loop: Header=BB141_31 Depth=1
	s_or_b64 exec, exec, s[4:5]
	v_lshrrev_b16_e32 v32, 8, v14
	s_and_b64 s[86:87], s[84:85], exec
.LBB141_278:                            ;   in Loop: Header=BB141_31 Depth=1
	s_or_b64 exec, exec, s[0:1]
	s_mov_b64 s[84:85], -1
	s_mov_b64 s[0:1], 0
	s_mov_b64 s[4:5], 0
.LBB141_279:                            ;   in Loop: Header=BB141_31 Depth=1
	v_readlane_b32 vcc_lo, v52, 59
	s_orn2_b64 s[90:91], s[86:87], exec
	v_readlane_b32 vcc_hi, v52, 60
.LBB141_280:                            ;   in Loop: Header=BB141_31 Depth=1
	s_or_b64 exec, exec, s[92:93]
	s_mov_b64 s[92:93], 0
                                        ; implicit-def: $vgpr6
                                        ; implicit-def: $vgpr4_vgpr5
	s_and_saveexec_b64 s[86:87], s[90:91]
	s_cbranch_execz .LBB141_292
; %bb.281:                              ;   in Loop: Header=BB141_31 Depth=1
	v_mov_b32_e32 v4, 1
	s_xor_b64 s[8:9], vcc, -1
	v_mov_b32_e32 v6, 1
	v_mov_b32_e32 v5, 0
	s_and_saveexec_b64 s[90:91], s[8:9]
	s_cbranch_execz .LBB141_291
; %bb.282:                              ;   in Loop: Header=BB141_31 Depth=1
	v_cmp_ge_u64_e32 vcc, s[24:25], v[2:3]
                                        ; implicit-def: $sgpr8
	s_and_saveexec_b64 s[92:93], vcc
	s_xor_b64 s[92:93], exec, s[92:93]
	s_cbranch_execz .LBB141_288
; %bb.283:                              ;   in Loop: Header=BB141_31 Depth=1
	ds_read_b64 v[4:5], v15 offset:5120
	s_waitcnt lgkmcnt(0)
	v_cmp_ne_u64_e32 vcc, 0, v[4:5]
	s_cbranch_vccnz .LBB141_287
; %bb.284:                              ;   in Loop: Header=BB141_31 Depth=1
	s_mov_b64 vcc, exec
	v_readlane_b32 s8, v52, 10
	v_readlane_b32 s9, v52, 11
	s_and_b64 s[8:9], vcc, s[8:9]
	s_mov_b64 exec, s[8:9]
	s_cbranch_execz .LBB141_286
; %bb.285:                              ;   in Loop: Header=BB141_31 Depth=1
	v_pk_mov_b32 v[4:5], s[24:25], s[24:25] op_sel:[0,1]
	ds_write_b64 v15, v[4:5] offset:5128
.LBB141_286:                            ;   in Loop: Header=BB141_31 Depth=1
	s_or_b64 exec, exec, vcc
	s_waitcnt lgkmcnt(0)
	s_barrier
.LBB141_287:                            ;   in Loop: Header=BB141_31 Depth=1
	v_or_b32_e32 v30, s80, v30
	v_or_b32_e32 v31, s80, v31
	s_mov_b32 s8, 8
.LBB141_288:                            ;   in Loop: Header=BB141_31 Depth=1
	s_or_saveexec_b64 s[92:93], s[92:93]
	v_mov_b32_e32 v6, s8
	s_xor_b64 exec, exec, s[92:93]
; %bb.289:                              ;   in Loop: Header=BB141_31 Depth=1
	v_mov_b32_e32 v4, s25
	v_subrev_co_u32_e32 v2, vcc, s24, v2
	v_subb_co_u32_e32 v3, vcc, v3, v4, vcc
	v_mov_b32_e32 v6, 8
; %bb.290:                              ;   in Loop: Header=BB141_31 Depth=1
	s_or_b64 exec, exec, s[92:93]
	v_pk_mov_b32 v[4:5], v[2:3], v[2:3] op_sel:[0,1]
.LBB141_291:                            ;   in Loop: Header=BB141_31 Depth=1
	s_or_b64 exec, exec, s[90:91]
	s_mov_b64 s[92:93], exec
.LBB141_292:                            ;   in Loop: Header=BB141_31 Depth=1
	s_or_b64 exec, exec, s[86:87]
	s_orn2_b64 s[86:87], s[92:93], exec
	v_pk_mov_b32 v[2:3], v[4:5], v[4:5] op_sel:[0,1]
.LBB141_293:                            ;   in Loop: Header=BB141_31 Depth=1
	s_or_b64 exec, exec, s[68:69]
	s_andn2_b64 s[8:9], s[48:49], exec
	s_and_b64 s[0:1], s[0:1], exec
	s_or_b64 s[48:49], s[8:9], s[0:1]
	s_andn2_b64 s[0:1], s[52:53], exec
	s_and_b64 s[8:9], s[84:85], exec
	s_or_b64 s[52:53], s[0:1], s[8:9]
	;; [unrolled: 3-line block ×3, first 2 shown]
	s_and_b64 s[0:1], s[86:87], exec
	v_pk_mov_b32 v[4:5], v[2:3], v[2:3] op_sel:[0,1]
.LBB141_294:                            ;   in Loop: Header=BB141_31 Depth=1
	s_or_b64 exec, exec, s[54:55]
	s_and_b64 s[54:55], s[48:49], exec
	s_and_b64 s[48:49], s[52:53], exec
	;; [unrolled: 1-line block ×3, first 2 shown]
	s_orn2_b64 s[0:1], s[0:1], exec
.LBB141_295:                            ;   in Loop: Header=BB141_31 Depth=1
	s_or_b64 exec, exec, s[46:47]
	s_andn2_b64 s[8:9], s[26:27], exec
	s_and_b64 s[26:27], s[54:55], exec
	s_or_b64 s[26:27], s[8:9], s[26:27]
	s_andn2_b64 s[8:9], s[42:43], exec
	s_and_b64 s[42:43], s[48:49], exec
	s_or_b64 s[42:43], s[8:9], s[42:43]
	;; [unrolled: 3-line block ×3, first 2 shown]
	s_and_b64 s[48:49], s[0:1], exec
	v_pk_mov_b32 v[2:3], v[4:5], v[4:5] op_sel:[0,1]
.LBB141_296:                            ;   in Loop: Header=BB141_31 Depth=1
	s_or_b64 exec, exec, s[44:45]
	s_and_b64 s[26:27], s[26:27], exec
	s_and_b64 s[4:5], s[42:43], exec
	;; [unrolled: 1-line block ×3, first 2 shown]
	s_orn2_b64 s[42:43], s[48:49], exec
.LBB141_297:                            ;   in Loop: Header=BB141_31 Depth=1
	s_or_b64 exec, exec, s[6:7]
	s_mov_b64 s[6:7], 0
	s_mov_b64 s[28:29], 0
	s_and_saveexec_b64 s[8:9], s[42:43]
	s_xor_b64 s[42:43], exec, s[8:9]
; %bb.298:                              ;   in Loop: Header=BB141_31 Depth=1
	v_cmp_eq_u32_e32 vcc, 8, v6
	v_cmp_ne_u32_e64 s[6:7], 8, v6
	s_andn2_b64 s[26:27], s[26:27], exec
	s_andn2_b64 s[4:5], s[4:5], exec
	;; [unrolled: 1-line block ×3, first 2 shown]
	s_and_b64 s[28:29], s[6:7], exec
	s_and_b64 s[6:7], vcc, exec
; %bb.299:                              ;   in Loop: Header=BB141_31 Depth=1
	s_or_b64 exec, exec, s[42:43]
	s_andn2_b64 s[8:9], s[20:21], exec
	s_and_b64 s[20:21], s[26:27], exec
	s_or_b64 s[20:21], s[8:9], s[20:21]
	s_andn2_b64 s[8:9], s[36:37], exec
	s_and_b64 s[4:5], s[4:5], exec
	s_or_b64 s[36:37], s[8:9], s[4:5]
	;; [unrolled: 3-line block ×3, first 2 shown]
	s_and_b64 s[26:27], s[28:29], exec
	s_and_b64 s[28:29], s[6:7], exec
.LBB141_300:                            ;   in Loop: Header=BB141_31 Depth=1
	s_or_b64 exec, exec, s[40:41]
	s_and_b64 vcc, exec, s[38:39]
	s_cbranch_vccz .LBB141_116
.LBB141_301:                            ;   in Loop: Header=BB141_31 Depth=1
	s_cmp_eq_u64 s[24:25], 1
	s_cselect_b64 s[0:1], -1, 0
	s_and_b64 s[6:7], s[0:1], s[14:15]
	s_mov_b64 s[0:1], -1
                                        ; implicit-def: $sgpr14_sgpr15
                                        ; implicit-def: $sgpr38_sgpr39
                                        ; implicit-def: $sgpr20_sgpr21
	s_and_saveexec_b64 s[34:35], s[6:7]
	s_cbranch_execz .LBB141_333
; %bb.302:                              ;   in Loop: Header=BB141_31 Depth=1
	ds_read_b64 v[2:3], v15 offset:5120
	s_waitcnt lgkmcnt(0)
	s_barrier
	v_readfirstlane_b32 s0, v2
	v_readfirstlane_b32 s1, v3
	s_mov_b64 s[4:5], exec
	v_readlane_b32 s8, v52, 26
	v_readlane_b32 s9, v52, 27
	s_and_b64 s[8:9], s[4:5], s[8:9]
	s_mov_b64 exec, s[8:9]
	s_cbranch_execz .LBB141_304
; %bb.303:                              ;   in Loop: Header=BB141_31 Depth=1
	ds_write_b8 v0, v15 offset:3072
.LBB141_304:                            ;   in Loop: Header=BB141_31 Depth=1
	s_or_b64 exec, exec, s[4:5]
	v_or_b32_e32 v42, s80, v42
	v_or_b32_e32 v41, s80, v41
	s_cmp_eq_u64 s[0:1], 0
	s_waitcnt lgkmcnt(0)
	s_barrier
	s_cbranch_scc1 .LBB141_316
; %bb.305:                              ;   in Loop: Header=BB141_31 Depth=1
	v_readlane_b32 s4, v52, 30
	s_add_u32 s8, s4, s0
	v_readlane_b32 s4, v52, 32
	s_addc_u32 s5, s4, s1
	s_mov_b32 s4, s81
	s_cmp_lg_u64 s[4:5], 0
	s_cbranch_scc0 .LBB141_360
; %bb.306:                              ;   in Loop: Header=BB141_31 Depth=1
	v_cvt_f32_u32_e32 v2, s33
	s_sub_u32 s4, 0, s33
	s_subb_u32 s9, 0, 0
	v_mac_f32_e32 v2, 0, v40
	v_rcp_f32_e32 v2, v2
	v_mul_f32_e32 v2, 0x5f7ffffc, v2
	v_mul_f32_e32 v3, 0x2f800000, v2
	v_trunc_f32_e32 v3, v3
	v_mac_f32_e32 v2, 0xcf800000, v3
	v_cvt_u32_f32_e32 v3, v3
	v_cvt_u32_f32_e32 v2, v2
	v_readfirstlane_b32 s14, v3
	v_readfirstlane_b32 s15, v2
	s_mul_i32 s20, s4, s14
	s_mul_hi_u32 s36, s4, s15
	s_mul_i32 s21, s9, s15
	s_add_i32 s20, s36, s20
	s_mul_i32 s37, s4, s15
	s_add_i32 s20, s20, s21
	s_mul_hi_u32 s36, s15, s37
	s_mul_hi_u32 s21, s15, s20
	s_mul_i32 s15, s15, s20
	s_add_u32 s15, s36, s15
	s_addc_u32 s21, 0, s21
	s_mul_hi_u32 s38, s14, s37
	s_mul_i32 s37, s14, s37
	s_add_u32 s15, s15, s37
	s_mul_hi_u32 s36, s14, s20
	s_addc_u32 s15, s21, s38
	s_addc_u32 s21, s36, 0
	s_mul_i32 s20, s14, s20
	s_add_u32 s15, s15, s20
	s_addc_u32 s20, 0, s21
	v_add_co_u32_e32 v2, vcc, s15, v2
	s_cmp_lg_u64 vcc, 0
	s_addc_u32 s14, s14, s20
	v_readfirstlane_b32 s20, v2
	s_mul_i32 s15, s4, s14
	s_mul_hi_u32 s21, s4, s20
	s_add_i32 s15, s21, s15
	s_mul_i32 s9, s9, s20
	s_add_i32 s15, s15, s9
	s_mul_i32 s4, s4, s20
	s_mul_hi_u32 s21, s14, s4
	s_mul_i32 s36, s14, s4
	s_mul_i32 s38, s20, s15
	s_mul_hi_u32 s4, s20, s4
	s_mul_hi_u32 s37, s20, s15
	s_add_u32 s4, s4, s38
	s_addc_u32 s20, 0, s37
	s_add_u32 s4, s4, s36
	s_mul_hi_u32 s9, s14, s15
	s_addc_u32 s4, s20, s21
	s_addc_u32 s9, s9, 0
	s_mul_i32 s15, s14, s15
	s_add_u32 s4, s4, s15
	s_addc_u32 s9, 0, s9
	v_add_co_u32_e32 v2, vcc, s4, v2
	s_cmp_lg_u64 vcc, 0
	s_addc_u32 s4, s14, s9
	v_readfirstlane_b32 s15, v2
	s_mul_i32 s14, s8, s4
	s_mul_hi_u32 s20, s8, s15
	s_mul_hi_u32 s9, s8, s4
	s_add_u32 s14, s20, s14
	s_addc_u32 s9, 0, s9
	s_mul_hi_u32 s21, s5, s15
	s_mul_i32 s15, s5, s15
	s_add_u32 s14, s14, s15
	s_mul_hi_u32 s20, s5, s4
	s_addc_u32 s9, s9, s21
	s_addc_u32 s14, s20, 0
	s_mul_i32 s4, s5, s4
	s_add_u32 s4, s9, s4
	s_addc_u32 s9, 0, s14
	s_mul_hi_u32 s14, s33, s4
	s_mul_i32 s4, s33, s4
	s_mul_i32 s9, s33, s9
	v_mov_b32_e32 v2, s4
	s_add_i32 s14, s14, s9
	v_sub_co_u32_e32 v2, vcc, s8, v2
	s_cmp_lg_u64 vcc, 0
	s_subb_u32 s4, s5, s14
	v_subrev_co_u32_e32 v3, vcc, s33, v2
	s_cmp_lg_u64 vcc, 0
	s_subb_u32 s9, s4, 0
	v_subrev_co_u32_e32 v4, vcc, s33, v3
	s_cmp_lg_u64 vcc, 0
	s_subb_u32 s14, s9, 0
	v_cmp_le_u32_e32 vcc, s33, v3
	s_cmp_eq_u32 s9, 0
	v_cndmask_b32_e64 v5, 0, -1, vcc
	s_cselect_b64 vcc, -1, 0
	v_cndmask_b32_e32 v5, -1, v5, vcc
	v_mov_b32_e32 v6, s9
	v_mov_b32_e32 v7, s14
	v_cmp_ne_u32_e32 vcc, 0, v5
	v_cndmask_b32_e32 v5, v6, v7, vcc
	v_cndmask_b32_e32 v4, v3, v4, vcc
	v_cmp_le_u32_e32 vcc, s33, v2
	s_cmp_eq_u32 s4, 0
	v_cndmask_b32_e64 v3, 0, -1, vcc
	s_cselect_b64 vcc, -1, 0
	v_cndmask_b32_e32 v3, -1, v3, vcc
	v_mov_b32_e32 v6, s4
	v_cmp_ne_u32_e32 vcc, 0, v3
	v_cndmask_b32_e32 v3, v6, v5, vcc
	v_cndmask_b32_e32 v2, v2, v4, vcc
	s_cbranch_execnz .LBB141_308
.LBB141_307:                            ;   in Loop: Header=BB141_31 Depth=1
	v_cvt_f32_u32_e32 v2, s33
	s_sub_i32 s4, 0, s33
	v_rcp_iflag_f32_e32 v2, v2
	v_mul_f32_e32 v2, 0x4f7ffffe, v2
	v_cvt_u32_f32_e32 v2, v2
	v_mul_lo_u32 v3, s4, v2
	v_mul_hi_u32 v3, v2, v3
	v_add_u32_e32 v2, v2, v3
	v_mul_hi_u32 v2, s8, v2
	v_mul_lo_u32 v2, v2, s33
	v_sub_u32_e32 v2, s8, v2
	v_subrev_u32_e32 v3, s33, v2
	v_cmp_le_u32_e32 vcc, s33, v2
	v_cndmask_b32_e32 v2, v2, v3, vcc
	v_subrev_u32_e32 v3, s33, v2
	v_cmp_le_u32_e32 vcc, s33, v2
	v_cndmask_b32_e32 v14, v2, v3, vcc
	v_pk_mov_b32 v[2:3], v[14:15], v[14:15] op_sel:[0,1]
.LBB141_308:                            ;   in Loop: Header=BB141_31 Depth=1
	v_mov_b32_e32 v4, s5
	v_sub_co_u32_e32 v2, vcc, s8, v2
	v_subb_co_u32_e32 v3, vcc, v4, v3, vcc
	v_cmp_gt_u64_e32 vcc, v[2:3], v[0:1]
	s_mov_b64 s[4:5], 0
                                        ; implicit-def: $vgpr43
	s_and_saveexec_b64 s[14:15], vcc
	s_cbranch_execz .LBB141_318
; %bb.309:                              ;   in Loop: Header=BB141_31 Depth=1
	v_mov_b32_e32 v6, v0
	v_pk_mov_b32 v[4:5], v[0:1], v[0:1] op_sel:[0,1]
                                        ; implicit-def: $sgpr20_sgpr21
	s_branch .LBB141_311
.LBB141_310:                            ;   in Loop: Header=BB141_311 Depth=2
	s_or_b64 exec, exec, s[36:37]
	s_waitcnt lgkmcnt(0)
	s_barrier
	ds_read_u16 v7, v15 offset:3072
	v_mov_b32_e32 v8, s64
	v_add_co_u32_e32 v4, vcc, s33, v4
	v_addc_co_u32_e32 v5, vcc, v5, v8, vcc
	s_waitcnt lgkmcnt(0)
	v_cmp_ne_u16_sdwa s[8:9], v7, v15 src0_sel:BYTE_0 src1_sel:DWORD
	v_cmp_ge_u64_e32 vcc, v[4:5], v[2:3]
	s_or_b64 s[36:37], vcc, s[8:9]
	s_and_b64 s[36:37], exec, s[36:37]
	s_or_b64 s[4:5], s[36:37], s[4:5]
	s_andn2_b64 s[20:21], s[20:21], exec
	s_and_b64 s[8:9], s[8:9], exec
	v_add_u32_e32 v6, s33, v6
	s_or_b64 s[20:21], s[20:21], s[8:9]
	s_barrier
	s_andn2_b64 exec, exec, s[4:5]
	s_cbranch_execz .LBB141_317
.LBB141_311:                            ;   Parent Loop BB141_31 Depth=1
                                        ; =>  This Inner Loop Header: Depth=2
	v_cmp_gt_u64_e32 vcc, s[0:1], v[4:5]
	v_mov_b32_e32 v7, 0
	s_and_saveexec_b64 s[36:37], vcc
	s_cbranch_execz .LBB141_313
; %bb.312:                              ;   in Loop: Header=BB141_311 Depth=2
	ds_read_u8 v7, v6
.LBB141_313:                            ;   in Loop: Header=BB141_311 Depth=2
	s_or_b64 exec, exec, s[36:37]
	s_and_saveexec_b64 s[36:37], vcc
	s_cbranch_execz .LBB141_310
; %bb.314:                              ;   in Loop: Header=BB141_311 Depth=2
	s_waitcnt lgkmcnt(0)
	v_add_u32_sdwa v8, sext(v7), s31 dst_sel:DWORD dst_unused:UNUSED_PAD src0_sel:BYTE_0 src1_sel:DWORD
	v_and_b32_e32 v8, v8, v41
	v_cmp_eq_u32_e32 vcc, v8, v42
	s_and_b64 exec, exec, vcc
	s_cbranch_execz .LBB141_310
; %bb.315:                              ;   in Loop: Header=BB141_311 Depth=2
	v_lshlrev_b16_e32 v7, 8, v7
	v_or_b32_e32 v7, 1, v7
	ds_write_b16 v15, v7 offset:3072
	s_branch .LBB141_310
.LBB141_316:                            ;   in Loop: Header=BB141_31 Depth=1
	s_mov_b64 s[14:15], -1
	s_mov_b64 s[4:5], 0
                                        ; implicit-def: $sgpr38_sgpr39
                                        ; implicit-def: $vgpr43
	s_mov_b64 s[20:21], s[14:15]
	s_cbranch_execnz .LBB141_319
	s_branch .LBB141_332
.LBB141_317:                            ;   in Loop: Header=BB141_31 Depth=1
	s_or_b64 exec, exec, s[4:5]
	v_lshrrev_b16_e32 v43, 8, v7
	s_and_b64 s[4:5], s[20:21], exec
.LBB141_318:                            ;   in Loop: Header=BB141_31 Depth=1
	s_or_b64 exec, exec, s[14:15]
	s_mov_b64 s[14:15], 0
	s_mov_b64 s[38:39], -1
	s_mov_b64 s[20:21], s[14:15]
	s_branch .LBB141_332
.LBB141_319:                            ;   in Loop: Header=BB141_31 Depth=1
	v_readlane_b32 s20, v52, 33
	v_readlane_b32 s21, v52, 34
	s_mov_b32 s20, s81
	s_cmp_lg_u64 s[20:21], 0
	v_writelane_b32 v52, s20, 33
	v_writelane_b32 v52, s21, 34
	s_cbranch_scc0 .LBB141_361
; %bb.320:                              ;   in Loop: Header=BB141_31 Depth=1
	v_cvt_f32_u32_e32 v2, s33
	s_sub_u32 s0, 0, s33
	s_subb_u32 s1, 0, 0
	v_mac_f32_e32 v2, 0, v40
	v_rcp_f32_e32 v2, v2
	v_mul_f32_e32 v2, 0x5f7ffffc, v2
	v_mul_f32_e32 v3, 0x2f800000, v2
	v_trunc_f32_e32 v3, v3
	v_mac_f32_e32 v2, 0xcf800000, v3
	v_cvt_u32_f32_e32 v3, v3
	v_cvt_u32_f32_e32 v2, v2
	v_readfirstlane_b32 s4, v3
	v_readfirstlane_b32 s5, v2
	s_mul_i32 s8, s0, s4
	s_mul_hi_u32 s14, s0, s5
	s_mul_i32 s9, s1, s5
	s_add_i32 s8, s14, s8
	s_mul_i32 s15, s0, s5
	s_add_i32 s8, s8, s9
	s_mul_hi_u32 s14, s5, s15
	s_mul_hi_u32 s9, s5, s8
	s_mul_i32 s5, s5, s8
	s_add_u32 s5, s14, s5
	s_addc_u32 s9, 0, s9
	s_mul_hi_u32 s20, s4, s15
	s_mul_i32 s15, s4, s15
	s_add_u32 s5, s5, s15
	s_mul_hi_u32 s14, s4, s8
	s_addc_u32 s5, s9, s20
	s_addc_u32 s9, s14, 0
	s_mul_i32 s8, s4, s8
	s_add_u32 s5, s5, s8
	s_addc_u32 s8, 0, s9
	v_add_co_u32_e32 v2, vcc, s5, v2
	s_cmp_lg_u64 vcc, 0
	s_addc_u32 s4, s4, s8
	v_readfirstlane_b32 s8, v2
	s_mul_i32 s5, s0, s4
	s_mul_hi_u32 s9, s0, s8
	s_add_i32 s5, s9, s5
	s_mul_i32 s1, s1, s8
	s_add_i32 s5, s5, s1
	s_mul_i32 s0, s0, s8
	s_mul_hi_u32 s9, s4, s0
	s_mul_i32 s14, s4, s0
	s_mul_i32 s20, s8, s5
	s_mul_hi_u32 s0, s8, s0
	s_mul_hi_u32 s15, s8, s5
	s_add_u32 s0, s0, s20
	s_addc_u32 s8, 0, s15
	s_add_u32 s0, s0, s14
	s_mul_hi_u32 s1, s4, s5
	s_addc_u32 s0, s8, s9
	s_addc_u32 s1, s1, 0
	s_mul_i32 s5, s4, s5
	s_add_u32 s0, s0, s5
	s_addc_u32 s1, 0, s1
	v_add_co_u32_e32 v2, vcc, s0, v2
	s_cmp_lg_u64 vcc, 0
	s_addc_u32 s0, s4, s1
	v_readlane_b32 s14, v52, 31
	v_readfirstlane_b32 s5, v2
	s_mul_i32 s4, s14, s0
	s_mul_hi_u32 s8, s14, s5
	s_mul_hi_u32 s1, s14, s0
	s_add_u32 s4, s8, s4
	s_addc_u32 s1, 0, s1
	s_mul_hi_u32 s9, s21, s5
	s_mul_i32 s5, s21, s5
	s_add_u32 s4, s4, s5
	s_mul_hi_u32 s8, s21, s0
	s_addc_u32 s1, s1, s9
	s_addc_u32 s4, s8, 0
	s_mul_i32 s0, s21, s0
	s_add_u32 s0, s1, s0
	s_addc_u32 s1, 0, s4
	s_mul_hi_u32 s4, s33, s0
	s_mul_i32 s0, s33, s0
	s_mul_i32 s1, s33, s1
	v_mov_b32_e32 v2, s0
	s_add_i32 s4, s4, s1
	v_sub_co_u32_e32 v2, vcc, s14, v2
	s_cmp_lg_u64 vcc, 0
	s_subb_u32 s0, s21, s4
	v_subrev_co_u32_e32 v3, vcc, s33, v2
	s_cmp_lg_u64 vcc, 0
	s_subb_u32 s1, s0, 0
	v_subrev_co_u32_e32 v4, vcc, s33, v3
	s_cmp_lg_u64 vcc, 0
	s_subb_u32 s4, s1, 0
	v_cmp_le_u32_e32 vcc, s33, v3
	s_cmp_eq_u32 s1, 0
	v_cndmask_b32_e64 v5, 0, -1, vcc
	s_cselect_b64 vcc, -1, 0
	v_cndmask_b32_e32 v5, -1, v5, vcc
	v_mov_b32_e32 v6, s1
	v_mov_b32_e32 v7, s4
	v_cmp_ne_u32_e32 vcc, 0, v5
	v_cndmask_b32_e32 v5, v6, v7, vcc
	v_cndmask_b32_e32 v4, v3, v4, vcc
	v_cmp_le_u32_e32 vcc, s33, v2
	s_cmp_eq_u32 s0, 0
	v_cndmask_b32_e64 v3, 0, -1, vcc
	s_cselect_b64 vcc, -1, 0
	v_cndmask_b32_e32 v3, -1, v3, vcc
	v_mov_b32_e32 v6, s0
	v_cmp_ne_u32_e32 vcc, 0, v3
	v_cndmask_b32_e32 v3, v6, v5, vcc
	v_cndmask_b32_e32 v2, v2, v4, vcc
	s_cbranch_execnz .LBB141_322
.LBB141_321:                            ;   in Loop: Header=BB141_31 Depth=1
	v_cvt_f32_u32_e32 v2, s33
	s_sub_i32 s0, 0, s33
	v_rcp_iflag_f32_e32 v2, v2
	v_mul_f32_e32 v2, 0x4f7ffffe, v2
	v_cvt_u32_f32_e32 v2, v2
	v_mul_lo_u32 v3, s0, v2
	v_mul_hi_u32 v3, v2, v3
	v_add_u32_e32 v2, v2, v3
	v_readlane_b32 s0, v52, 31
	v_mul_hi_u32 v2, s0, v2
	v_mul_lo_u32 v2, v2, s33
	v_sub_u32_e32 v2, s0, v2
	v_subrev_u32_e32 v3, s33, v2
	v_cmp_le_u32_e32 vcc, s33, v2
	v_cndmask_b32_e32 v2, v2, v3, vcc
	v_subrev_u32_e32 v3, s33, v2
	v_cmp_le_u32_e32 vcc, s33, v2
	v_cndmask_b32_e32 v14, v2, v3, vcc
	v_pk_mov_b32 v[2:3], v[14:15], v[14:15] op_sel:[0,1]
.LBB141_322:                            ;   in Loop: Header=BB141_31 Depth=1
	v_readlane_b32 s0, v52, 33
	v_readlane_b32 s1, v52, 34
	;; [unrolled: 1-line block ×3, first 2 shown]
	v_mov_b32_e32 v4, s1
	v_sub_co_u32_e32 v2, vcc, s0, v2
	v_subb_co_u32_e32 v3, vcc, v4, v3, vcc
	v_cmp_gt_u64_e32 vcc, v[2:3], v[0:1]
	s_mov_b64 s[4:5], 0
                                        ; implicit-def: $vgpr43
	s_and_saveexec_b64 s[0:1], vcc
	s_cbranch_execz .LBB141_331
; %bb.323:                              ;   in Loop: Header=BB141_31 Depth=1
	v_pk_mov_b32 v[4:5], v[26:27], v[26:27] op_sel:[0,1]
	v_pk_mov_b32 v[6:7], v[0:1], v[0:1] op_sel:[0,1]
                                        ; implicit-def: $sgpr14_sgpr15
	s_branch .LBB141_325
.LBB141_324:                            ;   in Loop: Header=BB141_325 Depth=2
	s_or_b64 exec, exec, s[20:21]
	s_waitcnt lgkmcnt(0)
	s_barrier
	s_waitcnt vmcnt(0)
	ds_read_u16 v8, v15 offset:3072
	v_mov_b32_e32 v9, s64
	v_add_co_u32_e32 v6, vcc, s33, v6
	v_addc_co_u32_e32 v7, vcc, v7, v9, vcc
	s_waitcnt lgkmcnt(0)
	v_cmp_ne_u16_sdwa s[8:9], v8, v15 src0_sel:BYTE_0 src1_sel:DWORD
	v_cmp_ge_u64_e32 vcc, v[6:7], v[2:3]
	s_or_b64 s[20:21], vcc, s[8:9]
	s_and_b64 s[20:21], exec, s[20:21]
	s_mul_i32 s36, s58, s33
	s_or_b64 s[4:5], s[20:21], s[4:5]
	v_mov_b32_e32 v9, s65
	v_add_co_u32_e32 v4, vcc, s36, v4
	s_andn2_b64 s[14:15], s[14:15], exec
	s_and_b64 s[8:9], s[8:9], exec
	v_addc_co_u32_e32 v5, vcc, v5, v9, vcc
	s_or_b64 s[14:15], s[14:15], s[8:9]
	s_barrier
	s_andn2_b64 exec, exec, s[4:5]
	s_cbranch_execz .LBB141_330
.LBB141_325:                            ;   Parent Loop BB141_31 Depth=1
                                        ; =>  This Inner Loop Header: Depth=2
	v_cmp_gt_u64_e32 vcc, s[60:61], v[6:7]
	v_mov_b32_e32 v8, 0
	s_and_saveexec_b64 s[20:21], vcc
	s_cbranch_execz .LBB141_327
; %bb.326:                              ;   in Loop: Header=BB141_325 Depth=2
	global_load_ubyte v8, v[4:5], off
.LBB141_327:                            ;   in Loop: Header=BB141_325 Depth=2
	s_or_b64 exec, exec, s[20:21]
	s_and_saveexec_b64 s[20:21], vcc
	s_cbranch_execz .LBB141_324
; %bb.328:                              ;   in Loop: Header=BB141_325 Depth=2
	s_waitcnt vmcnt(0)
	v_add_u32_sdwa v9, sext(v8), s31 dst_sel:DWORD dst_unused:UNUSED_PAD src0_sel:BYTE_0 src1_sel:DWORD
	v_and_b32_e32 v9, v9, v41
	v_cmp_eq_u32_e32 vcc, v9, v42
	s_and_b64 exec, exec, vcc
	s_cbranch_execz .LBB141_324
; %bb.329:                              ;   in Loop: Header=BB141_325 Depth=2
	v_lshlrev_b16_e32 v8, 8, v8
	v_or_b32_e32 v8, 1, v8
	ds_write_b16 v15, v8 offset:3072
	s_branch .LBB141_324
.LBB141_330:                            ;   in Loop: Header=BB141_31 Depth=1
	s_or_b64 exec, exec, s[4:5]
	v_lshrrev_b16_e32 v43, 8, v8
	s_and_b64 s[4:5], s[14:15], exec
.LBB141_331:                            ;   in Loop: Header=BB141_31 Depth=1
	s_or_b64 exec, exec, s[0:1]
	s_mov_b64 s[38:39], 0
	s_mov_b64 s[14:15], -1
	s_mov_b64 s[20:21], 0
.LBB141_332:                            ;   in Loop: Header=BB141_31 Depth=1
	s_orn2_b64 s[0:1], s[4:5], exec
.LBB141_333:                            ;   in Loop: Header=BB141_31 Depth=1
	s_or_b64 exec, exec, s[34:35]
                                        ; implicit-def: $vgpr6
                                        ; implicit-def: $vgpr2_vgpr3
                                        ; implicit-def: $vgpr30
                                        ; implicit-def: $vgpr31
                                        ; implicit-def: $vgpr32
	s_and_saveexec_b64 s[34:35], s[0:1]
	s_cbranch_execz .LBB141_496
; %bb.334:                              ;   in Loop: Header=BB141_31 Depth=1
	v_mov_b32_e32 v2, 1
	s_xor_b64 s[4:5], s[6:7], -1
	s_mov_b64 s[6:7], 0
	v_mov_b32_e32 v3, 0
	v_mov_b32_e32 v6, 1
	s_and_saveexec_b64 s[0:1], s[4:5]
	s_cbranch_execz .LBB141_344
; %bb.335:                              ;   in Loop: Header=BB141_31 Depth=1
	v_cmp_ge_u64_e32 vcc, s[24:25], v[28:29]
                                        ; implicit-def: $sgpr8
                                        ; implicit-def: $sgpr4_sgpr5
	s_and_saveexec_b64 s[6:7], vcc
	s_xor_b64 s[6:7], exec, s[6:7]
	s_cbranch_execz .LBB141_341
; %bb.336:                              ;   in Loop: Header=BB141_31 Depth=1
	ds_read_b64 v[2:3], v15 offset:5120
	s_waitcnt lgkmcnt(0)
	v_cmp_ne_u64_e32 vcc, 0, v[2:3]
	s_cbranch_vccnz .LBB141_340
; %bb.337:                              ;   in Loop: Header=BB141_31 Depth=1
	s_mov_b64 s[4:5], exec
	v_readlane_b32 s8, v52, 10
	v_readlane_b32 s9, v52, 11
	s_and_b64 s[8:9], s[4:5], s[8:9]
	s_mov_b64 exec, s[8:9]
	s_cbranch_execz .LBB141_339
; %bb.338:                              ;   in Loop: Header=BB141_31 Depth=1
	v_pk_mov_b32 v[2:3], s[24:25], s[24:25] op_sel:[0,1]
	ds_write_b64 v15, v[2:3] offset:5128
.LBB141_339:                            ;   in Loop: Header=BB141_31 Depth=1
	s_or_b64 exec, exec, s[4:5]
	s_waitcnt lgkmcnt(0)
	s_barrier
.LBB141_340:                            ;   in Loop: Header=BB141_31 Depth=1
	v_or_b32_e32 v42, s80, v42
	v_or_b32_e32 v41, s80, v41
	s_mov_b64 s[4:5], 0
	s_mov_b32 s8, 5
.LBB141_341:                            ;   in Loop: Header=BB141_31 Depth=1
	s_or_saveexec_b64 s[6:7], s[6:7]
	v_mov_b32_e32 v6, s8
	s_xor_b64 exec, exec, s[6:7]
; %bb.342:                              ;   in Loop: Header=BB141_31 Depth=1
	v_mov_b32_e32 v2, s25
	v_subrev_co_u32_e32 v28, vcc, s24, v28
	v_subb_co_u32_e32 v29, vcc, v29, v2, vcc
	v_mov_b32_e32 v6, 0
	s_or_b64 s[4:5], s[4:5], exec
; %bb.343:                              ;   in Loop: Header=BB141_31 Depth=1
	s_or_b64 exec, exec, s[6:7]
	s_and_b64 s[6:7], s[4:5], exec
	v_pk_mov_b32 v[2:3], v[28:29], v[28:29] op_sel:[0,1]
.LBB141_344:                            ;   in Loop: Header=BB141_31 Depth=1
	s_or_b64 exec, exec, s[0:1]
	s_mov_b64 s[36:37], -1
                                        ; implicit-def: $sgpr0_sgpr1
                                        ; implicit-def: $sgpr4_sgpr5
                                        ; implicit-def: $sgpr24_sgpr25
	s_and_saveexec_b64 s[8:9], s[6:7]
	s_xor_b64 s[6:7], exec, s[8:9]
	s_cbranch_execz .LBB141_493
; %bb.345:                              ;   in Loop: Header=BB141_31 Depth=1
	s_cmp_eq_u64 s[22:23], 1
	s_cselect_b64 s[0:1], -1, 0
	v_cmp_eq_u64_e32 vcc, 1, v[2:3]
	s_and_b64 s[44:45], s[0:1], vcc
	s_mov_b64 s[0:1], -1
                                        ; implicit-def: $sgpr24_sgpr25
                                        ; implicit-def: $sgpr36_sgpr37
                                        ; implicit-def: $sgpr40_sgpr41
	s_and_saveexec_b64 s[42:43], s[44:45]
	s_cbranch_execz .LBB141_379
; %bb.346:                              ;   in Loop: Header=BB141_31 Depth=1
	ds_read_b64 v[4:5], v15 offset:5120
	s_waitcnt lgkmcnt(0)
	s_barrier
	v_readfirstlane_b32 s0, v4
	v_readfirstlane_b32 s1, v5
	s_mov_b64 s[4:5], exec
	v_readlane_b32 s8, v52, 26
	v_readlane_b32 s9, v52, 27
	s_and_b64 s[8:9], s[4:5], s[8:9]
	s_mov_b64 exec, s[8:9]
	s_cbranch_execz .LBB141_348
; %bb.347:                              ;   in Loop: Header=BB141_31 Depth=1
	ds_write_b8 v0, v15 offset:3072
.LBB141_348:                            ;   in Loop: Header=BB141_31 Depth=1
	s_or_b64 exec, exec, s[4:5]
	v_readlane_b32 s4, v52, 58
	v_and_b32_e32 v4, s4, v42
	v_readlane_b32 s4, v52, 57
	v_lshl_or_b32 v42, 2, s4, v4
	v_or_b32_e32 v41, s80, v41
	s_cmp_eq_u64 s[0:1], 0
	s_waitcnt lgkmcnt(0)
	s_barrier
	s_cbranch_scc1 .LBB141_362
; %bb.349:                              ;   in Loop: Header=BB141_31 Depth=1
	v_readlane_b32 s4, v52, 30
	s_add_u32 s8, s4, s0
	v_readlane_b32 s4, v52, 32
	s_addc_u32 s5, s4, s1
	s_mov_b32 s4, s81
	s_cmp_lg_u64 s[4:5], 0
	s_cbranch_scc0 .LBB141_406
; %bb.350:                              ;   in Loop: Header=BB141_31 Depth=1
	v_cvt_f32_u32_e32 v4, s33
	s_sub_u32 s4, 0, s33
	s_subb_u32 s9, 0, 0
	v_mac_f32_e32 v4, 0, v40
	v_rcp_f32_e32 v4, v4
	v_mul_f32_e32 v4, 0x5f7ffffc, v4
	v_mul_f32_e32 v5, 0x2f800000, v4
	v_trunc_f32_e32 v5, v5
	v_mac_f32_e32 v4, 0xcf800000, v5
	v_cvt_u32_f32_e32 v5, v5
	v_cvt_u32_f32_e32 v4, v4
	v_readfirstlane_b32 s24, v5
	v_readfirstlane_b32 s25, v4
	s_mul_i32 s36, s4, s24
	s_mul_hi_u32 s40, s4, s25
	s_mul_i32 s37, s9, s25
	s_add_i32 s36, s40, s36
	s_mul_i32 s41, s4, s25
	s_add_i32 s36, s36, s37
	s_mul_hi_u32 s40, s25, s41
	s_mul_hi_u32 s37, s25, s36
	s_mul_i32 s25, s25, s36
	s_add_u32 s25, s40, s25
	s_addc_u32 s37, 0, s37
	s_mul_hi_u32 s46, s24, s41
	s_mul_i32 s41, s24, s41
	s_add_u32 s25, s25, s41
	s_mul_hi_u32 s40, s24, s36
	s_addc_u32 s25, s37, s46
	s_addc_u32 s37, s40, 0
	s_mul_i32 s36, s24, s36
	s_add_u32 s25, s25, s36
	s_addc_u32 s36, 0, s37
	v_add_co_u32_e32 v4, vcc, s25, v4
	s_cmp_lg_u64 vcc, 0
	s_addc_u32 s24, s24, s36
	v_readfirstlane_b32 s36, v4
	s_mul_i32 s25, s4, s24
	s_mul_hi_u32 s37, s4, s36
	s_add_i32 s25, s37, s25
	s_mul_i32 s9, s9, s36
	s_add_i32 s25, s25, s9
	s_mul_i32 s4, s4, s36
	s_mul_hi_u32 s37, s24, s4
	s_mul_i32 s40, s24, s4
	s_mul_i32 s46, s36, s25
	s_mul_hi_u32 s4, s36, s4
	s_mul_hi_u32 s41, s36, s25
	s_add_u32 s4, s4, s46
	s_addc_u32 s36, 0, s41
	s_add_u32 s4, s4, s40
	s_mul_hi_u32 s9, s24, s25
	s_addc_u32 s4, s36, s37
	s_addc_u32 s9, s9, 0
	s_mul_i32 s25, s24, s25
	s_add_u32 s4, s4, s25
	s_addc_u32 s9, 0, s9
	v_add_co_u32_e32 v4, vcc, s4, v4
	s_cmp_lg_u64 vcc, 0
	s_addc_u32 s4, s24, s9
	v_readfirstlane_b32 s25, v4
	s_mul_i32 s24, s8, s4
	s_mul_hi_u32 s36, s8, s25
	s_mul_hi_u32 s9, s8, s4
	s_add_u32 s24, s36, s24
	s_addc_u32 s9, 0, s9
	s_mul_hi_u32 s37, s5, s25
	s_mul_i32 s25, s5, s25
	s_add_u32 s24, s24, s25
	s_mul_hi_u32 s36, s5, s4
	s_addc_u32 s9, s9, s37
	s_addc_u32 s24, s36, 0
	s_mul_i32 s4, s5, s4
	s_add_u32 s4, s9, s4
	s_addc_u32 s9, 0, s24
	s_mul_hi_u32 s24, s33, s4
	s_mul_i32 s4, s33, s4
	s_mul_i32 s9, s33, s9
	v_mov_b32_e32 v4, s4
	s_add_i32 s24, s24, s9
	v_sub_co_u32_e32 v4, vcc, s8, v4
	s_cmp_lg_u64 vcc, 0
	s_subb_u32 s4, s5, s24
	v_subrev_co_u32_e32 v5, vcc, s33, v4
	s_cmp_lg_u64 vcc, 0
	s_subb_u32 s9, s4, 0
	v_subrev_co_u32_e32 v6, vcc, s33, v5
	s_cmp_lg_u64 vcc, 0
	s_subb_u32 s24, s9, 0
	v_cmp_le_u32_e32 vcc, s33, v5
	s_cmp_eq_u32 s9, 0
	v_cndmask_b32_e64 v7, 0, -1, vcc
	s_cselect_b64 vcc, -1, 0
	v_cndmask_b32_e32 v7, -1, v7, vcc
	v_mov_b32_e32 v8, s9
	v_mov_b32_e32 v9, s24
	v_cmp_ne_u32_e32 vcc, 0, v7
	v_cndmask_b32_e32 v7, v8, v9, vcc
	v_cndmask_b32_e32 v6, v5, v6, vcc
	v_cmp_le_u32_e32 vcc, s33, v4
	s_cmp_eq_u32 s4, 0
	v_cndmask_b32_e64 v5, 0, -1, vcc
	s_cselect_b64 vcc, -1, 0
	v_cndmask_b32_e32 v5, -1, v5, vcc
	v_mov_b32_e32 v8, s4
	v_cmp_ne_u32_e32 vcc, 0, v5
	v_cndmask_b32_e32 v5, v8, v7, vcc
	v_cndmask_b32_e32 v4, v4, v6, vcc
	s_cbranch_execnz .LBB141_352
.LBB141_351:                            ;   in Loop: Header=BB141_31 Depth=1
	v_cvt_f32_u32_e32 v4, s33
	s_sub_i32 s4, 0, s33
	v_rcp_iflag_f32_e32 v4, v4
	v_mul_f32_e32 v4, 0x4f7ffffe, v4
	v_cvt_u32_f32_e32 v4, v4
	v_mul_lo_u32 v5, s4, v4
	v_mul_hi_u32 v5, v4, v5
	v_add_u32_e32 v4, v4, v5
	v_mul_hi_u32 v4, s8, v4
	v_mul_lo_u32 v4, v4, s33
	v_sub_u32_e32 v4, s8, v4
	v_subrev_u32_e32 v5, s33, v4
	v_cmp_le_u32_e32 vcc, s33, v4
	v_cndmask_b32_e32 v4, v4, v5, vcc
	v_subrev_u32_e32 v5, s33, v4
	v_cmp_le_u32_e32 vcc, s33, v4
	v_cndmask_b32_e32 v14, v4, v5, vcc
	v_pk_mov_b32 v[4:5], v[14:15], v[14:15] op_sel:[0,1]
.LBB141_352:                            ;   in Loop: Header=BB141_31 Depth=1
	v_mov_b32_e32 v6, s5
	v_sub_co_u32_e32 v4, vcc, s8, v4
	v_subb_co_u32_e32 v5, vcc, v6, v5, vcc
	v_cmp_gt_u64_e32 vcc, v[4:5], v[0:1]
	s_mov_b64 s[4:5], 0
                                        ; implicit-def: $vgpr43
	s_and_saveexec_b64 s[24:25], vcc
	s_cbranch_execz .LBB141_364
; %bb.353:                              ;   in Loop: Header=BB141_31 Depth=1
	v_mov_b32_e32 v8, v0
	v_pk_mov_b32 v[6:7], v[0:1], v[0:1] op_sel:[0,1]
                                        ; implicit-def: $sgpr36_sgpr37
	s_branch .LBB141_355
.LBB141_354:                            ;   in Loop: Header=BB141_355 Depth=2
	s_or_b64 exec, exec, s[40:41]
	s_waitcnt lgkmcnt(0)
	s_barrier
	ds_read_u16 v9, v15 offset:3072
	v_mov_b32_e32 v14, s64
	v_add_co_u32_e32 v6, vcc, s33, v6
	v_addc_co_u32_e32 v7, vcc, v7, v14, vcc
	s_waitcnt lgkmcnt(0)
	v_cmp_ne_u16_sdwa s[8:9], v9, v15 src0_sel:BYTE_0 src1_sel:DWORD
	v_cmp_ge_u64_e32 vcc, v[6:7], v[4:5]
	s_or_b64 s[40:41], vcc, s[8:9]
	s_and_b64 s[40:41], exec, s[40:41]
	s_or_b64 s[4:5], s[40:41], s[4:5]
	s_andn2_b64 s[36:37], s[36:37], exec
	s_and_b64 s[8:9], s[8:9], exec
	v_add_u32_e32 v8, s33, v8
	s_or_b64 s[36:37], s[36:37], s[8:9]
	s_barrier
	s_andn2_b64 exec, exec, s[4:5]
	s_cbranch_execz .LBB141_363
.LBB141_355:                            ;   Parent Loop BB141_31 Depth=1
                                        ; =>  This Inner Loop Header: Depth=2
	v_cmp_gt_u64_e32 vcc, s[0:1], v[6:7]
	v_mov_b32_e32 v9, 0
	s_and_saveexec_b64 s[40:41], vcc
	s_cbranch_execz .LBB141_357
; %bb.356:                              ;   in Loop: Header=BB141_355 Depth=2
	ds_read_u8 v9, v8
.LBB141_357:                            ;   in Loop: Header=BB141_355 Depth=2
	s_or_b64 exec, exec, s[40:41]
	s_and_saveexec_b64 s[40:41], vcc
	s_cbranch_execz .LBB141_354
; %bb.358:                              ;   in Loop: Header=BB141_355 Depth=2
	s_waitcnt lgkmcnt(0)
	v_add_u32_sdwa v14, sext(v9), s31 dst_sel:DWORD dst_unused:UNUSED_PAD src0_sel:BYTE_0 src1_sel:DWORD
	v_and_b32_e32 v14, v14, v41
	v_cmp_eq_u32_e32 vcc, v14, v42
	s_and_b64 exec, exec, vcc
	s_cbranch_execz .LBB141_354
; %bb.359:                              ;   in Loop: Header=BB141_355 Depth=2
	v_lshlrev_b16_e32 v9, 8, v9
	v_or_b32_e32 v9, 1, v9
	ds_write_b16 v15, v9 offset:3072
	s_branch .LBB141_354
.LBB141_360:                            ;   in Loop: Header=BB141_31 Depth=1
                                        ; implicit-def: $vgpr2_vgpr3
	s_branch .LBB141_307
.LBB141_361:                            ;   in Loop: Header=BB141_31 Depth=1
                                        ; implicit-def: $vgpr2_vgpr3
	s_branch .LBB141_321
.LBB141_362:                            ;   in Loop: Header=BB141_31 Depth=1
	s_mov_b64 s[24:25], -1
	s_mov_b64 s[4:5], 0
                                        ; implicit-def: $sgpr36_sgpr37
                                        ; implicit-def: $vgpr43
	s_mov_b64 s[40:41], s[24:25]
	s_cbranch_execnz .LBB141_365
	s_branch .LBB141_378
.LBB141_363:                            ;   in Loop: Header=BB141_31 Depth=1
	s_or_b64 exec, exec, s[4:5]
	v_lshrrev_b16_e32 v43, 8, v9
	s_and_b64 s[4:5], s[36:37], exec
.LBB141_364:                            ;   in Loop: Header=BB141_31 Depth=1
	s_or_b64 exec, exec, s[24:25]
	s_mov_b64 s[24:25], 0
	s_mov_b64 s[36:37], -1
	s_mov_b64 s[40:41], s[24:25]
	s_branch .LBB141_378
.LBB141_365:                            ;   in Loop: Header=BB141_31 Depth=1
	v_readlane_b32 s36, v52, 33
	v_readlane_b32 s37, v52, 34
	s_mov_b32 s36, s81
	s_cmp_lg_u64 s[36:37], 0
	v_writelane_b32 v52, s36, 33
	v_writelane_b32 v52, s37, 34
	s_cbranch_scc0 .LBB141_407
; %bb.366:                              ;   in Loop: Header=BB141_31 Depth=1
	v_cvt_f32_u32_e32 v4, s33
	s_sub_u32 s0, 0, s33
	s_subb_u32 s1, 0, 0
	v_mac_f32_e32 v4, 0, v40
	v_rcp_f32_e32 v4, v4
	v_mul_f32_e32 v4, 0x5f7ffffc, v4
	v_mul_f32_e32 v5, 0x2f800000, v4
	v_trunc_f32_e32 v5, v5
	v_mac_f32_e32 v4, 0xcf800000, v5
	v_cvt_u32_f32_e32 v5, v5
	v_cvt_u32_f32_e32 v4, v4
	v_readfirstlane_b32 s4, v5
	v_readfirstlane_b32 s5, v4
	s_mul_i32 s8, s0, s4
	s_mul_hi_u32 s24, s0, s5
	s_mul_i32 s9, s1, s5
	s_add_i32 s8, s24, s8
	s_mul_i32 s25, s0, s5
	s_add_i32 s8, s8, s9
	s_mul_hi_u32 s24, s5, s25
	s_mul_hi_u32 s9, s5, s8
	s_mul_i32 s5, s5, s8
	s_add_u32 s5, s24, s5
	s_addc_u32 s9, 0, s9
	s_mul_hi_u32 s36, s4, s25
	s_mul_i32 s25, s4, s25
	s_add_u32 s5, s5, s25
	s_mul_hi_u32 s24, s4, s8
	s_addc_u32 s5, s9, s36
	s_addc_u32 s9, s24, 0
	s_mul_i32 s8, s4, s8
	s_add_u32 s5, s5, s8
	s_addc_u32 s8, 0, s9
	v_add_co_u32_e32 v4, vcc, s5, v4
	s_cmp_lg_u64 vcc, 0
	s_addc_u32 s4, s4, s8
	v_readfirstlane_b32 s8, v4
	s_mul_i32 s5, s0, s4
	s_mul_hi_u32 s9, s0, s8
	s_add_i32 s5, s9, s5
	s_mul_i32 s1, s1, s8
	s_add_i32 s5, s5, s1
	s_mul_i32 s0, s0, s8
	s_mul_hi_u32 s9, s4, s0
	s_mul_i32 s24, s4, s0
	s_mul_i32 s36, s8, s5
	s_mul_hi_u32 s0, s8, s0
	s_mul_hi_u32 s25, s8, s5
	s_add_u32 s0, s0, s36
	s_addc_u32 s8, 0, s25
	s_add_u32 s0, s0, s24
	s_mul_hi_u32 s1, s4, s5
	s_addc_u32 s0, s8, s9
	s_addc_u32 s1, s1, 0
	s_mul_i32 s5, s4, s5
	s_add_u32 s0, s0, s5
	s_addc_u32 s1, 0, s1
	v_add_co_u32_e32 v4, vcc, s0, v4
	s_cmp_lg_u64 vcc, 0
	s_addc_u32 s0, s4, s1
	v_readlane_b32 s24, v52, 31
	v_readfirstlane_b32 s5, v4
	s_mul_i32 s4, s24, s0
	s_mul_hi_u32 s8, s24, s5
	s_mul_hi_u32 s1, s24, s0
	s_add_u32 s4, s8, s4
	s_addc_u32 s1, 0, s1
	s_mul_hi_u32 s9, s37, s5
	s_mul_i32 s5, s37, s5
	s_add_u32 s4, s4, s5
	s_mul_hi_u32 s8, s37, s0
	s_addc_u32 s1, s1, s9
	s_addc_u32 s4, s8, 0
	s_mul_i32 s0, s37, s0
	s_add_u32 s0, s1, s0
	s_addc_u32 s1, 0, s4
	s_mul_hi_u32 s4, s33, s0
	s_mul_i32 s0, s33, s0
	s_mul_i32 s1, s33, s1
	v_mov_b32_e32 v4, s0
	s_add_i32 s4, s4, s1
	v_sub_co_u32_e32 v4, vcc, s24, v4
	s_cmp_lg_u64 vcc, 0
	s_subb_u32 s0, s37, s4
	v_subrev_co_u32_e32 v5, vcc, s33, v4
	s_cmp_lg_u64 vcc, 0
	s_subb_u32 s1, s0, 0
	v_subrev_co_u32_e32 v6, vcc, s33, v5
	s_cmp_lg_u64 vcc, 0
	s_subb_u32 s4, s1, 0
	v_cmp_le_u32_e32 vcc, s33, v5
	s_cmp_eq_u32 s1, 0
	v_cndmask_b32_e64 v7, 0, -1, vcc
	s_cselect_b64 vcc, -1, 0
	v_cndmask_b32_e32 v7, -1, v7, vcc
	v_mov_b32_e32 v8, s1
	v_mov_b32_e32 v9, s4
	v_cmp_ne_u32_e32 vcc, 0, v7
	v_cndmask_b32_e32 v7, v8, v9, vcc
	v_cndmask_b32_e32 v6, v5, v6, vcc
	v_cmp_le_u32_e32 vcc, s33, v4
	s_cmp_eq_u32 s0, 0
	v_cndmask_b32_e64 v5, 0, -1, vcc
	s_cselect_b64 vcc, -1, 0
	v_cndmask_b32_e32 v5, -1, v5, vcc
	v_mov_b32_e32 v8, s0
	v_cmp_ne_u32_e32 vcc, 0, v5
	v_cndmask_b32_e32 v5, v8, v7, vcc
	v_cndmask_b32_e32 v4, v4, v6, vcc
	s_cbranch_execnz .LBB141_368
.LBB141_367:                            ;   in Loop: Header=BB141_31 Depth=1
	v_cvt_f32_u32_e32 v4, s33
	s_sub_i32 s0, 0, s33
	v_rcp_iflag_f32_e32 v4, v4
	v_mul_f32_e32 v4, 0x4f7ffffe, v4
	v_cvt_u32_f32_e32 v4, v4
	v_mul_lo_u32 v5, s0, v4
	v_mul_hi_u32 v5, v4, v5
	v_add_u32_e32 v4, v4, v5
	v_readlane_b32 s0, v52, 31
	v_mul_hi_u32 v4, s0, v4
	v_mul_lo_u32 v4, v4, s33
	v_sub_u32_e32 v4, s0, v4
	v_subrev_u32_e32 v5, s33, v4
	v_cmp_le_u32_e32 vcc, s33, v4
	v_cndmask_b32_e32 v4, v4, v5, vcc
	v_subrev_u32_e32 v5, s33, v4
	v_cmp_le_u32_e32 vcc, s33, v4
	v_cndmask_b32_e32 v14, v4, v5, vcc
	v_pk_mov_b32 v[4:5], v[14:15], v[14:15] op_sel:[0,1]
.LBB141_368:                            ;   in Loop: Header=BB141_31 Depth=1
	v_readlane_b32 s0, v52, 33
	v_readlane_b32 s1, v52, 34
	;; [unrolled: 1-line block ×3, first 2 shown]
	v_mov_b32_e32 v6, s1
	v_sub_co_u32_e32 v4, vcc, s0, v4
	v_subb_co_u32_e32 v5, vcc, v6, v5, vcc
	v_cmp_gt_u64_e32 vcc, v[4:5], v[0:1]
	s_mov_b64 s[4:5], 0
                                        ; implicit-def: $vgpr43
	s_and_saveexec_b64 s[0:1], vcc
	s_cbranch_execz .LBB141_377
; %bb.369:                              ;   in Loop: Header=BB141_31 Depth=1
	v_pk_mov_b32 v[6:7], v[26:27], v[26:27] op_sel:[0,1]
	v_pk_mov_b32 v[8:9], v[0:1], v[0:1] op_sel:[0,1]
                                        ; implicit-def: $sgpr24_sgpr25
	s_branch .LBB141_371
.LBB141_370:                            ;   in Loop: Header=BB141_371 Depth=2
	s_or_b64 exec, exec, s[36:37]
	s_waitcnt lgkmcnt(0)
	s_barrier
	s_waitcnt vmcnt(0)
	ds_read_u16 v14, v15 offset:3072
	v_mov_b32_e32 v28, s64
	v_add_co_u32_e32 v8, vcc, s33, v8
	v_addc_co_u32_e32 v9, vcc, v9, v28, vcc
	s_waitcnt lgkmcnt(0)
	v_cmp_ne_u16_sdwa s[8:9], v14, v15 src0_sel:BYTE_0 src1_sel:DWORD
	v_cmp_ge_u64_e32 vcc, v[8:9], v[4:5]
	s_or_b64 s[36:37], vcc, s[8:9]
	s_and_b64 s[36:37], exec, s[36:37]
	s_mul_i32 s40, s58, s33
	s_or_b64 s[4:5], s[36:37], s[4:5]
	v_mov_b32_e32 v28, s65
	v_add_co_u32_e32 v6, vcc, s40, v6
	s_andn2_b64 s[24:25], s[24:25], exec
	s_and_b64 s[8:9], s[8:9], exec
	v_addc_co_u32_e32 v7, vcc, v7, v28, vcc
	s_or_b64 s[24:25], s[24:25], s[8:9]
	s_barrier
	s_andn2_b64 exec, exec, s[4:5]
	s_cbranch_execz .LBB141_376
.LBB141_371:                            ;   Parent Loop BB141_31 Depth=1
                                        ; =>  This Inner Loop Header: Depth=2
	v_cmp_gt_u64_e32 vcc, s[60:61], v[8:9]
	v_mov_b32_e32 v14, 0
	s_and_saveexec_b64 s[36:37], vcc
	s_cbranch_execz .LBB141_373
; %bb.372:                              ;   in Loop: Header=BB141_371 Depth=2
	global_load_ubyte v14, v[6:7], off
.LBB141_373:                            ;   in Loop: Header=BB141_371 Depth=2
	s_or_b64 exec, exec, s[36:37]
	s_and_saveexec_b64 s[36:37], vcc
	s_cbranch_execz .LBB141_370
; %bb.374:                              ;   in Loop: Header=BB141_371 Depth=2
	s_waitcnt vmcnt(0)
	v_add_u32_sdwa v28, sext(v14), s31 dst_sel:DWORD dst_unused:UNUSED_PAD src0_sel:BYTE_0 src1_sel:DWORD
	v_and_b32_e32 v28, v28, v41
	v_cmp_eq_u32_e32 vcc, v28, v42
	s_and_b64 exec, exec, vcc
	s_cbranch_execz .LBB141_370
; %bb.375:                              ;   in Loop: Header=BB141_371 Depth=2
	v_lshlrev_b16_e32 v14, 8, v14
	v_or_b32_e32 v14, 1, v14
	ds_write_b16 v15, v14 offset:3072
	s_branch .LBB141_370
.LBB141_376:                            ;   in Loop: Header=BB141_31 Depth=1
	s_or_b64 exec, exec, s[4:5]
	v_lshrrev_b16_e32 v43, 8, v14
	s_and_b64 s[4:5], s[24:25], exec
.LBB141_377:                            ;   in Loop: Header=BB141_31 Depth=1
	s_or_b64 exec, exec, s[0:1]
	s_mov_b64 s[36:37], 0
	s_mov_b64 s[24:25], -1
	s_mov_b64 s[40:41], 0
.LBB141_378:                            ;   in Loop: Header=BB141_31 Depth=1
	s_orn2_b64 s[0:1], s[4:5], exec
.LBB141_379:                            ;   in Loop: Header=BB141_31 Depth=1
	s_or_b64 exec, exec, s[42:43]
	s_mov_b64 s[46:47], 0
                                        ; implicit-def: $vgpr6
	s_and_saveexec_b64 s[42:43], s[0:1]
	s_cbranch_execz .LBB141_492
; %bb.380:                              ;   in Loop: Header=BB141_31 Depth=1
	v_mov_b32_e32 v4, 1
	s_xor_b64 s[4:5], s[44:45], -1
	v_mov_b32_e32 v5, 0
	v_mov_b32_e32 v6, 1
	s_and_saveexec_b64 s[0:1], s[4:5]
	s_cbranch_execz .LBB141_390
; %bb.381:                              ;   in Loop: Header=BB141_31 Depth=1
	v_cmp_ge_u64_e32 vcc, s[22:23], v[2:3]
                                        ; implicit-def: $sgpr8
                                        ; implicit-def: $sgpr4_sgpr5
	s_and_saveexec_b64 s[44:45], vcc
	s_xor_b64 s[44:45], exec, s[44:45]
	s_cbranch_execz .LBB141_387
; %bb.382:                              ;   in Loop: Header=BB141_31 Depth=1
	ds_read_b64 v[4:5], v15 offset:5120
	s_waitcnt lgkmcnt(0)
	v_cmp_ne_u64_e32 vcc, 0, v[4:5]
	s_cbranch_vccnz .LBB141_386
; %bb.383:                              ;   in Loop: Header=BB141_31 Depth=1
	s_mov_b64 s[4:5], exec
	v_readlane_b32 s8, v52, 10
	v_readlane_b32 s9, v52, 11
	s_and_b64 s[8:9], s[4:5], s[8:9]
	s_mov_b64 exec, s[8:9]
	s_cbranch_execz .LBB141_385
; %bb.384:                              ;   in Loop: Header=BB141_31 Depth=1
	v_pk_mov_b32 v[4:5], s[22:23], s[22:23] op_sel:[0,1]
	ds_write_b64 v15, v[4:5] offset:5128
.LBB141_385:                            ;   in Loop: Header=BB141_31 Depth=1
	s_or_b64 exec, exec, s[4:5]
	s_waitcnt lgkmcnt(0)
	s_barrier
.LBB141_386:                            ;   in Loop: Header=BB141_31 Depth=1
	v_readlane_b32 s4, v52, 58
	v_and_b32_e32 v4, s4, v42
	v_readlane_b32 s4, v52, 57
	v_lshl_or_b32 v42, 2, s4, v4
	v_or_b32_e32 v41, s80, v41
	s_mov_b64 s[4:5], 0
	s_mov_b32 s8, 5
.LBB141_387:                            ;   in Loop: Header=BB141_31 Depth=1
	s_or_saveexec_b64 s[44:45], s[44:45]
	v_mov_b32_e32 v6, s8
	s_xor_b64 exec, exec, s[44:45]
; %bb.388:                              ;   in Loop: Header=BB141_31 Depth=1
	v_mov_b32_e32 v4, s23
	v_subrev_co_u32_e32 v2, vcc, s22, v2
	v_subb_co_u32_e32 v3, vcc, v3, v4, vcc
	v_mov_b32_e32 v6, 0
	s_or_b64 s[4:5], s[4:5], exec
; %bb.389:                              ;   in Loop: Header=BB141_31 Depth=1
	s_or_b64 exec, exec, s[44:45]
	s_and_b64 s[46:47], s[4:5], exec
	v_pk_mov_b32 v[4:5], v[2:3], v[2:3] op_sel:[0,1]
.LBB141_390:                            ;   in Loop: Header=BB141_31 Depth=1
	s_or_b64 exec, exec, s[0:1]
	s_mov_b64 s[0:1], -1
                                        ; implicit-def: $sgpr4_sgpr5
                                        ; implicit-def: $sgpr44_sgpr45
                                        ; implicit-def: $sgpr50_sgpr51
	s_and_saveexec_b64 s[22:23], s[46:47]
	s_cbranch_execz .LBB141_491
; %bb.391:                              ;   in Loop: Header=BB141_31 Depth=1
	s_cmp_eq_u64 s[18:19], 1
	s_cselect_b64 s[0:1], -1, 0
	v_cmp_eq_u64_e32 vcc, 1, v[4:5]
	s_and_b64 s[52:53], s[0:1], vcc
	s_mov_b64 s[4:5], -1
                                        ; implicit-def: $sgpr44_sgpr45
                                        ; implicit-def: $sgpr46_sgpr47
                                        ; implicit-def: $sgpr48_sgpr49
	s_and_saveexec_b64 s[50:51], s[52:53]
	s_cbranch_execz .LBB141_425
; %bb.392:                              ;   in Loop: Header=BB141_31 Depth=1
	ds_read_b64 v[2:3], v15 offset:5120
	s_waitcnt lgkmcnt(0)
	s_barrier
	v_readfirstlane_b32 s0, v2
	v_readfirstlane_b32 s1, v3
	s_mov_b64 s[4:5], exec
	v_readlane_b32 s8, v52, 26
	v_readlane_b32 s9, v52, 27
	s_and_b64 s[8:9], s[4:5], s[8:9]
	s_mov_b64 exec, s[8:9]
	s_cbranch_execz .LBB141_394
; %bb.393:                              ;   in Loop: Header=BB141_31 Depth=1
	ds_write_b8 v0, v15 offset:3072
.LBB141_394:                            ;   in Loop: Header=BB141_31 Depth=1
	s_or_b64 exec, exec, s[4:5]
	v_readlane_b32 s4, v52, 58
	v_and_b32_e32 v2, s4, v42
	v_readlane_b32 s4, v52, 57
	v_lshl_or_b32 v42, 1, s4, v2
	v_or_b32_e32 v41, s80, v41
	s_cmp_eq_u64 s[0:1], 0
	s_waitcnt lgkmcnt(0)
	s_barrier
	s_cbranch_scc1 .LBB141_408
; %bb.395:                              ;   in Loop: Header=BB141_31 Depth=1
	v_readlane_b32 s4, v52, 30
	s_add_u32 s8, s4, s0
	v_readlane_b32 s4, v52, 32
	s_addc_u32 s5, s4, s1
	s_mov_b32 s4, s81
	s_cmp_lg_u64 s[4:5], 0
	s_cbranch_scc0 .LBB141_443
; %bb.396:                              ;   in Loop: Header=BB141_31 Depth=1
	v_cvt_f32_u32_e32 v2, s33
	s_sub_u32 s4, 0, s33
	s_subb_u32 s9, 0, 0
	v_mac_f32_e32 v2, 0, v40
	v_rcp_f32_e32 v2, v2
	v_mul_f32_e32 v2, 0x5f7ffffc, v2
	v_mul_f32_e32 v3, 0x2f800000, v2
	v_trunc_f32_e32 v3, v3
	v_mac_f32_e32 v2, 0xcf800000, v3
	v_cvt_u32_f32_e32 v3, v3
	v_cvt_u32_f32_e32 v2, v2
	v_readfirstlane_b32 s44, v3
	v_readfirstlane_b32 s45, v2
	s_mul_i32 s46, s4, s44
	s_mul_hi_u32 s48, s4, s45
	s_mul_i32 s47, s9, s45
	s_add_i32 s46, s48, s46
	s_mul_i32 s49, s4, s45
	s_add_i32 s46, s46, s47
	s_mul_hi_u32 s48, s45, s49
	s_mul_hi_u32 s47, s45, s46
	s_mul_i32 s45, s45, s46
	s_add_u32 s45, s48, s45
	s_addc_u32 s47, 0, s47
	s_mul_hi_u32 s54, s44, s49
	s_mul_i32 s49, s44, s49
	s_add_u32 s45, s45, s49
	s_mul_hi_u32 s48, s44, s46
	s_addc_u32 s45, s47, s54
	s_addc_u32 s47, s48, 0
	s_mul_i32 s46, s44, s46
	s_add_u32 s45, s45, s46
	s_addc_u32 s46, 0, s47
	v_add_co_u32_e32 v2, vcc, s45, v2
	s_cmp_lg_u64 vcc, 0
	s_addc_u32 s44, s44, s46
	v_readfirstlane_b32 s46, v2
	s_mul_i32 s45, s4, s44
	s_mul_hi_u32 s47, s4, s46
	s_add_i32 s45, s47, s45
	s_mul_i32 s9, s9, s46
	s_add_i32 s45, s45, s9
	s_mul_i32 s4, s4, s46
	s_mul_hi_u32 s47, s44, s4
	s_mul_i32 s48, s44, s4
	s_mul_i32 s54, s46, s45
	s_mul_hi_u32 s4, s46, s4
	s_mul_hi_u32 s49, s46, s45
	s_add_u32 s4, s4, s54
	s_addc_u32 s46, 0, s49
	s_add_u32 s4, s4, s48
	s_mul_hi_u32 s9, s44, s45
	s_addc_u32 s4, s46, s47
	s_addc_u32 s9, s9, 0
	s_mul_i32 s45, s44, s45
	s_add_u32 s4, s4, s45
	s_addc_u32 s9, 0, s9
	v_add_co_u32_e32 v2, vcc, s4, v2
	s_cmp_lg_u64 vcc, 0
	s_addc_u32 s4, s44, s9
	v_readfirstlane_b32 s45, v2
	s_mul_i32 s44, s8, s4
	s_mul_hi_u32 s46, s8, s45
	s_mul_hi_u32 s9, s8, s4
	s_add_u32 s44, s46, s44
	s_addc_u32 s9, 0, s9
	s_mul_hi_u32 s47, s5, s45
	s_mul_i32 s45, s5, s45
	s_add_u32 s44, s44, s45
	s_mul_hi_u32 s46, s5, s4
	s_addc_u32 s9, s9, s47
	s_addc_u32 s44, s46, 0
	s_mul_i32 s4, s5, s4
	s_add_u32 s4, s9, s4
	s_addc_u32 s9, 0, s44
	s_mul_hi_u32 s44, s33, s4
	s_mul_i32 s4, s33, s4
	s_mul_i32 s9, s33, s9
	v_mov_b32_e32 v2, s4
	s_add_i32 s44, s44, s9
	v_sub_co_u32_e32 v2, vcc, s8, v2
	s_cmp_lg_u64 vcc, 0
	s_subb_u32 s4, s5, s44
	v_subrev_co_u32_e32 v3, vcc, s33, v2
	s_cmp_lg_u64 vcc, 0
	s_subb_u32 s9, s4, 0
	v_subrev_co_u32_e32 v6, vcc, s33, v3
	s_cmp_lg_u64 vcc, 0
	s_subb_u32 s44, s9, 0
	v_cmp_le_u32_e32 vcc, s33, v3
	s_cmp_eq_u32 s9, 0
	v_cndmask_b32_e64 v7, 0, -1, vcc
	s_cselect_b64 vcc, -1, 0
	v_cndmask_b32_e32 v7, -1, v7, vcc
	v_mov_b32_e32 v8, s9
	v_mov_b32_e32 v9, s44
	v_cmp_ne_u32_e32 vcc, 0, v7
	v_cndmask_b32_e32 v7, v8, v9, vcc
	v_cndmask_b32_e32 v6, v3, v6, vcc
	v_cmp_le_u32_e32 vcc, s33, v2
	s_cmp_eq_u32 s4, 0
	v_cndmask_b32_e64 v3, 0, -1, vcc
	s_cselect_b64 vcc, -1, 0
	v_cndmask_b32_e32 v3, -1, v3, vcc
	v_mov_b32_e32 v8, s4
	v_cmp_ne_u32_e32 vcc, 0, v3
	v_cndmask_b32_e32 v3, v8, v7, vcc
	v_cndmask_b32_e32 v2, v2, v6, vcc
	s_cbranch_execnz .LBB141_398
.LBB141_397:                            ;   in Loop: Header=BB141_31 Depth=1
	v_cvt_f32_u32_e32 v2, s33
	s_sub_i32 s4, 0, s33
	v_rcp_iflag_f32_e32 v2, v2
	v_mul_f32_e32 v2, 0x4f7ffffe, v2
	v_cvt_u32_f32_e32 v2, v2
	v_mul_lo_u32 v3, s4, v2
	v_mul_hi_u32 v3, v2, v3
	v_add_u32_e32 v2, v2, v3
	v_mul_hi_u32 v2, s8, v2
	v_mul_lo_u32 v2, v2, s33
	v_sub_u32_e32 v2, s8, v2
	v_subrev_u32_e32 v3, s33, v2
	v_cmp_le_u32_e32 vcc, s33, v2
	v_cndmask_b32_e32 v2, v2, v3, vcc
	v_subrev_u32_e32 v3, s33, v2
	v_cmp_le_u32_e32 vcc, s33, v2
	v_cndmask_b32_e32 v14, v2, v3, vcc
	v_pk_mov_b32 v[2:3], v[14:15], v[14:15] op_sel:[0,1]
.LBB141_398:                            ;   in Loop: Header=BB141_31 Depth=1
	v_mov_b32_e32 v6, s5
	v_sub_co_u32_e32 v2, vcc, s8, v2
	v_subb_co_u32_e32 v3, vcc, v6, v3, vcc
	v_cmp_gt_u64_e32 vcc, v[2:3], v[0:1]
	s_mov_b64 s[4:5], 0
                                        ; implicit-def: $vgpr43
	s_and_saveexec_b64 s[44:45], vcc
	s_cbranch_execz .LBB141_410
; %bb.399:                              ;   in Loop: Header=BB141_31 Depth=1
	v_mov_b32_e32 v8, v0
	v_pk_mov_b32 v[6:7], v[0:1], v[0:1] op_sel:[0,1]
                                        ; implicit-def: $sgpr46_sgpr47
	s_branch .LBB141_401
.LBB141_400:                            ;   in Loop: Header=BB141_401 Depth=2
	s_or_b64 exec, exec, s[48:49]
	s_waitcnt lgkmcnt(0)
	s_barrier
	ds_read_u16 v9, v15 offset:3072
	v_mov_b32_e32 v14, s64
	v_add_co_u32_e32 v6, vcc, s33, v6
	v_addc_co_u32_e32 v7, vcc, v7, v14, vcc
	s_waitcnt lgkmcnt(0)
	v_cmp_ne_u16_sdwa s[8:9], v9, v15 src0_sel:BYTE_0 src1_sel:DWORD
	v_cmp_ge_u64_e32 vcc, v[6:7], v[2:3]
	s_or_b64 s[48:49], vcc, s[8:9]
	s_and_b64 s[48:49], exec, s[48:49]
	s_or_b64 s[4:5], s[48:49], s[4:5]
	s_andn2_b64 s[46:47], s[46:47], exec
	s_and_b64 s[8:9], s[8:9], exec
	v_add_u32_e32 v8, s33, v8
	s_or_b64 s[46:47], s[46:47], s[8:9]
	s_barrier
	s_andn2_b64 exec, exec, s[4:5]
	s_cbranch_execz .LBB141_409
.LBB141_401:                            ;   Parent Loop BB141_31 Depth=1
                                        ; =>  This Inner Loop Header: Depth=2
	v_cmp_gt_u64_e32 vcc, s[0:1], v[6:7]
	v_mov_b32_e32 v9, 0
	s_and_saveexec_b64 s[48:49], vcc
	s_cbranch_execz .LBB141_403
; %bb.402:                              ;   in Loop: Header=BB141_401 Depth=2
	ds_read_u8 v9, v8
.LBB141_403:                            ;   in Loop: Header=BB141_401 Depth=2
	s_or_b64 exec, exec, s[48:49]
	s_and_saveexec_b64 s[48:49], vcc
	s_cbranch_execz .LBB141_400
; %bb.404:                              ;   in Loop: Header=BB141_401 Depth=2
	s_waitcnt lgkmcnt(0)
	v_add_u32_sdwa v14, sext(v9), s31 dst_sel:DWORD dst_unused:UNUSED_PAD src0_sel:BYTE_0 src1_sel:DWORD
	v_and_b32_e32 v14, v14, v41
	v_cmp_eq_u32_e32 vcc, v14, v42
	s_and_b64 exec, exec, vcc
	s_cbranch_execz .LBB141_400
; %bb.405:                              ;   in Loop: Header=BB141_401 Depth=2
	v_lshlrev_b16_e32 v9, 8, v9
	v_or_b32_e32 v9, 1, v9
	ds_write_b16 v15, v9 offset:3072
	s_branch .LBB141_400
.LBB141_406:                            ;   in Loop: Header=BB141_31 Depth=1
                                        ; implicit-def: $vgpr4_vgpr5
	s_branch .LBB141_351
.LBB141_407:                            ;   in Loop: Header=BB141_31 Depth=1
                                        ; implicit-def: $vgpr4_vgpr5
	s_branch .LBB141_367
.LBB141_408:                            ;   in Loop: Header=BB141_31 Depth=1
	s_mov_b64 s[44:45], -1
	s_mov_b64 s[4:5], 0
                                        ; implicit-def: $sgpr46_sgpr47
                                        ; implicit-def: $vgpr43
	s_mov_b64 s[48:49], s[44:45]
	s_cbranch_execnz .LBB141_411
	s_branch .LBB141_424
.LBB141_409:                            ;   in Loop: Header=BB141_31 Depth=1
	s_or_b64 exec, exec, s[4:5]
	v_lshrrev_b16_e32 v43, 8, v9
	s_and_b64 s[4:5], s[46:47], exec
.LBB141_410:                            ;   in Loop: Header=BB141_31 Depth=1
	s_or_b64 exec, exec, s[44:45]
	s_mov_b64 s[44:45], 0
	s_mov_b64 s[46:47], -1
	s_mov_b64 s[48:49], s[44:45]
	s_branch .LBB141_424
.LBB141_411:                            ;   in Loop: Header=BB141_31 Depth=1
	v_readlane_b32 s46, v52, 33
	v_readlane_b32 s47, v52, 34
	s_mov_b32 s46, s81
	s_cmp_lg_u64 s[46:47], 0
	v_writelane_b32 v52, s46, 33
	v_writelane_b32 v52, s47, 34
	s_cbranch_scc0 .LBB141_444
; %bb.412:                              ;   in Loop: Header=BB141_31 Depth=1
	v_cvt_f32_u32_e32 v2, s33
	s_sub_u32 s0, 0, s33
	s_subb_u32 s1, 0, 0
	v_mac_f32_e32 v2, 0, v40
	v_rcp_f32_e32 v2, v2
	v_mul_f32_e32 v2, 0x5f7ffffc, v2
	v_mul_f32_e32 v3, 0x2f800000, v2
	v_trunc_f32_e32 v3, v3
	v_mac_f32_e32 v2, 0xcf800000, v3
	v_cvt_u32_f32_e32 v3, v3
	v_cvt_u32_f32_e32 v2, v2
	v_readfirstlane_b32 s4, v3
	v_readfirstlane_b32 s5, v2
	s_mul_i32 s8, s0, s4
	s_mul_hi_u32 s44, s0, s5
	s_mul_i32 s9, s1, s5
	s_add_i32 s8, s44, s8
	s_mul_i32 s45, s0, s5
	s_add_i32 s8, s8, s9
	s_mul_hi_u32 s44, s5, s45
	s_mul_hi_u32 s9, s5, s8
	s_mul_i32 s5, s5, s8
	s_add_u32 s5, s44, s5
	s_addc_u32 s9, 0, s9
	s_mul_hi_u32 s46, s4, s45
	s_mul_i32 s45, s4, s45
	s_add_u32 s5, s5, s45
	s_mul_hi_u32 s44, s4, s8
	s_addc_u32 s5, s9, s46
	s_addc_u32 s9, s44, 0
	s_mul_i32 s8, s4, s8
	s_add_u32 s5, s5, s8
	s_addc_u32 s8, 0, s9
	v_add_co_u32_e32 v2, vcc, s5, v2
	s_cmp_lg_u64 vcc, 0
	s_addc_u32 s4, s4, s8
	v_readfirstlane_b32 s8, v2
	s_mul_i32 s5, s0, s4
	s_mul_hi_u32 s9, s0, s8
	s_add_i32 s5, s9, s5
	s_mul_i32 s1, s1, s8
	s_add_i32 s5, s5, s1
	s_mul_i32 s0, s0, s8
	s_mul_hi_u32 s9, s4, s0
	s_mul_i32 s44, s4, s0
	s_mul_i32 s46, s8, s5
	s_mul_hi_u32 s0, s8, s0
	s_mul_hi_u32 s45, s8, s5
	s_add_u32 s0, s0, s46
	s_addc_u32 s8, 0, s45
	s_add_u32 s0, s0, s44
	s_mul_hi_u32 s1, s4, s5
	s_addc_u32 s0, s8, s9
	s_addc_u32 s1, s1, 0
	s_mul_i32 s5, s4, s5
	s_add_u32 s0, s0, s5
	s_addc_u32 s1, 0, s1
	v_add_co_u32_e32 v2, vcc, s0, v2
	s_cmp_lg_u64 vcc, 0
	s_addc_u32 s0, s4, s1
	v_readlane_b32 s44, v52, 31
	v_readfirstlane_b32 s5, v2
	s_mul_i32 s4, s44, s0
	s_mul_hi_u32 s8, s44, s5
	s_mul_hi_u32 s1, s44, s0
	s_add_u32 s4, s8, s4
	s_addc_u32 s1, 0, s1
	s_mul_hi_u32 s9, s47, s5
	s_mul_i32 s5, s47, s5
	s_add_u32 s4, s4, s5
	s_mul_hi_u32 s8, s47, s0
	s_addc_u32 s1, s1, s9
	s_addc_u32 s4, s8, 0
	s_mul_i32 s0, s47, s0
	s_add_u32 s0, s1, s0
	s_addc_u32 s1, 0, s4
	s_mul_hi_u32 s4, s33, s0
	s_mul_i32 s0, s33, s0
	s_mul_i32 s1, s33, s1
	v_mov_b32_e32 v2, s0
	s_add_i32 s4, s4, s1
	v_sub_co_u32_e32 v2, vcc, s44, v2
	s_cmp_lg_u64 vcc, 0
	s_subb_u32 s0, s47, s4
	v_subrev_co_u32_e32 v3, vcc, s33, v2
	s_cmp_lg_u64 vcc, 0
	s_subb_u32 s1, s0, 0
	v_subrev_co_u32_e32 v6, vcc, s33, v3
	s_cmp_lg_u64 vcc, 0
	s_subb_u32 s4, s1, 0
	v_cmp_le_u32_e32 vcc, s33, v3
	s_cmp_eq_u32 s1, 0
	v_cndmask_b32_e64 v7, 0, -1, vcc
	s_cselect_b64 vcc, -1, 0
	v_cndmask_b32_e32 v7, -1, v7, vcc
	v_mov_b32_e32 v8, s1
	v_mov_b32_e32 v9, s4
	v_cmp_ne_u32_e32 vcc, 0, v7
	v_cndmask_b32_e32 v7, v8, v9, vcc
	v_cndmask_b32_e32 v6, v3, v6, vcc
	v_cmp_le_u32_e32 vcc, s33, v2
	s_cmp_eq_u32 s0, 0
	v_cndmask_b32_e64 v3, 0, -1, vcc
	s_cselect_b64 vcc, -1, 0
	v_cndmask_b32_e32 v3, -1, v3, vcc
	v_mov_b32_e32 v8, s0
	v_cmp_ne_u32_e32 vcc, 0, v3
	v_cndmask_b32_e32 v3, v8, v7, vcc
	v_cndmask_b32_e32 v2, v2, v6, vcc
	s_cbranch_execnz .LBB141_414
.LBB141_413:                            ;   in Loop: Header=BB141_31 Depth=1
	v_cvt_f32_u32_e32 v2, s33
	s_sub_i32 s0, 0, s33
	v_rcp_iflag_f32_e32 v2, v2
	v_mul_f32_e32 v2, 0x4f7ffffe, v2
	v_cvt_u32_f32_e32 v2, v2
	v_mul_lo_u32 v3, s0, v2
	v_mul_hi_u32 v3, v2, v3
	v_add_u32_e32 v2, v2, v3
	v_readlane_b32 s0, v52, 31
	v_mul_hi_u32 v2, s0, v2
	v_mul_lo_u32 v2, v2, s33
	v_sub_u32_e32 v2, s0, v2
	v_subrev_u32_e32 v3, s33, v2
	v_cmp_le_u32_e32 vcc, s33, v2
	v_cndmask_b32_e32 v2, v2, v3, vcc
	v_subrev_u32_e32 v3, s33, v2
	v_cmp_le_u32_e32 vcc, s33, v2
	v_cndmask_b32_e32 v14, v2, v3, vcc
	v_pk_mov_b32 v[2:3], v[14:15], v[14:15] op_sel:[0,1]
.LBB141_414:                            ;   in Loop: Header=BB141_31 Depth=1
	v_readlane_b32 s0, v52, 33
	v_readlane_b32 s1, v52, 34
	;; [unrolled: 1-line block ×3, first 2 shown]
	v_mov_b32_e32 v6, s1
	v_sub_co_u32_e32 v2, vcc, s0, v2
	v_subb_co_u32_e32 v3, vcc, v6, v3, vcc
	v_cmp_gt_u64_e32 vcc, v[2:3], v[0:1]
	s_mov_b64 s[4:5], 0
                                        ; implicit-def: $vgpr43
	s_and_saveexec_b64 s[0:1], vcc
	s_cbranch_execz .LBB141_423
; %bb.415:                              ;   in Loop: Header=BB141_31 Depth=1
	v_pk_mov_b32 v[6:7], v[26:27], v[26:27] op_sel:[0,1]
	v_pk_mov_b32 v[8:9], v[0:1], v[0:1] op_sel:[0,1]
                                        ; implicit-def: $sgpr44_sgpr45
	s_branch .LBB141_417
.LBB141_416:                            ;   in Loop: Header=BB141_417 Depth=2
	s_or_b64 exec, exec, s[46:47]
	s_waitcnt lgkmcnt(0)
	s_barrier
	s_waitcnt vmcnt(0)
	ds_read_u16 v14, v15 offset:3072
	v_mov_b32_e32 v28, s64
	v_add_co_u32_e32 v8, vcc, s33, v8
	v_addc_co_u32_e32 v9, vcc, v9, v28, vcc
	s_waitcnt lgkmcnt(0)
	v_cmp_ne_u16_sdwa s[8:9], v14, v15 src0_sel:BYTE_0 src1_sel:DWORD
	v_cmp_ge_u64_e32 vcc, v[8:9], v[2:3]
	s_or_b64 s[46:47], vcc, s[8:9]
	s_and_b64 s[46:47], exec, s[46:47]
	s_mul_i32 s48, s58, s33
	s_or_b64 s[4:5], s[46:47], s[4:5]
	v_mov_b32_e32 v28, s65
	v_add_co_u32_e32 v6, vcc, s48, v6
	s_andn2_b64 s[44:45], s[44:45], exec
	s_and_b64 s[8:9], s[8:9], exec
	v_addc_co_u32_e32 v7, vcc, v7, v28, vcc
	s_or_b64 s[44:45], s[44:45], s[8:9]
	s_barrier
	s_andn2_b64 exec, exec, s[4:5]
	s_cbranch_execz .LBB141_422
.LBB141_417:                            ;   Parent Loop BB141_31 Depth=1
                                        ; =>  This Inner Loop Header: Depth=2
	v_cmp_gt_u64_e32 vcc, s[60:61], v[8:9]
	v_mov_b32_e32 v14, 0
	s_and_saveexec_b64 s[46:47], vcc
	s_cbranch_execz .LBB141_419
; %bb.418:                              ;   in Loop: Header=BB141_417 Depth=2
	global_load_ubyte v14, v[6:7], off
.LBB141_419:                            ;   in Loop: Header=BB141_417 Depth=2
	s_or_b64 exec, exec, s[46:47]
	s_and_saveexec_b64 s[46:47], vcc
	s_cbranch_execz .LBB141_416
; %bb.420:                              ;   in Loop: Header=BB141_417 Depth=2
	s_waitcnt vmcnt(0)
	v_add_u32_sdwa v28, sext(v14), s31 dst_sel:DWORD dst_unused:UNUSED_PAD src0_sel:BYTE_0 src1_sel:DWORD
	v_and_b32_e32 v28, v28, v41
	v_cmp_eq_u32_e32 vcc, v28, v42
	s_and_b64 exec, exec, vcc
	s_cbranch_execz .LBB141_416
; %bb.421:                              ;   in Loop: Header=BB141_417 Depth=2
	v_lshlrev_b16_e32 v14, 8, v14
	v_or_b32_e32 v14, 1, v14
	ds_write_b16 v15, v14 offset:3072
	s_branch .LBB141_416
.LBB141_422:                            ;   in Loop: Header=BB141_31 Depth=1
	s_or_b64 exec, exec, s[4:5]
	v_lshrrev_b16_e32 v43, 8, v14
	s_and_b64 s[4:5], s[44:45], exec
.LBB141_423:                            ;   in Loop: Header=BB141_31 Depth=1
	s_or_b64 exec, exec, s[0:1]
	s_mov_b64 s[46:47], 0
	s_mov_b64 s[44:45], -1
	s_mov_b64 s[48:49], 0
.LBB141_424:                            ;   in Loop: Header=BB141_31 Depth=1
	s_orn2_b64 s[4:5], s[4:5], exec
.LBB141_425:                            ;   in Loop: Header=BB141_31 Depth=1
	s_or_b64 exec, exec, s[50:51]
	s_mov_b64 s[0:1], 0
                                        ; implicit-def: $vgpr6
	s_and_saveexec_b64 s[50:51], s[4:5]
	s_cbranch_execz .LBB141_490
; %bb.426:                              ;   in Loop: Header=BB141_31 Depth=1
	v_mov_b32_e32 v2, 1
	s_xor_b64 s[4:5], s[52:53], -1
	s_mov_b64 s[54:55], 0
	v_mov_b32_e32 v3, 0
	v_mov_b32_e32 v6, 1
	s_and_saveexec_b64 s[0:1], s[4:5]
	s_cbranch_execz .LBB141_436
; %bb.427:                              ;   in Loop: Header=BB141_31 Depth=1
	v_cmp_ge_u64_e32 vcc, s[18:19], v[4:5]
                                        ; implicit-def: $sgpr8
                                        ; implicit-def: $sgpr4_sgpr5
	s_and_saveexec_b64 s[52:53], vcc
	s_xor_b64 s[52:53], exec, s[52:53]
	s_cbranch_execz .LBB141_433
; %bb.428:                              ;   in Loop: Header=BB141_31 Depth=1
	ds_read_b64 v[2:3], v15 offset:5120
	s_waitcnt lgkmcnt(0)
	v_cmp_ne_u64_e32 vcc, 0, v[2:3]
	s_cbranch_vccnz .LBB141_432
; %bb.429:                              ;   in Loop: Header=BB141_31 Depth=1
	s_mov_b64 s[4:5], exec
	v_readlane_b32 s8, v52, 10
	v_readlane_b32 s9, v52, 11
	s_and_b64 s[8:9], s[4:5], s[8:9]
	s_mov_b64 exec, s[8:9]
	s_cbranch_execz .LBB141_431
; %bb.430:                              ;   in Loop: Header=BB141_31 Depth=1
	v_pk_mov_b32 v[2:3], s[18:19], s[18:19] op_sel:[0,1]
	ds_write_b64 v15, v[2:3] offset:5128
.LBB141_431:                            ;   in Loop: Header=BB141_31 Depth=1
	s_or_b64 exec, exec, s[4:5]
	s_waitcnt lgkmcnt(0)
	s_barrier
.LBB141_432:                            ;   in Loop: Header=BB141_31 Depth=1
	v_readlane_b32 s4, v52, 58
	v_and_b32_e32 v2, s4, v42
	v_readlane_b32 s4, v52, 57
	v_lshl_or_b32 v42, 1, s4, v2
	v_or_b32_e32 v41, s80, v41
	s_mov_b64 s[4:5], 0
	s_mov_b32 s8, 5
.LBB141_433:                            ;   in Loop: Header=BB141_31 Depth=1
	s_or_saveexec_b64 s[52:53], s[52:53]
	v_mov_b32_e32 v6, s8
	s_xor_b64 exec, exec, s[52:53]
; %bb.434:                              ;   in Loop: Header=BB141_31 Depth=1
	v_mov_b32_e32 v2, s19
	v_subrev_co_u32_e32 v4, vcc, s18, v4
	v_subb_co_u32_e32 v5, vcc, v5, v2, vcc
	v_mov_b32_e32 v6, 0
	s_or_b64 s[4:5], s[4:5], exec
; %bb.435:                              ;   in Loop: Header=BB141_31 Depth=1
	s_or_b64 exec, exec, s[52:53]
	s_and_b64 s[54:55], s[4:5], exec
	v_pk_mov_b32 v[2:3], v[4:5], v[4:5] op_sel:[0,1]
.LBB141_436:                            ;   in Loop: Header=BB141_31 Depth=1
	s_or_b64 exec, exec, s[0:1]
	s_mov_b64 s[52:53], -1
                                        ; implicit-def: $sgpr0_sgpr1
                                        ; implicit-def: $sgpr4_sgpr5
                                        ; implicit-def: $sgpr68_sgpr69
	s_and_saveexec_b64 s[18:19], s[54:55]
	s_cbranch_execz .LBB141_489
; %bb.437:                              ;   in Loop: Header=BB141_31 Depth=1
	s_cmp_eq_u64 s[16:17], 1
	s_cselect_b64 s[0:1], -1, 0
	v_cmp_eq_u64_e32 vcc, 1, v[2:3]
	s_and_b64 s[52:53], s[0:1], vcc
	s_mov_b64 s[84:85], -1
                                        ; implicit-def: $sgpr0_sgpr1
                                        ; implicit-def: $sgpr4_sgpr5
                                        ; implicit-def: $sgpr68_sgpr69
	s_and_saveexec_b64 s[54:55], s[52:53]
	s_cbranch_execz .LBB141_476
; %bb.438:                              ;   in Loop: Header=BB141_31 Depth=1
	ds_read_b64 v[4:5], v15 offset:5120
	s_waitcnt lgkmcnt(0)
	s_barrier
	v_readfirstlane_b32 s0, v4
	v_readfirstlane_b32 s1, v5
	s_mov_b64 s[4:5], exec
	v_readlane_b32 s8, v52, 26
	v_readlane_b32 s9, v52, 27
	s_and_b64 s[8:9], s[4:5], s[8:9]
	s_mov_b64 exec, s[8:9]
	s_cbranch_execz .LBB141_440
; %bb.439:                              ;   in Loop: Header=BB141_31 Depth=1
	ds_write_b8 v0, v15 offset:3072
.LBB141_440:                            ;   in Loop: Header=BB141_31 Depth=1
	s_or_b64 exec, exec, s[4:5]
	v_readlane_b32 s4, v52, 58
	v_and_b32_e32 v42, s4, v42
	v_or_b32_e32 v41, s80, v41
	s_cmp_eq_u64 s[0:1], 0
	s_waitcnt lgkmcnt(0)
	s_barrier
	s_cbranch_scc1 .LBB141_445
; %bb.441:                              ;   in Loop: Header=BB141_31 Depth=1
	v_readlane_b32 s4, v52, 30
	s_add_u32 s8, s4, s0
	v_readlane_b32 s4, v52, 32
	s_addc_u32 s5, s4, s1
	s_mov_b32 s4, s81
	s_cmp_lg_u64 s[4:5], 0
	s_cbranch_scc0 .LBB141_446
; %bb.442:                              ;   in Loop: Header=BB141_31 Depth=1
	v_cvt_f32_u32_e32 v4, s33
	s_sub_u32 s4, 0, s33
	s_subb_u32 s9, 0, 0
	v_mac_f32_e32 v4, 0, v40
	v_rcp_f32_e32 v4, v4
	v_mul_f32_e32 v4, 0x5f7ffffc, v4
	v_mul_f32_e32 v5, 0x2f800000, v4
	v_trunc_f32_e32 v5, v5
	v_mac_f32_e32 v4, 0xcf800000, v5
	v_cvt_u32_f32_e32 v5, v5
	v_cvt_u32_f32_e32 v4, v4
	v_readfirstlane_b32 s68, v5
	v_readfirstlane_b32 s69, v4
	s_mul_i32 s84, s4, s68
	s_mul_hi_u32 s86, s4, s69
	s_mul_i32 s85, s9, s69
	s_add_i32 s84, s86, s84
	s_mul_i32 s87, s4, s69
	s_add_i32 s84, s84, s85
	s_mul_hi_u32 s86, s69, s87
	s_mul_hi_u32 s85, s69, s84
	s_mul_i32 s69, s69, s84
	s_add_u32 s69, s86, s69
	s_addc_u32 s85, 0, s85
	s_mul_hi_u32 s90, s68, s87
	s_mul_i32 s87, s68, s87
	s_add_u32 s69, s69, s87
	s_mul_hi_u32 s86, s68, s84
	s_addc_u32 s69, s85, s90
	s_addc_u32 s85, s86, 0
	s_mul_i32 s84, s68, s84
	s_add_u32 s69, s69, s84
	s_addc_u32 s84, 0, s85
	v_add_co_u32_e32 v4, vcc, s69, v4
	s_cmp_lg_u64 vcc, 0
	s_addc_u32 s68, s68, s84
	v_readfirstlane_b32 s84, v4
	s_mul_i32 s69, s4, s68
	s_mul_hi_u32 s85, s4, s84
	s_add_i32 s69, s85, s69
	s_mul_i32 s9, s9, s84
	s_add_i32 s69, s69, s9
	s_mul_i32 s4, s4, s84
	s_mul_hi_u32 s85, s68, s4
	s_mul_i32 s86, s68, s4
	s_mul_i32 s90, s84, s69
	s_mul_hi_u32 s4, s84, s4
	s_mul_hi_u32 s87, s84, s69
	s_add_u32 s4, s4, s90
	s_addc_u32 s84, 0, s87
	s_add_u32 s4, s4, s86
	s_mul_hi_u32 s9, s68, s69
	s_addc_u32 s4, s84, s85
	s_addc_u32 s9, s9, 0
	s_mul_i32 s69, s68, s69
	s_add_u32 s4, s4, s69
	s_addc_u32 s9, 0, s9
	v_add_co_u32_e32 v4, vcc, s4, v4
	s_cmp_lg_u64 vcc, 0
	s_addc_u32 s4, s68, s9
	v_readfirstlane_b32 s69, v4
	s_mul_i32 s68, s8, s4
	s_mul_hi_u32 s84, s8, s69
	s_mul_hi_u32 s9, s8, s4
	s_add_u32 s68, s84, s68
	s_addc_u32 s9, 0, s9
	s_mul_hi_u32 s85, s5, s69
	s_mul_i32 s69, s5, s69
	s_add_u32 s68, s68, s69
	s_mul_hi_u32 s84, s5, s4
	s_addc_u32 s9, s9, s85
	s_addc_u32 s68, s84, 0
	s_mul_i32 s4, s5, s4
	s_add_u32 s4, s9, s4
	s_addc_u32 s9, 0, s68
	s_mul_hi_u32 s68, s33, s4
	s_mul_i32 s4, s33, s4
	s_mul_i32 s9, s33, s9
	v_mov_b32_e32 v4, s4
	s_add_i32 s68, s68, s9
	v_sub_co_u32_e32 v4, vcc, s8, v4
	s_cmp_lg_u64 vcc, 0
	s_subb_u32 s4, s5, s68
	v_subrev_co_u32_e32 v5, vcc, s33, v4
	s_cmp_lg_u64 vcc, 0
	s_subb_u32 s9, s4, 0
	v_subrev_co_u32_e32 v6, vcc, s33, v5
	s_cmp_lg_u64 vcc, 0
	s_subb_u32 s68, s9, 0
	v_cmp_le_u32_e32 vcc, s33, v5
	s_cmp_eq_u32 s9, 0
	v_cndmask_b32_e64 v7, 0, -1, vcc
	s_cselect_b64 vcc, -1, 0
	v_cndmask_b32_e32 v7, -1, v7, vcc
	v_mov_b32_e32 v8, s9
	v_mov_b32_e32 v9, s68
	v_cmp_ne_u32_e32 vcc, 0, v7
	v_cndmask_b32_e32 v7, v8, v9, vcc
	v_cndmask_b32_e32 v6, v5, v6, vcc
	v_cmp_le_u32_e32 vcc, s33, v4
	s_cmp_eq_u32 s4, 0
	v_cndmask_b32_e64 v5, 0, -1, vcc
	s_cselect_b64 vcc, -1, 0
	v_cndmask_b32_e32 v5, -1, v5, vcc
	v_mov_b32_e32 v8, s4
	v_cmp_ne_u32_e32 vcc, 0, v5
	v_cndmask_b32_e32 v5, v8, v7, vcc
	v_cndmask_b32_e32 v4, v4, v6, vcc
	s_mov_b64 s[68:69], 0
	s_branch .LBB141_447
.LBB141_443:                            ;   in Loop: Header=BB141_31 Depth=1
                                        ; implicit-def: $vgpr2_vgpr3
	s_branch .LBB141_397
.LBB141_444:                            ;   in Loop: Header=BB141_31 Depth=1
                                        ; implicit-def: $vgpr2_vgpr3
	s_branch .LBB141_413
.LBB141_445:                            ;   in Loop: Header=BB141_31 Depth=1
	s_mov_b64 s[0:1], -1
	s_mov_b64 s[84:85], 0
                                        ; implicit-def: $sgpr4_sgpr5
                                        ; implicit-def: $vgpr43
	s_branch .LBB141_459
.LBB141_446:                            ;   in Loop: Header=BB141_31 Depth=1
	s_mov_b64 s[68:69], -1
                                        ; implicit-def: $vgpr4_vgpr5
.LBB141_447:                            ;   in Loop: Header=BB141_31 Depth=1
	s_andn2_b64 vcc, exec, s[68:69]
	s_cbranch_vccnz .LBB141_449
; %bb.448:                              ;   in Loop: Header=BB141_31 Depth=1
	v_cvt_f32_u32_e32 v4, s33
	s_sub_i32 s4, 0, s33
	v_rcp_iflag_f32_e32 v4, v4
	v_mul_f32_e32 v4, 0x4f7ffffe, v4
	v_cvt_u32_f32_e32 v4, v4
	v_mul_lo_u32 v5, s4, v4
	v_mul_hi_u32 v5, v4, v5
	v_add_u32_e32 v4, v4, v5
	v_mul_hi_u32 v4, s8, v4
	v_mul_lo_u32 v4, v4, s33
	v_sub_u32_e32 v4, s8, v4
	v_subrev_u32_e32 v5, s33, v4
	v_cmp_le_u32_e32 vcc, s33, v4
	v_cndmask_b32_e32 v4, v4, v5, vcc
	v_subrev_u32_e32 v5, s33, v4
	v_cmp_le_u32_e32 vcc, s33, v4
	v_cndmask_b32_e32 v14, v4, v5, vcc
	v_pk_mov_b32 v[4:5], v[14:15], v[14:15] op_sel:[0,1]
.LBB141_449:                            ;   in Loop: Header=BB141_31 Depth=1
	v_mov_b32_e32 v6, s5
	v_sub_co_u32_e32 v4, vcc, s8, v4
	v_subb_co_u32_e32 v5, vcc, v6, v5, vcc
	v_cmp_gt_u64_e32 vcc, v[4:5], v[0:1]
	s_mov_b64 s[84:85], 0
                                        ; implicit-def: $vgpr43
	s_and_saveexec_b64 s[4:5], vcc
	s_cbranch_execz .LBB141_458
; %bb.450:                              ;   in Loop: Header=BB141_31 Depth=1
	s_mov_b64 s[68:69], 0
	v_mov_b32_e32 v8, v0
	v_pk_mov_b32 v[6:7], v[0:1], v[0:1] op_sel:[0,1]
                                        ; implicit-def: $sgpr84_sgpr85
	s_branch .LBB141_452
.LBB141_451:                            ;   in Loop: Header=BB141_452 Depth=2
	s_or_b64 exec, exec, s[86:87]
	s_waitcnt lgkmcnt(0)
	s_barrier
	ds_read_u16 v9, v15 offset:3072
	v_mov_b32_e32 v14, s64
	v_add_co_u32_e32 v6, vcc, s33, v6
	v_addc_co_u32_e32 v7, vcc, v7, v14, vcc
	s_waitcnt lgkmcnt(0)
	v_cmp_ne_u16_sdwa s[8:9], v9, v15 src0_sel:BYTE_0 src1_sel:DWORD
	v_cmp_ge_u64_e32 vcc, v[6:7], v[4:5]
	s_or_b64 s[86:87], vcc, s[8:9]
	s_and_b64 s[86:87], exec, s[86:87]
	s_or_b64 s[68:69], s[86:87], s[68:69]
	s_andn2_b64 s[84:85], s[84:85], exec
	s_and_b64 s[8:9], s[8:9], exec
	v_add_u32_e32 v8, s33, v8
	s_or_b64 s[84:85], s[84:85], s[8:9]
	s_barrier
	s_andn2_b64 exec, exec, s[68:69]
	s_cbranch_execz .LBB141_457
.LBB141_452:                            ;   Parent Loop BB141_31 Depth=1
                                        ; =>  This Inner Loop Header: Depth=2
	v_cmp_gt_u64_e32 vcc, s[0:1], v[6:7]
	v_mov_b32_e32 v9, 0
	s_and_saveexec_b64 s[86:87], vcc
	s_cbranch_execz .LBB141_454
; %bb.453:                              ;   in Loop: Header=BB141_452 Depth=2
	ds_read_u8 v9, v8
.LBB141_454:                            ;   in Loop: Header=BB141_452 Depth=2
	s_or_b64 exec, exec, s[86:87]
	s_and_saveexec_b64 s[86:87], vcc
	s_cbranch_execz .LBB141_451
; %bb.455:                              ;   in Loop: Header=BB141_452 Depth=2
	s_waitcnt lgkmcnt(0)
	v_add_u32_sdwa v14, sext(v9), s31 dst_sel:DWORD dst_unused:UNUSED_PAD src0_sel:BYTE_0 src1_sel:DWORD
	v_and_b32_e32 v14, v14, v41
	v_cmp_eq_u32_e32 vcc, v14, v42
	s_and_b64 exec, exec, vcc
	s_cbranch_execz .LBB141_451
; %bb.456:                              ;   in Loop: Header=BB141_452 Depth=2
	v_lshlrev_b16_e32 v9, 8, v9
	v_or_b32_e32 v9, 1, v9
	ds_write_b16 v15, v9 offset:3072
	s_branch .LBB141_451
.LBB141_457:                            ;   in Loop: Header=BB141_31 Depth=1
	s_or_b64 exec, exec, s[68:69]
	v_lshrrev_b16_e32 v43, 8, v9
	s_and_b64 s[84:85], s[84:85], exec
.LBB141_458:                            ;   in Loop: Header=BB141_31 Depth=1
	s_or_b64 exec, exec, s[4:5]
	s_mov_b64 s[0:1], 0
	s_mov_b64 s[4:5], -1
.LBB141_459:                            ;   in Loop: Header=BB141_31 Depth=1
	s_and_b64 vcc, exec, s[0:1]
	s_mov_b64 s[68:69], s[0:1]
	s_cbranch_vccz .LBB141_475
; %bb.460:                              ;   in Loop: Header=BB141_31 Depth=1
	v_readlane_b32 s84, v52, 33
	v_readlane_b32 s85, v52, 34
	s_mov_b32 s84, s81
	s_cmp_lg_u64 s[84:85], 0
	v_writelane_b32 v52, s84, 33
	v_writelane_b32 v52, s85, 34
	s_cbranch_scc0 .LBB141_462
; %bb.461:                              ;   in Loop: Header=BB141_31 Depth=1
	v_cvt_f32_u32_e32 v4, s33
	s_sub_u32 s0, 0, s33
	s_subb_u32 s1, 0, 0
	v_mac_f32_e32 v4, 0, v40
	v_rcp_f32_e32 v4, v4
	v_mul_f32_e32 v4, 0x5f7ffffc, v4
	v_mul_f32_e32 v5, 0x2f800000, v4
	v_trunc_f32_e32 v5, v5
	v_mac_f32_e32 v4, 0xcf800000, v5
	v_cvt_u32_f32_e32 v5, v5
	v_cvt_u32_f32_e32 v4, v4
	v_readfirstlane_b32 s4, v5
	v_readfirstlane_b32 s5, v4
	s_mul_i32 s8, s0, s4
	s_mul_hi_u32 s68, s0, s5
	s_mul_i32 s9, s1, s5
	s_add_i32 s8, s68, s8
	s_mul_i32 s69, s0, s5
	s_add_i32 s8, s8, s9
	s_mul_hi_u32 s68, s5, s69
	s_mul_hi_u32 s9, s5, s8
	s_mul_i32 s5, s5, s8
	s_add_u32 s5, s68, s5
	s_addc_u32 s9, 0, s9
	s_mul_hi_u32 s84, s4, s69
	s_mul_i32 s69, s4, s69
	s_add_u32 s5, s5, s69
	s_mul_hi_u32 s68, s4, s8
	s_addc_u32 s5, s9, s84
	s_addc_u32 s9, s68, 0
	s_mul_i32 s8, s4, s8
	s_add_u32 s5, s5, s8
	s_addc_u32 s8, 0, s9
	v_add_co_u32_e32 v4, vcc, s5, v4
	s_cmp_lg_u64 vcc, 0
	s_addc_u32 s4, s4, s8
	v_readfirstlane_b32 s8, v4
	s_mul_i32 s5, s0, s4
	s_mul_hi_u32 s9, s0, s8
	s_add_i32 s5, s9, s5
	s_mul_i32 s1, s1, s8
	s_add_i32 s5, s5, s1
	s_mul_i32 s0, s0, s8
	s_mul_hi_u32 s9, s4, s0
	s_mul_i32 s68, s4, s0
	s_mul_i32 s84, s8, s5
	s_mul_hi_u32 s0, s8, s0
	s_mul_hi_u32 s69, s8, s5
	s_add_u32 s0, s0, s84
	s_addc_u32 s8, 0, s69
	s_add_u32 s0, s0, s68
	s_mul_hi_u32 s1, s4, s5
	s_addc_u32 s0, s8, s9
	s_addc_u32 s1, s1, 0
	s_mul_i32 s5, s4, s5
	s_add_u32 s0, s0, s5
	s_addc_u32 s1, 0, s1
	v_add_co_u32_e32 v4, vcc, s0, v4
	s_cmp_lg_u64 vcc, 0
	s_addc_u32 s0, s4, s1
	v_readlane_b32 s68, v52, 31
	v_readfirstlane_b32 s5, v4
	s_mul_i32 s4, s68, s0
	s_mul_hi_u32 s8, s68, s5
	s_mul_hi_u32 s1, s68, s0
	s_add_u32 s4, s8, s4
	s_addc_u32 s1, 0, s1
	s_mul_hi_u32 s9, s85, s5
	s_mul_i32 s5, s85, s5
	s_add_u32 s4, s4, s5
	s_mul_hi_u32 s8, s85, s0
	s_addc_u32 s1, s1, s9
	s_addc_u32 s4, s8, 0
	s_mul_i32 s0, s85, s0
	s_add_u32 s0, s1, s0
	s_addc_u32 s1, 0, s4
	s_mul_hi_u32 s4, s33, s0
	s_mul_i32 s0, s33, s0
	s_mul_i32 s1, s33, s1
	v_mov_b32_e32 v4, s0
	s_add_i32 s4, s4, s1
	v_sub_co_u32_e32 v4, vcc, s68, v4
	s_cmp_lg_u64 vcc, 0
	s_subb_u32 s0, s85, s4
	v_subrev_co_u32_e32 v5, vcc, s33, v4
	s_cmp_lg_u64 vcc, 0
	s_subb_u32 s1, s0, 0
	v_subrev_co_u32_e32 v6, vcc, s33, v5
	s_cmp_lg_u64 vcc, 0
	s_subb_u32 s4, s1, 0
	v_cmp_le_u32_e32 vcc, s33, v5
	s_cmp_eq_u32 s1, 0
	v_cndmask_b32_e64 v7, 0, -1, vcc
	s_cselect_b64 vcc, -1, 0
	v_cndmask_b32_e32 v7, -1, v7, vcc
	v_mov_b32_e32 v8, s1
	v_mov_b32_e32 v9, s4
	v_cmp_ne_u32_e32 vcc, 0, v7
	v_cndmask_b32_e32 v7, v8, v9, vcc
	v_cndmask_b32_e32 v6, v5, v6, vcc
	v_cmp_le_u32_e32 vcc, s33, v4
	s_cmp_eq_u32 s0, 0
	v_cndmask_b32_e64 v5, 0, -1, vcc
	s_cselect_b64 vcc, -1, 0
	v_cndmask_b32_e32 v5, -1, v5, vcc
	v_mov_b32_e32 v8, s0
	v_cmp_ne_u32_e32 vcc, 0, v5
	v_cndmask_b32_e32 v5, v8, v7, vcc
	v_cndmask_b32_e32 v4, v4, v6, vcc
	s_mov_b64 s[0:1], 0
	s_branch .LBB141_463
.LBB141_462:                            ;   in Loop: Header=BB141_31 Depth=1
	s_mov_b64 s[0:1], -1
                                        ; implicit-def: $vgpr4_vgpr5
.LBB141_463:                            ;   in Loop: Header=BB141_31 Depth=1
	s_andn2_b64 vcc, exec, s[0:1]
	s_cbranch_vccnz .LBB141_465
; %bb.464:                              ;   in Loop: Header=BB141_31 Depth=1
	v_cvt_f32_u32_e32 v4, s33
	s_sub_i32 s0, 0, s33
	v_rcp_iflag_f32_e32 v4, v4
	v_mul_f32_e32 v4, 0x4f7ffffe, v4
	v_cvt_u32_f32_e32 v4, v4
	v_mul_lo_u32 v5, s0, v4
	v_mul_hi_u32 v5, v4, v5
	v_add_u32_e32 v4, v4, v5
	v_readlane_b32 s0, v52, 31
	v_mul_hi_u32 v4, s0, v4
	v_mul_lo_u32 v4, v4, s33
	v_sub_u32_e32 v4, s0, v4
	v_subrev_u32_e32 v5, s33, v4
	v_cmp_le_u32_e32 vcc, s33, v4
	v_cndmask_b32_e32 v4, v4, v5, vcc
	v_subrev_u32_e32 v5, s33, v4
	v_cmp_le_u32_e32 vcc, s33, v4
	v_cndmask_b32_e32 v14, v4, v5, vcc
	v_pk_mov_b32 v[4:5], v[14:15], v[14:15] op_sel:[0,1]
.LBB141_465:                            ;   in Loop: Header=BB141_31 Depth=1
	v_readlane_b32 s0, v52, 33
	v_readlane_b32 s1, v52, 34
	v_readlane_b32 s0, v52, 31
	v_mov_b32_e32 v6, s1
	v_sub_co_u32_e32 v4, vcc, s0, v4
	v_subb_co_u32_e32 v5, vcc, v6, v5, vcc
	v_cmp_gt_u64_e32 vcc, v[4:5], v[0:1]
	s_mov_b64 s[84:85], 0
                                        ; implicit-def: $vgpr43
	s_and_saveexec_b64 s[0:1], vcc
	s_cbranch_execz .LBB141_474
; %bb.466:                              ;   in Loop: Header=BB141_31 Depth=1
	s_mov_b64 s[4:5], 0
	v_pk_mov_b32 v[6:7], v[26:27], v[26:27] op_sel:[0,1]
	v_pk_mov_b32 v[8:9], v[0:1], v[0:1] op_sel:[0,1]
                                        ; implicit-def: $sgpr68_sgpr69
	s_branch .LBB141_468
.LBB141_467:                            ;   in Loop: Header=BB141_468 Depth=2
	s_or_b64 exec, exec, s[84:85]
	s_waitcnt lgkmcnt(0)
	s_barrier
	s_waitcnt vmcnt(0)
	ds_read_u16 v14, v15 offset:3072
	v_mov_b32_e32 v28, s64
	v_add_co_u32_e32 v8, vcc, s33, v8
	v_addc_co_u32_e32 v9, vcc, v9, v28, vcc
	s_waitcnt lgkmcnt(0)
	v_cmp_ne_u16_sdwa s[8:9], v14, v15 src0_sel:BYTE_0 src1_sel:DWORD
	v_cmp_ge_u64_e32 vcc, v[8:9], v[4:5]
	s_or_b64 s[84:85], vcc, s[8:9]
	s_and_b64 s[84:85], exec, s[84:85]
	s_mul_i32 s86, s58, s33
	s_or_b64 s[4:5], s[84:85], s[4:5]
	v_mov_b32_e32 v28, s65
	v_add_co_u32_e32 v6, vcc, s86, v6
	s_andn2_b64 s[68:69], s[68:69], exec
	s_and_b64 s[8:9], s[8:9], exec
	v_addc_co_u32_e32 v7, vcc, v7, v28, vcc
	s_or_b64 s[68:69], s[68:69], s[8:9]
	s_barrier
	s_andn2_b64 exec, exec, s[4:5]
	s_cbranch_execz .LBB141_473
.LBB141_468:                            ;   Parent Loop BB141_31 Depth=1
                                        ; =>  This Inner Loop Header: Depth=2
	v_cmp_gt_u64_e32 vcc, s[60:61], v[8:9]
	v_mov_b32_e32 v14, 0
	s_and_saveexec_b64 s[84:85], vcc
	s_cbranch_execz .LBB141_470
; %bb.469:                              ;   in Loop: Header=BB141_468 Depth=2
	global_load_ubyte v14, v[6:7], off
.LBB141_470:                            ;   in Loop: Header=BB141_468 Depth=2
	s_or_b64 exec, exec, s[84:85]
	s_and_saveexec_b64 s[84:85], vcc
	s_cbranch_execz .LBB141_467
; %bb.471:                              ;   in Loop: Header=BB141_468 Depth=2
	s_waitcnt vmcnt(0)
	v_add_u32_sdwa v28, sext(v14), s31 dst_sel:DWORD dst_unused:UNUSED_PAD src0_sel:BYTE_0 src1_sel:DWORD
	v_and_b32_e32 v28, v28, v41
	v_cmp_eq_u32_e32 vcc, v28, v42
	s_and_b64 exec, exec, vcc
	s_cbranch_execz .LBB141_467
; %bb.472:                              ;   in Loop: Header=BB141_468 Depth=2
	v_lshlrev_b16_e32 v14, 8, v14
	v_or_b32_e32 v14, 1, v14
	ds_write_b16 v15, v14 offset:3072
	s_branch .LBB141_467
.LBB141_473:                            ;   in Loop: Header=BB141_31 Depth=1
	s_or_b64 exec, exec, s[4:5]
	v_lshrrev_b16_e32 v43, 8, v14
	s_and_b64 s[84:85], s[68:69], exec
.LBB141_474:                            ;   in Loop: Header=BB141_31 Depth=1
	s_or_b64 exec, exec, s[0:1]
	s_mov_b64 s[4:5], 0
	s_mov_b64 s[0:1], -1
	s_mov_b64 s[68:69], 0
.LBB141_475:                            ;   in Loop: Header=BB141_31 Depth=1
	s_orn2_b64 s[84:85], s[84:85], exec
.LBB141_476:                            ;   in Loop: Header=BB141_31 Depth=1
	s_or_b64 exec, exec, s[54:55]
	s_mov_b64 s[86:87], 0
                                        ; implicit-def: $vgpr6
                                        ; implicit-def: $vgpr4_vgpr5
	s_and_saveexec_b64 s[54:55], s[84:85]
	s_cbranch_execz .LBB141_488
; %bb.477:                              ;   in Loop: Header=BB141_31 Depth=1
	v_mov_b32_e32 v4, 1
	s_xor_b64 s[8:9], s[52:53], -1
	v_mov_b32_e32 v6, 1
	v_mov_b32_e32 v5, 0
	s_and_saveexec_b64 s[52:53], s[8:9]
	s_cbranch_execz .LBB141_487
; %bb.478:                              ;   in Loop: Header=BB141_31 Depth=1
	v_cmp_ge_u64_e32 vcc, s[16:17], v[2:3]
                                        ; implicit-def: $sgpr8
	s_and_saveexec_b64 s[84:85], vcc
	s_xor_b64 s[84:85], exec, s[84:85]
	s_cbranch_execz .LBB141_484
; %bb.479:                              ;   in Loop: Header=BB141_31 Depth=1
	ds_read_b64 v[4:5], v15 offset:5120
	s_waitcnt lgkmcnt(0)
	v_cmp_ne_u64_e32 vcc, 0, v[4:5]
	s_cbranch_vccnz .LBB141_483
; %bb.480:                              ;   in Loop: Header=BB141_31 Depth=1
	s_mov_b64 s[86:87], exec
	v_readlane_b32 s8, v52, 10
	v_readlane_b32 s9, v52, 11
	s_and_b64 s[8:9], s[86:87], s[8:9]
	s_mov_b64 exec, s[8:9]
	s_cbranch_execz .LBB141_482
; %bb.481:                              ;   in Loop: Header=BB141_31 Depth=1
	v_pk_mov_b32 v[4:5], s[16:17], s[16:17] op_sel:[0,1]
	ds_write_b64 v15, v[4:5] offset:5128
.LBB141_482:                            ;   in Loop: Header=BB141_31 Depth=1
	s_or_b64 exec, exec, s[86:87]
	s_waitcnt lgkmcnt(0)
	s_barrier
.LBB141_483:                            ;   in Loop: Header=BB141_31 Depth=1
	v_readlane_b32 s8, v52, 58
	v_and_b32_e32 v42, s8, v42
	v_or_b32_e32 v41, s80, v41
	s_mov_b32 s8, 5
.LBB141_484:                            ;   in Loop: Header=BB141_31 Depth=1
	s_or_saveexec_b64 s[84:85], s[84:85]
	v_mov_b32_e32 v6, s8
	s_xor_b64 exec, exec, s[84:85]
; %bb.485:                              ;   in Loop: Header=BB141_31 Depth=1
	v_mov_b32_e32 v4, s17
	v_subrev_co_u32_e32 v2, vcc, s16, v2
	v_subb_co_u32_e32 v3, vcc, v3, v4, vcc
	v_mov_b32_e32 v6, 5
; %bb.486:                              ;   in Loop: Header=BB141_31 Depth=1
	s_or_b64 exec, exec, s[84:85]
	v_pk_mov_b32 v[4:5], v[2:3], v[2:3] op_sel:[0,1]
.LBB141_487:                            ;   in Loop: Header=BB141_31 Depth=1
	s_or_b64 exec, exec, s[52:53]
	s_mov_b64 s[86:87], exec
.LBB141_488:                            ;   in Loop: Header=BB141_31 Depth=1
	s_or_b64 exec, exec, s[54:55]
	s_orn2_b64 s[52:53], s[86:87], exec
	v_pk_mov_b32 v[2:3], v[4:5], v[4:5] op_sel:[0,1]
.LBB141_489:                            ;   in Loop: Header=BB141_31 Depth=1
	s_or_b64 exec, exec, s[18:19]
	s_andn2_b64 s[8:9], s[44:45], exec
	s_and_b64 s[0:1], s[0:1], exec
	s_or_b64 s[44:45], s[8:9], s[0:1]
	s_andn2_b64 s[0:1], s[46:47], exec
	s_and_b64 s[4:5], s[4:5], exec
	s_or_b64 s[46:47], s[0:1], s[4:5]
	;; [unrolled: 3-line block ×3, first 2 shown]
	s_and_b64 s[0:1], s[52:53], exec
	v_pk_mov_b32 v[4:5], v[2:3], v[2:3] op_sel:[0,1]
.LBB141_490:                            ;   in Loop: Header=BB141_31 Depth=1
	s_or_b64 exec, exec, s[50:51]
	s_and_b64 s[50:51], s[44:45], exec
	s_and_b64 s[44:45], s[46:47], exec
	;; [unrolled: 1-line block ×3, first 2 shown]
	s_orn2_b64 s[0:1], s[0:1], exec
.LBB141_491:                            ;   in Loop: Header=BB141_31 Depth=1
	s_or_b64 exec, exec, s[22:23]
	s_andn2_b64 s[8:9], s[24:25], exec
	s_and_b64 s[16:17], s[50:51], exec
	s_or_b64 s[24:25], s[8:9], s[16:17]
	s_andn2_b64 s[8:9], s[36:37], exec
	s_and_b64 s[16:17], s[44:45], exec
	s_or_b64 s[36:37], s[8:9], s[16:17]
	s_andn2_b64 s[8:9], s[40:41], exec
	s_and_b64 s[4:5], s[4:5], exec
	s_or_b64 s[40:41], s[8:9], s[4:5]
	s_and_b64 s[46:47], s[0:1], exec
	v_pk_mov_b32 v[2:3], v[4:5], v[4:5] op_sel:[0,1]
.LBB141_492:                            ;   in Loop: Header=BB141_31 Depth=1
	s_or_b64 exec, exec, s[42:43]
	s_and_b64 s[24:25], s[24:25], exec
	s_and_b64 s[4:5], s[36:37], exec
	;; [unrolled: 1-line block ×3, first 2 shown]
	s_orn2_b64 s[36:37], s[46:47], exec
.LBB141_493:                            ;   in Loop: Header=BB141_31 Depth=1
	s_or_b64 exec, exec, s[6:7]
	s_mov_b64 s[6:7], s[28:29]
	s_mov_b64 s[16:17], s[26:27]
	s_and_saveexec_b64 s[18:19], s[36:37]
; %bb.494:                              ;   in Loop: Header=BB141_31 Depth=1
	v_cmp_ne_u32_e64 s[6:7], 5, v6
	v_cmp_eq_u32_e32 vcc, 5, v6
	s_andn2_b64 s[8:9], s[26:27], exec
	s_and_b64 s[6:7], s[6:7], exec
	s_or_b64 s[16:17], s[8:9], s[6:7]
	s_andn2_b64 s[6:7], s[28:29], exec
	s_and_b64 s[8:9], vcc, exec
	s_andn2_b64 s[24:25], s[24:25], exec
	s_andn2_b64 s[4:5], s[4:5], exec
	;; [unrolled: 1-line block ×3, first 2 shown]
	s_or_b64 s[6:7], s[6:7], s[8:9]
; %bb.495:                              ;   in Loop: Header=BB141_31 Depth=1
	s_or_b64 exec, exec, s[18:19]
	s_andn2_b64 s[8:9], s[14:15], exec
	s_and_b64 s[14:15], s[24:25], exec
	s_or_b64 s[14:15], s[8:9], s[14:15]
	s_andn2_b64 s[8:9], s[38:39], exec
	s_and_b64 s[4:5], s[4:5], exec
	s_or_b64 s[38:39], s[8:9], s[4:5]
	;; [unrolled: 3-line block ×5, first 2 shown]
	v_mov_b32_e32 v30, v42
	v_mov_b32_e32 v31, v41
	;; [unrolled: 1-line block ×3, first 2 shown]
.LBB141_496:                            ;   in Loop: Header=BB141_31 Depth=1
	s_or_b64 exec, exec, s[34:35]
	s_mov_b64 s[36:37], s[20:21]
	s_mov_b64 s[34:35], s[20:21]
	s_and_saveexec_b64 s[0:1], s[28:29]
.LBB141_497:                            ;   in Loop: Header=BB141_31 Depth=1
	v_mov_b32_e32 v6, 0
	s_andn2_b64 s[20:21], s[20:21], exec
	s_andn2_b64 s[14:15], s[14:15], exec
	;; [unrolled: 1-line block ×5, first 2 shown]
	s_or_b64 s[26:27], s[26:27], exec
.LBB141_498:                            ;   in Loop: Header=BB141_31 Depth=1
	s_or_b64 exec, exec, s[0:1]
	s_andn2_b64 s[0:1], s[12:13], exec
	s_and_b64 s[6:7], s[20:21], exec
	s_or_b64 s[12:13], s[0:1], s[6:7]
	s_andn2_b64 s[0:1], s[88:89], exec
	s_and_b64 s[6:7], s[14:15], exec
	s_or_b64 s[88:89], s[0:1], s[6:7]
	s_andn2_b64 s[0:1], s[10:11], exec
	s_and_b64 s[6:7], s[38:39], exec
	s_or_b64 s[10:11], s[0:1], s[6:7]
	v_readlane_b32 s0, v52, 55
	v_readlane_b32 s1, v52, 56
	s_andn2_b64 s[0:1], s[0:1], exec
	s_and_b64 s[6:7], s[36:37], exec
	s_or_b64 s[24:25], s[0:1], s[6:7]
	v_readlane_b32 s0, v52, 53
	v_readlane_b32 s1, v52, 54
	s_andn2_b64 s[0:1], s[0:1], exec
	s_and_b64 s[6:7], s[34:35], exec
	s_mov_b64 s[4:5], -1
	s_or_b64 s[22:23], s[0:1], s[6:7]
                                        ; implicit-def: $vgpr41
                                        ; implicit-def: $vgpr42
                                        ; implicit-def: $vgpr28_vgpr29
                                        ; implicit-def: $vgpr43
	s_and_saveexec_b64 s[0:1], s[26:27]
	s_xor_b64 s[0:1], exec, s[0:1]
	s_cbranch_execz .LBB141_30
; %bb.499:                              ;   in Loop: Header=BB141_31 Depth=1
	v_cmp_eq_u32_e32 vcc, 0, v6
	s_mov_b64 s[6:7], -1
	s_and_saveexec_b64 s[14:15], vcc
	s_cbranch_execz .LBB141_29
; %bb.500:                              ;   in Loop: Header=BB141_31 Depth=1
	v_readlane_b32 s4, v52, 52
	s_xor_b32 s4, s4, 1
	v_writelane_b32 v52, s4, 52
	v_readlane_b32 s4, v52, 37
	s_add_i32 s8, s4, -2
	s_cmp_eq_u32 s4, 0
	s_cselect_b64 s[4:5], -1, 0
	s_xor_b64 s[6:7], exec, -1
	s_orn2_b64 s[4:5], s[4:5], exec
	v_writelane_b32 v52, s8, 37
	s_branch .LBB141_29
.LBB141_501:
	s_or_b64 exec, exec, s[78:79]
	s_xor_b64 s[4:5], s[76:77], -1
	s_xor_b64 s[10:11], s[74:75], -1
	;; [unrolled: 1-line block ×5, first 2 shown]
	s_mov_b64 s[2:3], 0
	s_and_saveexec_b64 s[12:13], s[6:7]
	s_xor_b64 s[6:7], exec, s[12:13]
	s_cbranch_execnz .LBB141_506
; %bb.502:
	s_andn2_saveexec_b64 s[0:1], s[6:7]
	s_cbranch_execnz .LBB141_525
.LBB141_503:
	s_or_b64 exec, exec, s[0:1]
	s_and_saveexec_b64 s[0:1], s[2:3]
.LBB141_504:
	; divergent unreachable
.LBB141_505:
	s_endpgm
.LBB141_506:
	s_and_saveexec_b64 s[12:13], s[8:9]
	s_xor_b64 s[8:9], exec, s[12:13]
	s_cbranch_execz .LBB141_523
; %bb.507:
	s_and_saveexec_b64 s[12:13], s[10:11]
	s_xor_b64 s[10:11], exec, s[12:13]
	s_cbranch_execz .LBB141_521
; %bb.508:
	s_and_saveexec_b64 s[12:13], s[4:5]
	s_xor_b64 s[12:13], exec, s[12:13]
	s_cbranch_execz .LBB141_519
; %bb.509:
	s_and_saveexec_b64 s[2:3], s[0:1]
	s_xor_b64 s[0:1], exec, s[2:3]
; %bb.510:
	v_xor_b32_e32 v32, 0xffffff80, v30
; %bb.511:
	s_or_b64 exec, exec, s[0:1]
	s_mov_b64 s[0:1], exec
	v_readlane_b32 s2, v52, 10
	v_readlane_b32 s3, v52, 11
	;; [unrolled: 1-line block ×4, first 2 shown]
	s_and_b64 s[2:3], s[0:1], s[2:3]
	v_readlane_b32 s39, v52, 45
	v_readlane_b32 s41, v52, 15
	s_mov_b64 exec, s[2:3]
	s_cbranch_execz .LBB141_513
; %bb.512:
	v_mov_b32_e32 v2, 0
	v_mov_b32_e32 v3, v2
	ds_write_b64 v2, v[2:3] offset:5136
.LBB141_513:
	s_or_b64 exec, exec, s[0:1]
	v_mov_b32_e32 v19, 0
	s_waitcnt lgkmcnt(0)
	s_barrier
	s_mov_b64 s[0:1], exec
	v_readlane_b32 s2, v52, 24
	v_readlane_b32 s3, v52, 25
	s_and_b64 s[2:3], s[0:1], s[2:3]
	s_mov_b64 exec, s[2:3]
	s_cbranch_execz .LBB141_515
; %bb.514:
	global_load_ubyte v19, v[12:13], off
.LBB141_515:
	s_or_b64 exec, exec, s[0:1]
	v_readlane_b32 s4, v52, 2
	s_add_u32 s0, s60, 63
	v_readlane_b32 s5, v52, 3
	v_readlane_b32 s16, v52, 0
	s_addc_u32 s15, s61, 0
	s_and_b32 s14, s0, 0xffffffc0
	v_readlane_b32 s17, v52, 1
	s_mul_i32 s0, s16, s5
	s_mul_hi_u32 s1, s16, s4
	s_add_i32 s0, s1, s0
	s_mul_i32 s1, s17, s4
	s_mul_i32 s3, s16, s4
	v_readlane_b32 s4, v52, 6
	s_add_i32 s2, s0, s1
	v_readlane_b32 s5, v52, 7
	s_mul_i32 s0, s4, s73
	s_mul_hi_u32 s1, s4, s72
	s_add_i32 s0, s1, s0
	s_mul_i32 s1, s5, s72
	s_add_i32 s1, s0, s1
	s_mul_i32 s0, s4, s72
	v_readlane_b32 s4, v52, 4
	v_readlane_b32 s5, v52, 5
	s_add_u32 s3, s4, s3
	s_addc_u32 s2, s5, s2
	s_add_u32 s16, s3, s56
	s_addc_u32 s17, s2, s57
	s_lshl_b64 s[0:1], s[0:1], 3
	v_readlane_b32 s2, v52, 8
	v_readlane_b32 s3, v52, 9
	s_add_u32 s2, s2, s0
	s_addc_u32 s3, s3, s1
	s_lshl_b64 s[0:1], s[70:71], 3
	s_add_u32 s46, s2, s0
	s_addc_u32 s47, s3, s1
	v_readlane_b32 s0, v52, 12
	v_readlane_b32 s1, v52, 13
	s_load_dwordx2 s[18:19], s[0:1], 0x368
	s_load_dwordx2 s[20:21], s[0:1], 0x510
	v_cmp_gt_u64_e32 vcc, s[14:15], v[0:1]
	s_mov_b64 s[22:23], -1
	s_mov_b64 s[2:3], 0
	v_add_u32_e32 v18, s33, v0
	s_mov_b64 s[4:5], 0
	s_and_saveexec_b64 s[0:1], vcc
	s_cbranch_execnz .LBB141_526
; %bb.516:
	s_or_b64 exec, exec, s[0:1]
	s_and_saveexec_b64 s[0:1], s[22:23]
	s_cbranch_execnz .LBB141_541
.LBB141_517:
	s_or_b64 exec, exec, s[0:1]
	s_and_saveexec_b64 s[0:1], s[4:5]
	s_xor_b64 s[0:1], exec, s[0:1]
	s_cbranch_execnz .LBB141_563
.LBB141_518:
	s_or_b64 exec, exec, s[0:1]
	s_and_b64 s[2:3], s[2:3], exec
.LBB141_519:
	s_andn2_saveexec_b64 s[0:1], s[12:13]
	s_cbranch_execnz .LBB141_566
.LBB141_520:
	s_or_b64 exec, exec, s[0:1]
	s_and_b64 s[2:3], s[2:3], exec
.LBB141_521:
	s_andn2_saveexec_b64 s[0:1], s[10:11]
	s_cbranch_execnz .LBB141_565
.LBB141_522:
	s_or_b64 exec, exec, s[0:1]
	s_and_b64 s[2:3], s[2:3], exec
.LBB141_523:
	s_andn2_saveexec_b64 s[0:1], s[8:9]
	s_cbranch_execnz .LBB141_564
.LBB141_524:
	s_or_b64 exec, exec, s[0:1]
	s_and_b64 s[2:3], s[2:3], exec
	s_andn2_saveexec_b64 s[0:1], s[6:7]
	s_cbranch_execz .LBB141_503
.LBB141_525:
	s_or_b64 s[2:3], s[2:3], exec
	s_trap 2
	s_or_b64 exec, exec, s[0:1]
	s_and_saveexec_b64 s[0:1], s[2:3]
	s_cbranch_execnz .LBB141_504
	s_branch .LBB141_505
.LBB141_526:
	v_readlane_b32 s4, v52, 43
	s_add_u32 s4, s38, s4
	v_readlane_b32 s5, v52, 46
	s_addc_u32 s5, s39, s5
	v_pk_mov_b32 v[2:3], s[4:5], s[4:5] op_sel:[0,1]
	v_mad_u64_u32 v[2:3], s[4:5], s58, v18, v[2:3]
	v_mov_b32_e32 v4, v3
	s_movk_i32 s36, 0x80
	v_mad_u64_u32 v[4:5], s[4:5], s59, v18, v[4:5]
	v_add_u32_sdwa v20, sext(v32), s36 dst_sel:DWORD dst_unused:UNUSED_PAD src0_sel:BYTE_0 src1_sel:DWORD
	v_mov_b32_e32 v3, v4
	s_mov_b64 s[22:23], 0
	v_mov_b32_e32 v21, s64
	v_mov_b32_e32 v5, 0
	v_pk_mov_b32 v[14:15], v[0:1], v[0:1] op_sel:[0,1]
                                        ; implicit-def: $sgpr24_sgpr25
                                        ; implicit-def: $vgpr8_vgpr9
	s_branch .LBB141_528
.LBB141_527:                            ;   in Loop: Header=BB141_528 Depth=1
	s_or_b64 exec, exec, s[26:27]
	s_xor_b64 s[26:27], s[30:31], -1
	s_and_b64 s[4:5], exec, s[4:5]
	s_or_b64 s[22:23], s[4:5], s[22:23]
	s_andn2_b64 s[4:5], s[24:25], exec
	s_and_b64 s[24:25], s[26:27], exec
	s_or_b64 s[24:25], s[4:5], s[24:25]
	v_mov_b32_e32 v19, v22
	v_pk_mov_b32 v[14:15], v[6:7], v[6:7] op_sel:[0,1]
	s_andn2_b64 exec, exec, s[22:23]
	s_cbranch_execz .LBB141_540
.LBB141_528:                            ; =>This Inner Loop Header: Depth=1
	v_add_co_u32_e32 v6, vcc, s33, v14
	v_addc_co_u32_e32 v7, vcc, v15, v21, vcc
	v_cmp_gt_u64_e32 vcc, s[60:61], v[6:7]
	v_mov_b32_e32 v22, 0
	s_and_saveexec_b64 s[4:5], vcc
	s_cbranch_execz .LBB141_530
; %bb.529:                              ;   in Loop: Header=BB141_528 Depth=1
	global_load_ubyte v22, v[2:3], off
.LBB141_530:                            ;   in Loop: Header=BB141_528 Depth=1
	s_or_b64 exec, exec, s[4:5]
	s_waitcnt vmcnt(0)
	v_add_u32_sdwa v4, sext(v19), s36 dst_sel:DWORD dst_unused:UNUSED_PAD src0_sel:BYTE_0 src1_sel:DWORD
	v_cmp_gt_u32_e64 s[4:5], v4, v20
	v_cndmask_b32_e64 v16, 0, 1, s[4:5]
	v_cmp_lt_u32_e64 s[4:5], v4, v20
	v_cndmask_b32_e64 v4, 0, 1, s[4:5]
	v_cndmask_b32_e64 v4, v4, v16, s[40:41]
	v_and_b32_e32 v4, 1, v4
	v_cmp_gt_u64_e32 vcc, s[60:61], v[14:15]
	v_cmp_eq_u32_e64 s[4:5], 1, v4
	s_and_b64 s[26:27], vcc, s[4:5]
	v_cndmask_b32_e64 v4, 0, 1, s[26:27]
	v_cmp_ne_u32_e32 vcc, 0, v4
	s_cmp_lg_u64 vcc, 0
	v_readlane_b32 s28, v52, 18
	s_cselect_b64 s[4:5], -1, 0
	v_readlane_b32 s29, v52, 19
	s_and_b64 s[4:5], s[28:29], s[4:5]
	s_and_saveexec_b64 s[28:29], s[4:5]
	s_cbranch_execz .LBB141_534
; %bb.531:                              ;   in Loop: Header=BB141_528 Depth=1
	s_mov_b64 s[34:35], exec
	v_mbcnt_lo_u32_b32 v4, s34, 0
	v_mbcnt_hi_u32_b32 v16, s35, v4
	s_bcnt1_i32_b64 s37, vcc
	v_cmp_eq_u32_e64 s[4:5], 0, v16
                                        ; implicit-def: $vgpr8_vgpr9
	s_and_saveexec_b64 s[30:31], s[4:5]
	s_cbranch_execz .LBB141_533
; %bb.532:                              ;   in Loop: Header=BB141_528 Depth=1
	s_bcnt1_i32_b64 s4, s[34:35]
	s_mul_i32 s4, s37, s4
	v_mov_b32_e32 v4, s4
	s_waitcnt lgkmcnt(0)
	ds_add_rtn_u64 v[8:9], v5, v[4:5] offset:5136
.LBB141_533:                            ;   in Loop: Header=BB141_528 Depth=1
	s_or_b64 exec, exec, s[30:31]
	s_waitcnt lgkmcnt(0)
	v_readfirstlane_b32 s4, v9
	v_readfirstlane_b32 s5, v8
	v_mov_b32_e32 v8, s5
	v_mov_b32_e32 v9, s4
	v_mad_u64_u32 v[8:9], s[4:5], s37, v16, v[8:9]
.LBB141_534:                            ;   in Loop: Header=BB141_528 Depth=1
	s_or_b64 exec, exec, s[28:29]
	s_waitcnt lgkmcnt(0)
	ds_bpermute_b32 v8, v36, v8
	ds_bpermute_b32 v9, v36, v9
	s_mov_b64 s[4:5], -1
	s_mov_b64 s[34:35], -1
                                        ; implicit-def: $sgpr30_sgpr31
	s_and_saveexec_b64 s[28:29], s[26:27]
	s_cbranch_execz .LBB141_538
; %bb.535:                              ;   in Loop: Header=BB141_528 Depth=1
	v_and_b32_e32 v16, vcc_lo, v10
	v_and_b32_e32 v4, vcc_hi, v11
	v_bcnt_u32_b32 v16, v16, 0
	v_bcnt_u32_b32 v4, v4, v16
	s_waitcnt lgkmcnt(0)
	v_add_co_u32_e32 v16, vcc, v8, v4
	v_addc_co_u32_e32 v17, vcc, 0, v9, vcc
	v_cmp_gt_u64_e32 vcc, s[62:63], v[16:17]
	s_mov_b64 s[26:27], 0
	s_and_saveexec_b64 s[30:31], vcc
	s_cbranch_execz .LBB141_537
; %bb.536:                              ;   in Loop: Header=BB141_528 Depth=1
	v_mul_lo_u32 v4, v17, s20
	v_mul_lo_u32 v23, v16, s21
	v_mad_u64_u32 v[24:25], s[34:35], v16, s20, 0
	v_pk_mov_b32 v[26:27], s[16:17], s[16:17] op_sel:[0,1]
	v_add3_u32 v25, v25, v23, v4
	v_mad_u64_u32 v[26:27], s[34:35], v16, s18, v[26:27]
	v_mul_lo_u32 v4, v16, s19
	v_mul_lo_u32 v16, v17, s18
	v_add3_u32 v27, v16, v27, v4
	v_lshlrev_b64 v[16:17], 3, v[24:25]
	v_mov_b32_e32 v4, s47
	v_add_co_u32_e32 v16, vcc, s46, v16
	s_mov_b64 s[26:27], exec
	v_addc_co_u32_e32 v17, vcc, v4, v17, vcc
	global_store_byte v[26:27], v19, off
	global_store_dwordx2 v[16:17], v[14:15], off
.LBB141_537:                            ;   in Loop: Header=BB141_528 Depth=1
	s_or_b64 exec, exec, s[30:31]
	s_mov_b64 s[30:31], -1
	s_orn2_b64 s[34:35], s[26:27], exec
.LBB141_538:                            ;   in Loop: Header=BB141_528 Depth=1
	s_or_b64 exec, exec, s[28:29]
	s_and_saveexec_b64 s[26:27], s[34:35]
	s_cbranch_execz .LBB141_527
; %bb.539:                              ;   in Loop: Header=BB141_528 Depth=1
	s_mul_i32 s4, s58, s33
	v_mov_b32_e32 v4, s65
	v_add_co_u32_e32 v2, vcc, s4, v2
	v_addc_co_u32_e32 v3, vcc, v3, v4, vcc
	v_cmp_le_u64_e32 vcc, s[14:15], v[6:7]
	s_andn2_b64 s[30:31], s[30:31], exec
	s_orn2_b64 s[4:5], vcc, exec
	s_branch .LBB141_527
.LBB141_540:
	s_or_b64 exec, exec, s[22:23]
	s_mov_b64 s[4:5], exec
	s_orn2_b64 s[22:23], s[24:25], exec
	s_or_b64 exec, exec, s[0:1]
	s_and_saveexec_b64 s[0:1], s[22:23]
	s_cbranch_execz .LBB141_517
.LBB141_541:
	v_mov_b32_e32 v3, 0
	v_mov_b32_e32 v14, 0
	s_waitcnt lgkmcnt(0)
	s_barrier
	s_mov_b64 s[2:3], exec
	v_readlane_b32 s22, v52, 24
	v_readlane_b32 s23, v52, 25
	s_and_b64 s[22:23], s[2:3], s[22:23]
	s_mov_b64 exec, s[22:23]
	s_cbranch_execz .LBB141_543
; %bb.542:
	global_load_ubyte v14, v[12:13], off
.LBB141_543:
	s_or_b64 exec, exec, s[2:3]
	v_readlane_b32 s2, v52, 43
	s_add_u32 s2, s38, s2
	v_readlane_b32 s3, v52, 46
	s_addc_u32 s3, s39, s3
	v_pk_mov_b32 v[4:5], s[2:3], s[2:3] op_sel:[0,1]
	v_mad_u64_u32 v[4:5], s[2:3], s58, v18, v[4:5]
	v_mov_b32_e32 v2, v5
	v_mad_u64_u32 v[6:7], s[2:3], s59, v18, v[2:3]
	v_mov_b32_e32 v5, v6
	s_mov_b64 s[22:23], 0
                                        ; implicit-def: $sgpr24_sgpr25
                                        ; implicit-def: $sgpr26_sgpr27
                                        ; implicit-def: $sgpr28_sgpr29
                                        ; implicit-def: $vgpr6_vgpr7
	s_branch .LBB141_546
.LBB141_544:                            ;   in Loop: Header=BB141_546 Depth=1
	s_or_b64 exec, exec, s[36:37]
	s_andn2_b64 s[28:29], s[28:29], exec
	s_and_b64 s[34:35], s[40:41], exec
	s_andn2_b64 s[26:27], s[26:27], exec
	s_and_b64 s[2:3], s[2:3], exec
	s_or_b64 s[28:29], s[28:29], s[34:35]
	s_or_b64 s[26:27], s[26:27], s[2:3]
	v_pk_mov_b32 v[0:1], v[8:9], v[8:9] op_sel:[0,1]
.LBB141_545:                            ;   in Loop: Header=BB141_546 Depth=1
	s_or_b64 exec, exec, s[30:31]
	s_xor_b64 s[2:3], s[28:29], -1
	s_and_b64 s[30:31], exec, s[26:27]
	s_or_b64 s[22:23], s[30:31], s[22:23]
	s_andn2_b64 s[24:25], s[24:25], exec
	s_and_b64 s[2:3], s[2:3], exec
	s_or_b64 s[24:25], s[24:25], s[2:3]
	s_andn2_b64 exec, exec, s[22:23]
	s_cbranch_execz .LBB141_561
.LBB141_546:                            ; =>This Inner Loop Header: Depth=1
	v_cmp_gt_u64_e32 vcc, s[14:15], v[0:1]
	s_or_b64 s[28:29], s[28:29], exec
	s_or_b64 s[26:27], s[26:27], exec
	s_and_saveexec_b64 s[30:31], vcc
	s_cbranch_execz .LBB141_545
; %bb.547:                              ;   in Loop: Header=BB141_546 Depth=1
	v_mov_b32_e32 v2, s64
	v_add_co_u32_e32 v8, vcc, s33, v0
	v_addc_co_u32_e32 v9, vcc, v1, v2, vcc
	v_cmp_gt_u64_e32 vcc, s[60:61], v[8:9]
	v_mov_b32_e32 v15, 0
	s_and_saveexec_b64 s[2:3], vcc
	s_cbranch_execz .LBB141_549
; %bb.548:                              ;   in Loop: Header=BB141_546 Depth=1
	global_load_ubyte v15, v[4:5], off
.LBB141_549:                            ;   in Loop: Header=BB141_546 Depth=1
	s_or_b64 exec, exec, s[2:3]
	s_waitcnt vmcnt(0)
	v_and_b32_e32 v2, 0xff, v14
	v_cmp_gt_u64_e32 vcc, s[60:61], v[0:1]
	v_cmp_eq_u16_sdwa s[2:3], v2, v32 src0_sel:DWORD src1_sel:BYTE_0
	s_and_b64 s[36:37], vcc, s[2:3]
	v_cndmask_b32_e64 v2, 0, 1, s[36:37]
	v_cmp_ne_u32_e32 vcc, 0, v2
	s_cmp_lg_u64 vcc, 0
	v_readlane_b32 s34, v52, 18
	s_cselect_b64 s[2:3], -1, 0
	v_readlane_b32 s35, v52, 19
	s_and_b64 s[2:3], s[34:35], s[2:3]
	s_and_saveexec_b64 s[34:35], s[2:3]
	s_cbranch_execz .LBB141_553
; %bb.550:                              ;   in Loop: Header=BB141_546 Depth=1
	s_mov_b64 s[40:41], exec
	v_mbcnt_lo_u32_b32 v2, s40, 0
	v_mbcnt_hi_u32_b32 v12, s41, v2
	s_bcnt1_i32_b64 s42, vcc
	v_cmp_eq_u32_e64 s[2:3], 0, v12
                                        ; implicit-def: $vgpr6_vgpr7
	s_and_saveexec_b64 s[38:39], s[2:3]
	s_cbranch_execz .LBB141_552
; %bb.551:                              ;   in Loop: Header=BB141_546 Depth=1
	s_bcnt1_i32_b64 s2, s[40:41]
	s_mul_i32 s2, s42, s2
	v_mov_b32_e32 v2, s2
	ds_add_rtn_u64 v[6:7], v3, v[2:3] offset:5136
.LBB141_552:                            ;   in Loop: Header=BB141_546 Depth=1
	s_or_b64 exec, exec, s[38:39]
	s_waitcnt lgkmcnt(0)
	v_readfirstlane_b32 s2, v7
	v_readfirstlane_b32 s3, v6
	v_mov_b32_e32 v6, s3
	v_mov_b32_e32 v7, s2
	v_mad_u64_u32 v[6:7], s[2:3], s42, v12, v[6:7]
.LBB141_553:                            ;   in Loop: Header=BB141_546 Depth=1
	s_or_b64 exec, exec, s[34:35]
	ds_bpermute_b32 v6, v36, v6
	ds_bpermute_b32 v7, v36, v7
	s_cmp_eq_u64 vcc, 0
	s_cselect_b64 s[34:35], -1, 0
	s_mov_b64 s[38:39], -1
	s_mov_b64 s[40:41], -1
	s_waitcnt lgkmcnt(0)
	v_cmp_gt_u64_e64 s[2:3], s[62:63], v[6:7]
	s_or_b64 s[34:35], s[34:35], s[2:3]
	v_cndmask_b32_e64 v14, v14, v15, s[34:35]
	s_and_b64 s[42:43], s[36:37], s[34:35]
	s_mov_b64 s[2:3], -1
	s_and_saveexec_b64 s[36:37], s[42:43]
	s_cbranch_execz .LBB141_559
; %bb.554:                              ;   in Loop: Header=BB141_546 Depth=1
	v_and_b32_e32 v12, vcc_lo, v10
	v_and_b32_e32 v2, vcc_hi, v11
	v_bcnt_u32_b32 v12, v12, 0
	v_bcnt_u32_b32 v2, v2, v12
	v_mov_b32_e32 v13, s63
	v_sub_co_u32_e32 v12, vcc, s62, v6
	v_subb_co_u32_e32 v13, vcc, v13, v7, vcc
	v_cmp_le_u64_e64 s[38:39], v[12:13], v[2:3]
	v_cmp_gt_u64_e32 vcc, v[12:13], v[2:3]
	s_mov_b64 s[42:43], -1
	s_and_saveexec_b64 s[40:41], vcc
	s_cbranch_execz .LBB141_558
; %bb.555:                              ;   in Loop: Header=BB141_546 Depth=1
	v_add_co_u32_e32 v12, vcc, v6, v2
	v_addc_co_u32_e32 v13, vcc, 0, v7, vcc
	v_cmp_gt_u64_e32 vcc, s[62:63], v[12:13]
	s_mov_b64 s[44:45], s[38:39]
	s_and_saveexec_b64 s[42:43], vcc
	s_cbranch_execz .LBB141_557
; %bb.556:                              ;   in Loop: Header=BB141_546 Depth=1
	v_mul_lo_u32 v2, v13, s20
	v_mul_lo_u32 v14, v12, s21
	v_mad_u64_u32 v[16:17], s[44:45], v12, s20, 0
	v_pk_mov_b32 v[18:19], s[16:17], s[16:17] op_sel:[0,1]
	v_add3_u32 v17, v17, v14, v2
	v_mad_u64_u32 v[18:19], s[44:45], v12, s18, v[18:19]
	v_mul_lo_u32 v2, v12, s19
	v_mul_lo_u32 v12, v13, s18
	v_add3_u32 v19, v12, v19, v2
	v_lshlrev_b64 v[12:13], 3, v[16:17]
	v_mov_b32_e32 v2, s47
	v_add_co_u32_e32 v12, vcc, s46, v12
	v_addc_co_u32_e32 v13, vcc, v2, v13, vcc
	s_or_b64 s[44:45], s[38:39], exec
	global_store_byte v[18:19], v32, off
	global_store_dwordx2 v[12:13], v[0:1], off
.LBB141_557:                            ;   in Loop: Header=BB141_546 Depth=1
	s_or_b64 exec, exec, s[42:43]
	s_andn2_b64 s[38:39], s[38:39], exec
	s_and_b64 s[44:45], s[44:45], exec
	s_xor_b64 s[42:43], exec, -1
	s_or_b64 s[38:39], s[38:39], s[44:45]
.LBB141_558:                            ;   in Loop: Header=BB141_546 Depth=1
	s_or_b64 exec, exec, s[40:41]
	s_orn2_b64 s[40:41], s[42:43], exec
	s_or_b64 s[34:35], s[34:35], exec
	s_orn2_b64 s[38:39], s[38:39], exec
	v_mov_b32_e32 v14, v15
.LBB141_559:                            ;   in Loop: Header=BB141_546 Depth=1
	s_or_b64 exec, exec, s[36:37]
	s_and_saveexec_b64 s[36:37], s[38:39]
	s_cbranch_execz .LBB141_544
; %bb.560:                              ;   in Loop: Header=BB141_546 Depth=1
	s_xor_b64 s[2:3], s[34:35], -1
	v_readlane_b32 s34, v52, 51
	v_mov_b32_e32 v0, s65
	v_add_co_u32_e32 v4, vcc, s34, v4
	v_addc_co_u32_e32 v5, vcc, v5, v0, vcc
	s_or_b64 s[40:41], s[40:41], exec
	s_orn2_b64 s[2:3], s[2:3], exec
	s_branch .LBB141_544
.LBB141_561:
	s_or_b64 exec, exec, s[22:23]
	s_mov_b64 s[2:3], 0
	s_and_saveexec_b64 s[14:15], s[24:25]
	s_xor_b64 s[14:15], exec, s[14:15]
	s_cbranch_execnz .LBB141_567
.LBB141_562:
	s_or_b64 exec, exec, s[14:15]
	s_and_b64 s[2:3], s[2:3], exec
	s_andn2_b64 s[4:5], s[4:5], exec
	s_or_b64 exec, exec, s[0:1]
	s_and_saveexec_b64 s[0:1], s[4:5]
	s_xor_b64 s[0:1], exec, s[0:1]
	s_cbranch_execz .LBB141_518
.LBB141_563:
	s_or_b64 s[2:3], s[2:3], exec
	s_trap 2
	s_branch .LBB141_518
.LBB141_564:
	s_or_b64 s[2:3], s[2:3], exec
	s_trap 2
	s_branch .LBB141_524
.LBB141_565:
	s_or_b64 s[2:3], s[2:3], exec
	s_trap 2
	s_branch .LBB141_522
.LBB141_566:
	s_trap 2
	s_or_b64 s[2:3], s[2:3], exec
	s_branch .LBB141_520
.LBB141_567:
	s_mov_b64 s[2:3], exec
	s_trap 2
	s_branch .LBB141_562
	.section	.rodata,"a",@progbits
	.p2align	6, 0x0
	.amdhsa_kernel _ZN2at6native6sbtopk10gatherTopKIamLin1ELb0EEEvNS_4cuda6detail10TensorInfoIKT_T0_EES8_S8_bS8_S8_NS5_IS6_S8_EES8_NS5_IlS8_EES8_PS6_
		.amdhsa_group_segment_fixed_size 5152
		.amdhsa_private_segment_fixed_size 0
		.amdhsa_kernarg_size 1568
		.amdhsa_user_sgpr_count 6
		.amdhsa_user_sgpr_private_segment_buffer 1
		.amdhsa_user_sgpr_dispatch_ptr 0
		.amdhsa_user_sgpr_queue_ptr 0
		.amdhsa_user_sgpr_kernarg_segment_ptr 1
		.amdhsa_user_sgpr_dispatch_id 0
		.amdhsa_user_sgpr_flat_scratch_init 0
		.amdhsa_user_sgpr_kernarg_preload_length 0
		.amdhsa_user_sgpr_kernarg_preload_offset 0
		.amdhsa_user_sgpr_private_segment_size 0
		.amdhsa_uses_dynamic_stack 0
		.amdhsa_system_sgpr_private_segment_wavefront_offset 0
		.amdhsa_system_sgpr_workgroup_id_x 1
		.amdhsa_system_sgpr_workgroup_id_y 1
		.amdhsa_system_sgpr_workgroup_id_z 1
		.amdhsa_system_sgpr_workgroup_info 0
		.amdhsa_system_vgpr_workitem_id 0
		.amdhsa_next_free_vgpr 53
		.amdhsa_next_free_sgpr 96
		.amdhsa_accum_offset 56
		.amdhsa_reserve_vcc 1
		.amdhsa_reserve_flat_scratch 0
		.amdhsa_float_round_mode_32 0
		.amdhsa_float_round_mode_16_64 0
		.amdhsa_float_denorm_mode_32 3
		.amdhsa_float_denorm_mode_16_64 3
		.amdhsa_dx10_clamp 1
		.amdhsa_ieee_mode 1
		.amdhsa_fp16_overflow 0
		.amdhsa_tg_split 0
		.amdhsa_exception_fp_ieee_invalid_op 0
		.amdhsa_exception_fp_denorm_src 0
		.amdhsa_exception_fp_ieee_div_zero 0
		.amdhsa_exception_fp_ieee_overflow 0
		.amdhsa_exception_fp_ieee_underflow 0
		.amdhsa_exception_fp_ieee_inexact 0
		.amdhsa_exception_int_div_zero 0
	.end_amdhsa_kernel
	.section	.text._ZN2at6native6sbtopk10gatherTopKIamLin1ELb0EEEvNS_4cuda6detail10TensorInfoIKT_T0_EES8_S8_bS8_S8_NS5_IS6_S8_EES8_NS5_IlS8_EES8_PS6_,"axG",@progbits,_ZN2at6native6sbtopk10gatherTopKIamLin1ELb0EEEvNS_4cuda6detail10TensorInfoIKT_T0_EES8_S8_bS8_S8_NS5_IS6_S8_EES8_NS5_IlS8_EES8_PS6_,comdat
.Lfunc_end141:
	.size	_ZN2at6native6sbtopk10gatherTopKIamLin1ELb0EEEvNS_4cuda6detail10TensorInfoIKT_T0_EES8_S8_bS8_S8_NS5_IS6_S8_EES8_NS5_IlS8_EES8_PS6_, .Lfunc_end141-_ZN2at6native6sbtopk10gatherTopKIamLin1ELb0EEEvNS_4cuda6detail10TensorInfoIKT_T0_EES8_S8_bS8_S8_NS5_IS6_S8_EES8_NS5_IlS8_EES8_PS6_
                                        ; -- End function
	.section	.AMDGPU.csdata,"",@progbits
; Kernel info:
; codeLenInByte = 29052
; NumSgprs: 100
; NumVgprs: 53
; NumAgprs: 0
; TotalNumVgprs: 53
; ScratchSize: 0
; MemoryBound: 0
; FloatMode: 240
; IeeeMode: 1
; LDSByteSize: 5152 bytes/workgroup (compile time only)
; SGPRBlocks: 12
; VGPRBlocks: 6
; NumSGPRsForWavesPerEU: 100
; NumVGPRsForWavesPerEU: 53
; AccumOffset: 56
; Occupancy: 8
; WaveLimiterHint : 1
; COMPUTE_PGM_RSRC2:SCRATCH_EN: 0
; COMPUTE_PGM_RSRC2:USER_SGPR: 6
; COMPUTE_PGM_RSRC2:TRAP_HANDLER: 0
; COMPUTE_PGM_RSRC2:TGID_X_EN: 1
; COMPUTE_PGM_RSRC2:TGID_Y_EN: 1
; COMPUTE_PGM_RSRC2:TGID_Z_EN: 1
; COMPUTE_PGM_RSRC2:TIDIG_COMP_CNT: 0
; COMPUTE_PGM_RSRC3_GFX90A:ACCUM_OFFSET: 13
; COMPUTE_PGM_RSRC3_GFX90A:TG_SPLIT: 0
	.section	.text._ZN2at6native6mbtopk23computeBlockDigitCountsIimjLi1EEEvNS_4cuda6detail10TensorInfoIKT_T0_EEjPjjS8_iijT1_PSB_Ps,"axG",@progbits,_ZN2at6native6mbtopk23computeBlockDigitCountsIimjLi1EEEvNS_4cuda6detail10TensorInfoIKT_T0_EEjPjjS8_iijT1_PSB_Ps,comdat
	.protected	_ZN2at6native6mbtopk23computeBlockDigitCountsIimjLi1EEEvNS_4cuda6detail10TensorInfoIKT_T0_EEjPjjS8_iijT1_PSB_Ps ; -- Begin function _ZN2at6native6mbtopk23computeBlockDigitCountsIimjLi1EEEvNS_4cuda6detail10TensorInfoIKT_T0_EEjPjjS8_iijT1_PSB_Ps
	.globl	_ZN2at6native6mbtopk23computeBlockDigitCountsIimjLi1EEEvNS_4cuda6detail10TensorInfoIKT_T0_EEjPjjS8_iijT1_PSB_Ps
	.p2align	8
	.type	_ZN2at6native6mbtopk23computeBlockDigitCountsIimjLi1EEEvNS_4cuda6detail10TensorInfoIKT_T0_EEjPjjS8_iijT1_PSB_Ps,@function
_ZN2at6native6mbtopk23computeBlockDigitCountsIimjLi1EEEvNS_4cuda6detail10TensorInfoIKT_T0_EEjPjjS8_iijT1_PSB_Ps: ; @_ZN2at6native6mbtopk23computeBlockDigitCountsIimjLi1EEEvNS_4cuda6detail10TensorInfoIKT_T0_EEjPjjS8_iijT1_PSB_Ps
; %bb.0:
	s_load_dwordx4 s[12:15], s[4:5], 0x1c0
	s_load_dword s2, s[4:5], 0x1b0
	s_load_dwordx2 s[0:1], s[4:5], 0x1e0
	s_mov_b32 s9, 0
	s_waitcnt lgkmcnt(0)
	v_cvt_f32_u32_e32 v1, s14
	s_sub_i32 s3, 0, s14
	s_mul_i32 s1, s1, s8
	s_add_i32 s1, s1, s7
	v_rcp_iflag_f32_e32 v1, v1
	s_mul_i32 s10, s1, s0
	s_add_i32 s10, s10, s6
	v_mul_f32_e32 v1, 0x4f7ffffe, v1
	v_cvt_u32_f32_e32 v1, v1
	v_readfirstlane_b32 s0, v1
	s_mul_i32 s3, s3, s0
	s_mul_hi_u32 s1, s0, s3
	s_add_i32 s0, s0, s1
	s_mul_hi_u32 s0, s10, s0
	s_mul_i32 s1, s0, s14
	s_sub_i32 s1, s10, s1
	s_add_i32 s3, s0, 1
	s_sub_i32 s6, s1, s14
	s_cmp_ge_u32 s1, s14
	s_cselect_b32 s0, s3, s0
	s_cselect_b32 s1, s6, s1
	s_add_i32 s3, s0, 1
	s_cmp_ge_u32 s1, s14
	s_cselect_b32 s8, s3, s0
	s_cmp_ge_u32 s8, s2
	s_cbranch_scc1 .LBB142_23
; %bb.1:
	s_load_dwordx4 s[0:3], s[4:5], 0x1d0
	s_lshl_b64 s[6:7], s[8:9], 2
	s_movk_i32 s9, 0x100
	v_cmp_gt_u32_e32 vcc, s9, v0
	v_lshlrev_b32_e32 v1, 2, v0
	s_waitcnt lgkmcnt(0)
	s_add_u32 s0, s0, s6
	s_addc_u32 s1, s1, s7
	s_and_saveexec_b64 s[6:7], vcc
	s_cbranch_execz .LBB142_3
; %bb.2:
	v_mov_b32_e32 v2, 0
	ds_write_b32 v1, v2
.LBB142_3:
	s_or_b64 exec, exec, s[6:7]
	s_load_dword s9, s[4:5], 0x1a0
	s_mul_i32 s6, s8, s14
	s_sub_i32 s6, s10, s6
	s_add_i32 s7, s6, 1
	s_mul_i32 s6, s13, s6
	s_lshl_b32 s18, s6, 8
	s_waitcnt lgkmcnt(0)
	s_sub_i32 s6, s9, s18
	s_add_u32 s6, s6, 0xff
	s_addc_u32 s11, 0, 0
	v_mov_b32_e32 v2, s6
	v_alignbit_b32 v2, s11, v2, 8
	s_cmp_lt_u32 s7, s14
	v_readfirstlane_b32 s6, v2
	s_cselect_b32 s13, s13, s6
	s_cmp_lt_i32 s13, 1
	s_mov_b32 s17, 0
	s_barrier
	s_cbranch_scc1 .LBB142_19
; %bb.4:
	s_load_dwordx2 s[20:21], s[4:5], 0xd0
	s_load_dwordx2 s[6:7], s[4:5], 0x1b8
	;; [unrolled: 1-line block ×3, first 2 shown]
	s_load_dword s11, s[0:1], 0x0
	v_add_u32_e32 v2, s18, v0
	s_waitcnt lgkmcnt(0)
	s_mul_i32 s0, s21, s8
	s_mul_hi_u32 s1, s20, s8
	s_add_i32 s1, s1, s0
	s_mul_i32 s0, s20, s8
	s_lshl_b64 s[0:1], s[0:1], 2
	s_add_u32 s14, s22, s0
	s_addc_u32 s16, s23, s1
	s_and_b32 s8, s12, 0xff
	s_cmp_eq_u32 s13, 1
	s_cbranch_scc1 .LBB142_14
; %bb.5:
	s_and_b32 s12, s13, 0x7ffffffe
	v_mov_b32_e32 v3, 1
	v_mov_b32_e32 v4, v2
	s_branch .LBB142_7
.LBB142_6:                              ;   in Loop: Header=BB142_7 Depth=1
	s_or_b64 exec, exec, s[4:5]
	s_add_i32 s17, s17, 2
	s_cmp_eq_u32 s12, s17
	v_add_u32_e32 v4, 0x200, v4
	s_cbranch_scc1 .LBB142_13
.LBB142_7:                              ; =>This Inner Loop Header: Depth=1
	v_cmp_gt_u32_e64 s[0:1], s9, v4
	s_and_saveexec_b64 s[4:5], s[0:1]
	s_cbranch_execz .LBB142_10
; %bb.8:                                ;   in Loop: Header=BB142_7 Depth=1
	v_mad_u64_u32 v[6:7], s[0:1], v4, s6, 0
	v_mov_b32_e32 v8, v7
	v_mad_u64_u32 v[8:9], s[0:1], v4, s7, v[8:9]
	v_mov_b32_e32 v7, v8
	v_lshlrev_b64 v[6:7], 2, v[6:7]
	v_mov_b32_e32 v5, s16
	v_add_co_u32_e64 v6, s[0:1], s14, v6
	v_addc_co_u32_e64 v7, s[0:1], v5, v7, s[0:1]
	global_load_dword v5, v[6:7], off
	s_waitcnt vmcnt(0)
	v_xor_b32_e32 v5, 0x80000000, v5
	v_xor_b32_e32 v6, s11, v5
	v_and_b32_e32 v6, s15, v6
	v_cmp_eq_u32_e64 s[0:1], 0, v6
	s_and_b64 exec, exec, s[0:1]
	s_cbranch_execz .LBB142_10
; %bb.9:                                ;   in Loop: Header=BB142_7 Depth=1
	v_bfe_u32 v5, v5, s8, 8
	v_lshlrev_b32_e32 v5, 2, v5
	ds_add_u32 v5, v3
.LBB142_10:                             ;   in Loop: Header=BB142_7 Depth=1
	s_or_b64 exec, exec, s[4:5]
	v_add_u32_e32 v5, 0x100, v4
	v_cmp_gt_u32_e64 s[0:1], s9, v5
	s_and_saveexec_b64 s[4:5], s[0:1]
	s_cbranch_execz .LBB142_6
; %bb.11:                               ;   in Loop: Header=BB142_7 Depth=1
	v_mad_u64_u32 v[6:7], s[0:1], v5, s6, 0
	v_mov_b32_e32 v8, v7
	v_mad_u64_u32 v[8:9], s[0:1], v5, s7, v[8:9]
	v_mov_b32_e32 v7, v8
	v_lshlrev_b64 v[6:7], 2, v[6:7]
	v_mov_b32_e32 v5, s16
	v_add_co_u32_e64 v6, s[0:1], s14, v6
	v_addc_co_u32_e64 v7, s[0:1], v5, v7, s[0:1]
	global_load_dword v5, v[6:7], off
	s_waitcnt vmcnt(0)
	v_xor_b32_e32 v5, 0x80000000, v5
	v_xor_b32_e32 v6, s11, v5
	v_and_b32_e32 v6, s15, v6
	v_cmp_eq_u32_e64 s[0:1], 0, v6
	s_and_b64 exec, exec, s[0:1]
	s_cbranch_execz .LBB142_6
; %bb.12:                               ;   in Loop: Header=BB142_7 Depth=1
	v_bfe_u32 v5, v5, s8, 8
	v_lshlrev_b32_e32 v5, 2, v5
	ds_add_u32 v5, v3
	s_branch .LBB142_6
.LBB142_13:
	s_lshl_b32 s17, s12, 8
.LBB142_14:
	s_bitcmp0_b32 s13, 0
	s_cbranch_scc1 .LBB142_19
; %bb.15:
	v_add_u32_e32 v2, s17, v2
	v_cmp_gt_u32_e64 s[0:1], s9, v2
	s_and_saveexec_b64 s[4:5], s[0:1]
	s_cbranch_execz .LBB142_18
; %bb.16:
	v_mad_u64_u32 v[4:5], s[0:1], v2, s6, 0
	v_mov_b32_e32 v6, v5
	v_mad_u64_u32 v[2:3], s[0:1], v2, s7, v[6:7]
	v_mov_b32_e32 v5, v2
	v_lshlrev_b64 v[2:3], 2, v[4:5]
	v_mov_b32_e32 v4, s16
	v_add_co_u32_e64 v2, s[0:1], s14, v2
	v_addc_co_u32_e64 v3, s[0:1], v4, v3, s[0:1]
	global_load_dword v2, v[2:3], off
	s_waitcnt vmcnt(0)
	v_xor_b32_e32 v2, 0x80000000, v2
	v_xor_b32_e32 v3, s11, v2
	v_and_b32_e32 v3, s15, v3
	v_cmp_eq_u32_e64 s[0:1], 0, v3
	s_and_b64 exec, exec, s[0:1]
	s_cbranch_execz .LBB142_18
; %bb.17:
	v_bfe_u32 v2, v2, s8, 8
	v_lshlrev_b32_e32 v2, 2, v2
	v_mov_b32_e32 v3, 1
	ds_add_u32 v2, v3
.LBB142_18:
	s_or_b64 exec, exec, s[4:5]
.LBB142_19:
	v_mov_b32_e32 v2, 0
	s_waitcnt lgkmcnt(0)
	s_barrier
	s_and_saveexec_b64 s[0:1], vcc
	s_cbranch_execz .LBB142_21
; %bb.20:
	ds_read_b32 v2, v1
.LBB142_21:
	s_or_b64 exec, exec, s[0:1]
	s_and_saveexec_b64 s[0:1], vcc
	s_cbranch_execz .LBB142_23
; %bb.22:
	v_lshl_or_b32 v0, s10, 8, v0
	v_mov_b32_e32 v1, 0
	v_lshlrev_b64 v[0:1], 1, v[0:1]
	v_mov_b32_e32 v3, s3
	v_add_co_u32_e32 v0, vcc, s2, v0
	v_addc_co_u32_e32 v1, vcc, v3, v1, vcc
	s_waitcnt lgkmcnt(0)
	global_store_short v[0:1], v2, off
.LBB142_23:
	s_endpgm
	.section	.rodata,"a",@progbits
	.p2align	6, 0x0
	.amdhsa_kernel _ZN2at6native6mbtopk23computeBlockDigitCountsIimjLi1EEEvNS_4cuda6detail10TensorInfoIKT_T0_EEjPjjS8_iijT1_PSB_Ps
		.amdhsa_group_segment_fixed_size 1024
		.amdhsa_private_segment_fixed_size 0
		.amdhsa_kernarg_size 736
		.amdhsa_user_sgpr_count 6
		.amdhsa_user_sgpr_private_segment_buffer 1
		.amdhsa_user_sgpr_dispatch_ptr 0
		.amdhsa_user_sgpr_queue_ptr 0
		.amdhsa_user_sgpr_kernarg_segment_ptr 1
		.amdhsa_user_sgpr_dispatch_id 0
		.amdhsa_user_sgpr_flat_scratch_init 0
		.amdhsa_user_sgpr_kernarg_preload_length 0
		.amdhsa_user_sgpr_kernarg_preload_offset 0
		.amdhsa_user_sgpr_private_segment_size 0
		.amdhsa_uses_dynamic_stack 0
		.amdhsa_system_sgpr_private_segment_wavefront_offset 0
		.amdhsa_system_sgpr_workgroup_id_x 1
		.amdhsa_system_sgpr_workgroup_id_y 1
		.amdhsa_system_sgpr_workgroup_id_z 1
		.amdhsa_system_sgpr_workgroup_info 0
		.amdhsa_system_vgpr_workitem_id 0
		.amdhsa_next_free_vgpr 10
		.amdhsa_next_free_sgpr 24
		.amdhsa_accum_offset 12
		.amdhsa_reserve_vcc 1
		.amdhsa_reserve_flat_scratch 0
		.amdhsa_float_round_mode_32 0
		.amdhsa_float_round_mode_16_64 0
		.amdhsa_float_denorm_mode_32 3
		.amdhsa_float_denorm_mode_16_64 3
		.amdhsa_dx10_clamp 1
		.amdhsa_ieee_mode 1
		.amdhsa_fp16_overflow 0
		.amdhsa_tg_split 0
		.amdhsa_exception_fp_ieee_invalid_op 0
		.amdhsa_exception_fp_denorm_src 0
		.amdhsa_exception_fp_ieee_div_zero 0
		.amdhsa_exception_fp_ieee_overflow 0
		.amdhsa_exception_fp_ieee_underflow 0
		.amdhsa_exception_fp_ieee_inexact 0
		.amdhsa_exception_int_div_zero 0
	.end_amdhsa_kernel
	.section	.text._ZN2at6native6mbtopk23computeBlockDigitCountsIimjLi1EEEvNS_4cuda6detail10TensorInfoIKT_T0_EEjPjjS8_iijT1_PSB_Ps,"axG",@progbits,_ZN2at6native6mbtopk23computeBlockDigitCountsIimjLi1EEEvNS_4cuda6detail10TensorInfoIKT_T0_EEjPjjS8_iijT1_PSB_Ps,comdat
.Lfunc_end142:
	.size	_ZN2at6native6mbtopk23computeBlockDigitCountsIimjLi1EEEvNS_4cuda6detail10TensorInfoIKT_T0_EEjPjjS8_iijT1_PSB_Ps, .Lfunc_end142-_ZN2at6native6mbtopk23computeBlockDigitCountsIimjLi1EEEvNS_4cuda6detail10TensorInfoIKT_T0_EEjPjjS8_iijT1_PSB_Ps
                                        ; -- End function
	.section	.AMDGPU.csdata,"",@progbits
; Kernel info:
; codeLenInByte = 940
; NumSgprs: 28
; NumVgprs: 10
; NumAgprs: 0
; TotalNumVgprs: 10
; ScratchSize: 0
; MemoryBound: 0
; FloatMode: 240
; IeeeMode: 1
; LDSByteSize: 1024 bytes/workgroup (compile time only)
; SGPRBlocks: 3
; VGPRBlocks: 1
; NumSGPRsForWavesPerEU: 28
; NumVGPRsForWavesPerEU: 10
; AccumOffset: 12
; Occupancy: 8
; WaveLimiterHint : 1
; COMPUTE_PGM_RSRC2:SCRATCH_EN: 0
; COMPUTE_PGM_RSRC2:USER_SGPR: 6
; COMPUTE_PGM_RSRC2:TRAP_HANDLER: 0
; COMPUTE_PGM_RSRC2:TGID_X_EN: 1
; COMPUTE_PGM_RSRC2:TGID_Y_EN: 1
; COMPUTE_PGM_RSRC2:TGID_Z_EN: 1
; COMPUTE_PGM_RSRC2:TIDIG_COMP_CNT: 0
; COMPUTE_PGM_RSRC3_GFX90A:ACCUM_OFFSET: 2
; COMPUTE_PGM_RSRC3_GFX90A:TG_SPLIT: 0
	.section	.text._ZN2at6native6mbtopk10gatherTopKIimLi1EEEvNS_4cuda6detail10TensorInfoIKT_T0_EES8_S8_bjS8_NS5_IS6_S8_EES8_NS5_IlS8_EES8_jjPS6_PjSD_j,"axG",@progbits,_ZN2at6native6mbtopk10gatherTopKIimLi1EEEvNS_4cuda6detail10TensorInfoIKT_T0_EES8_S8_bjS8_NS5_IS6_S8_EES8_NS5_IlS8_EES8_jjPS6_PjSD_j,comdat
	.protected	_ZN2at6native6mbtopk10gatherTopKIimLi1EEEvNS_4cuda6detail10TensorInfoIKT_T0_EES8_S8_bjS8_NS5_IS6_S8_EES8_NS5_IlS8_EES8_jjPS6_PjSD_j ; -- Begin function _ZN2at6native6mbtopk10gatherTopKIimLi1EEEvNS_4cuda6detail10TensorInfoIKT_T0_EES8_S8_bjS8_NS5_IS6_S8_EES8_NS5_IlS8_EES8_jjPS6_PjSD_j
	.globl	_ZN2at6native6mbtopk10gatherTopKIimLi1EEEvNS_4cuda6detail10TensorInfoIKT_T0_EES8_S8_bjS8_NS5_IS6_S8_EES8_NS5_IlS8_EES8_jjPS6_PjSD_j
	.p2align	8
	.type	_ZN2at6native6mbtopk10gatherTopKIimLi1EEEvNS_4cuda6detail10TensorInfoIKT_T0_EES8_S8_bjS8_NS5_IS6_S8_EES8_NS5_IlS8_EES8_jjPS6_PjSD_j,@function
_ZN2at6native6mbtopk10gatherTopKIimLi1EEEvNS_4cuda6detail10TensorInfoIKT_T0_EES8_S8_bjS8_NS5_IS6_S8_EES8_NS5_IlS8_EES8_jjPS6_PjSD_j: ; @_ZN2at6native6mbtopk10gatherTopKIimLi1EEEvNS_4cuda6detail10TensorInfoIKT_T0_EES8_S8_bjS8_NS5_IS6_S8_EES8_NS5_IlS8_EES8_jjPS6_PjSD_j
; %bb.0:
	s_load_dwordx2 s[0:1], s[4:5], 0x538
	s_load_dword s2, s[4:5], 0x530
	s_waitcnt lgkmcnt(0)
	s_mul_i32 s1, s1, s8
	s_add_i32 s1, s1, s7
	s_mul_i32 s0, s1, s0
	s_add_i32 s0, s0, s6
	s_cmp_ge_u32 s0, s2
	s_cbranch_scc1 .LBB143_42
; %bb.1:
	s_load_dwordx2 s[20:21], s[4:5], 0x510
	s_load_dwordx4 s[8:11], s[4:5], 0x1a0
	s_mov_b32 s7, 0
	s_waitcnt lgkmcnt(0)
	v_cvt_f32_u32_e32 v1, s21
	s_sub_i32 s2, 0, s21
	s_lshl_b32 s1, s20, 8
	v_rcp_iflag_f32_e32 v1, v1
	v_mul_f32_e32 v1, 0x4f7ffffe, v1
	v_cvt_u32_f32_e32 v1, v1
	v_readfirstlane_b32 s3, v1
	s_mul_i32 s2, s2, s3
	s_mul_hi_u32 s2, s3, s2
	s_add_i32 s3, s3, s2
	s_mul_hi_u32 s2, s0, s3
	s_mul_i32 s3, s2, s21
	s_sub_i32 s3, s0, s3
	s_add_i32 s6, s2, 1
	s_sub_i32 s12, s3, s21
	s_cmp_ge_u32 s3, s21
	s_cselect_b32 s2, s6, s2
	s_cselect_b32 s3, s12, s3
	s_add_i32 s6, s2, 1
	s_cmp_ge_u32 s3, s21
	s_cselect_b32 s6, s6, s2
	s_mul_i32 s28, s6, s21
	s_sub_i32 s41, s0, s28
	s_add_i32 s0, s41, 1
	s_cmp_lt_u32 s0, s21
	s_mul_i32 s40, s41, s1
	s_cbranch_scc1 .LBB143_3
; %bb.2:
	s_sub_u32 s0, s8, s40
	s_subb_u32 s1, s9, 0
	s_add_u32 s0, s0, 0xff
	s_addc_u32 s1, s1, 0
	s_ashr_i32 s2, s1, 31
	s_lshr_b32 s2, s2, 24
	s_add_u32 s0, s0, s2
	s_addc_u32 s1, s1, 0
	v_mov_b32_e32 v1, s0
	v_alignbit_b32 v1, s1, v1, 8
	v_readfirstlane_b32 s20, v1
.LBB143_3:
	s_load_dwordx4 s[12:15], s[4:5], 0x518
	s_load_dwordx2 s[22:23], s[4:5], 0x0
	s_load_dwordx2 s[30:31], s[4:5], 0xd0
	;; [unrolled: 1-line block ×4, first 2 shown]
	s_lshl_b64 s[0:1], s[6:7], 2
	s_waitcnt lgkmcnt(0)
	s_add_u32 s0, s12, s0
	s_addc_u32 s1, s13, s1
	s_load_dword s33, s[0:1], 0x0
	v_cmp_ne_u32_e64 s[0:1], 0, v0
	v_cmp_eq_u32_e64 s[2:3], 0, v0
	s_and_saveexec_b64 s[12:13], s[2:3]
	s_cbranch_execz .LBB143_19
; %bb.4:
	s_load_dwordx2 s[34:35], s[4:5], 0x528
	s_mov_b32 s29, 0
	s_lshl_b64 s[36:37], s[28:29], 2
	s_add_u32 s16, s14, s36
	s_addc_u32 s17, s15, s37
	s_waitcnt lgkmcnt(0)
	s_add_u32 s18, s34, s36
	s_addc_u32 s19, s35, s37
	s_mov_b32 s28, 0
	s_cmp_lt_u32 s21, 4
	s_cbranch_scc1 .LBB143_16
; %bb.5:
	s_mov_b32 s42, 0
.LBB143_6:                              ; =>This Inner Loop Header: Depth=1
	s_add_u32 s16, s14, s36
	s_addc_u32 s17, s15, s37
	s_load_dwordx4 s[16:19], s[16:17], 0x0
	s_add_u32 s38, s34, s36
	s_addc_u32 s39, s35, s37
	s_cmp_ge_u32 s42, s41
	s_cbranch_scc0 .LBB143_13
; %bb.7:                                ;   in Loop: Header=BB143_6 Depth=1
	s_add_i32 s43, s42, 1
	s_cmp_ge_u32 s43, s41
	s_cbranch_scc0 .LBB143_14
.LBB143_8:                              ;   in Loop: Header=BB143_6 Depth=1
	s_add_i32 s43, s43, 1
	s_cmp_ge_u32 s43, s41
	s_cbranch_scc0 .LBB143_15
.LBB143_9:                              ;   in Loop: Header=BB143_6 Depth=1
	s_add_i32 s43, s43, 1
	s_cmp_ge_u32 s43, s41
	s_cbranch_scc1 .LBB143_11
.LBB143_10:                             ;   in Loop: Header=BB143_6 Depth=1
	s_load_dword s38, s[38:39], 0xc
	s_waitcnt lgkmcnt(0)
	s_add_i32 s29, s29, s19
	s_add_i32 s7, s38, s7
.LBB143_11:                             ;   in Loop: Header=BB143_6 Depth=1
	s_waitcnt lgkmcnt(0)
	s_add_i32 s16, s16, s28
	s_add_i32 s16, s16, s17
	;; [unrolled: 1-line block ×4, first 2 shown]
	s_add_u32 s14, s14, 16
	s_addc_u32 s15, s15, 0
	s_add_u32 s34, s34, 16
	s_addc_u32 s35, s35, 0
	s_add_i32 s39, s43, 4
	s_add_u32 s18, s34, s36
	s_addc_u32 s19, s35, s37
	s_add_u32 s16, s14, s36
	s_addc_u32 s17, s15, s37
	s_add_i32 s38, s43, 1
	s_cmp_ge_u32 s39, s21
	s_cbranch_scc1 .LBB143_17
; %bb.12:                               ;   in Loop: Header=BB143_6 Depth=1
	s_mov_b32 s42, s38
	s_branch .LBB143_6
.LBB143_13:                             ;   in Loop: Header=BB143_6 Depth=1
	s_load_dword s43, s[38:39], 0x0
	s_waitcnt lgkmcnt(0)
	s_add_i32 s29, s16, s29
	s_add_i32 s7, s43, s7
	;; [unrolled: 1-line block ×3, first 2 shown]
	s_cmp_ge_u32 s43, s41
	s_cbranch_scc1 .LBB143_8
.LBB143_14:                             ;   in Loop: Header=BB143_6 Depth=1
	s_load_dword s44, s[38:39], 0x4
	s_waitcnt lgkmcnt(0)
	s_add_i32 s29, s29, s17
	s_add_i32 s7, s44, s7
	;; [unrolled: 1-line block ×3, first 2 shown]
	s_cmp_ge_u32 s43, s41
	s_cbranch_scc1 .LBB143_9
.LBB143_15:                             ;   in Loop: Header=BB143_6 Depth=1
	s_load_dword s44, s[38:39], 0x8
	s_waitcnt lgkmcnt(0)
	s_add_i32 s29, s29, s18
	s_add_i32 s7, s44, s7
	;; [unrolled: 1-line block ×3, first 2 shown]
	s_cmp_ge_u32 s43, s41
	s_cbranch_scc0 .LBB143_10
	s_branch .LBB143_11
.LBB143_16:
	s_mov_b32 s14, 0
	s_cmp_ge_u32 s14, s21
	s_cbranch_scc0 .LBB143_40
	s_branch .LBB143_18
.LBB143_17:
	s_add_i32 s14, s42, 4
	s_cmp_ge_u32 s14, s21
	s_cbranch_scc0 .LBB143_40
.LBB143_18:
	v_mov_b32_e32 v2, s7
	v_mov_b32_e32 v3, s28
	;; [unrolled: 1-line block ×4, first 2 shown]
	ds_write_b96 v1, v[2:4] offset:1056
.LBB143_19:
	s_or_b64 exec, exec, s[12:13]
	s_load_dwordx4 s[12:15], s[4:5], 0x1b8
	s_load_dwordx4 s[16:19], s[4:5], 0x360
	s_cmp_eq_u32 s20, 0
	s_waitcnt lgkmcnt(0)
	s_barrier
	s_cbranch_scc1 .LBB143_42
; %bb.20:
	s_mul_i32 s7, s31, s6
	s_mul_hi_u32 s21, s30, s6
	s_add_i32 s29, s21, s7
	s_mul_i32 s7, s27, s6
	s_mul_hi_u32 s21, s26, s6
	s_mul_i32 s28, s30, s6
	s_add_i32 s27, s21, s7
	s_mul_i32 s7, s25, s6
	s_mul_hi_u32 s21, s24, s6
	v_mov_b32_e32 v1, 0
	s_mul_i32 s26, s26, s6
	s_add_i32 s7, s21, s7
	s_mul_i32 s6, s24, s6
	s_lshl_b64 s[24:25], s[28:29], 2
	ds_read_b96 v[2:4], v1 offset:1056
	s_add_u32 s21, s22, s24
	s_addc_u32 s22, s23, s25
	s_lshl_b64 s[24:25], s[26:27], 2
	s_add_u32 s23, s14, s24
	s_addc_u32 s24, s15, s25
	s_lshl_b64 s[6:7], s[6:7], 3
	s_add_u32 s25, s18, s6
	s_load_dword s6, s[4:5], 0x1b0
	s_load_dwordx2 s[14:15], s[4:5], 0x508
	s_waitcnt lgkmcnt(0)
	v_add_u32_e32 v2, v2, v3
	v_lshrrev_b32_e32 v3, 5, v0
	v_add_lshl_u32 v5, v3, v0, 2
	v_lshlrev_b32_e32 v3, 2, v0
	v_lshrrev_b32_e32 v6, 3, v0
	v_add_lshl_u32 v8, v6, v3, 2
	v_add_u32_e32 v3, -1, v0
	v_lshrrev_b32_e32 v6, 5, v3
	s_addc_u32 s26, s19, s7
	s_xor_b32 s27, s33, 0x80000000
	v_add_lshl_u32 v9, v6, v3, 2
	v_mbcnt_lo_u32_b32 v3, -1, 0
	s_bitcmp1_b32 s6, 0
	v_mbcnt_hi_u32_b32 v10, -1, v3
	s_cselect_b64 s[4:5], -1, 0
	v_cmp_gt_u32_e64 s[6:7], 64, v0
	v_add_u32_e32 v0, s40, v0
	v_and_b32_e32 v11, 15, v10
	v_bfe_i32 v12, v10, 4, 1
	v_add_u32_e32 v13, -1, v10
	v_and_b32_e32 v14, 64, v10
                                        ; implicit-def: $vgpr15
	s_branch .LBB143_23
.LBB143_21:                             ;   in Loop: Header=BB143_23 Depth=1
	s_or_b64 exec, exec, s[18:19]
	v_add_u32_e32 v2, v3, v2
.LBB143_22:                             ;   in Loop: Header=BB143_23 Depth=1
	s_add_i32 s20, s20, -1
	v_add_u32_e32 v4, v16, v4
	s_cmp_lg_u32 s20, 0
	v_add_u32_e32 v0, 0x100, v0
	s_cbranch_scc0 .LBB143_42
.LBB143_23:                             ; =>This Inner Loop Header: Depth=1
	v_cmp_gt_u64_e32 vcc, s[8:9], v[0:1]
	v_mov_b32_e32 v3, v1
	v_mov_b32_e32 v6, v1
	s_and_saveexec_b64 s[18:19], vcc
	s_cbranch_execz .LBB143_25
; %bb.24:                               ;   in Loop: Header=BB143_23 Depth=1
	v_mad_u64_u32 v[6:7], s[28:29], v0, s12, 0
	v_mov_b32_e32 v16, v7
	v_mad_u64_u32 v[16:17], s[28:29], v0, s13, v[16:17]
	v_mov_b32_e32 v7, v16
	v_lshlrev_b64 v[6:7], 2, v[6:7]
	v_mov_b32_e32 v3, s22
	v_add_co_u32_e32 v6, vcc, s21, v6
	v_addc_co_u32_e32 v7, vcc, v3, v7, vcc
	global_load_dword v15, v[6:7], off
	s_waitcnt vmcnt(0)
	v_xor_b32_e32 v3, 0x80000000, v15
	v_cmp_lt_u32_e32 vcc, s27, v3
	v_cndmask_b32_e64 v6, 0, 1, vcc
	v_cmp_gt_u32_e32 vcc, s27, v3
	v_cndmask_b32_e64 v3, 0, 1, vcc
	v_cndmask_b32_e64 v3, v3, v6, s[4:5]
	v_cmp_eq_u32_e32 vcc, s33, v15
	v_and_b32_e32 v3, 1, v3
	v_cndmask_b32_e64 v6, 0, 1, vcc
.LBB143_25:                             ;   in Loop: Header=BB143_23 Depth=1
	s_or_b64 exec, exec, s[18:19]
	ds_write_b32 v5, v3
	s_waitcnt lgkmcnt(0)
	s_barrier
	s_and_saveexec_b64 s[18:19], s[6:7]
	s_cbranch_execz .LBB143_27
; %bb.26:                               ;   in Loop: Header=BB143_23 Depth=1
	ds_read2_b32 v[16:17], v8 offset1:1
	ds_read2_b32 v[18:19], v8 offset0:2 offset1:3
	v_cmp_ne_u32_e32 vcc, 0, v11
	; wave barrier
	s_waitcnt lgkmcnt(1)
	v_add_u32_e32 v7, v17, v16
	s_waitcnt lgkmcnt(0)
	v_add3_u32 v7, v7, v18, v19
	s_nop 1
	v_mov_b32_dpp v17, v7 row_shr:1 row_mask:0xf bank_mask:0xf
	v_cndmask_b32_e32 v17, 0, v17, vcc
	v_add_u32_e32 v7, v17, v7
	v_cmp_lt_u32_e32 vcc, 1, v11
	s_nop 0
	v_mov_b32_dpp v17, v7 row_shr:2 row_mask:0xf bank_mask:0xf
	v_cndmask_b32_e32 v17, 0, v17, vcc
	v_add_u32_e32 v7, v7, v17
	v_cmp_lt_u32_e32 vcc, 3, v11
	;; [unrolled: 5-line block ×4, first 2 shown]
	s_nop 0
	v_mov_b32_dpp v17, v7 row_bcast:15 row_mask:0xf bank_mask:0xf
	v_and_b32_e32 v17, v12, v17
	v_add_u32_e32 v7, v7, v17
	s_nop 1
	v_mov_b32_dpp v17, v7 row_bcast:31 row_mask:0xf bank_mask:0xf
	v_cndmask_b32_e32 v17, 0, v17, vcc
	v_cmp_lt_i32_e32 vcc, v13, v14
	v_add_u32_e32 v7, v7, v17
	v_cndmask_b32_e32 v17, v13, v10, vcc
	v_lshlrev_b32_e32 v17, 2, v17
	ds_bpermute_b32 v7, v17, v7
	s_waitcnt lgkmcnt(0)
	v_add_u32_e32 v7, v7, v16
	v_cndmask_b32_e64 v7, v7, v3, s[2:3]
	ds_write_b32 v8, v7
	; wave barrier
	ds_read2_b32 v[16:17], v8 offset0:1 offset1:2
	ds_read_b32 v18, v8 offset:12
	s_waitcnt lgkmcnt(1)
	v_add_u32_e32 v7, v16, v7
	v_add_u32_e32 v16, v17, v7
	ds_write2_b32 v8, v7, v16 offset0:1 offset1:2
	s_waitcnt lgkmcnt(1)
	v_add_u32_e32 v7, v18, v16
	ds_write_b32 v8, v7 offset:12
.LBB143_27:                             ;   in Loop: Header=BB143_23 Depth=1
	s_or_b64 exec, exec, s[18:19]
	v_mov_b32_e32 v7, 0
	s_waitcnt lgkmcnt(0)
	s_barrier
	s_and_saveexec_b64 s[18:19], s[0:1]
	s_cbranch_execz .LBB143_29
; %bb.28:                               ;   in Loop: Header=BB143_23 Depth=1
	ds_read_b32 v7, v9
.LBB143_29:                             ;   in Loop: Header=BB143_23 Depth=1
	s_or_b64 exec, exec, s[18:19]
	ds_read_b32 v16, v1 offset:1048
	v_cmp_ne_u32_e32 vcc, 0, v3
	s_waitcnt lgkmcnt(0)
	s_barrier
	s_and_saveexec_b64 s[18:19], vcc
	s_cbranch_execz .LBB143_31
; %bb.30:                               ;   in Loop: Header=BB143_23 Depth=1
	v_add_u32_e32 v3, v7, v4
	v_mad_u64_u32 v[18:19], s[28:29], v3, s16, 0
	v_mov_b32_e32 v20, v19
	v_mad_u64_u32 v[20:21], s[28:29], v3, s17, v[20:21]
	v_mov_b32_e32 v19, v20
	v_lshlrev_b64 v[18:19], 2, v[18:19]
	v_mov_b32_e32 v7, s24
	v_add_co_u32_e32 v18, vcc, s23, v18
	v_addc_co_u32_e32 v19, vcc, v7, v19, vcc
	global_store_dword v[18:19], v15, off
	v_mad_u64_u32 v[18:19], s[28:29], v3, s14, 0
	v_mov_b32_e32 v20, v19
	v_mad_u64_u32 v[20:21], s[28:29], v3, s15, v[20:21]
	v_mov_b32_e32 v19, v20
	v_lshlrev_b64 v[18:19], 3, v[18:19]
	v_mov_b32_e32 v3, s26
	v_add_co_u32_e32 v18, vcc, s25, v18
	v_addc_co_u32_e32 v19, vcc, v3, v19, vcc
	global_store_dwordx2 v[18:19], v[0:1], off
.LBB143_31:                             ;   in Loop: Header=BB143_23 Depth=1
	s_or_b64 exec, exec, s[18:19]
	v_mov_b32_e32 v3, v1
	v_cmp_le_u64_e32 vcc, s[10:11], v[2:3]
	s_cbranch_vccnz .LBB143_22
; %bb.32:                               ;   in Loop: Header=BB143_23 Depth=1
	ds_write_b32 v5, v6
	s_waitcnt lgkmcnt(0)
	s_barrier
	s_and_saveexec_b64 s[18:19], s[6:7]
	s_cbranch_execz .LBB143_34
; %bb.33:                               ;   in Loop: Header=BB143_23 Depth=1
	ds_read2_b32 v[18:19], v8 offset1:1
	ds_read2_b32 v[20:21], v8 offset0:2 offset1:3
	v_cmp_ne_u32_e32 vcc, 0, v11
	; wave barrier
	s_waitcnt lgkmcnt(1)
	v_add_u32_e32 v3, v19, v18
	s_waitcnt lgkmcnt(0)
	v_add3_u32 v3, v3, v20, v21
	s_nop 1
	v_mov_b32_dpp v7, v3 row_shr:1 row_mask:0xf bank_mask:0xf
	v_cndmask_b32_e32 v7, 0, v7, vcc
	v_add_u32_e32 v3, v7, v3
	v_cmp_lt_u32_e32 vcc, 1, v11
	s_nop 0
	v_mov_b32_dpp v7, v3 row_shr:2 row_mask:0xf bank_mask:0xf
	v_cndmask_b32_e32 v7, 0, v7, vcc
	v_add_u32_e32 v3, v3, v7
	v_cmp_lt_u32_e32 vcc, 3, v11
	;; [unrolled: 5-line block ×4, first 2 shown]
	s_nop 0
	v_mov_b32_dpp v7, v3 row_bcast:15 row_mask:0xf bank_mask:0xf
	v_and_b32_e32 v7, v12, v7
	v_add_u32_e32 v3, v3, v7
	s_nop 1
	v_mov_b32_dpp v7, v3 row_bcast:31 row_mask:0xf bank_mask:0xf
	v_cndmask_b32_e32 v7, 0, v7, vcc
	v_cmp_lt_i32_e32 vcc, v13, v14
	v_add_u32_e32 v3, v3, v7
	v_cndmask_b32_e32 v7, v13, v10, vcc
	v_lshlrev_b32_e32 v7, 2, v7
	ds_bpermute_b32 v3, v7, v3
	s_waitcnt lgkmcnt(0)
	v_add_u32_e32 v3, v3, v18
	v_cndmask_b32_e64 v3, v3, v6, s[2:3]
	ds_write_b32 v8, v3
	; wave barrier
	ds_read2_b32 v[18:19], v8 offset0:1 offset1:2
	ds_read_b32 v7, v8 offset:12
	s_waitcnt lgkmcnt(1)
	v_add_u32_e32 v3, v18, v3
	v_add_u32_e32 v17, v19, v3
	ds_write2_b32 v8, v3, v17 offset0:1 offset1:2
	s_waitcnt lgkmcnt(1)
	v_add_u32_e32 v3, v7, v17
	ds_write_b32 v8, v3 offset:12
.LBB143_34:                             ;   in Loop: Header=BB143_23 Depth=1
	s_or_b64 exec, exec, s[18:19]
	v_mov_b32_e32 v7, 0
	s_waitcnt lgkmcnt(0)
	s_barrier
	s_and_saveexec_b64 s[18:19], s[0:1]
	s_cbranch_execz .LBB143_36
; %bb.35:                               ;   in Loop: Header=BB143_23 Depth=1
	ds_read_b32 v7, v9
.LBB143_36:                             ;   in Loop: Header=BB143_23 Depth=1
	s_or_b64 exec, exec, s[18:19]
	ds_read_b32 v3, v1 offset:1048
	v_cmp_ne_u32_e32 vcc, 0, v6
	s_waitcnt lgkmcnt(0)
	s_barrier
	s_and_saveexec_b64 s[18:19], vcc
	s_cbranch_execz .LBB143_21
; %bb.37:                               ;   in Loop: Header=BB143_23 Depth=1
	v_add_u32_e32 v6, v7, v2
	v_mov_b32_e32 v7, v1
	v_cmp_gt_u64_e32 vcc, s[10:11], v[6:7]
	s_and_b64 exec, exec, vcc
	s_cbranch_execz .LBB143_21
; %bb.38:                               ;   in Loop: Header=BB143_23 Depth=1
	v_mad_u64_u32 v[18:19], s[28:29], v6, s16, 0
	v_mov_b32_e32 v20, v19
	v_mad_u64_u32 v[20:21], s[28:29], v6, s17, v[20:21]
	v_mov_b32_e32 v19, v20
	v_lshlrev_b64 v[18:19], 2, v[18:19]
	v_mov_b32_e32 v7, s24
	v_add_co_u32_e32 v18, vcc, s23, v18
	v_addc_co_u32_e32 v19, vcc, v7, v19, vcc
	global_store_dword v[18:19], v15, off
	v_mad_u64_u32 v[18:19], s[28:29], v6, s14, 0
	v_mov_b32_e32 v20, v19
	v_mad_u64_u32 v[6:7], s[28:29], v6, s15, v[20:21]
	v_mov_b32_e32 v19, v6
	v_lshlrev_b64 v[6:7], 3, v[18:19]
	v_mov_b32_e32 v17, s26
	v_add_co_u32_e32 v6, vcc, s25, v6
	v_addc_co_u32_e32 v7, vcc, v17, v7, vcc
	global_store_dwordx2 v[6:7], v[0:1], off
	s_branch .LBB143_21
.LBB143_39:                             ;   in Loop: Header=BB143_40 Depth=1
	s_add_u32 s16, s16, 4
	s_addc_u32 s17, s17, 0
	s_waitcnt lgkmcnt(0)
	s_add_i32 s28, s15, s28
	s_add_u32 s18, s18, 4
	s_addc_u32 s19, s19, 0
	s_add_i32 s14, s14, 1
	s_cmp_lt_u32 s14, s21
	s_cbranch_scc0 .LBB143_18
.LBB143_40:                             ; =>This Inner Loop Header: Depth=1
	s_load_dword s15, s[16:17], 0x0
	s_cmp_ge_u32 s14, s41
	s_cbranch_scc1 .LBB143_39
; %bb.41:                               ;   in Loop: Header=BB143_40 Depth=1
	s_load_dword s34, s[18:19], 0x0
	s_waitcnt lgkmcnt(0)
	s_add_i32 s29, s15, s29
	s_add_i32 s7, s34, s7
	s_branch .LBB143_39
.LBB143_42:
	s_endpgm
	.section	.rodata,"a",@progbits
	.p2align	6, 0x0
	.amdhsa_kernel _ZN2at6native6mbtopk10gatherTopKIimLi1EEEvNS_4cuda6detail10TensorInfoIKT_T0_EES8_S8_bjS8_NS5_IS6_S8_EES8_NS5_IlS8_EES8_jjPS6_PjSD_j
		.amdhsa_group_segment_fixed_size 1068
		.amdhsa_private_segment_fixed_size 0
		.amdhsa_kernarg_size 1592
		.amdhsa_user_sgpr_count 6
		.amdhsa_user_sgpr_private_segment_buffer 1
		.amdhsa_user_sgpr_dispatch_ptr 0
		.amdhsa_user_sgpr_queue_ptr 0
		.amdhsa_user_sgpr_kernarg_segment_ptr 1
		.amdhsa_user_sgpr_dispatch_id 0
		.amdhsa_user_sgpr_flat_scratch_init 0
		.amdhsa_user_sgpr_kernarg_preload_length 0
		.amdhsa_user_sgpr_kernarg_preload_offset 0
		.amdhsa_user_sgpr_private_segment_size 0
		.amdhsa_uses_dynamic_stack 0
		.amdhsa_system_sgpr_private_segment_wavefront_offset 0
		.amdhsa_system_sgpr_workgroup_id_x 1
		.amdhsa_system_sgpr_workgroup_id_y 1
		.amdhsa_system_sgpr_workgroup_id_z 1
		.amdhsa_system_sgpr_workgroup_info 0
		.amdhsa_system_vgpr_workitem_id 0
		.amdhsa_next_free_vgpr 22
		.amdhsa_next_free_sgpr 45
		.amdhsa_accum_offset 24
		.amdhsa_reserve_vcc 1
		.amdhsa_reserve_flat_scratch 0
		.amdhsa_float_round_mode_32 0
		.amdhsa_float_round_mode_16_64 0
		.amdhsa_float_denorm_mode_32 3
		.amdhsa_float_denorm_mode_16_64 3
		.amdhsa_dx10_clamp 1
		.amdhsa_ieee_mode 1
		.amdhsa_fp16_overflow 0
		.amdhsa_tg_split 0
		.amdhsa_exception_fp_ieee_invalid_op 0
		.amdhsa_exception_fp_denorm_src 0
		.amdhsa_exception_fp_ieee_div_zero 0
		.amdhsa_exception_fp_ieee_overflow 0
		.amdhsa_exception_fp_ieee_underflow 0
		.amdhsa_exception_fp_ieee_inexact 0
		.amdhsa_exception_int_div_zero 0
	.end_amdhsa_kernel
	.section	.text._ZN2at6native6mbtopk10gatherTopKIimLi1EEEvNS_4cuda6detail10TensorInfoIKT_T0_EES8_S8_bjS8_NS5_IS6_S8_EES8_NS5_IlS8_EES8_jjPS6_PjSD_j,"axG",@progbits,_ZN2at6native6mbtopk10gatherTopKIimLi1EEEvNS_4cuda6detail10TensorInfoIKT_T0_EES8_S8_bjS8_NS5_IS6_S8_EES8_NS5_IlS8_EES8_jjPS6_PjSD_j,comdat
.Lfunc_end143:
	.size	_ZN2at6native6mbtopk10gatherTopKIimLi1EEEvNS_4cuda6detail10TensorInfoIKT_T0_EES8_S8_bjS8_NS5_IS6_S8_EES8_NS5_IlS8_EES8_jjPS6_PjSD_j, .Lfunc_end143-_ZN2at6native6mbtopk10gatherTopKIimLi1EEEvNS_4cuda6detail10TensorInfoIKT_T0_EES8_S8_bjS8_NS5_IS6_S8_EES8_NS5_IlS8_EES8_jjPS6_PjSD_j
                                        ; -- End function
	.section	.AMDGPU.csdata,"",@progbits
; Kernel info:
; codeLenInByte = 2176
; NumSgprs: 49
; NumVgprs: 22
; NumAgprs: 0
; TotalNumVgprs: 22
; ScratchSize: 0
; MemoryBound: 0
; FloatMode: 240
; IeeeMode: 1
; LDSByteSize: 1068 bytes/workgroup (compile time only)
; SGPRBlocks: 6
; VGPRBlocks: 2
; NumSGPRsForWavesPerEU: 49
; NumVGPRsForWavesPerEU: 22
; AccumOffset: 24
; Occupancy: 8
; WaveLimiterHint : 1
; COMPUTE_PGM_RSRC2:SCRATCH_EN: 0
; COMPUTE_PGM_RSRC2:USER_SGPR: 6
; COMPUTE_PGM_RSRC2:TRAP_HANDLER: 0
; COMPUTE_PGM_RSRC2:TGID_X_EN: 1
; COMPUTE_PGM_RSRC2:TGID_Y_EN: 1
; COMPUTE_PGM_RSRC2:TGID_Z_EN: 1
; COMPUTE_PGM_RSRC2:TIDIG_COMP_CNT: 0
; COMPUTE_PGM_RSRC3_GFX90A:ACCUM_OFFSET: 5
; COMPUTE_PGM_RSRC3_GFX90A:TG_SPLIT: 0
	.section	.text._ZN2at6native6sbtopk10gatherTopKIimLi1ELb0EEEvNS_4cuda6detail10TensorInfoIKT_T0_EES8_S8_bS8_S8_NS5_IS6_S8_EES8_NS5_IlS8_EES8_PS6_,"axG",@progbits,_ZN2at6native6sbtopk10gatherTopKIimLi1ELb0EEEvNS_4cuda6detail10TensorInfoIKT_T0_EES8_S8_bS8_S8_NS5_IS6_S8_EES8_NS5_IlS8_EES8_PS6_,comdat
	.protected	_ZN2at6native6sbtopk10gatherTopKIimLi1ELb0EEEvNS_4cuda6detail10TensorInfoIKT_T0_EES8_S8_bS8_S8_NS5_IS6_S8_EES8_NS5_IlS8_EES8_PS6_ ; -- Begin function _ZN2at6native6sbtopk10gatherTopKIimLi1ELb0EEEvNS_4cuda6detail10TensorInfoIKT_T0_EES8_S8_bS8_S8_NS5_IS6_S8_EES8_NS5_IlS8_EES8_PS6_
	.globl	_ZN2at6native6sbtopk10gatherTopKIimLi1ELb0EEEvNS_4cuda6detail10TensorInfoIKT_T0_EES8_S8_bS8_S8_NS5_IS6_S8_EES8_NS5_IlS8_EES8_PS6_
	.p2align	8
	.type	_ZN2at6native6sbtopk10gatherTopKIimLi1ELb0EEEvNS_4cuda6detail10TensorInfoIKT_T0_EES8_S8_bS8_S8_NS5_IS6_S8_EES8_NS5_IlS8_EES8_PS6_,@function
_ZN2at6native6sbtopk10gatherTopKIimLi1ELb0EEEvNS_4cuda6detail10TensorInfoIKT_T0_EES8_S8_bS8_S8_NS5_IS6_S8_EES8_NS5_IlS8_EES8_PS6_: ; @_ZN2at6native6sbtopk10gatherTopKIimLi1ELb0EEEvNS_4cuda6detail10TensorInfoIKT_T0_EES8_S8_bS8_S8_NS5_IS6_S8_EES8_NS5_IlS8_EES8_PS6_
; %bb.0:
	s_load_dwordx4 s[60:63], s[4:5], 0x1b8
	s_load_dwordx2 s[10:11], s[4:5], 0x520
	s_add_u32 s14, s4, 0x520
	s_addc_u32 s15, s5, 0
	s_mov_b32 s17, 0
	s_waitcnt lgkmcnt(0)
	v_mov_b32_e32 v2, s60
	s_mul_i32 s0, s11, s8
	s_add_i32 s0, s0, s7
	s_mul_i32 s0, s0, s10
	v_mov_b32_e32 v3, s61
	s_add_i32 s16, s0, s6
	v_cmp_ge_u64_e32 vcc, s[16:17], v[2:3]
	s_cbranch_vccnz .LBB144_483
; %bb.1:
	s_load_dwordx2 s[0:1], s[4:5], 0x440
                                        ; implicit-def: $vgpr54 : SGPR spill to VGPR lane
	v_cmp_eq_u32_e64 s[8:9], 0, v0
	s_waitcnt lgkmcnt(0)
	v_writelane_b32 v54, s0, 0
	v_writelane_b32 v54, s1, 1
	s_load_dwordx2 s[0:1], s[4:5], 0x370
	s_waitcnt lgkmcnt(0)
	v_writelane_b32 v54, s0, 2
	v_writelane_b32 v54, s1, 3
	s_load_dwordx2 s[0:1], s[4:5], 0x298
	s_waitcnt lgkmcnt(0)
	v_writelane_b32 v54, s0, 4
	v_writelane_b32 v54, s1, 5
	s_load_dwordx4 s[56:59], s[4:5], 0x1a0
	s_load_dwordx2 s[0:1], s[4:5], 0x1c8
	s_waitcnt lgkmcnt(0)
	v_writelane_b32 v54, s0, 6
	v_writelane_b32 v54, s1, 7
	s_load_dwordx2 s[0:1], s[4:5], 0xd0
	s_load_dwordx2 s[12:13], s[4:5], 0x0
	s_mov_b64 s[2:3], exec
	v_writelane_b32 v54, s8, 8
	v_writelane_b32 v54, s9, 9
	s_and_b64 s[8:9], s[2:3], s[8:9]
	s_mov_b64 exec, s[8:9]
	s_cbranch_execz .LBB144_3
; %bb.2:
	v_mov_b32_e32 v2, 0
	v_mov_b32_e32 v4, s56
	;; [unrolled: 1-line block ×4, first 2 shown]
	ds_write_b32 v2, v2 offset:5144
	ds_write_b128 v2, v[2:5] offset:5120
.LBB144_3:
	s_or_b64 exec, exec, s[2:3]
	s_waitcnt lgkmcnt(0)
	s_mul_i32 s1, s1, s16
	s_mul_hi_u32 s2, s0, s16
	s_add_i32 s1, s2, s1
	v_writelane_b32 v54, s4, 10
	s_load_dword s2, s[4:5], 0x1b0
	v_writelane_b32 v54, s5, 11
	s_mov_b32 s4, s16
	s_mul_i32 s0, s0, s16
	v_writelane_b32 v54, s4, 12
	s_lshl_b64 s[0:1], s[0:1], 2
	v_writelane_b32 v54, s5, 13
	s_add_u32 s70, s12, s0
	v_writelane_b32 v54, s0, 14
	s_addc_u32 s71, s13, s1
	s_waitcnt lgkmcnt(0)
	s_bitcmp1_b32 s2, 0
	v_writelane_b32 v54, s1, 15
	s_cselect_b64 s[0:1], -1, 0
	v_writelane_b32 v54, s0, 16
	v_mbcnt_lo_u32_b32 v1, -1, 0
	v_writelane_b32 v54, s1, 17
	s_xor_b64 s[0:1], s[0:1], -1
	v_mbcnt_hi_u32_b32 v37, -1, v1
	v_writelane_b32 v54, s0, 18
	v_cmp_gt_u32_e32 vcc, 64, v0
	v_cmp_gt_i32_e64 s[2:3], 4, v37
	v_writelane_b32 v54, s1, 19
	s_and_b64 s[0:1], vcc, s[2:3]
	v_mov_b32_e32 v2, 0x300
	v_writelane_b32 v54, s0, 20
	v_mov_b32_e32 v3, 0
	v_mov_b32_e32 v15, 0
	v_writelane_b32 v54, s1, 21
	v_cmp_gt_u64_e64 s[0:1], s[56:57], v[2:3]
	v_writelane_b32 v54, s0, 22
	v_mov_b32_e32 v1, v15
	v_writelane_b32 v54, s1, 23
	v_cmp_gt_u64_e64 s[0:1], s[56:57], v[0:1]
	v_writelane_b32 v54, s0, 24
	v_writelane_b32 v54, s1, 25
	v_mad_u64_u32 v[2:3], s[0:1], v0, s62, 0
	v_mov_b32_e32 v4, v3
	v_mad_u64_u32 v[4:5], s[0:1], v0, s63, v[4:5]
	v_cmp_gt_u32_e64 s[0:1], 2, v0
	v_writelane_b32 v54, s0, 26
	s_barrier
	v_writelane_b32 v54, s1, 27
	s_load_dword s0, s[14:15], 0xc
	v_mov_b32_e32 v3, v4
	v_lshlrev_b64 v[4:5], 2, v[2:3]
	v_add_co_u32_e32 v12, vcc, s70, v4
	s_waitcnt lgkmcnt(0)
	v_cmp_gt_u16_e64 s[2:3], s0, 63
	s_and_b32 s33, s0, 0xffff
	s_bfe_u32 s1, s0, 0xa0006
	v_writelane_b32 v54, s2, 28
	v_writelane_b32 v54, s3, 29
	s_add_u32 s2, s33, -1
	s_addc_u32 s3, 0, -1
	v_writelane_b32 v54, s2, 30
	s_add_u32 s2, s2, s56
	v_writelane_b32 v54, s2, 31
	v_writelane_b32 v54, s3, 32
	s_addc_u32 s3, s3, s57
	v_writelane_b32 v54, s2, 33
	s_cmp_lt_u32 s6, s10
	v_writelane_b32 v54, s3, 34
	s_cselect_b32 s2, 12, 18
	s_add_u32 s2, s14, s2
	s_addc_u32 s3, s15, 0
	v_writelane_b32 v54, s2, 35
	v_writelane_b32 v54, s3, 36
	s_add_i32 s2, s1, -1
	s_bfe_u32 s3, s33, 0x30006
	s_cmp_gt_u32 s2, 6
	s_cselect_b64 s[4:5], -1, 0
	v_writelane_b32 v54, s4, 37
	s_and_b32 s1, s1, 0x3f8
	v_writelane_b32 v54, s5, 38
	s_cmp_lg_u32 s3, 0
	v_lshrrev_b32_e32 v4, 4, v0
	v_writelane_b32 v54, s3, 39
	s_cselect_b64 s[2:3], -1, 0
	v_mov_b32_e32 v6, s71
	v_and_b32_e32 v38, 60, v4
	v_lshlrev_b32_e32 v4, 2, v37
	v_writelane_b32 v54, s2, 40
	v_addc_co_u32_e32 v13, vcc, v6, v5, vcc
	v_and_b32_e32 v36, 0x100, v4
	v_lshlrev_b64 v[4:5], v37, -1
	v_writelane_b32 v54, s3, 41
	s_lshl_b64 s[2:3], s[62:63], 2
	v_lshlrev_b32_e32 v40, 4, v0
	v_not_b32_e32 v11, v5
	v_writelane_b32 v54, s2, 42
	v_or_b32_e32 v5, 12, v40
	v_writelane_b32 v54, s3, 43
	v_mad_u64_u32 v[18:19], s[2:3], s62, v5, 0
	v_not_b32_e32 v10, v4
	v_mov_b32_e32 v4, v19
	v_mad_u64_u32 v[4:5], s[2:3], s63, v5, v[4:5]
	s_lshl_b64 s[2:3], s[62:63], 4
	v_writelane_b32 v54, s2, 44
	v_or_b32_e32 v5, 8, v40
	v_writelane_b32 v54, s3, 45
	v_mad_u64_u32 v[20:21], s[2:3], s62, v5, 0
	v_mov_b32_e32 v19, v4
	v_mov_b32_e32 v4, v21
	v_mad_u64_u32 v[4:5], s[2:3], s63, v5, v[4:5]
	v_or_b32_e32 v5, 4, v40
	v_mad_u64_u32 v[22:23], s[2:3], s62, v5, 0
	v_mov_b32_e32 v21, v4
	v_mov_b32_e32 v4, v23
	v_mad_u64_u32 v[4:5], s[2:3], s63, v5, v[4:5]
	s_mul_i32 s2, s63, s33
	s_mul_hi_u32 s3, s62, s33
	s_add_i32 s3, s3, s2
	s_mul_i32 s2, s62, s33
	s_mov_b32 s83, 0
	v_lshlrev_b32_e32 v16, 2, v0
	v_lshlrev_b64 v[24:25], 4, v[2:3]
	v_mov_b32_e32 v2, 0xc00
	s_lshl_b64 s[60:61], s[2:3], 2
	s_mov_b32 s2, 30
	v_cmp_eq_u32_e64 s[94:95], 0, v37
	v_mov_b32_e32 v17, v15
	v_add_u32_e32 v39, 0xc00, v16
	s_mov_b32 s0, s83
	v_mov_b32_e32 v23, v4
	v_lshl_or_b32 v41, v37, 3, v2
	s_lshl_b32 s88, s33, 2
	v_writelane_b32 v54, s2, 46
	s_mov_b64 s[74:75], 0
	v_pk_mov_b32 v[30:31], s[58:59], s[58:59] op_sel:[0,1]
	v_mov_b32_e32 v26, 1
	v_mov_b32_e32 v42, 0x4f800000
	;; [unrolled: 1-line block ×3, first 2 shown]
	s_mov_b32 s2, 0
	v_mov_b32_e32 v44, 0
	v_mov_b32_e32 v43, 0
                                        ; implicit-def: $sgpr76_sgpr77
                                        ; implicit-def: $sgpr30_sgpr31
                                        ; implicit-def: $sgpr64_sgpr65
                                        ; implicit-def: $sgpr92_sgpr93
                                        ; implicit-def: $sgpr66_sgpr67
                                        ; implicit-def: $sgpr28_sgpr29
	v_writelane_b32 v54, s2, 47
                                        ; implicit-def: $sgpr36_sgpr37
                                        ; implicit-def: $sgpr8_sgpr9
                                        ; implicit-def: $sgpr10_sgpr11
                                        ; implicit-def: $sgpr86_sgpr87
	s_branch .LBB144_6
.LBB144_4:                              ;   in Loop: Header=BB144_6 Depth=1
	s_or_b64 exec, exec, s[12:13]
	s_andn2_b64 s[12:13], s[86:87], exec
	s_and_b64 s[6:7], s[6:7], exec
	s_or_b64 s[86:87], s[12:13], s[6:7]
	s_andn2_b64 s[10:11], s[10:11], exec
	s_andn2_b64 s[8:9], s[8:9], exec
	;; [unrolled: 1-line block ×4, first 2 shown]
	s_orn2_b64 s[4:5], s[4:5], exec
	v_mov_b32_e32 v43, v34
	v_mov_b32_e32 v44, v28
	v_pk_mov_b32 v[30:31], v[4:5], v[4:5] op_sel:[0,1]
	v_mov_b32_e32 v29, v3
.LBB144_5:                              ;   in Loop: Header=BB144_6 Depth=1
	s_or_b64 exec, exec, s[2:3]
	s_and_b64 s[2:3], exec, s[4:5]
	s_or_b64 s[74:75], s[2:3], s[74:75]
	s_andn2_b64 s[2:3], s[66:67], exec
	s_and_b64 s[4:5], s[86:87], exec
	s_or_b64 s[66:67], s[2:3], s[4:5]
	s_andn2_b64 s[2:3], s[92:93], exec
	s_and_b64 s[4:5], s[10:11], exec
	;; [unrolled: 3-line block ×5, first 2 shown]
	s_or_b64 s[76:77], s[2:3], s[4:5]
	s_andn2_b64 exec, exec, s[74:75]
	s_cbranch_execz .LBB144_479
.LBB144_6:                              ; =>This Loop Header: Depth=1
                                        ;     Child Loop BB144_14 Depth 2
                                        ;     Child Loop BB144_29 Depth 2
	;; [unrolled: 1-line block ×24, first 2 shown]
	ds_read_b128 v[2:5], v15 offset:5120
	s_waitcnt lgkmcnt(0)
	v_readfirstlane_b32 s3, v3
	v_readfirstlane_b32 s2, v2
	s_cmp_lg_u64 s[2:3], 0
	s_cbranch_scc1 .LBB144_36
; %bb.7:                                ;   in Loop: Header=BB144_6 Depth=1
	v_readlane_b32 s2, v54, 22
	v_readlane_b32 s3, v54, 23
	s_and_b64 vcc, exec, s[2:3]
	s_cbranch_vccz .LBB144_22
; %bb.8:                                ;   in Loop: Header=BB144_6 Depth=1
	s_mov_b64 s[2:3], 0x301
	v_cmp_gt_u64_e32 vcc, s[2:3], v[4:5]
	s_mov_b64 s[2:3], 0
	s_mov_b64 s[4:5], 0
	s_cbranch_vccz .LBB144_23
; %bb.9:                                ;   in Loop: Header=BB144_6 Depth=1
	v_mov_b32_e32 v6, 0
	s_mov_b64 s[4:5], exec
	v_readlane_b32 s6, v54, 24
	v_readlane_b32 s7, v54, 25
	s_and_b64 s[6:7], s[4:5], s[6:7]
	s_mov_b64 exec, s[6:7]
	s_cbranch_execz .LBB144_11
; %bb.10:                               ;   in Loop: Header=BB144_6 Depth=1
	global_load_dword v6, v[12:13], off
.LBB144_11:                             ;   in Loop: Header=BB144_6 Depth=1
	s_or_b64 exec, exec, s[4:5]
	s_mov_b64 s[4:5], exec
	v_readlane_b32 s6, v54, 24
	v_readlane_b32 s7, v54, 25
	s_and_b64 s[6:7], s[4:5], s[6:7]
	s_mov_b64 exec, s[6:7]
	s_cbranch_execz .LBB144_95
; %bb.12:                               ;   in Loop: Header=BB144_6 Depth=1
	v_readlane_b32 s6, v54, 35
	v_readlane_b32 s7, v54, 36
	;; [unrolled: 1-line block ×3, first 2 shown]
	v_pk_mov_b32 v[2:3], s[70:71], s[70:71] op_sel:[0,1]
	v_readlane_b32 s17, v54, 43
	s_mov_b64 s[12:13], 0
	s_nop 0
	global_load_ushort v7, v15, s[6:7]
	s_waitcnt vmcnt(0)
	v_readfirstlane_b32 s6, v7
	s_and_b32 s6, 0xffff, s6
	v_add_u32_e32 v5, s6, v0
	s_mul_i32 s14, s17, s6
	s_mul_hi_u32 s15, s16, s6
	s_mul_i32 s22, s16, s6
	v_mad_u64_u32 v[2:3], s[6:7], s16, v5, v[2:3]
	v_mov_b32_e32 v4, v3
	v_mad_u64_u32 v[4:5], s[6:7], s17, v5, v[4:5]
	s_add_i32 s23, s15, s14
	v_mov_b32_e32 v3, v4
	v_pk_mov_b32 v[4:5], v[0:1], v[0:1] op_sel:[0,1]
	s_branch .LBB144_14
.LBB144_13:                             ;   in Loop: Header=BB144_14 Depth=2
	s_or_b64 exec, exec, s[6:7]
	v_mov_b32_e32 v6, s23
	v_add_co_u32_e32 v2, vcc, s22, v2
	v_addc_co_u32_e32 v3, vcc, v3, v6, vcc
	s_waitcnt vmcnt(0)
	v_mov_b32_e32 v6, v8
	s_andn2_b64 exec, exec, s[12:13]
	s_cbranch_execz .LBB144_95
.LBB144_14:                             ;   Parent Loop BB144_6 Depth=1
                                        ; =>  This Inner Loop Header: Depth=2
	v_add_co_u32_sdwa v4, vcc, v4, v7 dst_sel:DWORD dst_unused:UNUSED_PAD src0_sel:DWORD src1_sel:WORD_0
	v_addc_co_u32_e32 v5, vcc, 0, v5, vcc
	v_cmp_gt_u64_e64 s[6:7], s[56:57], v[4:5]
	v_cmp_le_u64_e32 vcc, s[56:57], v[4:5]
	s_waitcnt lgkmcnt(0)
	v_mov_b32_e32 v9, 0
	v_mov_b32_e32 v8, 0
	s_and_saveexec_b64 s[14:15], s[6:7]
	s_cbranch_execz .LBB144_16
; %bb.15:                               ;   in Loop: Header=BB144_14 Depth=2
	global_load_dword v8, v[2:3], off
.LBB144_16:                             ;   in Loop: Header=BB144_14 Depth=2
	s_or_b64 exec, exec, s[14:15]
	v_xor_b32_e32 v14, 0x80000000, v6
	v_and_b32_e32 v14, v14, v43
	v_cmp_eq_u32_e64 s[14:15], v14, v44
	s_cmp_lg_u64 s[14:15], 0
	s_cselect_b64 s[6:7], -1, 0
	s_and_b64 s[6:7], s[94:95], s[6:7]
	s_and_saveexec_b64 s[16:17], s[6:7]
	s_cbranch_execz .LBB144_20
; %bb.17:                               ;   in Loop: Header=BB144_14 Depth=2
	s_mov_b64 s[20:21], exec
	v_mbcnt_lo_u32_b32 v9, s20, 0
	v_mbcnt_hi_u32_b32 v9, s21, v9
	s_bcnt1_i32_b64 s24, s[14:15]
	v_cmp_eq_u32_e64 s[6:7], 0, v9
                                        ; implicit-def: $vgpr14
	s_and_saveexec_b64 s[18:19], s[6:7]
	s_cbranch_execz .LBB144_19
; %bb.18:                               ;   in Loop: Header=BB144_14 Depth=2
	s_bcnt1_i32_b64 s6, s[20:21]
	s_mul_i32 s6, s24, s6
	v_mov_b32_e32 v14, s6
	ds_add_rtn_u32 v14, v15, v14 offset:5144
.LBB144_19:                             ;   in Loop: Header=BB144_14 Depth=2
	s_or_b64 exec, exec, s[18:19]
	s_waitcnt lgkmcnt(0)
	v_readfirstlane_b32 s6, v14
	v_mov_b32_e32 v14, s6
	v_mad_u32_u24 v9, s24, v9, v14
.LBB144_20:                             ;   in Loop: Header=BB144_14 Depth=2
	s_or_b64 exec, exec, s[16:17]
	ds_bpermute_b32 v9, v36, v9
	s_and_b64 s[6:7], exec, vcc
	s_or_b64 s[12:13], s[6:7], s[12:13]
	s_and_saveexec_b64 s[6:7], s[14:15]
	s_cbranch_execz .LBB144_13
; %bb.21:                               ;   in Loop: Header=BB144_14 Depth=2
	v_and_b32_e32 v27, s14, v10
	v_and_b32_e32 v14, s15, v11
	v_bcnt_u32_b32 v27, v27, 0
	v_bcnt_u32_b32 v14, v14, v27
	v_lshlrev_b32_e32 v14, 2, v14
	s_waitcnt lgkmcnt(0)
	v_lshl_add_u32 v9, v9, 2, v14
	ds_write_b32 v9, v6
	s_branch .LBB144_13
.LBB144_22:                             ;   in Loop: Header=BB144_6 Depth=1
	s_mov_b64 s[2:3], -1
	s_mov_b64 s[4:5], 0
.LBB144_23:                             ;   in Loop: Header=BB144_6 Depth=1
	s_and_b64 vcc, exec, s[2:3]
	s_cbranch_vccz .LBB144_34
.LBB144_24:                             ;   in Loop: Header=BB144_6 Depth=1
	s_waitcnt vmcnt(0)
	v_mov_b32_e32 v6, 0
	s_mov_b64 s[2:3], exec
	v_readlane_b32 s4, v54, 24
	v_readlane_b32 s5, v54, 25
	s_and_b64 s[4:5], s[2:3], s[4:5]
	s_mov_b64 exec, s[4:5]
	s_cbranch_execz .LBB144_26
; %bb.25:                               ;   in Loop: Header=BB144_6 Depth=1
	global_load_dword v6, v[12:13], off
.LBB144_26:                             ;   in Loop: Header=BB144_6 Depth=1
	s_or_b64 exec, exec, s[2:3]
	s_mov_b64 s[2:3], exec
	v_readlane_b32 s4, v54, 24
	v_readlane_b32 s5, v54, 25
	s_and_b64 s[4:5], s[2:3], s[4:5]
	s_mov_b64 exec, s[4:5]
	s_cbranch_execz .LBB144_31
; %bb.27:                               ;   in Loop: Header=BB144_6 Depth=1
	v_readlane_b32 s4, v54, 35
	v_readlane_b32 s5, v54, 36
	;; [unrolled: 1-line block ×3, first 2 shown]
	v_pk_mov_b32 v[2:3], s[70:71], s[70:71] op_sel:[0,1]
	v_readlane_b32 s17, v54, 43
	v_mov_b32_e32 v8, v16
	s_nop 0
	global_load_ushort v7, v15, s[4:5]
	s_mov_b64 s[4:5], 0
	s_waitcnt vmcnt(0)
	v_readfirstlane_b32 s6, v7
	s_and_b32 s6, 0xffff, s6
	v_add_u32_e32 v5, s6, v0
	s_lshl_b32 s14, s6, 2
	s_mul_i32 s12, s17, s6
	s_mul_hi_u32 s13, s16, s6
	s_mul_i32 s15, s16, s6
	v_mad_u64_u32 v[2:3], s[6:7], s16, v5, v[2:3]
	v_mov_b32_e32 v4, v3
	v_mad_u64_u32 v[4:5], s[6:7], s17, v5, v[4:5]
	s_add_i32 s16, s13, s12
	v_mov_b32_e32 v3, v4
	v_pk_mov_b32 v[4:5], v[0:1], v[0:1] op_sel:[0,1]
	s_branch .LBB144_29
.LBB144_28:                             ;   in Loop: Header=BB144_29 Depth=2
	s_or_b64 exec, exec, s[12:13]
	s_and_b64 s[6:7], exec, vcc
	ds_write_b32 v8, v6
	v_mov_b32_e32 v6, s16
	v_add_co_u32_e32 v2, vcc, s15, v2
	s_or_b64 s[4:5], s[6:7], s[4:5]
	v_add_u32_e32 v8, s14, v8
	v_addc_co_u32_e32 v3, vcc, v3, v6, vcc
	s_waitcnt vmcnt(0)
	v_mov_b32_e32 v6, v9
	s_andn2_b64 exec, exec, s[4:5]
	s_cbranch_execz .LBB144_31
.LBB144_29:                             ;   Parent Loop BB144_6 Depth=1
                                        ; =>  This Inner Loop Header: Depth=2
	v_add_co_u32_sdwa v4, vcc, v4, v7 dst_sel:DWORD dst_unused:UNUSED_PAD src0_sel:DWORD src1_sel:WORD_0
	v_addc_co_u32_e32 v5, vcc, 0, v5, vcc
	v_cmp_gt_u64_e64 s[6:7], s[56:57], v[4:5]
	v_cmp_le_u64_e32 vcc, s[56:57], v[4:5]
	v_mov_b32_e32 v9, 0
	s_and_saveexec_b64 s[12:13], s[6:7]
	s_cbranch_execz .LBB144_28
; %bb.30:                               ;   in Loop: Header=BB144_29 Depth=2
	global_load_dword v9, v[2:3], off
	s_branch .LBB144_28
.LBB144_31:                             ;   in Loop: Header=BB144_6 Depth=1
	s_or_b64 exec, exec, s[2:3]
	s_waitcnt lgkmcnt(0)
	s_barrier
	s_mov_b64 s[2:3], exec
	v_readlane_b32 s4, v54, 8
	v_readlane_b32 s5, v54, 9
	s_and_b64 s[4:5], s[2:3], s[4:5]
	s_mov_b64 exec, s[4:5]
	s_cbranch_execz .LBB144_33
; %bb.32:                               ;   in Loop: Header=BB144_6 Depth=1
	v_pk_mov_b32 v[2:3], s[56:57], s[56:57] op_sel:[0,1]
	ds_write_b64 v15, v[2:3] offset:5120
.LBB144_33:                             ;   in Loop: Header=BB144_6 Depth=1
	s_or_b64 exec, exec, s[2:3]
	s_mov_b64 s[4:5], -1
	s_waitcnt lgkmcnt(0)
	s_barrier
                                        ; implicit-def: $sgpr2_sgpr3
.LBB144_34:                             ;   in Loop: Header=BB144_6 Depth=1
	s_and_b64 vcc, exec, s[4:5]
	s_cbranch_vccz .LBB144_36
; %bb.35:                               ;   in Loop: Header=BB144_6 Depth=1
	ds_read_b64 v[2:3], v15 offset:5120
	s_waitcnt lgkmcnt(0)
	v_readfirstlane_b32 s2, v2
.LBB144_36:                             ;   in Loop: Header=BB144_6 Depth=1
	v_writelane_b32 v54, s28, 48
	v_writelane_b32 v54, s29, 49
	s_cmp_lt_i32 s2, 1
	v_writelane_b32 v54, s36, 50
	v_writelane_b32 v54, s37, 51
	s_cbranch_scc0 .LBB144_51
; %bb.37:                               ;   in Loop: Header=BB144_6 Depth=1
	v_readlane_b32 s4, v54, 35
	v_readlane_b32 s5, v54, 36
	s_nop 4
	global_load_ushort v2, v15, s[4:5]
	s_mov_b32 s4, s83
	s_mov_b32 s5, s57
	s_waitcnt vmcnt(0)
	v_readfirstlane_b32 s3, v2
	s_and_b32 s3, s3, 0xffff
	s_lshl_b32 s82, s3, 2
	s_cmp_lg_u64 s[4:5], 0
	s_cbranch_scc0 .LBB144_71
; %bb.38:                               ;   in Loop: Header=BB144_6 Depth=1
	v_cvt_f32_u32_e32 v2, s82
	s_sub_u32 s4, 0, s82
	s_subb_u32 s5, 0, 0
	v_mac_f32_e32 v2, 0, v42
	v_rcp_f32_e32 v2, v2
	v_mul_f32_e32 v2, 0x5f7ffffc, v2
	v_mul_f32_e32 v3, 0x2f800000, v2
	v_trunc_f32_e32 v3, v3
	v_mac_f32_e32 v2, 0xcf800000, v3
	v_cvt_u32_f32_e32 v3, v3
	v_cvt_u32_f32_e32 v2, v2
	v_readfirstlane_b32 s6, v3
	v_readfirstlane_b32 s7, v2
	s_mul_i32 s12, s4, s6
	s_mul_hi_u32 s14, s4, s7
	s_mul_i32 s13, s5, s7
	s_add_i32 s12, s14, s12
	s_mul_i32 s15, s4, s7
	s_add_i32 s12, s12, s13
	s_mul_hi_u32 s14, s7, s15
	s_mul_hi_u32 s13, s7, s12
	s_mul_i32 s7, s7, s12
	s_add_u32 s7, s14, s7
	s_addc_u32 s13, 0, s13
	s_mul_hi_u32 s16, s6, s15
	s_mul_i32 s15, s6, s15
	s_add_u32 s7, s7, s15
	s_mul_hi_u32 s14, s6, s12
	s_addc_u32 s7, s13, s16
	s_addc_u32 s13, s14, 0
	s_mul_i32 s12, s6, s12
	s_add_u32 s7, s7, s12
	s_addc_u32 s12, 0, s13
	v_add_co_u32_e32 v2, vcc, s7, v2
	s_cmp_lg_u64 vcc, 0
	s_addc_u32 s6, s6, s12
	v_readfirstlane_b32 s12, v2
	s_mul_i32 s7, s4, s6
	s_mul_hi_u32 s13, s4, s12
	s_add_i32 s7, s13, s7
	s_mul_i32 s5, s5, s12
	s_add_i32 s7, s7, s5
	s_mul_i32 s4, s4, s12
	s_mul_hi_u32 s13, s6, s4
	s_mul_i32 s14, s6, s4
	s_mul_i32 s16, s12, s7
	s_mul_hi_u32 s4, s12, s4
	s_mul_hi_u32 s15, s12, s7
	s_add_u32 s4, s4, s16
	s_addc_u32 s12, 0, s15
	s_add_u32 s4, s4, s14
	s_mul_hi_u32 s5, s6, s7
	s_addc_u32 s4, s12, s13
	s_addc_u32 s5, s5, 0
	s_mul_i32 s7, s6, s7
	s_add_u32 s4, s4, s7
	s_addc_u32 s5, 0, s5
	v_add_co_u32_e32 v2, vcc, s4, v2
	s_cmp_lg_u64 vcc, 0
	s_addc_u32 s4, s6, s5
	v_readfirstlane_b32 s7, v2
	s_mul_i32 s6, s56, s4
	s_mul_hi_u32 s12, s56, s7
	s_mul_hi_u32 s5, s56, s4
	s_add_u32 s6, s12, s6
	s_addc_u32 s5, 0, s5
	s_mul_hi_u32 s13, s57, s7
	s_mul_i32 s7, s57, s7
	s_add_u32 s6, s6, s7
	s_mul_hi_u32 s12, s57, s4
	s_addc_u32 s5, s5, s13
	s_addc_u32 s6, s12, 0
	s_mul_i32 s4, s57, s4
	s_add_u32 s4, s5, s4
	s_addc_u32 s5, 0, s6
	s_mul_hi_u32 s6, s82, s4
	s_mul_i32 s4, s82, s4
	s_mul_i32 s5, s82, s5
	v_mov_b32_e32 v2, s4
	s_add_i32 s6, s6, s5
	v_sub_co_u32_e32 v2, vcc, s56, v2
	s_cmp_lg_u64 vcc, 0
	s_subb_u32 s4, s57, s6
	v_subrev_co_u32_e32 v3, vcc, s82, v2
	s_cmp_lg_u64 vcc, 0
	s_subb_u32 s5, s4, 0
	v_subrev_co_u32_e32 v4, vcc, s82, v3
	s_cmp_lg_u64 vcc, 0
	s_subb_u32 s6, s5, 0
	v_cmp_le_u32_e32 vcc, s82, v3
	s_cmp_eq_u32 s5, 0
	v_cndmask_b32_e64 v5, 0, -1, vcc
	s_cselect_b64 vcc, -1, 0
	v_cndmask_b32_e32 v5, -1, v5, vcc
	v_mov_b32_e32 v6, s5
	v_mov_b32_e32 v7, s6
	v_cmp_ne_u32_e32 vcc, 0, v5
	v_cndmask_b32_e32 v5, v6, v7, vcc
	v_cndmask_b32_e32 v4, v3, v4, vcc
	v_cmp_le_u32_e32 vcc, s82, v2
	s_cmp_eq_u32 s4, 0
	v_cndmask_b32_e64 v3, 0, -1, vcc
	s_cselect_b64 vcc, -1, 0
	v_cndmask_b32_e32 v3, -1, v3, vcc
	v_mov_b32_e32 v6, s4
	v_cmp_ne_u32_e32 vcc, 0, v3
	v_cndmask_b32_e32 v3, v6, v5, vcc
	v_cndmask_b32_e32 v2, v2, v4, vcc
	s_cbranch_execnz .LBB144_40
.LBB144_39:                             ;   in Loop: Header=BB144_6 Depth=1
	v_cvt_f32_u32_e32 v2, s82
	s_sub_i32 s4, 0, s82
	v_rcp_iflag_f32_e32 v2, v2
	v_mul_f32_e32 v2, 0x4f7ffffe, v2
	v_cvt_u32_f32_e32 v2, v2
	v_mul_lo_u32 v3, s4, v2
	v_mul_hi_u32 v3, v2, v3
	v_add_u32_e32 v2, v2, v3
	v_mul_hi_u32 v2, s56, v2
	v_mul_lo_u32 v2, v2, s82
	v_sub_u32_e32 v2, s56, v2
	v_subrev_u32_e32 v3, s82, v2
	v_cmp_le_u32_e32 vcc, s82, v2
	v_cndmask_b32_e32 v2, v2, v3, vcc
	v_subrev_u32_e32 v3, s82, v2
	v_cmp_le_u32_e32 vcc, s82, v2
	v_cndmask_b32_e32 v14, v2, v3, vcc
	v_pk_mov_b32 v[2:3], v[14:15], v[14:15] op_sel:[0,1]
.LBB144_40:                             ;   in Loop: Header=BB144_6 Depth=1
	v_mov_b32_e32 v4, s57
	v_sub_co_u32_e32 v32, vcc, s56, v2
	v_subb_co_u32_e32 v33, vcc, v4, v3, vcc
	v_pk_mov_b32 v[2:3], 0, 0
	v_cmp_gt_u64_e32 vcc, v[32:33], v[16:17]
	s_mov_b64 s[4:5], 0
	v_pk_mov_b32 v[4:5], v[2:3], v[2:3] op_sel:[0,1]
	v_pk_mov_b32 v[6:7], v[2:3], v[2:3] op_sel:[0,1]
	;; [unrolled: 1-line block ×3, first 2 shown]
	s_and_saveexec_b64 s[12:13], vcc
	s_cbranch_execz .LBB144_44
; %bb.41:                               ;   in Loop: Header=BB144_6 Depth=1
	v_readlane_b32 s14, v54, 44
	v_readlane_b32 s6, v54, 46
	v_readlane_b32 s15, v54, 45
	s_and_b32 s89, s6, 0xfe
	s_mul_i32 s6, s15, s3
	s_mul_hi_u32 s7, s14, s3
	s_mov_b64 s[68:69], s[94:95]
	s_add_i32 s94, s7, s6
	s_mul_i32 s95, s14, s3
	s_mov_b64 s[78:79], s[70:71]
	s_mov_b64 s[72:73], 0
	;; [unrolled: 1-line block ×5, first 2 shown]
	v_pk_mov_b32 v[34:35], v[16:17], v[16:17] op_sel:[0,1]
.LBB144_42:                             ;   Parent Loop BB144_6 Depth=1
                                        ; =>  This Inner Loop Header: Depth=2
	v_add_co_u32_e64 v34, s[6:7], s82, v34
	v_addc_co_u32_e64 v35, s[6:7], 0, v35, s[6:7]
	v_mov_b32_e32 v7, s79
	v_add_co_u32_e32 v2, vcc, s78, v22
	v_add_co_u32_e64 v8, s[6:7], s78, v24
	v_add_co_u32_e64 v4, s[14:15], s78, v20
	;; [unrolled: 1-line block ×3, first 2 shown]
	v_addc_co_u32_e64 v9, s[6:7], v7, v25, s[6:7]
	v_addc_co_u32_e32 v3, vcc, v7, v23, vcc
	v_addc_co_u32_e64 v5, vcc, v7, v21, s[14:15]
	v_addc_co_u32_e64 v7, vcc, v7, v19, s[16:17]
	global_load_dword v8, v[8:9], off
	s_nop 0
	global_load_dword v2, v[2:3], off
	s_nop 0
	;; [unrolled: 2-line block ×3, first 2 shown]
	global_load_dword v4, v[6:7], off
	v_cmp_ge_u64_e32 vcc, v[34:35], v[32:33]
	s_waitcnt vmcnt(3)
	v_xor_b32_e32 v5, 0x80000000, v8
	s_waitcnt vmcnt(2)
	v_xor_b32_e32 v2, 0x80000000, v2
	v_and_b32_e32 v6, v5, v43
	v_bfe_u32 v5, v5, s89, 2
	s_waitcnt vmcnt(1)
	v_xor_b32_e32 v3, 0x80000000, v3
	v_and_b32_e32 v7, v2, v43
	v_bfe_u32 v2, v2, s89, 2
	v_cmp_eq_u32_e64 s[20:21], v6, v44
	v_cmp_eq_u32_e64 s[6:7], 0, v5
	s_waitcnt vmcnt(0)
	v_xor_b32_e32 v4, 0x80000000, v4
	v_and_b32_e32 v8, v3, v43
	v_bfe_u32 v3, v3, s89, 2
	v_cmp_eq_u32_e64 s[18:19], v7, v44
	v_cmp_eq_u32_e64 s[34:35], 0, v2
	s_and_b64 s[6:7], s[20:21], s[6:7]
	v_and_b32_e32 v9, v4, v43
	v_bfe_u32 v4, v4, s89, 2
	v_cmp_eq_u32_e64 s[16:17], v8, v44
	v_cmp_eq_u32_e64 s[36:37], 0, v3
	;; [unrolled: 1-line block ×5, first 2 shown]
	v_cndmask_b32_e64 v2, 0, 1, s[6:7]
	s_and_b64 s[6:7], s[18:19], s[34:35]
	v_cmp_eq_u32_e64 s[14:15], v9, v44
	v_cmp_eq_u32_e64 s[38:39], 0, v4
	;; [unrolled: 1-line block ×5, first 2 shown]
	v_cndmask_b32_e64 v3, 0, 1, s[6:7]
	s_and_b64 s[6:7], s[16:17], s[36:37]
	v_cmp_eq_u32_e64 s[46:47], 1, v4
	v_cmp_eq_u32_e64 s[54:55], 2, v4
	;; [unrolled: 1-line block ×3, first 2 shown]
	v_cndmask_b32_e64 v4, 0, 1, s[6:7]
	s_and_b64 s[6:7], s[14:15], s[38:39]
	v_cmp_eq_u32_e64 s[40:41], 1, v5
	v_cmp_eq_u32_e64 s[48:49], 2, v5
	;; [unrolled: 1-line block ×3, first 2 shown]
	v_cndmask_b32_e64 v5, 0, 1, s[6:7]
	v_cmp_ne_u32_e64 s[6:7], 0, v2
	v_cmp_ne_u32_e64 s[34:35], 0, v3
	v_cmp_ne_u32_e64 s[36:37], 0, v4
	v_cmp_ne_u32_e64 s[38:39], 0, v5
	s_bcnt1_i32_b64 s6, s[6:7]
	s_bcnt1_i32_b64 s7, s[34:35]
	s_bcnt1_i32_b64 s34, s[36:37]
	s_bcnt1_i32_b64 s35, s[38:39]
	s_add_u32 s6, s6, s90
	s_addc_u32 s36, 0, s91
	s_add_u32 s6, s6, s7
	s_addc_u32 s7, s36, 0
	s_add_u32 s6, s6, s34
	s_addc_u32 s7, s7, 0
	s_add_u32 s90, s6, s35
	s_addc_u32 s91, s7, 0
	s_and_b64 s[6:7], s[20:21], s[40:41]
	v_cndmask_b32_e64 v4, 0, 1, s[6:7]
	s_and_b64 s[6:7], s[18:19], s[42:43]
	v_cndmask_b32_e64 v5, 0, 1, s[6:7]
	s_and_b64 s[6:7], s[16:17], s[44:45]
	v_cndmask_b32_e64 v6, 0, 1, s[6:7]
	s_and_b64 s[6:7], s[14:15], s[46:47]
	v_cndmask_b32_e64 v7, 0, 1, s[6:7]
	v_cmp_ne_u32_e64 s[6:7], 0, v4
	v_cmp_ne_u32_e64 s[34:35], 0, v5
	v_cmp_ne_u32_e64 s[36:37], 0, v6
	v_cmp_ne_u32_e64 s[38:39], 0, v7
	s_bcnt1_i32_b64 s6, s[6:7]
	s_bcnt1_i32_b64 s7, s[34:35]
	s_bcnt1_i32_b64 s34, s[36:37]
	s_bcnt1_i32_b64 s35, s[38:39]
	s_add_u32 s6, s6, s84
	s_addc_u32 s36, 0, s85
	s_add_u32 s6, s6, s7
	s_addc_u32 s7, s36, 0
	s_add_u32 s6, s6, s34
	s_addc_u32 s7, s7, 0
	s_add_u32 s84, s6, s35
	s_addc_u32 s85, s7, 0
	s_and_b64 s[6:7], s[20:21], s[48:49]
	v_cndmask_b32_e64 v6, 0, 1, s[6:7]
	s_and_b64 s[6:7], s[18:19], s[50:51]
	v_cndmask_b32_e64 v7, 0, 1, s[6:7]
	s_and_b64 s[6:7], s[16:17], s[52:53]
	v_cndmask_b32_e64 v8, 0, 1, s[6:7]
	s_and_b64 s[6:7], s[14:15], s[54:55]
	;; [unrolled: 24-line block ×3, first 2 shown]
	v_cndmask_b32_e64 v27, 0, 1, s[6:7]
	v_cmp_ne_u32_e64 s[6:7], 0, v8
	v_cmp_ne_u32_e64 s[14:15], 0, v9
	v_cmp_ne_u32_e64 s[16:17], 0, v14
	v_cmp_ne_u32_e64 s[18:19], 0, v27
	s_bcnt1_i32_b64 s6, s[6:7]
	s_bcnt1_i32_b64 s7, s[14:15]
	;; [unrolled: 1-line block ×4, first 2 shown]
	s_add_u32 s6, s6, s72
	s_addc_u32 s16, 0, s73
	s_add_u32 s6, s6, s7
	s_addc_u32 s7, s16, 0
	;; [unrolled: 2-line block ×5, first 2 shown]
	v_pk_mov_b32 v[2:3], s[90:91], s[90:91] op_sel:[0,1]
	v_pk_mov_b32 v[4:5], s[84:85], s[84:85] op_sel:[0,1]
	;; [unrolled: 1-line block ×3, first 2 shown]
	s_or_b64 s[4:5], vcc, s[4:5]
	v_pk_mov_b32 v[8:9], s[72:73], s[72:73] op_sel:[0,1]
	s_andn2_b64 exec, exec, s[4:5]
	s_cbranch_execnz .LBB144_42
; %bb.43:                               ;   in Loop: Header=BB144_6 Depth=1
	s_or_b64 exec, exec, s[4:5]
	s_mov_b64 s[94:95], s[68:69]
.LBB144_44:                             ;   in Loop: Header=BB144_6 Depth=1
	s_or_b64 exec, exec, s[12:13]
	v_add_co_u32_e32 v32, vcc, v32, v0
	v_addc_co_u32_e32 v33, vcc, 0, v33, vcc
	v_cmp_gt_u64_e32 vcc, s[56:57], v[32:33]
	v_mov_b32_e32 v14, 0
	s_and_saveexec_b64 s[4:5], vcc
	s_cbranch_execz .LBB144_46
; %bb.45:                               ;   in Loop: Header=BB144_6 Depth=1
	v_mul_lo_u32 v14, v33, s62
	v_mul_lo_u32 v27, v32, s63
	v_mad_u64_u32 v[34:35], s[6:7], v32, s62, 0
	v_add3_u32 v35, v35, v27, v14
	v_lshlrev_b64 v[34:35], 2, v[34:35]
	v_mov_b32_e32 v14, s71
	v_add_co_u32_e64 v34, s[6:7], s70, v34
	v_addc_co_u32_e64 v35, s[6:7], v14, v35, s[6:7]
	global_load_dword v14, v[34:35], off
.LBB144_46:                             ;   in Loop: Header=BB144_6 Depth=1
	s_or_b64 exec, exec, s[4:5]
	s_and_saveexec_b64 s[4:5], vcc
	s_cbranch_execz .LBB144_53
; %bb.47:                               ;   in Loop: Header=BB144_6 Depth=1
	v_readlane_b32 s6, v54, 46
	s_and_b32 s16, s6, 0xfe
	s_mov_b64 s[12:13], 0
	s_branch .LBB144_49
.LBB144_48:                             ;   in Loop: Header=BB144_49 Depth=2
	s_or_b64 exec, exec, s[14:15]
	s_waitcnt vmcnt(0)
	v_xor_b32_e32 v14, 0x80000000, v14
	s_and_b64 s[6:7], exec, vcc
	v_and_b32_e32 v28, v14, v43
	v_bfe_u32 v14, v14, s16, 2
	s_or_b64 s[12:13], s[6:7], s[12:13]
	v_cmp_eq_u32_e32 vcc, v28, v44
	v_cmp_eq_u32_e64 s[6:7], 0, v14
	s_and_b64 s[6:7], vcc, s[6:7]
	v_cndmask_b32_e64 v28, 0, 1, s[6:7]
	v_cmp_ne_u32_e64 s[6:7], 0, v28
	s_bcnt1_i32_b64 s6, s[6:7]
	v_add_co_u32_e64 v2, s[6:7], s6, v2
	v_addc_co_u32_e64 v3, s[6:7], 0, v3, s[6:7]
	v_cmp_eq_u32_e64 s[6:7], 1, v14
	s_and_b64 s[6:7], vcc, s[6:7]
	v_cndmask_b32_e64 v28, 0, 1, s[6:7]
	v_cmp_ne_u32_e64 s[6:7], 0, v28
	s_bcnt1_i32_b64 s6, s[6:7]
	v_add_co_u32_e64 v4, s[6:7], s6, v4
	v_addc_co_u32_e64 v5, s[6:7], 0, v5, s[6:7]
	;; [unrolled: 7-line block ×3, first 2 shown]
	v_cmp_eq_u32_e64 s[6:7], 3, v14
	s_and_b64 s[6:7], vcc, s[6:7]
	v_cndmask_b32_e64 v14, 0, 1, s[6:7]
	v_cmp_ne_u32_e32 vcc, 0, v14
	s_bcnt1_i32_b64 s6, vcc
	v_add_co_u32_e32 v8, vcc, s6, v8
	v_addc_co_u32_e32 v9, vcc, 0, v9, vcc
	v_mov_b32_e32 v14, v27
	s_andn2_b64 exec, exec, s[12:13]
	s_cbranch_execz .LBB144_52
.LBB144_49:                             ;   Parent Loop BB144_6 Depth=1
                                        ; =>  This Inner Loop Header: Depth=2
	v_mov_b32_e32 v27, s83
	v_add_co_u32_e32 v32, vcc, s3, v32
	v_addc_co_u32_e32 v33, vcc, v33, v27, vcc
	v_cmp_gt_u64_e64 s[6:7], s[56:57], v[32:33]
	v_cmp_le_u64_e32 vcc, s[56:57], v[32:33]
	v_mov_b32_e32 v27, 0
	s_and_saveexec_b64 s[14:15], s[6:7]
	s_cbranch_execz .LBB144_48
; %bb.50:                               ;   in Loop: Header=BB144_49 Depth=2
	v_mul_lo_u32 v27, v33, s62
	v_mul_lo_u32 v28, v32, s63
	v_mad_u64_u32 v[34:35], s[6:7], v32, s62, 0
	v_add3_u32 v35, v35, v28, v27
	v_lshlrev_b64 v[34:35], 2, v[34:35]
	v_mov_b32_e32 v27, s71
	v_add_co_u32_e64 v34, s[6:7], s70, v34
	v_addc_co_u32_e64 v35, s[6:7], v27, v35, s[6:7]
	global_load_dword v27, v[34:35], off
	s_branch .LBB144_48
.LBB144_51:                             ;   in Loop: Header=BB144_6 Depth=1
                                        ; implicit-def: $vgpr8_vgpr9
                                        ; implicit-def: $vgpr4_vgpr5
	s_cbranch_execnz .LBB144_54
	s_branch .LBB144_63
.LBB144_52:                             ;   in Loop: Header=BB144_6 Depth=1
	s_or_b64 exec, exec, s[12:13]
.LBB144_53:                             ;   in Loop: Header=BB144_6 Depth=1
	s_or_b64 exec, exec, s[4:5]
	s_branch .LBB144_63
.LBB144_54:                             ;   in Loop: Header=BB144_6 Depth=1
	v_readlane_b32 s4, v54, 35
	v_readlane_b32 s5, v54, 36
	s_nop 4
	global_load_ushort v8, v15, s[4:5]
	s_mov_b64 s[4:5], 0
	s_waitcnt vmcnt(0)
	v_readfirstlane_b32 s3, v8
	s_and_b32 s3, 0xffff, s3
	s_lshl_b32 s90, s3, 2
	v_cvt_f32_u32_e32 v2, s90
	s_sub_i32 s3, 0, s90
	v_and_b32_e32 v27, 0xffff, v8
	v_rcp_iflag_f32_e32 v6, v2
	v_pk_mov_b32 v[2:3], 0, 0
	v_pk_mov_b32 v[4:5], v[2:3], v[2:3] op_sel:[0,1]
	v_mul_f32_e32 v6, 0x4f7ffffe, v6
	v_cvt_u32_f32_e32 v9, v6
	v_pk_mov_b32 v[6:7], v[2:3], v[2:3] op_sel:[0,1]
	v_readfirstlane_b32 s6, v9
	s_mul_i32 s3, s3, s6
	s_mul_hi_u32 s3, s6, s3
	s_add_i32 s6, s6, s3
	s_mul_hi_u32 s3, s2, s6
	s_mul_i32 s3, s3, s90
	s_sub_i32 s3, s2, s3
	s_sub_i32 s6, s3, s90
	s_cmp_ge_u32 s3, s90
	s_cselect_b32 s3, s6, s3
	s_sub_i32 s6, s3, s90
	s_cmp_ge_u32 s3, s90
	s_cselect_b32 s3, s6, s3
	s_sub_i32 s82, s2, s3
	v_cmp_gt_u32_e32 vcc, s82, v16
	v_pk_mov_b32 v[8:9], v[2:3], v[2:3] op_sel:[0,1]
	s_and_saveexec_b64 s[12:13], vcc
	s_cbranch_execz .LBB144_58
; %bb.55:                               ;   in Loop: Header=BB144_6 Depth=1
	v_readlane_b32 s3, v54, 46
	s_and_b32 s3, s3, 0xfe
	v_lshlrev_b32_e32 v14, 4, v27
	v_mov_b32_e32 v28, v40
	s_mov_b64 s[72:73], 0
	s_mov_b64 s[78:79], 0
	;; [unrolled: 1-line block ×4, first 2 shown]
	v_pk_mov_b32 v[32:33], v[16:17], v[16:17] op_sel:[0,1]
.LBB144_56:                             ;   Parent Loop BB144_6 Depth=1
                                        ; =>  This Inner Loop Header: Depth=2
	ds_read_b128 v[2:5], v28
	v_add_co_u32_e32 v32, vcc, s90, v32
	v_addc_co_u32_e32 v33, vcc, 0, v33, vcc
	s_waitcnt lgkmcnt(0)
	v_xor_b32_e32 v2, 0x80000000, v2
	v_xor_b32_e32 v3, 0x80000000, v3
	v_and_b32_e32 v6, v2, v43
	v_bfe_u32 v2, v2, s3, 2
	v_xor_b32_e32 v4, 0x80000000, v4
	v_and_b32_e32 v7, v3, v43
	v_bfe_u32 v3, v3, s3, 2
	v_cmp_eq_u32_e64 s[20:21], v6, v44
	v_cmp_eq_u32_e64 s[6:7], 0, v2
	v_xor_b32_e32 v5, 0x80000000, v5
	v_and_b32_e32 v8, v4, v43
	v_bfe_u32 v4, v4, s3, 2
	v_cmp_eq_u32_e64 s[18:19], v7, v44
	v_cmp_eq_u32_e64 s[34:35], 0, v3
	s_and_b64 s[6:7], s[20:21], s[6:7]
	v_and_b32_e32 v9, v5, v43
	v_bfe_u32 v5, v5, s3, 2
	v_cmp_eq_u32_e64 s[16:17], v8, v44
	v_cmp_eq_u32_e64 s[36:37], 0, v4
	;; [unrolled: 1-line block ×5, first 2 shown]
	v_cndmask_b32_e64 v2, 0, 1, s[6:7]
	s_and_b64 s[6:7], s[18:19], s[34:35]
	v_cmp_eq_u32_e64 s[14:15], v9, v44
	v_cmp_eq_u32_e64 s[38:39], 0, v5
	;; [unrolled: 1-line block ×5, first 2 shown]
	v_cndmask_b32_e64 v3, 0, 1, s[6:7]
	s_and_b64 s[6:7], s[16:17], s[36:37]
	v_cmp_eq_u32_e64 s[44:45], 1, v4
	v_cmp_eq_u32_e64 s[52:53], 2, v4
	;; [unrolled: 1-line block ×3, first 2 shown]
	v_cndmask_b32_e64 v4, 0, 1, s[6:7]
	s_and_b64 s[6:7], s[14:15], s[38:39]
	v_cmp_eq_u32_e64 s[46:47], 1, v5
	v_cmp_eq_u32_e64 s[54:55], 2, v5
	;; [unrolled: 1-line block ×3, first 2 shown]
	v_cndmask_b32_e64 v5, 0, 1, s[6:7]
	v_cmp_ne_u32_e64 s[6:7], 0, v2
	v_cmp_ne_u32_e64 s[34:35], 0, v3
	v_cmp_ne_u32_e64 s[36:37], 0, v4
	v_cmp_ne_u32_e64 s[38:39], 0, v5
	s_bcnt1_i32_b64 s6, s[6:7]
	s_bcnt1_i32_b64 s7, s[34:35]
	s_bcnt1_i32_b64 s34, s[36:37]
	s_bcnt1_i32_b64 s35, s[38:39]
	s_add_u32 s6, s6, s84
	s_addc_u32 s36, 0, s85
	s_add_u32 s6, s6, s7
	s_addc_u32 s7, s36, 0
	s_add_u32 s6, s6, s34
	s_addc_u32 s7, s7, 0
	s_add_u32 s84, s6, s35
	s_addc_u32 s85, s7, 0
	s_and_b64 s[6:7], s[20:21], s[40:41]
	v_cndmask_b32_e64 v4, 0, 1, s[6:7]
	s_and_b64 s[6:7], s[18:19], s[42:43]
	v_cndmask_b32_e64 v5, 0, 1, s[6:7]
	s_and_b64 s[6:7], s[16:17], s[44:45]
	v_cndmask_b32_e64 v6, 0, 1, s[6:7]
	s_and_b64 s[6:7], s[14:15], s[46:47]
	v_cndmask_b32_e64 v7, 0, 1, s[6:7]
	v_cmp_ne_u32_e64 s[6:7], 0, v4
	v_cmp_ne_u32_e64 s[34:35], 0, v5
	v_cmp_ne_u32_e64 s[36:37], 0, v6
	v_cmp_ne_u32_e64 s[38:39], 0, v7
	s_bcnt1_i32_b64 s6, s[6:7]
	s_bcnt1_i32_b64 s7, s[34:35]
	s_bcnt1_i32_b64 s34, s[36:37]
	s_bcnt1_i32_b64 s35, s[38:39]
	s_add_u32 s6, s6, s80
	s_addc_u32 s36, 0, s81
	s_add_u32 s6, s6, s7
	s_addc_u32 s7, s36, 0
	s_add_u32 s6, s6, s34
	s_addc_u32 s7, s7, 0
	s_add_u32 s80, s6, s35
	s_addc_u32 s81, s7, 0
	s_and_b64 s[6:7], s[20:21], s[48:49]
	v_cndmask_b32_e64 v6, 0, 1, s[6:7]
	s_and_b64 s[6:7], s[18:19], s[50:51]
	v_cndmask_b32_e64 v7, 0, 1, s[6:7]
	s_and_b64 s[6:7], s[16:17], s[52:53]
	v_cndmask_b32_e64 v8, 0, 1, s[6:7]
	s_and_b64 s[6:7], s[14:15], s[54:55]
	;; [unrolled: 24-line block ×3, first 2 shown]
	v_cndmask_b32_e64 v35, 0, 1, s[6:7]
	v_cmp_ne_u32_e64 s[6:7], 0, v8
	v_cmp_ne_u32_e64 s[14:15], 0, v9
	;; [unrolled: 1-line block ×4, first 2 shown]
	s_bcnt1_i32_b64 s6, s[6:7]
	s_bcnt1_i32_b64 s7, s[14:15]
	;; [unrolled: 1-line block ×4, first 2 shown]
	s_add_u32 s6, s6, s72
	s_addc_u32 s16, 0, s73
	s_add_u32 s6, s6, s7
	s_addc_u32 s7, s16, 0
	;; [unrolled: 2-line block ×3, first 2 shown]
	s_add_u32 s72, s6, s15
	v_cmp_le_u64_e32 vcc, s[82:83], v[32:33]
	s_addc_u32 s73, s7, 0
	v_add_u32_e32 v28, v28, v14
	v_pk_mov_b32 v[2:3], s[84:85], s[84:85] op_sel:[0,1]
	v_pk_mov_b32 v[4:5], s[80:81], s[80:81] op_sel:[0,1]
	;; [unrolled: 1-line block ×3, first 2 shown]
	s_or_b64 s[4:5], vcc, s[4:5]
	v_pk_mov_b32 v[8:9], s[72:73], s[72:73] op_sel:[0,1]
	s_andn2_b64 exec, exec, s[4:5]
	s_cbranch_execnz .LBB144_56
; %bb.57:                               ;   in Loop: Header=BB144_6 Depth=1
	s_or_b64 exec, exec, s[4:5]
.LBB144_58:                             ;   in Loop: Header=BB144_6 Depth=1
	s_or_b64 exec, exec, s[12:13]
	v_add_u32_e32 v14, s82, v0
	v_cmp_gt_u32_e32 vcc, s2, v14
	s_and_saveexec_b64 s[4:5], vcc
	s_cbranch_execz .LBB144_62
; %bb.59:                               ;   in Loop: Header=BB144_6 Depth=1
	s_and_b32 s82, s2, 0x7fffffff
	v_readlane_b32 s2, v54, 46
	s_and_b32 s12, s2, 0xfe
	v_lshlrev_b32_e32 v28, 2, v14
	s_mov_b64 s[2:3], 0
	v_pk_mov_b32 v[32:33], v[14:15], v[14:15] op_sel:[0,1]
.LBB144_60:                             ;   Parent Loop BB144_6 Depth=1
                                        ; =>  This Inner Loop Header: Depth=2
	ds_read_b32 v14, v28
	v_add_co_u32_e32 v32, vcc, v32, v27
	v_addc_co_u32_e32 v33, vcc, 0, v33, vcc
	s_waitcnt lgkmcnt(0)
	v_xor_b32_e32 v14, 0x80000000, v14
	v_and_b32_e32 v34, v14, v43
	v_bfe_u32 v14, v14, s12, 2
	v_cmp_eq_u32_e64 s[6:7], v34, v44
	v_cmp_eq_u32_e64 s[14:15], 0, v14
	;; [unrolled: 1-line block ×3, first 2 shown]
	s_and_b64 s[14:15], s[6:7], s[14:15]
	v_cmp_eq_u32_e64 s[18:19], 2, v14
	v_cmp_eq_u32_e64 s[20:21], 3, v14
	v_cndmask_b32_e64 v14, 0, 1, s[14:15]
	s_and_b64 s[14:15], s[6:7], s[16:17]
	v_cndmask_b32_e64 v34, 0, 1, s[14:15]
	s_and_b64 s[14:15], s[6:7], s[18:19]
	s_and_b64 s[6:7], s[6:7], s[20:21]
	v_cndmask_b32_e64 v35, 0, 1, s[14:15]
	v_cndmask_b32_e64 v45, 0, 1, s[6:7]
	v_cmp_ne_u32_e64 s[6:7], 0, v14
	v_cmp_ne_u32_e64 s[14:15], 0, v34
	;; [unrolled: 1-line block ×4, first 2 shown]
	v_cmp_le_u64_e32 vcc, s[82:83], v[32:33]
	s_bcnt1_i32_b64 s6, s[6:7]
	s_bcnt1_i32_b64 s7, s[14:15]
	;; [unrolled: 1-line block ×4, first 2 shown]
	s_or_b64 s[2:3], vcc, s[2:3]
	v_add_co_u32_e32 v2, vcc, s6, v2
	v_addc_co_u32_e32 v3, vcc, 0, v3, vcc
	v_add_co_u32_e32 v4, vcc, s7, v4
	v_addc_co_u32_e32 v5, vcc, 0, v5, vcc
	;; [unrolled: 2-line block ×3, first 2 shown]
	v_add_co_u32_e32 v8, vcc, s14, v8
	v_add_u32_e32 v28, s90, v28
	v_addc_co_u32_e32 v9, vcc, 0, v9, vcc
	s_andn2_b64 exec, exec, s[2:3]
	s_cbranch_execnz .LBB144_60
; %bb.61:                               ;   in Loop: Header=BB144_6 Depth=1
	s_or_b64 exec, exec, s[2:3]
.LBB144_62:                             ;   in Loop: Header=BB144_6 Depth=1
	s_or_b64 exec, exec, s[4:5]
.LBB144_63:                             ;   in Loop: Header=BB144_6 Depth=1
	v_readlane_b32 s2, v54, 47
	s_lshl_b32 s4, s2, 6
	s_and_saveexec_b64 s[2:3], s[94:95]
	s_cbranch_execz .LBB144_65
; %bb.64:                               ;   in Loop: Header=BB144_6 Depth=1
	s_waitcnt vmcnt(0)
	v_or_b32_e32 v14, s4, v38
	v_lshlrev_b32_e32 v14, 3, v14
	ds_write_b128 v14, v[2:5] offset:3072
	ds_write_b128 v14, v[6:9] offset:3088
.LBB144_65:                             ;   in Loop: Header=BB144_6 Depth=1
	s_or_b64 exec, exec, s[2:3]
	s_waitcnt lgkmcnt(0)
	s_barrier
	s_mov_b64 s[2:3], exec
	v_readlane_b32 s6, v54, 20
	v_readlane_b32 s7, v54, 21
	s_and_b64 s[6:7], s[2:3], s[6:7]
	s_mov_b64 exec, s[6:7]
	s_cbranch_execz .LBB144_77
; %bb.66:                               ;   in Loop: Header=BB144_6 Depth=1
	v_readlane_b32 s6, v54, 28
	v_readlane_b32 s7, v54, 29
	s_andn2_b64 vcc, exec, s[6:7]
	v_pk_mov_b32 v[2:3], 0, 0
	s_cbranch_vccnz .LBB144_76
; %bb.67:                               ;   in Loop: Header=BB144_6 Depth=1
	v_readlane_b32 s6, v54, 37
	v_readlane_b32 s7, v54, 38
	s_andn2_b64 vcc, exec, s[6:7]
	s_cbranch_vccnz .LBB144_72
; %bb.68:                               ;   in Loop: Header=BB144_6 Depth=1
	v_readlane_b32 s5, v54, 47
	v_lshl_add_u32 v4, s5, 9, v41
	s_mov_b32 s5, 0
	v_pk_mov_b32 v[2:3], 0, 0
.LBB144_69:                             ;   Parent Loop BB144_6 Depth=1
                                        ; =>  This Inner Loop Header: Depth=2
	s_waitcnt vmcnt(0)
	ds_read2_b64 v[6:9], v4 offset1:4
	ds_read2_b64 v[32:35], v4 offset0:8 offset1:12
	ds_read2_b64 v[46:49], v4 offset0:16 offset1:20
	;; [unrolled: 1-line block ×3, first 2 shown]
	s_add_i32 s5, s5, 8
	s_waitcnt lgkmcnt(3)
	v_add_co_u32_e32 v2, vcc, v6, v2
	v_addc_co_u32_e32 v3, vcc, v7, v3, vcc
	v_add_co_u32_e32 v2, vcc, v8, v2
	v_addc_co_u32_e32 v3, vcc, v9, v3, vcc
	s_waitcnt lgkmcnt(2)
	v_add_co_u32_e32 v2, vcc, v32, v2
	v_addc_co_u32_e32 v3, vcc, v33, v3, vcc
	v_add_co_u32_e32 v2, vcc, v34, v2
	v_addc_co_u32_e32 v3, vcc, v35, v3, vcc
	;; [unrolled: 5-line block ×3, first 2 shown]
	s_waitcnt lgkmcnt(0)
	v_add_co_u32_e32 v2, vcc, v50, v2
	v_addc_co_u32_e32 v3, vcc, v51, v3, vcc
	v_add_co_u32_e32 v2, vcc, v52, v2
	v_add_u32_e32 v4, 0x100, v4
	s_cmp_eq_u32 s1, s5
	v_addc_co_u32_e32 v3, vcc, v53, v3, vcc
	s_cbranch_scc0 .LBB144_69
; %bb.70:                               ;   in Loop: Header=BB144_6 Depth=1
	s_mov_b32 s5, s1
	s_branch .LBB144_73
.LBB144_71:                             ;   in Loop: Header=BB144_6 Depth=1
                                        ; implicit-def: $vgpr2_vgpr3
	s_branch .LBB144_39
.LBB144_72:                             ;   in Loop: Header=BB144_6 Depth=1
	s_mov_b32 s5, 0
	v_pk_mov_b32 v[2:3], 0, 0
.LBB144_73:                             ;   in Loop: Header=BB144_6 Depth=1
	v_readlane_b32 s6, v54, 40
	v_readlane_b32 s7, v54, 41
	s_andn2_b64 vcc, exec, s[6:7]
	s_cbranch_vccnz .LBB144_76
; %bb.74:                               ;   in Loop: Header=BB144_6 Depth=1
	v_readlane_b32 s6, v54, 47
	s_lshl_b32 s6, s6, 9
	s_lshl_b32 s5, s5, 5
	s_add_i32 s6, s6, s5
	v_add_u32_e32 v4, s6, v41
	v_readlane_b32 s5, v54, 39
.LBB144_75:                             ;   Parent Loop BB144_6 Depth=1
                                        ; =>  This Inner Loop Header: Depth=2
	s_waitcnt vmcnt(0)
	ds_read_b64 v[6:7], v4
	s_add_i32 s5, s5, -1
	v_add_u32_e32 v4, 32, v4
	s_cmp_lg_u32 s5, 0
	s_waitcnt lgkmcnt(0)
	v_add_co_u32_e32 v2, vcc, v6, v2
	v_addc_co_u32_e32 v3, vcc, v7, v3, vcc
	s_cbranch_scc1 .LBB144_75
.LBB144_76:                             ;   in Loop: Header=BB144_6 Depth=1
	v_add_lshl_u32 v4, s4, v37, 3
	ds_write_b64 v4, v[2:3] offset:3072
.LBB144_77:                             ;   in Loop: Header=BB144_6 Depth=1
	s_or_b64 exec, exec, s[2:3]
	s_lshl_b32 s2, s4, 3
	s_waitcnt vmcnt(0)
	v_mov_b32_e32 v6, s2
	s_waitcnt lgkmcnt(0)
	s_barrier
	ds_read_b128 v[2:5], v6 offset:3072
	ds_read_b128 v[6:9], v6 offset:3088
	v_readlane_b32 s2, v54, 46
	s_and_b32 s91, s2, 0xfe
	v_readlane_b32 s2, v54, 18
	s_lshl_b32 s82, 3, s91
	v_readlane_b32 s3, v54, 19
	s_waitcnt lgkmcnt(1)
	v_readfirstlane_b32 s17, v3
	v_readfirstlane_b32 s16, v2
	;; [unrolled: 1-line block ×4, first 2 shown]
	s_waitcnt lgkmcnt(0)
	v_readfirstlane_b32 s23, v7
	v_readfirstlane_b32 s22, v6
	;; [unrolled: 1-line block ×4, first 2 shown]
	s_not_b32 s90, s82
	s_andn2_b64 vcc, exec, s[2:3]
	v_cmp_eq_u64_e64 s[14:15], 1, v[30:31]
	s_cbranch_vccnz .LBB144_93
; %bb.78:                               ;   in Loop: Header=BB144_6 Depth=1
	s_cmp_eq_u64 s[16:17], 1
	s_cselect_b64 s[2:3], -1, 0
	s_and_b64 s[2:3], s[2:3], s[14:15]
	s_mov_b64 s[4:5], -1
	v_mov_b32_e32 v28, v44
	v_mov_b32_e32 v34, v43
	;; [unrolled: 1-line block ×3, first 2 shown]
                                        ; implicit-def: $sgpr20_sgpr21
                                        ; implicit-def: $sgpr36_sgpr37
                                        ; implicit-def: $sgpr34_sgpr35
	s_and_saveexec_b64 s[6:7], s[2:3]
	s_cbranch_execz .LBB144_115
; %bb.79:                               ;   in Loop: Header=BB144_6 Depth=1
	ds_read_b64 v[2:3], v15 offset:5120
	s_waitcnt lgkmcnt(0)
	s_barrier
	v_readfirstlane_b32 s4, v2
	v_readfirstlane_b32 s5, v3
	s_mov_b64 s[12:13], exec
	v_readlane_b32 s20, v54, 26
	v_readlane_b32 s21, v54, 27
	s_and_b64 s[20:21], s[12:13], s[20:21]
	s_mov_b64 exec, s[20:21]
	s_cbranch_execz .LBB144_81
; %bb.80:                               ;   in Loop: Header=BB144_6 Depth=1
	ds_write_b32 v39, v15
.LBB144_81:                             ;   in Loop: Header=BB144_6 Depth=1
	s_or_b64 exec, exec, s[12:13]
	v_and_b32_e32 v28, s90, v44
	v_or_b32_e32 v34, s82, v43
	s_cmp_eq_u64 s[4:5], 0
	s_waitcnt lgkmcnt(0)
	s_barrier
	s_cbranch_scc1 .LBB144_98
; %bb.82:                               ;   in Loop: Header=BB144_6 Depth=1
	v_readlane_b32 s12, v54, 30
	s_add_u32 s26, s12, s4
	v_readlane_b32 s12, v54, 32
	s_addc_u32 s13, s12, s5
	s_mov_b32 s12, s83
	s_cmp_lg_u64 s[12:13], 0
	s_cbranch_scc0 .LBB144_142
; %bb.83:                               ;   in Loop: Header=BB144_6 Depth=1
	v_cvt_f32_u32_e32 v2, s33
	s_sub_u32 s12, 0, s33
	s_subb_u32 s20, 0, 0
	v_mac_f32_e32 v2, 0, v42
	v_rcp_f32_e32 v2, v2
	v_mul_f32_e32 v2, 0x5f7ffffc, v2
	v_mul_f32_e32 v3, 0x2f800000, v2
	v_trunc_f32_e32 v3, v3
	v_mac_f32_e32 v2, 0xcf800000, v3
	v_cvt_u32_f32_e32 v3, v3
	v_cvt_u32_f32_e32 v2, v2
	v_readfirstlane_b32 s21, v3
	v_readfirstlane_b32 s27, v2
	s_mul_i32 s28, s12, s21
	s_mul_hi_u32 s34, s12, s27
	s_mul_i32 s29, s20, s27
	s_add_i32 s28, s34, s28
	s_mul_i32 s35, s12, s27
	s_add_i32 s28, s28, s29
	s_mul_hi_u32 s34, s27, s35
	s_mul_hi_u32 s29, s27, s28
	s_mul_i32 s27, s27, s28
	s_add_u32 s27, s34, s27
	s_addc_u32 s29, 0, s29
	s_mul_hi_u32 s36, s21, s35
	s_mul_i32 s35, s21, s35
	s_add_u32 s27, s27, s35
	s_mul_hi_u32 s34, s21, s28
	s_addc_u32 s27, s29, s36
	s_addc_u32 s29, s34, 0
	s_mul_i32 s28, s21, s28
	s_add_u32 s27, s27, s28
	s_addc_u32 s28, 0, s29
	v_add_co_u32_e32 v2, vcc, s27, v2
	s_cmp_lg_u64 vcc, 0
	s_addc_u32 s21, s21, s28
	v_readfirstlane_b32 s28, v2
	s_mul_i32 s27, s12, s21
	s_mul_hi_u32 s29, s12, s28
	s_add_i32 s27, s29, s27
	s_mul_i32 s20, s20, s28
	s_add_i32 s27, s27, s20
	s_mul_i32 s12, s12, s28
	s_mul_hi_u32 s29, s21, s12
	s_mul_i32 s34, s21, s12
	s_mul_i32 s36, s28, s27
	s_mul_hi_u32 s12, s28, s12
	s_mul_hi_u32 s35, s28, s27
	s_add_u32 s12, s12, s36
	s_addc_u32 s28, 0, s35
	s_add_u32 s12, s12, s34
	s_mul_hi_u32 s20, s21, s27
	s_addc_u32 s12, s28, s29
	s_addc_u32 s20, s20, 0
	s_mul_i32 s27, s21, s27
	s_add_u32 s12, s12, s27
	s_addc_u32 s20, 0, s20
	v_add_co_u32_e32 v2, vcc, s12, v2
	s_cmp_lg_u64 vcc, 0
	s_addc_u32 s12, s21, s20
	v_readfirstlane_b32 s27, v2
	s_mul_i32 s21, s26, s12
	s_mul_hi_u32 s28, s26, s27
	s_mul_hi_u32 s20, s26, s12
	s_add_u32 s21, s28, s21
	s_addc_u32 s20, 0, s20
	s_mul_hi_u32 s29, s13, s27
	s_mul_i32 s27, s13, s27
	s_add_u32 s21, s21, s27
	s_mul_hi_u32 s28, s13, s12
	s_addc_u32 s20, s20, s29
	s_addc_u32 s21, s28, 0
	s_mul_i32 s12, s13, s12
	s_add_u32 s12, s20, s12
	s_addc_u32 s20, 0, s21
	s_mul_hi_u32 s21, s33, s12
	s_mul_i32 s12, s33, s12
	s_mul_i32 s20, s33, s20
	v_mov_b32_e32 v2, s12
	s_add_i32 s21, s21, s20
	v_sub_co_u32_e32 v2, vcc, s26, v2
	s_cmp_lg_u64 vcc, 0
	s_subb_u32 s12, s13, s21
	v_subrev_co_u32_e32 v3, vcc, s33, v2
	s_cmp_lg_u64 vcc, 0
	s_subb_u32 s20, s12, 0
	v_subrev_co_u32_e32 v4, vcc, s33, v3
	s_cmp_lg_u64 vcc, 0
	s_subb_u32 s21, s20, 0
	v_cmp_le_u32_e32 vcc, s33, v3
	s_cmp_eq_u32 s20, 0
	v_cndmask_b32_e64 v5, 0, -1, vcc
	s_cselect_b64 vcc, -1, 0
	v_cndmask_b32_e32 v5, -1, v5, vcc
	v_mov_b32_e32 v6, s20
	v_mov_b32_e32 v7, s21
	v_cmp_ne_u32_e32 vcc, 0, v5
	v_cndmask_b32_e32 v5, v6, v7, vcc
	v_cndmask_b32_e32 v4, v3, v4, vcc
	v_cmp_le_u32_e32 vcc, s33, v2
	s_cmp_eq_u32 s12, 0
	v_cndmask_b32_e64 v3, 0, -1, vcc
	s_cselect_b64 vcc, -1, 0
	v_cndmask_b32_e32 v3, -1, v3, vcc
	v_mov_b32_e32 v6, s12
	v_cmp_ne_u32_e32 vcc, 0, v3
	v_cndmask_b32_e32 v3, v6, v5, vcc
	v_cndmask_b32_e32 v2, v2, v4, vcc
	s_cbranch_execnz .LBB144_85
.LBB144_84:                             ;   in Loop: Header=BB144_6 Depth=1
	v_cvt_f32_u32_e32 v2, s33
	s_sub_i32 s12, 0, s33
	v_rcp_iflag_f32_e32 v2, v2
	v_mul_f32_e32 v2, 0x4f7ffffe, v2
	v_cvt_u32_f32_e32 v2, v2
	v_mul_lo_u32 v3, s12, v2
	v_mul_hi_u32 v3, v2, v3
	v_add_u32_e32 v2, v2, v3
	v_mul_hi_u32 v2, s26, v2
	v_mul_lo_u32 v2, v2, s33
	v_sub_u32_e32 v2, s26, v2
	v_subrev_u32_e32 v3, s33, v2
	v_cmp_le_u32_e32 vcc, s33, v2
	v_cndmask_b32_e32 v2, v2, v3, vcc
	v_subrev_u32_e32 v3, s33, v2
	v_cmp_le_u32_e32 vcc, s33, v2
	v_cndmask_b32_e32 v14, v2, v3, vcc
	v_pk_mov_b32 v[2:3], v[14:15], v[14:15] op_sel:[0,1]
.LBB144_85:                             ;   in Loop: Header=BB144_6 Depth=1
	v_mov_b32_e32 v5, s13
	v_sub_co_u32_e32 v4, vcc, s26, v2
	v_subb_co_u32_e32 v5, vcc, v5, v3, vcc
	v_cmp_gt_u64_e32 vcc, v[4:5], v[0:1]
	s_mov_b64 s[12:13], 0
                                        ; implicit-def: $vgpr3
	s_and_saveexec_b64 s[20:21], vcc
	s_cbranch_execz .LBB144_100
; %bb.86:                               ;   in Loop: Header=BB144_6 Depth=1
	v_mov_b32_e32 v8, v16
	v_pk_mov_b32 v[6:7], v[0:1], v[0:1] op_sel:[0,1]
                                        ; implicit-def: $sgpr26_sgpr27
	s_branch .LBB144_88
.LBB144_87:                             ;   in Loop: Header=BB144_88 Depth=2
	s_or_b64 exec, exec, s[28:29]
	s_waitcnt lgkmcnt(0)
	s_barrier
	ds_read_b64 v[2:3], v15 offset:3072
	v_add_co_u32_e32 v6, vcc, s33, v6
	v_add_u32_e32 v8, s88, v8
	s_waitcnt lgkmcnt(0)
	v_readfirstlane_b32 s28, v2
	v_mov_b32_e32 v2, s0
	s_cmp_lg_u32 s28, 0
	v_addc_co_u32_e32 v7, vcc, v7, v2, vcc
	s_cselect_b64 s[28:29], -1, 0
	v_cmp_ge_u64_e32 vcc, v[6:7], v[4:5]
	s_or_b64 s[34:35], vcc, s[28:29]
	s_and_b64 s[34:35], exec, s[34:35]
	s_or_b64 s[12:13], s[34:35], s[12:13]
	s_andn2_b64 s[26:27], s[26:27], exec
	s_and_b64 s[28:29], s[28:29], exec
	s_or_b64 s[26:27], s[26:27], s[28:29]
	s_barrier
	s_andn2_b64 exec, exec, s[12:13]
	s_cbranch_execz .LBB144_99
.LBB144_88:                             ;   Parent Loop BB144_6 Depth=1
                                        ; =>  This Inner Loop Header: Depth=2
	v_cmp_gt_u64_e32 vcc, s[4:5], v[6:7]
	v_mov_b32_e32 v27, 0
	s_and_saveexec_b64 s[28:29], vcc
	s_cbranch_execz .LBB144_90
; %bb.89:                               ;   in Loop: Header=BB144_88 Depth=2
	ds_read_b32 v27, v8
.LBB144_90:                             ;   in Loop: Header=BB144_88 Depth=2
	s_or_b64 exec, exec, s[28:29]
	s_and_saveexec_b64 s[28:29], vcc
	s_cbranch_execz .LBB144_87
; %bb.91:                               ;   in Loop: Header=BB144_88 Depth=2
	s_waitcnt lgkmcnt(0)
	v_xor_b32_e32 v2, 0x80000000, v27
	v_and_b32_e32 v2, v2, v34
	v_cmp_eq_u32_e32 vcc, v2, v28
	s_and_b64 exec, exec, vcc
	s_cbranch_execz .LBB144_87
; %bb.92:                               ;   in Loop: Header=BB144_88 Depth=2
	ds_write_b64 v15, v[26:27] offset:3072
	s_branch .LBB144_87
.LBB144_93:                             ;   in Loop: Header=BB144_6 Depth=1
	s_mov_b64 s[28:29], 0
	s_mov_b64 s[26:27], 0
                                        ; implicit-def: $sgpr34_sgpr35
                                        ; implicit-def: $sgpr36_sgpr37
                                        ; implicit-def: $sgpr20_sgpr21
                                        ; implicit-def: $vgpr8
                                        ; implicit-def: $vgpr4_vgpr5
                                        ; implicit-def: $vgpr28
                                        ; implicit-def: $vgpr34
                                        ; implicit-def: $vgpr3
	s_cbranch_execnz .LBB144_279
.LBB144_94:                             ;   in Loop: Header=BB144_6 Depth=1
	s_mov_b64 s[14:15], s[20:21]
	s_mov_b64 s[38:39], s[20:21]
	s_and_saveexec_b64 s[2:3], s[28:29]
	s_cbranch_execnz .LBB144_475
	s_branch .LBB144_476
.LBB144_95:                             ;   in Loop: Header=BB144_6 Depth=1
	s_or_b64 exec, exec, s[4:5]
	s_waitcnt lgkmcnt(0)
	s_barrier
	s_mov_b64 s[4:5], exec
	v_readlane_b32 s6, v54, 8
	v_readlane_b32 s7, v54, 9
	s_and_b64 s[6:7], s[4:5], s[6:7]
	s_mov_b64 exec, s[6:7]
	s_cbranch_execz .LBB144_97
; %bb.96:                               ;   in Loop: Header=BB144_6 Depth=1
	ds_read_b32 v2, v15 offset:5144
	s_waitcnt lgkmcnt(0)
	v_ashrrev_i32_e32 v3, 31, v2
	ds_write_b64 v15, v[2:3] offset:5120
.LBB144_97:                             ;   in Loop: Header=BB144_6 Depth=1
	s_or_b64 exec, exec, s[4:5]
	s_waitcnt lgkmcnt(0)
	s_barrier
	s_mov_b64 s[4:5], -1
	s_and_b64 vcc, exec, s[2:3]
	s_cbranch_vccnz .LBB144_24
	s_branch .LBB144_34
.LBB144_98:                             ;   in Loop: Header=BB144_6 Depth=1
	s_mov_b64 s[20:21], -1
	s_mov_b64 s[12:13], 0
                                        ; implicit-def: $sgpr34_sgpr35
                                        ; implicit-def: $vgpr3
	s_mov_b64 s[36:37], s[20:21]
	s_cbranch_execnz .LBB144_101
	s_branch .LBB144_114
.LBB144_99:                             ;   in Loop: Header=BB144_6 Depth=1
	s_or_b64 exec, exec, s[12:13]
	s_and_b64 s[12:13], s[26:27], exec
.LBB144_100:                            ;   in Loop: Header=BB144_6 Depth=1
	s_or_b64 exec, exec, s[20:21]
	s_mov_b64 s[34:35], -1
	s_mov_b64 s[20:21], 0
	s_mov_b64 s[36:37], s[20:21]
	s_branch .LBB144_114
.LBB144_101:                            ;   in Loop: Header=BB144_6 Depth=1
	v_readlane_b32 s28, v54, 33
	v_readlane_b32 s29, v54, 34
	s_mov_b32 s28, s83
	s_cmp_lg_u64 s[28:29], 0
	v_writelane_b32 v54, s28, 33
	v_writelane_b32 v54, s29, 34
	s_cbranch_scc0 .LBB144_143
; %bb.102:                              ;   in Loop: Header=BB144_6 Depth=1
	v_cvt_f32_u32_e32 v2, s33
	s_sub_u32 s4, 0, s33
	s_subb_u32 s5, 0, 0
	v_mac_f32_e32 v2, 0, v42
	v_rcp_f32_e32 v2, v2
	v_mul_f32_e32 v2, 0x5f7ffffc, v2
	v_mul_f32_e32 v3, 0x2f800000, v2
	v_trunc_f32_e32 v3, v3
	v_mac_f32_e32 v2, 0xcf800000, v3
	v_cvt_u32_f32_e32 v3, v3
	v_cvt_u32_f32_e32 v2, v2
	v_readfirstlane_b32 s12, v3
	v_readfirstlane_b32 s13, v2
	s_mul_i32 s20, s4, s12
	s_mul_hi_u32 s26, s4, s13
	s_mul_i32 s21, s5, s13
	s_add_i32 s20, s26, s20
	s_mul_i32 s27, s4, s13
	s_add_i32 s20, s20, s21
	s_mul_hi_u32 s26, s13, s27
	s_mul_hi_u32 s21, s13, s20
	s_mul_i32 s13, s13, s20
	s_add_u32 s13, s26, s13
	s_addc_u32 s21, 0, s21
	s_mul_hi_u32 s28, s12, s27
	s_mul_i32 s27, s12, s27
	s_add_u32 s13, s13, s27
	s_mul_hi_u32 s26, s12, s20
	s_addc_u32 s13, s21, s28
	s_addc_u32 s21, s26, 0
	s_mul_i32 s20, s12, s20
	s_add_u32 s13, s13, s20
	s_addc_u32 s20, 0, s21
	v_add_co_u32_e32 v2, vcc, s13, v2
	s_cmp_lg_u64 vcc, 0
	s_addc_u32 s12, s12, s20
	v_readfirstlane_b32 s20, v2
	s_mul_i32 s13, s4, s12
	s_mul_hi_u32 s21, s4, s20
	s_add_i32 s13, s21, s13
	s_mul_i32 s5, s5, s20
	s_add_i32 s13, s13, s5
	s_mul_i32 s4, s4, s20
	s_mul_hi_u32 s21, s12, s4
	s_mul_i32 s26, s12, s4
	s_mul_i32 s28, s20, s13
	s_mul_hi_u32 s4, s20, s4
	s_mul_hi_u32 s27, s20, s13
	s_add_u32 s4, s4, s28
	s_addc_u32 s20, 0, s27
	s_add_u32 s4, s4, s26
	s_mul_hi_u32 s5, s12, s13
	s_addc_u32 s4, s20, s21
	s_addc_u32 s5, s5, 0
	s_mul_i32 s13, s12, s13
	s_add_u32 s4, s4, s13
	s_addc_u32 s5, 0, s5
	v_add_co_u32_e32 v2, vcc, s4, v2
	s_cmp_lg_u64 vcc, 0
	s_addc_u32 s4, s12, s5
	v_readlane_b32 s26, v54, 31
	v_readfirstlane_b32 s13, v2
	s_mul_i32 s12, s26, s4
	s_mul_hi_u32 s20, s26, s13
	s_mul_hi_u32 s5, s26, s4
	s_add_u32 s12, s20, s12
	s_addc_u32 s5, 0, s5
	s_mul_hi_u32 s21, s29, s13
	s_mul_i32 s13, s29, s13
	s_add_u32 s12, s12, s13
	s_mul_hi_u32 s20, s29, s4
	s_addc_u32 s5, s5, s21
	s_addc_u32 s12, s20, 0
	s_mul_i32 s4, s29, s4
	s_add_u32 s4, s5, s4
	s_addc_u32 s5, 0, s12
	s_mul_hi_u32 s12, s33, s4
	s_mul_i32 s4, s33, s4
	s_mul_i32 s5, s33, s5
	v_mov_b32_e32 v2, s4
	s_add_i32 s12, s12, s5
	v_sub_co_u32_e32 v2, vcc, s26, v2
	s_cmp_lg_u64 vcc, 0
	s_subb_u32 s4, s29, s12
	v_subrev_co_u32_e32 v3, vcc, s33, v2
	s_cmp_lg_u64 vcc, 0
	s_subb_u32 s5, s4, 0
	v_subrev_co_u32_e32 v4, vcc, s33, v3
	s_cmp_lg_u64 vcc, 0
	s_subb_u32 s12, s5, 0
	v_cmp_le_u32_e32 vcc, s33, v3
	s_cmp_eq_u32 s5, 0
	v_cndmask_b32_e64 v5, 0, -1, vcc
	s_cselect_b64 vcc, -1, 0
	v_cndmask_b32_e32 v5, -1, v5, vcc
	v_mov_b32_e32 v6, s5
	v_mov_b32_e32 v7, s12
	v_cmp_ne_u32_e32 vcc, 0, v5
	v_cndmask_b32_e32 v5, v6, v7, vcc
	v_cndmask_b32_e32 v4, v3, v4, vcc
	v_cmp_le_u32_e32 vcc, s33, v2
	s_cmp_eq_u32 s4, 0
	v_cndmask_b32_e64 v3, 0, -1, vcc
	s_cselect_b64 vcc, -1, 0
	v_cndmask_b32_e32 v3, -1, v3, vcc
	v_mov_b32_e32 v6, s4
	v_cmp_ne_u32_e32 vcc, 0, v3
	v_cndmask_b32_e32 v3, v6, v5, vcc
	v_cndmask_b32_e32 v2, v2, v4, vcc
	s_cbranch_execnz .LBB144_104
.LBB144_103:                            ;   in Loop: Header=BB144_6 Depth=1
	v_cvt_f32_u32_e32 v2, s33
	s_sub_i32 s4, 0, s33
	v_rcp_iflag_f32_e32 v2, v2
	v_mul_f32_e32 v2, 0x4f7ffffe, v2
	v_cvt_u32_f32_e32 v2, v2
	v_mul_lo_u32 v3, s4, v2
	v_mul_hi_u32 v3, v2, v3
	v_add_u32_e32 v2, v2, v3
	v_readlane_b32 s4, v54, 31
	v_mul_hi_u32 v2, s4, v2
	v_mul_lo_u32 v2, v2, s33
	v_sub_u32_e32 v2, s4, v2
	v_subrev_u32_e32 v3, s33, v2
	v_cmp_le_u32_e32 vcc, s33, v2
	v_cndmask_b32_e32 v2, v2, v3, vcc
	v_subrev_u32_e32 v3, s33, v2
	v_cmp_le_u32_e32 vcc, s33, v2
	v_cndmask_b32_e32 v14, v2, v3, vcc
	v_pk_mov_b32 v[2:3], v[14:15], v[14:15] op_sel:[0,1]
.LBB144_104:                            ;   in Loop: Header=BB144_6 Depth=1
	v_readlane_b32 s4, v54, 33
	v_readlane_b32 s5, v54, 34
	;; [unrolled: 1-line block ×3, first 2 shown]
	v_mov_b32_e32 v5, s5
	v_sub_co_u32_e32 v4, vcc, s4, v2
	v_subb_co_u32_e32 v5, vcc, v5, v3, vcc
	v_cmp_gt_u64_e32 vcc, v[4:5], v[0:1]
	s_mov_b64 s[12:13], 0
                                        ; implicit-def: $vgpr3
	s_and_saveexec_b64 s[4:5], vcc
	s_cbranch_execz .LBB144_113
; %bb.105:                              ;   in Loop: Header=BB144_6 Depth=1
	v_pk_mov_b32 v[6:7], v[12:13], v[12:13] op_sel:[0,1]
	v_pk_mov_b32 v[8:9], v[0:1], v[0:1] op_sel:[0,1]
                                        ; implicit-def: $sgpr20_sgpr21
	s_branch .LBB144_107
.LBB144_106:                            ;   in Loop: Header=BB144_107 Depth=2
	s_or_b64 exec, exec, s[26:27]
	s_waitcnt lgkmcnt(0)
	s_barrier
	ds_read_b64 v[2:3], v15 offset:3072
	v_add_co_u32_e32 v8, vcc, s33, v8
	s_waitcnt lgkmcnt(0)
	s_barrier
	v_readfirstlane_b32 s26, v2
	v_mov_b32_e32 v2, s0
	s_cmp_lg_u32 s26, 0
	v_addc_co_u32_e32 v9, vcc, v9, v2, vcc
	s_cselect_b64 s[26:27], -1, 0
	v_cmp_ge_u64_e32 vcc, v[8:9], v[4:5]
	s_or_b64 s[28:29], vcc, s[26:27]
	s_and_b64 s[28:29], exec, s[28:29]
	s_or_b64 s[12:13], s[28:29], s[12:13]
	v_mov_b32_e32 v2, s61
	v_add_co_u32_e32 v6, vcc, s60, v6
	s_andn2_b64 s[20:21], s[20:21], exec
	s_and_b64 s[26:27], s[26:27], exec
	v_addc_co_u32_e32 v7, vcc, v7, v2, vcc
	s_or_b64 s[20:21], s[20:21], s[26:27]
	s_andn2_b64 exec, exec, s[12:13]
	s_cbranch_execz .LBB144_112
.LBB144_107:                            ;   Parent Loop BB144_6 Depth=1
                                        ; =>  This Inner Loop Header: Depth=2
	v_cmp_gt_u64_e32 vcc, s[56:57], v[8:9]
	s_waitcnt vmcnt(0)
	v_mov_b32_e32 v27, 0
	s_and_saveexec_b64 s[26:27], vcc
	s_cbranch_execz .LBB144_109
; %bb.108:                              ;   in Loop: Header=BB144_107 Depth=2
	global_load_dword v27, v[6:7], off
.LBB144_109:                            ;   in Loop: Header=BB144_107 Depth=2
	s_or_b64 exec, exec, s[26:27]
	s_and_saveexec_b64 s[26:27], vcc
	s_cbranch_execz .LBB144_106
; %bb.110:                              ;   in Loop: Header=BB144_107 Depth=2
	s_waitcnt vmcnt(0)
	v_xor_b32_e32 v2, 0x80000000, v27
	v_and_b32_e32 v2, v2, v34
	v_cmp_eq_u32_e32 vcc, v2, v28
	s_and_b64 exec, exec, vcc
	s_cbranch_execz .LBB144_106
; %bb.111:                              ;   in Loop: Header=BB144_107 Depth=2
	ds_write_b64 v15, v[26:27] offset:3072
	s_branch .LBB144_106
.LBB144_112:                            ;   in Loop: Header=BB144_6 Depth=1
	s_or_b64 exec, exec, s[12:13]
	s_and_b64 s[12:13], s[20:21], exec
.LBB144_113:                            ;   in Loop: Header=BB144_6 Depth=1
	s_or_b64 exec, exec, s[4:5]
	s_mov_b64 s[36:37], -1
	s_mov_b64 s[20:21], 0
	s_mov_b64 s[34:35], 0
.LBB144_114:                            ;   in Loop: Header=BB144_6 Depth=1
	s_orn2_b64 s[4:5], s[12:13], exec
.LBB144_115:                            ;   in Loop: Header=BB144_6 Depth=1
	s_or_b64 exec, exec, s[6:7]
	s_mov_b64 s[38:39], 0
	s_mov_b64 s[28:29], 0
	;; [unrolled: 1-line block ×3, first 2 shown]
                                        ; implicit-def: $vgpr8
                                        ; implicit-def: $vgpr4_vgpr5
	s_and_saveexec_b64 s[40:41], s[4:5]
	s_cbranch_execz .LBB144_278
; %bb.116:                              ;   in Loop: Header=BB144_6 Depth=1
	v_mov_b32_e32 v4, 1
	s_xor_b64 s[4:5], s[2:3], -1
	s_mov_b64 s[6:7], 0
	v_mov_b32_e32 v5, 0
	v_mov_b32_e32 v8, 1
	s_and_saveexec_b64 s[2:3], s[4:5]
	s_cbranch_execz .LBB144_126
; %bb.117:                              ;   in Loop: Header=BB144_6 Depth=1
	v_cmp_ge_u64_e32 vcc, s[16:17], v[30:31]
                                        ; implicit-def: $sgpr12
                                        ; implicit-def: $sgpr4_sgpr5
	s_and_saveexec_b64 s[6:7], vcc
	s_xor_b64 s[6:7], exec, s[6:7]
	s_cbranch_execz .LBB144_123
; %bb.118:                              ;   in Loop: Header=BB144_6 Depth=1
	ds_read_b64 v[4:5], v15 offset:5120
	s_waitcnt lgkmcnt(0)
	v_cmp_ne_u64_e32 vcc, 0, v[4:5]
	s_cbranch_vccnz .LBB144_122
; %bb.119:                              ;   in Loop: Header=BB144_6 Depth=1
	s_mov_b64 s[4:5], exec
	v_readlane_b32 s12, v54, 8
	v_readlane_b32 s13, v54, 9
	s_and_b64 s[12:13], s[4:5], s[12:13]
	s_mov_b64 exec, s[12:13]
	s_cbranch_execz .LBB144_121
; %bb.120:                              ;   in Loop: Header=BB144_6 Depth=1
	v_pk_mov_b32 v[4:5], s[16:17], s[16:17] op_sel:[0,1]
	ds_write_b64 v15, v[4:5] offset:5128
.LBB144_121:                            ;   in Loop: Header=BB144_6 Depth=1
	s_or_b64 exec, exec, s[4:5]
	s_waitcnt lgkmcnt(0)
	s_barrier
.LBB144_122:                            ;   in Loop: Header=BB144_6 Depth=1
	v_and_b32_e32 v28, s90, v28
	v_or_b32_e32 v34, s82, v34
	s_mov_b64 s[4:5], 0
	s_mov_b32 s12, 8
.LBB144_123:                            ;   in Loop: Header=BB144_6 Depth=1
	s_or_saveexec_b64 s[6:7], s[6:7]
	v_mov_b32_e32 v8, s12
	v_pk_mov_b32 v[4:5], v[30:31], v[30:31] op_sel:[0,1]
	s_xor_b64 exec, exec, s[6:7]
; %bb.124:                              ;   in Loop: Header=BB144_6 Depth=1
	v_mov_b32_e32 v2, s17
	v_subrev_co_u32_e32 v4, vcc, s16, v30
	v_subb_co_u32_e32 v5, vcc, v31, v2, vcc
	v_mov_b32_e32 v8, 0
	s_or_b64 s[4:5], s[4:5], exec
; %bb.125:                              ;   in Loop: Header=BB144_6 Depth=1
	s_or_b64 exec, exec, s[6:7]
	s_and_b64 s[6:7], s[4:5], exec
.LBB144_126:                            ;   in Loop: Header=BB144_6 Depth=1
	s_or_b64 exec, exec, s[2:3]
	s_mov_b64 s[28:29], -1
                                        ; implicit-def: $sgpr2_sgpr3
                                        ; implicit-def: $sgpr4_sgpr5
                                        ; implicit-def: $sgpr12_sgpr13
	s_and_saveexec_b64 s[26:27], s[6:7]
	s_xor_b64 s[6:7], exec, s[26:27]
	s_cbranch_execz .LBB144_275
; %bb.127:                              ;   in Loop: Header=BB144_6 Depth=1
	s_cmp_eq_u64 s[18:19], 1
	s_cselect_b64 s[2:3], -1, 0
	v_cmp_eq_u64_e32 vcc, 1, v[4:5]
	s_and_b64 s[2:3], s[2:3], vcc
	s_mov_b64 s[4:5], -1
                                        ; implicit-def: $sgpr26_sgpr27
                                        ; implicit-def: $sgpr42_sgpr43
                                        ; implicit-def: $sgpr28_sgpr29
	s_and_saveexec_b64 s[44:45], s[2:3]
	s_cbranch_execz .LBB144_161
; %bb.128:                              ;   in Loop: Header=BB144_6 Depth=1
	ds_read_b64 v[2:3], v15 offset:5120
	s_waitcnt lgkmcnt(0)
	s_barrier
	v_readfirstlane_b32 s4, v2
	v_readfirstlane_b32 s5, v3
	s_mov_b64 s[12:13], exec
	v_readlane_b32 s26, v54, 26
	v_readlane_b32 s27, v54, 27
	s_and_b64 s[26:27], s[12:13], s[26:27]
	s_mov_b64 exec, s[26:27]
	s_cbranch_execz .LBB144_130
; %bb.129:                              ;   in Loop: Header=BB144_6 Depth=1
	ds_write_b32 v39, v15
.LBB144_130:                            ;   in Loop: Header=BB144_6 Depth=1
	s_or_b64 exec, exec, s[12:13]
	v_and_b32_e32 v2, s90, v28
	v_lshl_or_b32 v28, 1, s91, v2
	v_or_b32_e32 v34, s82, v34
	s_cmp_eq_u64 s[4:5], 0
	s_waitcnt lgkmcnt(0)
	s_barrier
	s_cbranch_scc1 .LBB144_144
; %bb.131:                              ;   in Loop: Header=BB144_6 Depth=1
	v_readlane_b32 s12, v54, 30
	s_add_u32 s28, s12, s4
	v_readlane_b32 s12, v54, 32
	s_addc_u32 s13, s12, s5
	s_mov_b32 s12, s83
	s_cmp_lg_u64 s[12:13], 0
	s_cbranch_scc0 .LBB144_188
; %bb.132:                              ;   in Loop: Header=BB144_6 Depth=1
	v_cvt_f32_u32_e32 v2, s33
	s_sub_u32 s12, 0, s33
	s_subb_u32 s26, 0, 0
	v_mac_f32_e32 v2, 0, v42
	v_rcp_f32_e32 v2, v2
	v_mul_f32_e32 v2, 0x5f7ffffc, v2
	v_mul_f32_e32 v3, 0x2f800000, v2
	v_trunc_f32_e32 v3, v3
	v_mac_f32_e32 v2, 0xcf800000, v3
	v_cvt_u32_f32_e32 v3, v3
	v_cvt_u32_f32_e32 v2, v2
	v_readfirstlane_b32 s27, v3
	v_readfirstlane_b32 s29, v2
	s_mul_i32 s42, s12, s27
	s_mul_hi_u32 s46, s12, s29
	s_mul_i32 s43, s26, s29
	s_add_i32 s42, s46, s42
	s_mul_i32 s47, s12, s29
	s_add_i32 s42, s42, s43
	s_mul_hi_u32 s46, s29, s47
	s_mul_hi_u32 s43, s29, s42
	s_mul_i32 s29, s29, s42
	s_add_u32 s29, s46, s29
	s_addc_u32 s43, 0, s43
	s_mul_hi_u32 s48, s27, s47
	s_mul_i32 s47, s27, s47
	s_add_u32 s29, s29, s47
	s_mul_hi_u32 s46, s27, s42
	s_addc_u32 s29, s43, s48
	s_addc_u32 s43, s46, 0
	s_mul_i32 s42, s27, s42
	s_add_u32 s29, s29, s42
	s_addc_u32 s42, 0, s43
	v_add_co_u32_e32 v2, vcc, s29, v2
	s_cmp_lg_u64 vcc, 0
	s_addc_u32 s27, s27, s42
	v_readfirstlane_b32 s42, v2
	s_mul_i32 s29, s12, s27
	s_mul_hi_u32 s43, s12, s42
	s_add_i32 s29, s43, s29
	s_mul_i32 s26, s26, s42
	s_add_i32 s29, s29, s26
	s_mul_i32 s12, s12, s42
	s_mul_hi_u32 s43, s27, s12
	s_mul_i32 s46, s27, s12
	s_mul_i32 s48, s42, s29
	s_mul_hi_u32 s12, s42, s12
	s_mul_hi_u32 s47, s42, s29
	s_add_u32 s12, s12, s48
	s_addc_u32 s42, 0, s47
	s_add_u32 s12, s12, s46
	s_mul_hi_u32 s26, s27, s29
	s_addc_u32 s12, s42, s43
	s_addc_u32 s26, s26, 0
	s_mul_i32 s29, s27, s29
	s_add_u32 s12, s12, s29
	s_addc_u32 s26, 0, s26
	v_add_co_u32_e32 v2, vcc, s12, v2
	s_cmp_lg_u64 vcc, 0
	s_addc_u32 s12, s27, s26
	v_readfirstlane_b32 s29, v2
	s_mul_i32 s27, s28, s12
	s_mul_hi_u32 s42, s28, s29
	s_mul_hi_u32 s26, s28, s12
	s_add_u32 s27, s42, s27
	s_addc_u32 s26, 0, s26
	s_mul_hi_u32 s43, s13, s29
	s_mul_i32 s29, s13, s29
	s_add_u32 s27, s27, s29
	s_mul_hi_u32 s42, s13, s12
	s_addc_u32 s26, s26, s43
	s_addc_u32 s27, s42, 0
	s_mul_i32 s12, s13, s12
	s_add_u32 s12, s26, s12
	s_addc_u32 s26, 0, s27
	s_mul_hi_u32 s27, s33, s12
	s_mul_i32 s12, s33, s12
	s_mul_i32 s26, s33, s26
	v_mov_b32_e32 v2, s12
	s_add_i32 s27, s27, s26
	v_sub_co_u32_e32 v2, vcc, s28, v2
	s_cmp_lg_u64 vcc, 0
	s_subb_u32 s12, s13, s27
	v_subrev_co_u32_e32 v3, vcc, s33, v2
	s_cmp_lg_u64 vcc, 0
	s_subb_u32 s26, s12, 0
	v_subrev_co_u32_e32 v6, vcc, s33, v3
	s_cmp_lg_u64 vcc, 0
	s_subb_u32 s27, s26, 0
	v_cmp_le_u32_e32 vcc, s33, v3
	s_cmp_eq_u32 s26, 0
	v_cndmask_b32_e64 v7, 0, -1, vcc
	s_cselect_b64 vcc, -1, 0
	v_cndmask_b32_e32 v7, -1, v7, vcc
	v_mov_b32_e32 v8, s26
	v_mov_b32_e32 v9, s27
	v_cmp_ne_u32_e32 vcc, 0, v7
	v_cndmask_b32_e32 v7, v8, v9, vcc
	v_cndmask_b32_e32 v6, v3, v6, vcc
	v_cmp_le_u32_e32 vcc, s33, v2
	s_cmp_eq_u32 s12, 0
	v_cndmask_b32_e64 v3, 0, -1, vcc
	s_cselect_b64 vcc, -1, 0
	v_cndmask_b32_e32 v3, -1, v3, vcc
	v_mov_b32_e32 v8, s12
	v_cmp_ne_u32_e32 vcc, 0, v3
	v_cndmask_b32_e32 v3, v8, v7, vcc
	v_cndmask_b32_e32 v2, v2, v6, vcc
	s_cbranch_execnz .LBB144_134
.LBB144_133:                            ;   in Loop: Header=BB144_6 Depth=1
	v_cvt_f32_u32_e32 v2, s33
	s_sub_i32 s12, 0, s33
	v_rcp_iflag_f32_e32 v2, v2
	v_mul_f32_e32 v2, 0x4f7ffffe, v2
	v_cvt_u32_f32_e32 v2, v2
	v_mul_lo_u32 v3, s12, v2
	v_mul_hi_u32 v3, v2, v3
	v_add_u32_e32 v2, v2, v3
	v_mul_hi_u32 v2, s28, v2
	v_mul_lo_u32 v2, v2, s33
	v_sub_u32_e32 v2, s28, v2
	v_subrev_u32_e32 v3, s33, v2
	v_cmp_le_u32_e32 vcc, s33, v2
	v_cndmask_b32_e32 v2, v2, v3, vcc
	v_subrev_u32_e32 v3, s33, v2
	v_cmp_le_u32_e32 vcc, s33, v2
	v_cndmask_b32_e32 v14, v2, v3, vcc
	v_pk_mov_b32 v[2:3], v[14:15], v[14:15] op_sel:[0,1]
.LBB144_134:                            ;   in Loop: Header=BB144_6 Depth=1
	v_mov_b32_e32 v7, s13
	v_sub_co_u32_e32 v6, vcc, s28, v2
	v_subb_co_u32_e32 v7, vcc, v7, v3, vcc
	v_cmp_gt_u64_e32 vcc, v[6:7], v[0:1]
	s_mov_b64 s[12:13], 0
                                        ; implicit-def: $vgpr3
	s_and_saveexec_b64 s[26:27], vcc
	s_cbranch_execz .LBB144_146
; %bb.135:                              ;   in Loop: Header=BB144_6 Depth=1
	v_mov_b32_e32 v14, v16
	v_pk_mov_b32 v[8:9], v[0:1], v[0:1] op_sel:[0,1]
                                        ; implicit-def: $sgpr28_sgpr29
	s_branch .LBB144_137
.LBB144_136:                            ;   in Loop: Header=BB144_137 Depth=2
	s_or_b64 exec, exec, s[42:43]
	s_waitcnt lgkmcnt(0)
	s_barrier
	ds_read_b64 v[2:3], v15 offset:3072
	v_add_co_u32_e32 v8, vcc, s33, v8
	v_add_u32_e32 v14, s88, v14
	s_waitcnt lgkmcnt(0)
	v_readfirstlane_b32 s42, v2
	v_mov_b32_e32 v2, s0
	s_cmp_lg_u32 s42, 0
	v_addc_co_u32_e32 v9, vcc, v9, v2, vcc
	s_cselect_b64 s[42:43], -1, 0
	v_cmp_ge_u64_e32 vcc, v[8:9], v[6:7]
	s_or_b64 s[46:47], vcc, s[42:43]
	s_and_b64 s[46:47], exec, s[46:47]
	s_or_b64 s[12:13], s[46:47], s[12:13]
	s_andn2_b64 s[28:29], s[28:29], exec
	s_and_b64 s[42:43], s[42:43], exec
	s_or_b64 s[28:29], s[28:29], s[42:43]
	s_barrier
	s_andn2_b64 exec, exec, s[12:13]
	s_cbranch_execz .LBB144_145
.LBB144_137:                            ;   Parent Loop BB144_6 Depth=1
                                        ; =>  This Inner Loop Header: Depth=2
	v_cmp_gt_u64_e32 vcc, s[4:5], v[8:9]
	s_waitcnt vmcnt(0)
	v_mov_b32_e32 v27, 0
	s_and_saveexec_b64 s[42:43], vcc
	s_cbranch_execz .LBB144_139
; %bb.138:                              ;   in Loop: Header=BB144_137 Depth=2
	ds_read_b32 v27, v14
.LBB144_139:                            ;   in Loop: Header=BB144_137 Depth=2
	s_or_b64 exec, exec, s[42:43]
	s_and_saveexec_b64 s[42:43], vcc
	s_cbranch_execz .LBB144_136
; %bb.140:                              ;   in Loop: Header=BB144_137 Depth=2
	s_waitcnt lgkmcnt(0)
	v_xor_b32_e32 v2, 0x80000000, v27
	v_and_b32_e32 v2, v2, v34
	v_cmp_eq_u32_e32 vcc, v2, v28
	s_and_b64 exec, exec, vcc
	s_cbranch_execz .LBB144_136
; %bb.141:                              ;   in Loop: Header=BB144_137 Depth=2
	ds_write_b64 v15, v[26:27] offset:3072
	s_branch .LBB144_136
.LBB144_142:                            ;   in Loop: Header=BB144_6 Depth=1
                                        ; implicit-def: $vgpr2_vgpr3
	s_branch .LBB144_84
.LBB144_143:                            ;   in Loop: Header=BB144_6 Depth=1
                                        ; implicit-def: $vgpr2_vgpr3
	s_branch .LBB144_103
.LBB144_144:                            ;   in Loop: Header=BB144_6 Depth=1
	s_mov_b64 s[26:27], -1
	s_mov_b64 s[12:13], 0
                                        ; implicit-def: $sgpr28_sgpr29
                                        ; implicit-def: $vgpr3
	s_mov_b64 s[42:43], s[26:27]
	s_cbranch_execnz .LBB144_147
	s_branch .LBB144_160
.LBB144_145:                            ;   in Loop: Header=BB144_6 Depth=1
	s_or_b64 exec, exec, s[12:13]
	s_and_b64 s[12:13], s[28:29], exec
.LBB144_146:                            ;   in Loop: Header=BB144_6 Depth=1
	s_or_b64 exec, exec, s[26:27]
	s_mov_b64 s[28:29], -1
	s_mov_b64 s[26:27], 0
	s_mov_b64 s[42:43], s[26:27]
	s_branch .LBB144_160
.LBB144_147:                            ;   in Loop: Header=BB144_6 Depth=1
	v_readlane_b32 s42, v54, 33
	v_readlane_b32 s43, v54, 34
	s_mov_b32 s42, s83
	s_cmp_lg_u64 s[42:43], 0
	v_writelane_b32 v54, s42, 33
	v_writelane_b32 v54, s43, 34
	s_cbranch_scc0 .LBB144_189
; %bb.148:                              ;   in Loop: Header=BB144_6 Depth=1
	v_cvt_f32_u32_e32 v2, s33
	s_sub_u32 s4, 0, s33
	s_subb_u32 s5, 0, 0
	v_mac_f32_e32 v2, 0, v42
	v_rcp_f32_e32 v2, v2
	v_mul_f32_e32 v2, 0x5f7ffffc, v2
	v_mul_f32_e32 v3, 0x2f800000, v2
	v_trunc_f32_e32 v3, v3
	v_mac_f32_e32 v2, 0xcf800000, v3
	v_cvt_u32_f32_e32 v3, v3
	v_cvt_u32_f32_e32 v2, v2
	v_readfirstlane_b32 s12, v3
	v_readfirstlane_b32 s13, v2
	s_mul_i32 s26, s4, s12
	s_mul_hi_u32 s28, s4, s13
	s_mul_i32 s27, s5, s13
	s_add_i32 s26, s28, s26
	s_mul_i32 s29, s4, s13
	s_add_i32 s26, s26, s27
	s_mul_hi_u32 s28, s13, s29
	s_mul_hi_u32 s27, s13, s26
	s_mul_i32 s13, s13, s26
	s_add_u32 s13, s28, s13
	s_addc_u32 s27, 0, s27
	s_mul_hi_u32 s42, s12, s29
	s_mul_i32 s29, s12, s29
	s_add_u32 s13, s13, s29
	s_mul_hi_u32 s28, s12, s26
	s_addc_u32 s13, s27, s42
	s_addc_u32 s27, s28, 0
	s_mul_i32 s26, s12, s26
	s_add_u32 s13, s13, s26
	s_addc_u32 s26, 0, s27
	v_add_co_u32_e32 v2, vcc, s13, v2
	s_cmp_lg_u64 vcc, 0
	s_addc_u32 s12, s12, s26
	v_readfirstlane_b32 s26, v2
	s_mul_i32 s13, s4, s12
	s_mul_hi_u32 s27, s4, s26
	s_add_i32 s13, s27, s13
	s_mul_i32 s5, s5, s26
	s_add_i32 s13, s13, s5
	s_mul_i32 s4, s4, s26
	s_mul_hi_u32 s27, s12, s4
	s_mul_i32 s28, s12, s4
	s_mul_i32 s42, s26, s13
	s_mul_hi_u32 s4, s26, s4
	s_mul_hi_u32 s29, s26, s13
	s_add_u32 s4, s4, s42
	s_addc_u32 s26, 0, s29
	s_add_u32 s4, s4, s28
	s_mul_hi_u32 s5, s12, s13
	s_addc_u32 s4, s26, s27
	s_addc_u32 s5, s5, 0
	s_mul_i32 s13, s12, s13
	s_add_u32 s4, s4, s13
	s_addc_u32 s5, 0, s5
	v_add_co_u32_e32 v2, vcc, s4, v2
	s_cmp_lg_u64 vcc, 0
	s_addc_u32 s4, s12, s5
	v_readlane_b32 s28, v54, 31
	v_readfirstlane_b32 s13, v2
	s_mul_i32 s12, s28, s4
	s_mul_hi_u32 s26, s28, s13
	s_mul_hi_u32 s5, s28, s4
	s_add_u32 s12, s26, s12
	s_addc_u32 s5, 0, s5
	s_mul_hi_u32 s27, s43, s13
	s_mul_i32 s13, s43, s13
	s_add_u32 s12, s12, s13
	s_mul_hi_u32 s26, s43, s4
	s_addc_u32 s5, s5, s27
	s_addc_u32 s12, s26, 0
	s_mul_i32 s4, s43, s4
	s_add_u32 s4, s5, s4
	s_addc_u32 s5, 0, s12
	s_mul_hi_u32 s12, s33, s4
	s_mul_i32 s4, s33, s4
	s_mul_i32 s5, s33, s5
	v_mov_b32_e32 v2, s4
	s_add_i32 s12, s12, s5
	v_sub_co_u32_e32 v2, vcc, s28, v2
	s_cmp_lg_u64 vcc, 0
	s_subb_u32 s4, s43, s12
	v_subrev_co_u32_e32 v3, vcc, s33, v2
	s_cmp_lg_u64 vcc, 0
	s_subb_u32 s5, s4, 0
	v_subrev_co_u32_e32 v6, vcc, s33, v3
	s_cmp_lg_u64 vcc, 0
	s_subb_u32 s12, s5, 0
	v_cmp_le_u32_e32 vcc, s33, v3
	s_cmp_eq_u32 s5, 0
	v_cndmask_b32_e64 v7, 0, -1, vcc
	s_cselect_b64 vcc, -1, 0
	v_cndmask_b32_e32 v7, -1, v7, vcc
	v_mov_b32_e32 v8, s5
	v_mov_b32_e32 v9, s12
	v_cmp_ne_u32_e32 vcc, 0, v7
	v_cndmask_b32_e32 v7, v8, v9, vcc
	v_cndmask_b32_e32 v6, v3, v6, vcc
	v_cmp_le_u32_e32 vcc, s33, v2
	s_cmp_eq_u32 s4, 0
	v_cndmask_b32_e64 v3, 0, -1, vcc
	s_cselect_b64 vcc, -1, 0
	v_cndmask_b32_e32 v3, -1, v3, vcc
	v_mov_b32_e32 v8, s4
	v_cmp_ne_u32_e32 vcc, 0, v3
	v_cndmask_b32_e32 v3, v8, v7, vcc
	v_cndmask_b32_e32 v2, v2, v6, vcc
	s_cbranch_execnz .LBB144_150
.LBB144_149:                            ;   in Loop: Header=BB144_6 Depth=1
	v_cvt_f32_u32_e32 v2, s33
	s_sub_i32 s4, 0, s33
	v_rcp_iflag_f32_e32 v2, v2
	v_mul_f32_e32 v2, 0x4f7ffffe, v2
	v_cvt_u32_f32_e32 v2, v2
	v_mul_lo_u32 v3, s4, v2
	v_mul_hi_u32 v3, v2, v3
	v_add_u32_e32 v2, v2, v3
	v_readlane_b32 s4, v54, 31
	v_mul_hi_u32 v2, s4, v2
	v_mul_lo_u32 v2, v2, s33
	v_sub_u32_e32 v2, s4, v2
	v_subrev_u32_e32 v3, s33, v2
	v_cmp_le_u32_e32 vcc, s33, v2
	v_cndmask_b32_e32 v2, v2, v3, vcc
	v_subrev_u32_e32 v3, s33, v2
	v_cmp_le_u32_e32 vcc, s33, v2
	v_cndmask_b32_e32 v14, v2, v3, vcc
	v_pk_mov_b32 v[2:3], v[14:15], v[14:15] op_sel:[0,1]
.LBB144_150:                            ;   in Loop: Header=BB144_6 Depth=1
	v_readlane_b32 s4, v54, 33
	v_readlane_b32 s5, v54, 34
	;; [unrolled: 1-line block ×3, first 2 shown]
	v_mov_b32_e32 v7, s5
	v_sub_co_u32_e32 v6, vcc, s4, v2
	v_subb_co_u32_e32 v7, vcc, v7, v3, vcc
	v_cmp_gt_u64_e32 vcc, v[6:7], v[0:1]
	s_mov_b64 s[12:13], 0
                                        ; implicit-def: $vgpr3
	s_and_saveexec_b64 s[4:5], vcc
	s_cbranch_execz .LBB144_159
; %bb.151:                              ;   in Loop: Header=BB144_6 Depth=1
	v_pk_mov_b32 v[8:9], v[12:13], v[12:13] op_sel:[0,1]
	v_pk_mov_b32 v[32:33], v[0:1], v[0:1] op_sel:[0,1]
                                        ; implicit-def: $sgpr26_sgpr27
	s_branch .LBB144_153
.LBB144_152:                            ;   in Loop: Header=BB144_153 Depth=2
	s_or_b64 exec, exec, s[28:29]
	s_waitcnt lgkmcnt(0)
	s_barrier
	ds_read_b64 v[2:3], v15 offset:3072
	v_add_co_u32_e32 v32, vcc, s33, v32
	s_waitcnt lgkmcnt(0)
	s_barrier
	v_readfirstlane_b32 s28, v2
	v_mov_b32_e32 v2, s0
	s_cmp_lg_u32 s28, 0
	v_addc_co_u32_e32 v33, vcc, v33, v2, vcc
	s_cselect_b64 s[28:29], -1, 0
	v_cmp_ge_u64_e32 vcc, v[32:33], v[6:7]
	s_or_b64 s[42:43], vcc, s[28:29]
	s_and_b64 s[42:43], exec, s[42:43]
	s_or_b64 s[12:13], s[42:43], s[12:13]
	v_mov_b32_e32 v2, s61
	v_add_co_u32_e32 v8, vcc, s60, v8
	s_andn2_b64 s[26:27], s[26:27], exec
	s_and_b64 s[28:29], s[28:29], exec
	v_addc_co_u32_e32 v9, vcc, v9, v2, vcc
	s_or_b64 s[26:27], s[26:27], s[28:29]
	s_andn2_b64 exec, exec, s[12:13]
	s_cbranch_execz .LBB144_158
.LBB144_153:                            ;   Parent Loop BB144_6 Depth=1
                                        ; =>  This Inner Loop Header: Depth=2
	v_cmp_gt_u64_e32 vcc, s[56:57], v[32:33]
	s_waitcnt vmcnt(0)
	v_mov_b32_e32 v27, 0
	s_and_saveexec_b64 s[28:29], vcc
	s_cbranch_execz .LBB144_155
; %bb.154:                              ;   in Loop: Header=BB144_153 Depth=2
	global_load_dword v27, v[8:9], off
.LBB144_155:                            ;   in Loop: Header=BB144_153 Depth=2
	s_or_b64 exec, exec, s[28:29]
	s_and_saveexec_b64 s[28:29], vcc
	s_cbranch_execz .LBB144_152
; %bb.156:                              ;   in Loop: Header=BB144_153 Depth=2
	s_waitcnt vmcnt(0)
	v_xor_b32_e32 v2, 0x80000000, v27
	v_and_b32_e32 v2, v2, v34
	v_cmp_eq_u32_e32 vcc, v2, v28
	s_and_b64 exec, exec, vcc
	s_cbranch_execz .LBB144_152
; %bb.157:                              ;   in Loop: Header=BB144_153 Depth=2
	ds_write_b64 v15, v[26:27] offset:3072
	s_branch .LBB144_152
.LBB144_158:                            ;   in Loop: Header=BB144_6 Depth=1
	s_or_b64 exec, exec, s[12:13]
	s_and_b64 s[12:13], s[26:27], exec
.LBB144_159:                            ;   in Loop: Header=BB144_6 Depth=1
	s_or_b64 exec, exec, s[4:5]
	s_mov_b64 s[42:43], -1
	s_mov_b64 s[26:27], 0
	s_mov_b64 s[28:29], 0
.LBB144_160:                            ;   in Loop: Header=BB144_6 Depth=1
	s_orn2_b64 s[4:5], s[12:13], exec
.LBB144_161:                            ;   in Loop: Header=BB144_6 Depth=1
	s_or_b64 exec, exec, s[44:45]
	s_mov_b64 s[46:47], 0
                                        ; implicit-def: $vgpr8
	s_and_saveexec_b64 s[44:45], s[4:5]
	s_cbranch_execz .LBB144_274
; %bb.162:                              ;   in Loop: Header=BB144_6 Depth=1
	v_mov_b32_e32 v6, 1
	s_xor_b64 s[4:5], s[2:3], -1
	s_mov_b64 s[12:13], 0
	v_mov_b32_e32 v7, 0
	v_mov_b32_e32 v8, 1
	s_and_saveexec_b64 s[2:3], s[4:5]
	s_cbranch_execz .LBB144_172
; %bb.163:                              ;   in Loop: Header=BB144_6 Depth=1
	v_cmp_ge_u64_e32 vcc, s[18:19], v[4:5]
                                        ; implicit-def: $sgpr46
                                        ; implicit-def: $sgpr4_sgpr5
	s_and_saveexec_b64 s[12:13], vcc
	s_xor_b64 s[12:13], exec, s[12:13]
	s_cbranch_execz .LBB144_169
; %bb.164:                              ;   in Loop: Header=BB144_6 Depth=1
	ds_read_b64 v[6:7], v15 offset:5120
	s_waitcnt lgkmcnt(0)
	v_cmp_ne_u64_e32 vcc, 0, v[6:7]
	s_cbranch_vccnz .LBB144_168
; %bb.165:                              ;   in Loop: Header=BB144_6 Depth=1
	s_mov_b64 s[4:5], exec
	v_readlane_b32 s46, v54, 8
	v_readlane_b32 s47, v54, 9
	s_and_b64 s[46:47], s[4:5], s[46:47]
	s_mov_b64 exec, s[46:47]
	s_cbranch_execz .LBB144_167
; %bb.166:                              ;   in Loop: Header=BB144_6 Depth=1
	v_pk_mov_b32 v[6:7], s[18:19], s[18:19] op_sel:[0,1]
	ds_write_b64 v15, v[6:7] offset:5128
.LBB144_167:                            ;   in Loop: Header=BB144_6 Depth=1
	s_or_b64 exec, exec, s[4:5]
	s_waitcnt lgkmcnt(0)
	s_barrier
.LBB144_168:                            ;   in Loop: Header=BB144_6 Depth=1
	v_and_b32_e32 v2, s90, v28
	v_lshl_or_b32 v28, 1, s91, v2
	v_or_b32_e32 v34, s82, v34
	s_mov_b64 s[4:5], 0
	s_mov_b32 s46, 8
.LBB144_169:                            ;   in Loop: Header=BB144_6 Depth=1
	s_or_saveexec_b64 s[12:13], s[12:13]
	v_mov_b32_e32 v8, s46
	s_xor_b64 exec, exec, s[12:13]
; %bb.170:                              ;   in Loop: Header=BB144_6 Depth=1
	v_mov_b32_e32 v2, s19
	v_subrev_co_u32_e32 v4, vcc, s18, v4
	v_subb_co_u32_e32 v5, vcc, v5, v2, vcc
	v_mov_b32_e32 v8, 0
	s_or_b64 s[4:5], s[4:5], exec
; %bb.171:                              ;   in Loop: Header=BB144_6 Depth=1
	s_or_b64 exec, exec, s[12:13]
	s_and_b64 s[12:13], s[4:5], exec
	v_pk_mov_b32 v[6:7], v[4:5], v[4:5] op_sel:[0,1]
.LBB144_172:                            ;   in Loop: Header=BB144_6 Depth=1
	s_or_b64 exec, exec, s[2:3]
	s_mov_b64 s[2:3], -1
                                        ; implicit-def: $sgpr4_sgpr5
                                        ; implicit-def: $sgpr50_sgpr51
                                        ; implicit-def: $sgpr52_sgpr53
	s_and_saveexec_b64 s[46:47], s[12:13]
	s_cbranch_execz .LBB144_273
; %bb.173:                              ;   in Loop: Header=BB144_6 Depth=1
	s_cmp_eq_u64 s[22:23], 1
	s_cselect_b64 s[2:3], -1, 0
	v_cmp_eq_u64_e32 vcc, 1, v[6:7]
	s_and_b64 s[54:55], s[2:3], vcc
	s_mov_b64 s[4:5], -1
                                        ; implicit-def: $sgpr2_sgpr3
                                        ; implicit-def: $sgpr50_sgpr51
                                        ; implicit-def: $sgpr48_sgpr49
	s_and_saveexec_b64 s[52:53], s[54:55]
	s_cbranch_execz .LBB144_207
; %bb.174:                              ;   in Loop: Header=BB144_6 Depth=1
	ds_read_b64 v[2:3], v15 offset:5120
	s_waitcnt lgkmcnt(0)
	s_barrier
	v_readfirstlane_b32 s2, v2
	v_readfirstlane_b32 s3, v3
	s_mov_b64 s[4:5], exec
	v_readlane_b32 s12, v54, 26
	v_readlane_b32 s13, v54, 27
	s_and_b64 s[12:13], s[4:5], s[12:13]
	s_mov_b64 exec, s[12:13]
	s_cbranch_execz .LBB144_176
; %bb.175:                              ;   in Loop: Header=BB144_6 Depth=1
	ds_write_b32 v39, v15
.LBB144_176:                            ;   in Loop: Header=BB144_6 Depth=1
	s_or_b64 exec, exec, s[4:5]
	v_and_b32_e32 v2, s90, v28
	v_lshl_or_b32 v28, 2, s91, v2
	v_or_b32_e32 v34, s82, v34
	s_cmp_eq_u64 s[2:3], 0
	s_waitcnt lgkmcnt(0)
	s_barrier
	s_cbranch_scc1 .LBB144_190
; %bb.177:                              ;   in Loop: Header=BB144_6 Depth=1
	v_readlane_b32 s4, v54, 30
	s_add_u32 s48, s4, s2
	v_readlane_b32 s4, v54, 32
	s_addc_u32 s5, s4, s3
	s_mov_b32 s4, s83
	s_cmp_lg_u64 s[4:5], 0
	s_cbranch_scc0 .LBB144_225
; %bb.178:                              ;   in Loop: Header=BB144_6 Depth=1
	v_cvt_f32_u32_e32 v2, s33
	s_sub_u32 s4, 0, s33
	s_subb_u32 s12, 0, 0
	v_mac_f32_e32 v2, 0, v42
	v_rcp_f32_e32 v2, v2
	v_mul_f32_e32 v2, 0x5f7ffffc, v2
	v_mul_f32_e32 v3, 0x2f800000, v2
	v_trunc_f32_e32 v3, v3
	v_mac_f32_e32 v2, 0xcf800000, v3
	v_cvt_u32_f32_e32 v3, v3
	v_cvt_u32_f32_e32 v2, v2
	v_readfirstlane_b32 s13, v3
	v_readfirstlane_b32 s49, v2
	s_mul_i32 s50, s4, s13
	s_mul_hi_u32 s72, s4, s49
	s_mul_i32 s51, s12, s49
	s_add_i32 s50, s72, s50
	s_mul_i32 s73, s4, s49
	s_add_i32 s50, s50, s51
	s_mul_hi_u32 s72, s49, s73
	s_mul_hi_u32 s51, s49, s50
	s_mul_i32 s49, s49, s50
	s_add_u32 s49, s72, s49
	s_addc_u32 s51, 0, s51
	s_mul_hi_u32 s78, s13, s73
	s_mul_i32 s73, s13, s73
	s_add_u32 s49, s49, s73
	s_mul_hi_u32 s72, s13, s50
	s_addc_u32 s49, s51, s78
	s_addc_u32 s51, s72, 0
	s_mul_i32 s50, s13, s50
	s_add_u32 s49, s49, s50
	s_addc_u32 s50, 0, s51
	v_add_co_u32_e32 v2, vcc, s49, v2
	s_cmp_lg_u64 vcc, 0
	s_addc_u32 s13, s13, s50
	v_readfirstlane_b32 s50, v2
	s_mul_i32 s49, s4, s13
	s_mul_hi_u32 s51, s4, s50
	s_add_i32 s49, s51, s49
	s_mul_i32 s12, s12, s50
	s_add_i32 s49, s49, s12
	s_mul_i32 s4, s4, s50
	s_mul_hi_u32 s51, s13, s4
	s_mul_i32 s72, s13, s4
	s_mul_i32 s78, s50, s49
	s_mul_hi_u32 s4, s50, s4
	s_mul_hi_u32 s73, s50, s49
	s_add_u32 s4, s4, s78
	s_addc_u32 s50, 0, s73
	s_add_u32 s4, s4, s72
	s_mul_hi_u32 s12, s13, s49
	s_addc_u32 s4, s50, s51
	s_addc_u32 s12, s12, 0
	s_mul_i32 s49, s13, s49
	s_add_u32 s4, s4, s49
	s_addc_u32 s12, 0, s12
	v_add_co_u32_e32 v2, vcc, s4, v2
	s_cmp_lg_u64 vcc, 0
	s_addc_u32 s4, s13, s12
	v_readfirstlane_b32 s49, v2
	s_mul_i32 s13, s48, s4
	s_mul_hi_u32 s50, s48, s49
	s_mul_hi_u32 s12, s48, s4
	s_add_u32 s13, s50, s13
	s_addc_u32 s12, 0, s12
	s_mul_hi_u32 s51, s5, s49
	s_mul_i32 s49, s5, s49
	s_add_u32 s13, s13, s49
	s_mul_hi_u32 s50, s5, s4
	s_addc_u32 s12, s12, s51
	s_addc_u32 s13, s50, 0
	s_mul_i32 s4, s5, s4
	s_add_u32 s4, s12, s4
	s_addc_u32 s12, 0, s13
	s_mul_hi_u32 s13, s33, s4
	s_mul_i32 s4, s33, s4
	s_mul_i32 s12, s33, s12
	v_mov_b32_e32 v2, s4
	s_add_i32 s13, s13, s12
	v_sub_co_u32_e32 v2, vcc, s48, v2
	s_cmp_lg_u64 vcc, 0
	s_subb_u32 s4, s5, s13
	v_subrev_co_u32_e32 v3, vcc, s33, v2
	s_cmp_lg_u64 vcc, 0
	s_subb_u32 s12, s4, 0
	v_subrev_co_u32_e32 v4, vcc, s33, v3
	s_cmp_lg_u64 vcc, 0
	s_subb_u32 s13, s12, 0
	v_cmp_le_u32_e32 vcc, s33, v3
	s_cmp_eq_u32 s12, 0
	v_cndmask_b32_e64 v5, 0, -1, vcc
	s_cselect_b64 vcc, -1, 0
	v_cndmask_b32_e32 v5, -1, v5, vcc
	v_mov_b32_e32 v8, s12
	v_mov_b32_e32 v9, s13
	v_cmp_ne_u32_e32 vcc, 0, v5
	v_cndmask_b32_e32 v5, v8, v9, vcc
	v_cndmask_b32_e32 v4, v3, v4, vcc
	v_cmp_le_u32_e32 vcc, s33, v2
	s_cmp_eq_u32 s4, 0
	v_cndmask_b32_e64 v3, 0, -1, vcc
	s_cselect_b64 vcc, -1, 0
	v_cndmask_b32_e32 v3, -1, v3, vcc
	v_mov_b32_e32 v8, s4
	v_cmp_ne_u32_e32 vcc, 0, v3
	v_cndmask_b32_e32 v3, v8, v5, vcc
	v_cndmask_b32_e32 v2, v2, v4, vcc
	s_cbranch_execnz .LBB144_180
.LBB144_179:                            ;   in Loop: Header=BB144_6 Depth=1
	v_cvt_f32_u32_e32 v2, s33
	s_sub_i32 s4, 0, s33
	v_rcp_iflag_f32_e32 v2, v2
	v_mul_f32_e32 v2, 0x4f7ffffe, v2
	v_cvt_u32_f32_e32 v2, v2
	v_mul_lo_u32 v3, s4, v2
	v_mul_hi_u32 v3, v2, v3
	v_add_u32_e32 v2, v2, v3
	v_mul_hi_u32 v2, s48, v2
	v_mul_lo_u32 v2, v2, s33
	v_sub_u32_e32 v2, s48, v2
	v_subrev_u32_e32 v3, s33, v2
	v_cmp_le_u32_e32 vcc, s33, v2
	v_cndmask_b32_e32 v2, v2, v3, vcc
	v_subrev_u32_e32 v3, s33, v2
	v_cmp_le_u32_e32 vcc, s33, v2
	v_cndmask_b32_e32 v14, v2, v3, vcc
	v_pk_mov_b32 v[2:3], v[14:15], v[14:15] op_sel:[0,1]
.LBB144_180:                            ;   in Loop: Header=BB144_6 Depth=1
	v_mov_b32_e32 v5, s5
	v_sub_co_u32_e32 v4, vcc, s48, v2
	v_subb_co_u32_e32 v5, vcc, v5, v3, vcc
	v_cmp_gt_u64_e32 vcc, v[4:5], v[0:1]
	s_mov_b64 s[4:5], 0
                                        ; implicit-def: $vgpr3
	s_and_saveexec_b64 s[12:13], vcc
	s_cbranch_execz .LBB144_192
; %bb.181:                              ;   in Loop: Header=BB144_6 Depth=1
	v_mov_b32_e32 v14, v16
	v_pk_mov_b32 v[8:9], v[0:1], v[0:1] op_sel:[0,1]
                                        ; implicit-def: $sgpr48_sgpr49
	s_branch .LBB144_183
.LBB144_182:                            ;   in Loop: Header=BB144_183 Depth=2
	s_or_b64 exec, exec, s[50:51]
	s_waitcnt lgkmcnt(0)
	s_barrier
	ds_read_b64 v[2:3], v15 offset:3072
	v_add_co_u32_e32 v8, vcc, s33, v8
	v_add_u32_e32 v14, s88, v14
	s_waitcnt lgkmcnt(0)
	v_readfirstlane_b32 s50, v2
	v_mov_b32_e32 v2, s0
	s_cmp_lg_u32 s50, 0
	v_addc_co_u32_e32 v9, vcc, v9, v2, vcc
	s_cselect_b64 s[50:51], -1, 0
	v_cmp_ge_u64_e32 vcc, v[8:9], v[4:5]
	s_or_b64 s[72:73], vcc, s[50:51]
	s_and_b64 s[72:73], exec, s[72:73]
	s_or_b64 s[4:5], s[72:73], s[4:5]
	s_andn2_b64 s[48:49], s[48:49], exec
	s_and_b64 s[50:51], s[50:51], exec
	s_or_b64 s[48:49], s[48:49], s[50:51]
	s_barrier
	s_andn2_b64 exec, exec, s[4:5]
	s_cbranch_execz .LBB144_191
.LBB144_183:                            ;   Parent Loop BB144_6 Depth=1
                                        ; =>  This Inner Loop Header: Depth=2
	v_cmp_gt_u64_e32 vcc, s[2:3], v[8:9]
	s_waitcnt vmcnt(0)
	v_mov_b32_e32 v27, 0
	s_and_saveexec_b64 s[50:51], vcc
	s_cbranch_execz .LBB144_185
; %bb.184:                              ;   in Loop: Header=BB144_183 Depth=2
	ds_read_b32 v27, v14
.LBB144_185:                            ;   in Loop: Header=BB144_183 Depth=2
	s_or_b64 exec, exec, s[50:51]
	s_and_saveexec_b64 s[50:51], vcc
	s_cbranch_execz .LBB144_182
; %bb.186:                              ;   in Loop: Header=BB144_183 Depth=2
	s_waitcnt lgkmcnt(0)
	v_xor_b32_e32 v2, 0x80000000, v27
	v_and_b32_e32 v2, v2, v34
	v_cmp_eq_u32_e32 vcc, v2, v28
	s_and_b64 exec, exec, vcc
	s_cbranch_execz .LBB144_182
; %bb.187:                              ;   in Loop: Header=BB144_183 Depth=2
	ds_write_b64 v15, v[26:27] offset:3072
	s_branch .LBB144_182
.LBB144_188:                            ;   in Loop: Header=BB144_6 Depth=1
                                        ; implicit-def: $vgpr2_vgpr3
	s_branch .LBB144_133
.LBB144_189:                            ;   in Loop: Header=BB144_6 Depth=1
                                        ; implicit-def: $vgpr2_vgpr3
	s_branch .LBB144_149
.LBB144_190:                            ;   in Loop: Header=BB144_6 Depth=1
	s_mov_b64 s[2:3], -1
	s_mov_b64 s[4:5], 0
                                        ; implicit-def: $sgpr48_sgpr49
                                        ; implicit-def: $vgpr3
	s_mov_b64 s[50:51], s[2:3]
	s_cbranch_execnz .LBB144_193
	s_branch .LBB144_206
.LBB144_191:                            ;   in Loop: Header=BB144_6 Depth=1
	s_or_b64 exec, exec, s[4:5]
	s_and_b64 s[4:5], s[48:49], exec
.LBB144_192:                            ;   in Loop: Header=BB144_6 Depth=1
	s_or_b64 exec, exec, s[12:13]
	s_mov_b64 s[48:49], -1
	s_mov_b64 s[2:3], 0
	s_mov_b64 s[50:51], s[2:3]
	s_branch .LBB144_206
.LBB144_193:                            ;   in Loop: Header=BB144_6 Depth=1
	v_readlane_b32 s50, v54, 33
	v_readlane_b32 s51, v54, 34
	s_mov_b32 s50, s83
	s_cmp_lg_u64 s[50:51], 0
	v_writelane_b32 v54, s50, 33
	v_writelane_b32 v54, s51, 34
	s_cbranch_scc0 .LBB144_226
; %bb.194:                              ;   in Loop: Header=BB144_6 Depth=1
	v_cvt_f32_u32_e32 v2, s33
	s_sub_u32 s2, 0, s33
	s_subb_u32 s3, 0, 0
	v_mac_f32_e32 v2, 0, v42
	v_rcp_f32_e32 v2, v2
	v_mul_f32_e32 v2, 0x5f7ffffc, v2
	v_mul_f32_e32 v3, 0x2f800000, v2
	v_trunc_f32_e32 v3, v3
	v_mac_f32_e32 v2, 0xcf800000, v3
	v_cvt_u32_f32_e32 v3, v3
	v_cvt_u32_f32_e32 v2, v2
	v_readfirstlane_b32 s4, v3
	v_readfirstlane_b32 s5, v2
	s_mul_i32 s12, s2, s4
	s_mul_hi_u32 s48, s2, s5
	s_mul_i32 s13, s3, s5
	s_add_i32 s12, s48, s12
	s_mul_i32 s49, s2, s5
	s_add_i32 s12, s12, s13
	s_mul_hi_u32 s48, s5, s49
	s_mul_hi_u32 s13, s5, s12
	s_mul_i32 s5, s5, s12
	s_add_u32 s5, s48, s5
	s_addc_u32 s13, 0, s13
	s_mul_hi_u32 s50, s4, s49
	s_mul_i32 s49, s4, s49
	s_add_u32 s5, s5, s49
	s_mul_hi_u32 s48, s4, s12
	s_addc_u32 s5, s13, s50
	s_addc_u32 s13, s48, 0
	s_mul_i32 s12, s4, s12
	s_add_u32 s5, s5, s12
	s_addc_u32 s12, 0, s13
	v_add_co_u32_e32 v2, vcc, s5, v2
	s_cmp_lg_u64 vcc, 0
	s_addc_u32 s4, s4, s12
	v_readfirstlane_b32 s12, v2
	s_mul_i32 s5, s2, s4
	s_mul_hi_u32 s13, s2, s12
	s_add_i32 s5, s13, s5
	s_mul_i32 s3, s3, s12
	s_add_i32 s5, s5, s3
	s_mul_i32 s2, s2, s12
	s_mul_hi_u32 s13, s4, s2
	s_mul_i32 s48, s4, s2
	s_mul_i32 s50, s12, s5
	s_mul_hi_u32 s2, s12, s2
	s_mul_hi_u32 s49, s12, s5
	s_add_u32 s2, s2, s50
	s_addc_u32 s12, 0, s49
	s_add_u32 s2, s2, s48
	s_mul_hi_u32 s3, s4, s5
	s_addc_u32 s2, s12, s13
	s_addc_u32 s3, s3, 0
	s_mul_i32 s5, s4, s5
	s_add_u32 s2, s2, s5
	s_addc_u32 s3, 0, s3
	v_add_co_u32_e32 v2, vcc, s2, v2
	s_cmp_lg_u64 vcc, 0
	s_addc_u32 s2, s4, s3
	v_readlane_b32 s48, v54, 31
	v_readfirstlane_b32 s5, v2
	s_mul_i32 s4, s48, s2
	s_mul_hi_u32 s12, s48, s5
	s_mul_hi_u32 s3, s48, s2
	s_add_u32 s4, s12, s4
	s_addc_u32 s3, 0, s3
	s_mul_hi_u32 s13, s51, s5
	s_mul_i32 s5, s51, s5
	s_add_u32 s4, s4, s5
	s_mul_hi_u32 s12, s51, s2
	s_addc_u32 s3, s3, s13
	s_addc_u32 s4, s12, 0
	s_mul_i32 s2, s51, s2
	s_add_u32 s2, s3, s2
	s_addc_u32 s3, 0, s4
	s_mul_hi_u32 s4, s33, s2
	s_mul_i32 s2, s33, s2
	s_mul_i32 s3, s33, s3
	v_mov_b32_e32 v2, s2
	s_add_i32 s4, s4, s3
	v_sub_co_u32_e32 v2, vcc, s48, v2
	s_cmp_lg_u64 vcc, 0
	s_subb_u32 s2, s51, s4
	v_subrev_co_u32_e32 v3, vcc, s33, v2
	s_cmp_lg_u64 vcc, 0
	s_subb_u32 s3, s2, 0
	v_subrev_co_u32_e32 v4, vcc, s33, v3
	s_cmp_lg_u64 vcc, 0
	s_subb_u32 s4, s3, 0
	v_cmp_le_u32_e32 vcc, s33, v3
	s_cmp_eq_u32 s3, 0
	v_cndmask_b32_e64 v5, 0, -1, vcc
	s_cselect_b64 vcc, -1, 0
	v_cndmask_b32_e32 v5, -1, v5, vcc
	v_mov_b32_e32 v8, s3
	v_mov_b32_e32 v9, s4
	v_cmp_ne_u32_e32 vcc, 0, v5
	v_cndmask_b32_e32 v5, v8, v9, vcc
	v_cndmask_b32_e32 v4, v3, v4, vcc
	v_cmp_le_u32_e32 vcc, s33, v2
	s_cmp_eq_u32 s2, 0
	v_cndmask_b32_e64 v3, 0, -1, vcc
	s_cselect_b64 vcc, -1, 0
	v_cndmask_b32_e32 v3, -1, v3, vcc
	v_mov_b32_e32 v8, s2
	v_cmp_ne_u32_e32 vcc, 0, v3
	v_cndmask_b32_e32 v3, v8, v5, vcc
	v_cndmask_b32_e32 v2, v2, v4, vcc
	s_cbranch_execnz .LBB144_196
.LBB144_195:                            ;   in Loop: Header=BB144_6 Depth=1
	v_cvt_f32_u32_e32 v2, s33
	s_sub_i32 s2, 0, s33
	v_rcp_iflag_f32_e32 v2, v2
	v_mul_f32_e32 v2, 0x4f7ffffe, v2
	v_cvt_u32_f32_e32 v2, v2
	v_mul_lo_u32 v3, s2, v2
	v_mul_hi_u32 v3, v2, v3
	v_add_u32_e32 v2, v2, v3
	v_readlane_b32 s2, v54, 31
	v_mul_hi_u32 v2, s2, v2
	v_mul_lo_u32 v2, v2, s33
	v_sub_u32_e32 v2, s2, v2
	v_subrev_u32_e32 v3, s33, v2
	v_cmp_le_u32_e32 vcc, s33, v2
	v_cndmask_b32_e32 v2, v2, v3, vcc
	v_subrev_u32_e32 v3, s33, v2
	v_cmp_le_u32_e32 vcc, s33, v2
	v_cndmask_b32_e32 v14, v2, v3, vcc
	v_pk_mov_b32 v[2:3], v[14:15], v[14:15] op_sel:[0,1]
.LBB144_196:                            ;   in Loop: Header=BB144_6 Depth=1
	v_readlane_b32 s2, v54, 33
	v_readlane_b32 s3, v54, 34
	;; [unrolled: 1-line block ×3, first 2 shown]
	v_mov_b32_e32 v5, s3
	v_sub_co_u32_e32 v4, vcc, s2, v2
	v_subb_co_u32_e32 v5, vcc, v5, v3, vcc
	v_cmp_gt_u64_e32 vcc, v[4:5], v[0:1]
	s_mov_b64 s[4:5], 0
                                        ; implicit-def: $vgpr3
	s_and_saveexec_b64 s[2:3], vcc
	s_cbranch_execz .LBB144_205
; %bb.197:                              ;   in Loop: Header=BB144_6 Depth=1
	v_pk_mov_b32 v[8:9], v[12:13], v[12:13] op_sel:[0,1]
	v_pk_mov_b32 v[32:33], v[0:1], v[0:1] op_sel:[0,1]
                                        ; implicit-def: $sgpr12_sgpr13
	s_branch .LBB144_199
.LBB144_198:                            ;   in Loop: Header=BB144_199 Depth=2
	s_or_b64 exec, exec, s[48:49]
	s_waitcnt lgkmcnt(0)
	s_barrier
	ds_read_b64 v[2:3], v15 offset:3072
	v_add_co_u32_e32 v32, vcc, s33, v32
	s_waitcnt lgkmcnt(0)
	s_barrier
	v_readfirstlane_b32 s48, v2
	v_mov_b32_e32 v2, s0
	s_cmp_lg_u32 s48, 0
	v_addc_co_u32_e32 v33, vcc, v33, v2, vcc
	s_cselect_b64 s[48:49], -1, 0
	v_cmp_ge_u64_e32 vcc, v[32:33], v[4:5]
	s_or_b64 s[50:51], vcc, s[48:49]
	s_and_b64 s[50:51], exec, s[50:51]
	s_or_b64 s[4:5], s[50:51], s[4:5]
	v_mov_b32_e32 v2, s61
	v_add_co_u32_e32 v8, vcc, s60, v8
	s_andn2_b64 s[12:13], s[12:13], exec
	s_and_b64 s[48:49], s[48:49], exec
	v_addc_co_u32_e32 v9, vcc, v9, v2, vcc
	s_or_b64 s[12:13], s[12:13], s[48:49]
	s_andn2_b64 exec, exec, s[4:5]
	s_cbranch_execz .LBB144_204
.LBB144_199:                            ;   Parent Loop BB144_6 Depth=1
                                        ; =>  This Inner Loop Header: Depth=2
	v_cmp_gt_u64_e32 vcc, s[56:57], v[32:33]
	s_waitcnt vmcnt(0)
	v_mov_b32_e32 v27, 0
	s_and_saveexec_b64 s[48:49], vcc
	s_cbranch_execz .LBB144_201
; %bb.200:                              ;   in Loop: Header=BB144_199 Depth=2
	global_load_dword v27, v[8:9], off
.LBB144_201:                            ;   in Loop: Header=BB144_199 Depth=2
	s_or_b64 exec, exec, s[48:49]
	s_and_saveexec_b64 s[48:49], vcc
	s_cbranch_execz .LBB144_198
; %bb.202:                              ;   in Loop: Header=BB144_199 Depth=2
	s_waitcnt vmcnt(0)
	v_xor_b32_e32 v2, 0x80000000, v27
	v_and_b32_e32 v2, v2, v34
	v_cmp_eq_u32_e32 vcc, v2, v28
	s_and_b64 exec, exec, vcc
	s_cbranch_execz .LBB144_198
; %bb.203:                              ;   in Loop: Header=BB144_199 Depth=2
	ds_write_b64 v15, v[26:27] offset:3072
	s_branch .LBB144_198
.LBB144_204:                            ;   in Loop: Header=BB144_6 Depth=1
	s_or_b64 exec, exec, s[4:5]
	s_and_b64 s[4:5], s[12:13], exec
.LBB144_205:                            ;   in Loop: Header=BB144_6 Depth=1
	s_or_b64 exec, exec, s[2:3]
	s_mov_b64 s[50:51], -1
	s_mov_b64 s[2:3], 0
	s_mov_b64 s[48:49], 0
.LBB144_206:                            ;   in Loop: Header=BB144_6 Depth=1
	s_orn2_b64 s[4:5], s[4:5], exec
.LBB144_207:                            ;   in Loop: Header=BB144_6 Depth=1
	s_or_b64 exec, exec, s[52:53]
	s_mov_b64 s[12:13], 0
                                        ; implicit-def: $vgpr8
	s_and_saveexec_b64 s[52:53], s[4:5]
	s_cbranch_execz .LBB144_272
; %bb.208:                              ;   in Loop: Header=BB144_6 Depth=1
	v_mov_b32_e32 v4, 1
	s_xor_b64 s[12:13], s[54:55], -1
	s_mov_b64 s[80:81], 0
	v_mov_b32_e32 v5, 0
	v_mov_b32_e32 v8, 1
	s_and_saveexec_b64 s[4:5], s[12:13]
	s_cbranch_execz .LBB144_218
; %bb.209:                              ;   in Loop: Header=BB144_6 Depth=1
	v_cmp_ge_u64_e32 vcc, s[22:23], v[6:7]
                                        ; implicit-def: $sgpr72
                                        ; implicit-def: $sgpr12_sgpr13
	s_and_saveexec_b64 s[54:55], vcc
	s_xor_b64 s[54:55], exec, s[54:55]
	s_cbranch_execz .LBB144_215
; %bb.210:                              ;   in Loop: Header=BB144_6 Depth=1
	ds_read_b64 v[4:5], v15 offset:5120
	s_waitcnt lgkmcnt(0)
	v_cmp_ne_u64_e32 vcc, 0, v[4:5]
	s_cbranch_vccnz .LBB144_214
; %bb.211:                              ;   in Loop: Header=BB144_6 Depth=1
	v_readlane_b32 s68, v54, 8
	v_readlane_b32 s69, v54, 9
	s_and_saveexec_b64 s[12:13], s[68:69]
	s_cbranch_execz .LBB144_213
; %bb.212:                              ;   in Loop: Header=BB144_6 Depth=1
	v_pk_mov_b32 v[4:5], s[22:23], s[22:23] op_sel:[0,1]
	ds_write_b64 v15, v[4:5] offset:5128
.LBB144_213:                            ;   in Loop: Header=BB144_6 Depth=1
	s_or_b64 exec, exec, s[12:13]
	s_waitcnt lgkmcnt(0)
	s_barrier
.LBB144_214:                            ;   in Loop: Header=BB144_6 Depth=1
	v_and_b32_e32 v2, s90, v28
	v_lshl_or_b32 v28, 2, s91, v2
	v_or_b32_e32 v34, s82, v34
	s_mov_b64 s[12:13], 0
	s_mov_b32 s72, 8
.LBB144_215:                            ;   in Loop: Header=BB144_6 Depth=1
	s_or_saveexec_b64 s[54:55], s[54:55]
	v_mov_b32_e32 v8, s72
	s_xor_b64 exec, exec, s[54:55]
; %bb.216:                              ;   in Loop: Header=BB144_6 Depth=1
	v_mov_b32_e32 v2, s23
	v_subrev_co_u32_e32 v6, vcc, s22, v6
	v_subb_co_u32_e32 v7, vcc, v7, v2, vcc
	v_mov_b32_e32 v8, 0
	s_or_b64 s[12:13], s[12:13], exec
; %bb.217:                              ;   in Loop: Header=BB144_6 Depth=1
	s_or_b64 exec, exec, s[54:55]
	s_and_b64 s[80:81], s[12:13], exec
	v_pk_mov_b32 v[4:5], v[6:7], v[6:7] op_sel:[0,1]
.LBB144_218:                            ;   in Loop: Header=BB144_6 Depth=1
	s_or_b64 exec, exec, s[4:5]
	s_mov_b64 s[78:79], -1
                                        ; implicit-def: $sgpr4_sgpr5
                                        ; implicit-def: $sgpr72_sgpr73
                                        ; implicit-def: $sgpr12_sgpr13
	s_and_saveexec_b64 s[54:55], s[80:81]
	s_cbranch_execz .LBB144_271
; %bb.219:                              ;   in Loop: Header=BB144_6 Depth=1
	s_cmp_eq_u64 s[24:25], 1
	s_cselect_b64 s[4:5], -1, 0
	v_cmp_eq_u64_e32 vcc, 1, v[4:5]
	s_and_b64 vcc, s[4:5], vcc
	s_mov_b64 s[80:81], -1
                                        ; implicit-def: $sgpr4_sgpr5
                                        ; implicit-def: $sgpr72_sgpr73
                                        ; implicit-def: $sgpr12_sgpr13
	s_mov_b64 s[68:69], exec
	v_writelane_b32 v54, s68, 52
	s_and_b64 s[78:79], s[68:69], vcc
	v_writelane_b32 v54, s69, 53
	s_mov_b64 exec, s[78:79]
	s_cbranch_execz .LBB144_258
; %bb.220:                              ;   in Loop: Header=BB144_6 Depth=1
	ds_read_b64 v[2:3], v15 offset:5120
	v_readlane_b32 s68, v54, 26
	v_readlane_b32 s69, v54, 27
	s_waitcnt lgkmcnt(0)
	s_barrier
	v_readfirstlane_b32 s4, v2
	v_readfirstlane_b32 s5, v3
	s_and_saveexec_b64 s[12:13], s[68:69]
	s_cbranch_execz .LBB144_222
; %bb.221:                              ;   in Loop: Header=BB144_6 Depth=1
	ds_write_b32 v39, v15
.LBB144_222:                            ;   in Loop: Header=BB144_6 Depth=1
	s_or_b64 exec, exec, s[12:13]
	v_or_b32_e32 v28, s82, v28
	v_or_b32_e32 v34, s82, v34
	s_cmp_eq_u64 s[4:5], 0
	v_writelane_b32 v54, vcc_lo, 54
	s_waitcnt lgkmcnt(0)
	s_barrier
	v_writelane_b32 v54, vcc_hi, 55
	s_cbranch_scc1 .LBB144_227
; %bb.223:                              ;   in Loop: Header=BB144_6 Depth=1
	v_readlane_b32 s12, v54, 30
	s_add_u32 s78, s12, s4
	v_readlane_b32 s12, v54, 32
	s_addc_u32 s13, s12, s5
	s_mov_b32 s12, s83
	s_cmp_lg_u64 s[12:13], 0
	s_cbranch_scc0 .LBB144_228
; %bb.224:                              ;   in Loop: Header=BB144_6 Depth=1
	v_cvt_f32_u32_e32 v2, s33
	s_sub_u32 s12, 0, s33
	s_subb_u32 s72, 0, 0
	v_mac_f32_e32 v2, 0, v42
	v_rcp_f32_e32 v2, v2
	v_mul_f32_e32 v2, 0x5f7ffffc, v2
	v_mul_f32_e32 v3, 0x2f800000, v2
	v_trunc_f32_e32 v3, v3
	v_mac_f32_e32 v2, 0xcf800000, v3
	v_cvt_u32_f32_e32 v3, v3
	v_cvt_u32_f32_e32 v2, v2
	v_readfirstlane_b32 s73, v3
	v_readfirstlane_b32 s79, v2
	s_mul_i32 s80, s12, s73
	s_mul_hi_u32 s84, s12, s79
	s_mul_i32 s81, s72, s79
	s_add_i32 s80, s84, s80
	s_mul_i32 s85, s12, s79
	s_add_i32 s80, s80, s81
	s_mul_hi_u32 s84, s79, s85
	s_mul_hi_u32 s81, s79, s80
	s_mul_i32 s79, s79, s80
	s_add_u32 s79, s84, s79
	s_addc_u32 s81, 0, s81
	s_mul_hi_u32 s89, s73, s85
	s_mul_i32 s85, s73, s85
	s_add_u32 s79, s79, s85
	s_mul_hi_u32 s84, s73, s80
	s_addc_u32 s79, s81, s89
	s_addc_u32 s81, s84, 0
	s_mul_i32 s80, s73, s80
	s_add_u32 s79, s79, s80
	s_addc_u32 s80, 0, s81
	v_add_co_u32_e32 v2, vcc, s79, v2
	s_cmp_lg_u64 vcc, 0
	s_addc_u32 s73, s73, s80
	v_readfirstlane_b32 s80, v2
	s_mul_i32 s79, s12, s73
	s_mul_hi_u32 s81, s12, s80
	s_add_i32 s79, s81, s79
	s_mul_i32 s72, s72, s80
	s_add_i32 s79, s79, s72
	s_mul_i32 s12, s12, s80
	s_mul_hi_u32 s81, s73, s12
	s_mul_i32 s84, s73, s12
	s_mul_i32 s89, s80, s79
	s_mul_hi_u32 s12, s80, s12
	s_mul_hi_u32 s85, s80, s79
	s_add_u32 s12, s12, s89
	s_addc_u32 s80, 0, s85
	s_add_u32 s12, s12, s84
	s_mul_hi_u32 s72, s73, s79
	s_addc_u32 s12, s80, s81
	s_addc_u32 s72, s72, 0
	s_mul_i32 s79, s73, s79
	s_add_u32 s12, s12, s79
	s_addc_u32 s72, 0, s72
	v_add_co_u32_e32 v2, vcc, s12, v2
	s_cmp_lg_u64 vcc, 0
	s_addc_u32 s12, s73, s72
	v_readfirstlane_b32 s79, v2
	s_mul_i32 s73, s78, s12
	s_mul_hi_u32 s80, s78, s79
	s_mul_hi_u32 s72, s78, s12
	s_add_u32 s73, s80, s73
	s_addc_u32 s72, 0, s72
	s_mul_hi_u32 s81, s13, s79
	s_mul_i32 s79, s13, s79
	s_add_u32 s73, s73, s79
	s_mul_hi_u32 s80, s13, s12
	s_addc_u32 s72, s72, s81
	s_addc_u32 s73, s80, 0
	s_mul_i32 s12, s13, s12
	s_add_u32 s12, s72, s12
	s_addc_u32 s72, 0, s73
	s_mul_hi_u32 s73, s33, s12
	s_mul_i32 s12, s33, s12
	s_mul_i32 s72, s33, s72
	v_mov_b32_e32 v2, s12
	s_add_i32 s73, s73, s72
	v_sub_co_u32_e32 v2, vcc, s78, v2
	s_cmp_lg_u64 vcc, 0
	s_subb_u32 s12, s13, s73
	v_subrev_co_u32_e32 v3, vcc, s33, v2
	s_cmp_lg_u64 vcc, 0
	s_subb_u32 s72, s12, 0
	v_subrev_co_u32_e32 v6, vcc, s33, v3
	s_cmp_lg_u64 vcc, 0
	s_subb_u32 s73, s72, 0
	v_cmp_le_u32_e32 vcc, s33, v3
	s_cmp_eq_u32 s72, 0
	v_cndmask_b32_e64 v7, 0, -1, vcc
	s_cselect_b64 vcc, -1, 0
	v_cndmask_b32_e32 v7, -1, v7, vcc
	v_mov_b32_e32 v8, s72
	v_mov_b32_e32 v9, s73
	v_cmp_ne_u32_e32 vcc, 0, v7
	v_cndmask_b32_e32 v7, v8, v9, vcc
	v_cndmask_b32_e32 v6, v3, v6, vcc
	v_cmp_le_u32_e32 vcc, s33, v2
	s_cmp_eq_u32 s12, 0
	v_cndmask_b32_e64 v3, 0, -1, vcc
	s_cselect_b64 vcc, -1, 0
	v_cndmask_b32_e32 v3, -1, v3, vcc
	v_mov_b32_e32 v8, s12
	v_cmp_ne_u32_e32 vcc, 0, v3
	v_cndmask_b32_e32 v3, v8, v7, vcc
	v_cndmask_b32_e32 v2, v2, v6, vcc
	s_mov_b64 s[72:73], 0
	s_branch .LBB144_229
.LBB144_225:                            ;   in Loop: Header=BB144_6 Depth=1
                                        ; implicit-def: $vgpr2_vgpr3
	s_branch .LBB144_179
.LBB144_226:                            ;   in Loop: Header=BB144_6 Depth=1
                                        ; implicit-def: $vgpr2_vgpr3
	s_branch .LBB144_195
.LBB144_227:                            ;   in Loop: Header=BB144_6 Depth=1
	s_mov_b64 s[4:5], -1
	s_mov_b64 s[78:79], 0
                                        ; implicit-def: $sgpr12_sgpr13
                                        ; implicit-def: $vgpr3
	s_branch .LBB144_241
.LBB144_228:                            ;   in Loop: Header=BB144_6 Depth=1
	s_mov_b64 s[72:73], -1
                                        ; implicit-def: $vgpr2_vgpr3
.LBB144_229:                            ;   in Loop: Header=BB144_6 Depth=1
	s_andn2_b64 vcc, exec, s[72:73]
	s_cbranch_vccnz .LBB144_231
; %bb.230:                              ;   in Loop: Header=BB144_6 Depth=1
	v_cvt_f32_u32_e32 v2, s33
	s_sub_i32 s12, 0, s33
	v_rcp_iflag_f32_e32 v2, v2
	v_mul_f32_e32 v2, 0x4f7ffffe, v2
	v_cvt_u32_f32_e32 v2, v2
	v_mul_lo_u32 v3, s12, v2
	v_mul_hi_u32 v3, v2, v3
	v_add_u32_e32 v2, v2, v3
	v_mul_hi_u32 v2, s78, v2
	v_mul_lo_u32 v2, v2, s33
	v_sub_u32_e32 v2, s78, v2
	v_subrev_u32_e32 v3, s33, v2
	v_cmp_le_u32_e32 vcc, s33, v2
	v_cndmask_b32_e32 v2, v2, v3, vcc
	v_subrev_u32_e32 v3, s33, v2
	v_cmp_le_u32_e32 vcc, s33, v2
	v_cndmask_b32_e32 v14, v2, v3, vcc
	v_pk_mov_b32 v[2:3], v[14:15], v[14:15] op_sel:[0,1]
.LBB144_231:                            ;   in Loop: Header=BB144_6 Depth=1
	v_mov_b32_e32 v7, s13
	v_sub_co_u32_e32 v6, vcc, s78, v2
	v_subb_co_u32_e32 v7, vcc, v7, v3, vcc
	v_cmp_gt_u64_e32 vcc, v[6:7], v[0:1]
	s_mov_b64 s[78:79], 0
                                        ; implicit-def: $vgpr3
	s_and_saveexec_b64 s[12:13], vcc
	s_cbranch_execz .LBB144_240
; %bb.232:                              ;   in Loop: Header=BB144_6 Depth=1
	s_mov_b64 s[72:73], 0
	v_mov_b32_e32 v14, v16
	v_pk_mov_b32 v[8:9], v[0:1], v[0:1] op_sel:[0,1]
                                        ; implicit-def: $sgpr78_sgpr79
	s_branch .LBB144_234
.LBB144_233:                            ;   in Loop: Header=BB144_234 Depth=2
	s_or_b64 exec, exec, s[80:81]
	s_waitcnt lgkmcnt(0)
	s_barrier
	ds_read_b64 v[2:3], v15 offset:3072
	v_add_co_u32_e32 v8, vcc, s33, v8
	v_add_u32_e32 v14, s88, v14
	s_waitcnt lgkmcnt(0)
	v_readfirstlane_b32 s80, v2
	v_mov_b32_e32 v2, s0
	s_cmp_lg_u32 s80, 0
	v_addc_co_u32_e32 v9, vcc, v9, v2, vcc
	s_cselect_b64 s[80:81], -1, 0
	v_cmp_ge_u64_e32 vcc, v[8:9], v[6:7]
	s_or_b64 s[84:85], vcc, s[80:81]
	s_and_b64 s[84:85], exec, s[84:85]
	s_or_b64 s[72:73], s[84:85], s[72:73]
	s_andn2_b64 s[78:79], s[78:79], exec
	s_and_b64 s[80:81], s[80:81], exec
	s_or_b64 s[78:79], s[78:79], s[80:81]
	s_barrier
	s_andn2_b64 exec, exec, s[72:73]
	s_cbranch_execz .LBB144_239
.LBB144_234:                            ;   Parent Loop BB144_6 Depth=1
                                        ; =>  This Inner Loop Header: Depth=2
	v_cmp_gt_u64_e32 vcc, s[4:5], v[8:9]
	s_waitcnt vmcnt(0)
	v_mov_b32_e32 v27, 0
	s_and_saveexec_b64 s[80:81], vcc
	s_cbranch_execz .LBB144_236
; %bb.235:                              ;   in Loop: Header=BB144_234 Depth=2
	ds_read_b32 v27, v14
.LBB144_236:                            ;   in Loop: Header=BB144_234 Depth=2
	s_or_b64 exec, exec, s[80:81]
	s_and_saveexec_b64 s[80:81], vcc
	s_cbranch_execz .LBB144_233
; %bb.237:                              ;   in Loop: Header=BB144_234 Depth=2
	s_waitcnt lgkmcnt(0)
	v_xor_b32_e32 v2, 0x80000000, v27
	v_and_b32_e32 v2, v2, v34
	v_cmp_eq_u32_e32 vcc, v2, v28
	s_and_b64 exec, exec, vcc
	s_cbranch_execz .LBB144_233
; %bb.238:                              ;   in Loop: Header=BB144_234 Depth=2
	ds_write_b64 v15, v[26:27] offset:3072
	s_branch .LBB144_233
.LBB144_239:                            ;   in Loop: Header=BB144_6 Depth=1
	s_or_b64 exec, exec, s[72:73]
	s_and_b64 s[78:79], s[78:79], exec
.LBB144_240:                            ;   in Loop: Header=BB144_6 Depth=1
	s_or_b64 exec, exec, s[12:13]
	s_mov_b64 s[12:13], -1
	s_mov_b64 s[4:5], 0
.LBB144_241:                            ;   in Loop: Header=BB144_6 Depth=1
	s_and_b64 vcc, exec, s[4:5]
	s_mov_b64 s[72:73], s[4:5]
	s_cbranch_vccz .LBB144_257
; %bb.242:                              ;   in Loop: Header=BB144_6 Depth=1
	v_readlane_b32 s68, v54, 33
	v_readlane_b32 s69, v54, 34
	s_mov_b32 s68, s83
	s_cmp_lg_u64 s[68:69], 0
	v_writelane_b32 v54, s68, 33
	v_writelane_b32 v54, s69, 34
	s_cbranch_scc0 .LBB144_244
; %bb.243:                              ;   in Loop: Header=BB144_6 Depth=1
	v_cvt_f32_u32_e32 v2, s33
	s_sub_u32 s4, 0, s33
	s_subb_u32 s5, 0, 0
	v_readlane_b32 s68, v54, 31
	v_mac_f32_e32 v2, 0, v42
	v_rcp_f32_e32 v2, v2
	v_mul_f32_e32 v2, 0x5f7ffffc, v2
	v_mul_f32_e32 v3, 0x2f800000, v2
	v_trunc_f32_e32 v3, v3
	v_mac_f32_e32 v2, 0xcf800000, v3
	v_cvt_u32_f32_e32 v3, v3
	v_cvt_u32_f32_e32 v2, v2
	v_readfirstlane_b32 s12, v3
	v_readfirstlane_b32 s13, v2
	s_mul_i32 s72, s4, s12
	s_mul_hi_u32 s78, s4, s13
	s_mul_i32 s73, s5, s13
	s_add_i32 s72, s78, s72
	s_mul_i32 s79, s4, s13
	s_add_i32 s72, s72, s73
	s_mul_hi_u32 s78, s13, s79
	s_mul_hi_u32 s73, s13, s72
	s_mul_i32 s13, s13, s72
	s_add_u32 s13, s78, s13
	s_addc_u32 s73, 0, s73
	s_mul_hi_u32 s80, s12, s79
	s_mul_i32 s79, s12, s79
	s_add_u32 s13, s13, s79
	s_mul_hi_u32 s78, s12, s72
	s_addc_u32 s13, s73, s80
	s_addc_u32 s73, s78, 0
	s_mul_i32 s72, s12, s72
	s_add_u32 s13, s13, s72
	s_addc_u32 s72, 0, s73
	v_add_co_u32_e32 v2, vcc, s13, v2
	s_cmp_lg_u64 vcc, 0
	s_addc_u32 s12, s12, s72
	v_readfirstlane_b32 s72, v2
	s_mul_i32 s13, s4, s12
	s_mul_hi_u32 s73, s4, s72
	s_add_i32 s13, s73, s13
	s_mul_i32 s5, s5, s72
	s_add_i32 s13, s13, s5
	s_mul_i32 s4, s4, s72
	s_mul_hi_u32 s73, s12, s4
	s_mul_i32 s78, s12, s4
	s_mul_i32 s80, s72, s13
	s_mul_hi_u32 s4, s72, s4
	s_mul_hi_u32 s79, s72, s13
	s_add_u32 s4, s4, s80
	s_addc_u32 s72, 0, s79
	s_add_u32 s4, s4, s78
	s_mul_hi_u32 s5, s12, s13
	s_addc_u32 s4, s72, s73
	s_addc_u32 s5, s5, 0
	s_mul_i32 s13, s12, s13
	s_add_u32 s4, s4, s13
	s_addc_u32 s5, 0, s5
	v_add_co_u32_e32 v2, vcc, s4, v2
	s_cmp_lg_u64 vcc, 0
	s_addc_u32 s4, s12, s5
	v_readfirstlane_b32 s13, v2
	s_mul_i32 s12, s68, s4
	s_mul_hi_u32 s72, s68, s13
	s_mul_hi_u32 s5, s68, s4
	s_add_u32 s12, s72, s12
	s_addc_u32 s5, 0, s5
	s_mul_hi_u32 s73, s69, s13
	s_mul_i32 s13, s69, s13
	s_add_u32 s12, s12, s13
	s_mul_hi_u32 s72, s69, s4
	s_addc_u32 s5, s5, s73
	s_addc_u32 s12, s72, 0
	s_mul_i32 s4, s69, s4
	s_add_u32 s4, s5, s4
	s_addc_u32 s5, 0, s12
	s_mul_hi_u32 s12, s33, s4
	s_mul_i32 s4, s33, s4
	s_mul_i32 s5, s33, s5
	v_mov_b32_e32 v2, s4
	s_add_i32 s12, s12, s5
	v_sub_co_u32_e32 v2, vcc, s68, v2
	s_cmp_lg_u64 vcc, 0
	s_subb_u32 s4, s69, s12
	v_subrev_co_u32_e32 v3, vcc, s33, v2
	s_cmp_lg_u64 vcc, 0
	s_subb_u32 s5, s4, 0
	v_subrev_co_u32_e32 v6, vcc, s33, v3
	s_cmp_lg_u64 vcc, 0
	s_subb_u32 s12, s5, 0
	v_cmp_le_u32_e32 vcc, s33, v3
	s_cmp_eq_u32 s5, 0
	v_cndmask_b32_e64 v7, 0, -1, vcc
	s_cselect_b64 vcc, -1, 0
	v_cndmask_b32_e32 v7, -1, v7, vcc
	v_mov_b32_e32 v8, s5
	v_mov_b32_e32 v9, s12
	v_cmp_ne_u32_e32 vcc, 0, v7
	v_cndmask_b32_e32 v7, v8, v9, vcc
	v_cndmask_b32_e32 v6, v3, v6, vcc
	v_cmp_le_u32_e32 vcc, s33, v2
	s_cmp_eq_u32 s4, 0
	v_cndmask_b32_e64 v3, 0, -1, vcc
	s_cselect_b64 vcc, -1, 0
	v_cndmask_b32_e32 v3, -1, v3, vcc
	v_mov_b32_e32 v8, s4
	v_cmp_ne_u32_e32 vcc, 0, v3
	v_cndmask_b32_e32 v3, v8, v7, vcc
	v_cndmask_b32_e32 v2, v2, v6, vcc
	s_mov_b64 s[4:5], 0
	s_branch .LBB144_245
.LBB144_244:                            ;   in Loop: Header=BB144_6 Depth=1
	s_mov_b64 s[4:5], -1
                                        ; implicit-def: $vgpr2_vgpr3
.LBB144_245:                            ;   in Loop: Header=BB144_6 Depth=1
	s_andn2_b64 vcc, exec, s[4:5]
	s_cbranch_vccnz .LBB144_247
; %bb.246:                              ;   in Loop: Header=BB144_6 Depth=1
	v_cvt_f32_u32_e32 v2, s33
	s_sub_i32 s4, 0, s33
	v_rcp_iflag_f32_e32 v2, v2
	v_mul_f32_e32 v2, 0x4f7ffffe, v2
	v_cvt_u32_f32_e32 v2, v2
	v_mul_lo_u32 v3, s4, v2
	v_mul_hi_u32 v3, v2, v3
	v_add_u32_e32 v2, v2, v3
	v_readlane_b32 s4, v54, 31
	v_mul_hi_u32 v2, s4, v2
	v_mul_lo_u32 v2, v2, s33
	v_sub_u32_e32 v2, s4, v2
	v_subrev_u32_e32 v3, s33, v2
	v_cmp_le_u32_e32 vcc, s33, v2
	v_cndmask_b32_e32 v2, v2, v3, vcc
	v_subrev_u32_e32 v3, s33, v2
	v_cmp_le_u32_e32 vcc, s33, v2
	v_cndmask_b32_e32 v14, v2, v3, vcc
	v_pk_mov_b32 v[2:3], v[14:15], v[14:15] op_sel:[0,1]
.LBB144_247:                            ;   in Loop: Header=BB144_6 Depth=1
	v_readlane_b32 s4, v54, 33
	v_readlane_b32 s5, v54, 34
	;; [unrolled: 1-line block ×3, first 2 shown]
	v_mov_b32_e32 v7, s5
	v_sub_co_u32_e32 v6, vcc, s4, v2
	v_subb_co_u32_e32 v7, vcc, v7, v3, vcc
	v_cmp_gt_u64_e32 vcc, v[6:7], v[0:1]
	s_mov_b64 s[78:79], 0
                                        ; implicit-def: $vgpr3
	s_and_saveexec_b64 s[4:5], vcc
	s_cbranch_execz .LBB144_256
; %bb.248:                              ;   in Loop: Header=BB144_6 Depth=1
	s_mov_b64 s[12:13], 0
	v_pk_mov_b32 v[8:9], v[12:13], v[12:13] op_sel:[0,1]
	v_pk_mov_b32 v[32:33], v[0:1], v[0:1] op_sel:[0,1]
                                        ; implicit-def: $sgpr72_sgpr73
	s_branch .LBB144_250
.LBB144_249:                            ;   in Loop: Header=BB144_250 Depth=2
	s_or_b64 exec, exec, s[78:79]
	s_waitcnt lgkmcnt(0)
	s_barrier
	ds_read_b64 v[2:3], v15 offset:3072
	v_add_co_u32_e32 v32, vcc, s33, v32
	s_waitcnt lgkmcnt(0)
	s_barrier
	v_readfirstlane_b32 s78, v2
	v_mov_b32_e32 v2, s0
	s_cmp_lg_u32 s78, 0
	v_addc_co_u32_e32 v33, vcc, v33, v2, vcc
	s_cselect_b64 s[78:79], -1, 0
	v_cmp_ge_u64_e32 vcc, v[32:33], v[6:7]
	s_or_b64 s[80:81], vcc, s[78:79]
	s_and_b64 s[80:81], exec, s[80:81]
	s_or_b64 s[12:13], s[80:81], s[12:13]
	v_mov_b32_e32 v2, s61
	v_add_co_u32_e32 v8, vcc, s60, v8
	s_andn2_b64 s[72:73], s[72:73], exec
	s_and_b64 s[78:79], s[78:79], exec
	v_addc_co_u32_e32 v9, vcc, v9, v2, vcc
	s_or_b64 s[72:73], s[72:73], s[78:79]
	s_andn2_b64 exec, exec, s[12:13]
	s_cbranch_execz .LBB144_255
.LBB144_250:                            ;   Parent Loop BB144_6 Depth=1
                                        ; =>  This Inner Loop Header: Depth=2
	v_cmp_gt_u64_e32 vcc, s[56:57], v[32:33]
	s_waitcnt vmcnt(0)
	v_mov_b32_e32 v27, 0
	s_and_saveexec_b64 s[78:79], vcc
	s_cbranch_execz .LBB144_252
; %bb.251:                              ;   in Loop: Header=BB144_250 Depth=2
	global_load_dword v27, v[8:9], off
.LBB144_252:                            ;   in Loop: Header=BB144_250 Depth=2
	s_or_b64 exec, exec, s[78:79]
	s_and_saveexec_b64 s[78:79], vcc
	s_cbranch_execz .LBB144_249
; %bb.253:                              ;   in Loop: Header=BB144_250 Depth=2
	s_waitcnt vmcnt(0)
	v_xor_b32_e32 v2, 0x80000000, v27
	v_and_b32_e32 v2, v2, v34
	v_cmp_eq_u32_e32 vcc, v2, v28
	s_and_b64 exec, exec, vcc
	s_cbranch_execz .LBB144_249
; %bb.254:                              ;   in Loop: Header=BB144_250 Depth=2
	ds_write_b64 v15, v[26:27] offset:3072
	s_branch .LBB144_249
.LBB144_255:                            ;   in Loop: Header=BB144_6 Depth=1
	s_or_b64 exec, exec, s[12:13]
	s_and_b64 s[78:79], s[72:73], exec
.LBB144_256:                            ;   in Loop: Header=BB144_6 Depth=1
	s_or_b64 exec, exec, s[4:5]
	s_mov_b64 s[72:73], -1
	s_mov_b64 s[4:5], 0
	s_mov_b64 s[12:13], 0
.LBB144_257:                            ;   in Loop: Header=BB144_6 Depth=1
	v_readlane_b32 vcc_lo, v54, 54
	s_orn2_b64 s[80:81], s[78:79], exec
	v_readlane_b32 vcc_hi, v54, 55
.LBB144_258:                            ;   in Loop: Header=BB144_6 Depth=1
	v_readlane_b32 s68, v54, 52
	v_readlane_b32 s69, v54, 53
	s_or_b64 exec, exec, s[68:69]
	s_mov_b64 s[84:85], 0
                                        ; implicit-def: $vgpr8
                                        ; implicit-def: $vgpr6_vgpr7
	s_and_saveexec_b64 s[78:79], s[80:81]
	s_cbranch_execz .LBB144_270
; %bb.259:                              ;   in Loop: Header=BB144_6 Depth=1
	v_mov_b32_e32 v6, 1
	s_xor_b64 s[84:85], vcc, -1
	v_mov_b32_e32 v8, 1
	v_mov_b32_e32 v7, 0
	s_and_saveexec_b64 s[80:81], s[84:85]
	s_cbranch_execz .LBB144_269
; %bb.260:                              ;   in Loop: Header=BB144_6 Depth=1
	s_mov_b64 s[68:69], s[94:95]
	v_cmp_ge_u64_e32 vcc, s[24:25], v[4:5]
                                        ; implicit-def: $sgpr89
	s_and_saveexec_b64 s[84:85], vcc
	s_xor_b64 s[84:85], exec, s[84:85]
	s_cbranch_execz .LBB144_266
; %bb.261:                              ;   in Loop: Header=BB144_6 Depth=1
	ds_read_b64 v[6:7], v15 offset:5120
	s_waitcnt lgkmcnt(0)
	v_cmp_ne_u64_e32 vcc, 0, v[6:7]
	s_cbranch_vccnz .LBB144_265
; %bb.262:                              ;   in Loop: Header=BB144_6 Depth=1
	s_mov_b64 vcc, exec
	v_readlane_b32 s94, v54, 8
	v_readlane_b32 s95, v54, 9
	s_and_b64 s[94:95], vcc, s[94:95]
	s_mov_b64 exec, s[94:95]
	s_cbranch_execz .LBB144_264
; %bb.263:                              ;   in Loop: Header=BB144_6 Depth=1
	v_pk_mov_b32 v[6:7], s[24:25], s[24:25] op_sel:[0,1]
	ds_write_b64 v15, v[6:7] offset:5128
.LBB144_264:                            ;   in Loop: Header=BB144_6 Depth=1
	s_or_b64 exec, exec, vcc
	s_waitcnt lgkmcnt(0)
	s_barrier
.LBB144_265:                            ;   in Loop: Header=BB144_6 Depth=1
	v_or_b32_e32 v28, s82, v28
	v_or_b32_e32 v34, s82, v34
	s_mov_b32 s89, 8
.LBB144_266:                            ;   in Loop: Header=BB144_6 Depth=1
	s_or_saveexec_b64 s[84:85], s[84:85]
	v_mov_b32_e32 v8, s89
	s_xor_b64 exec, exec, s[84:85]
; %bb.267:                              ;   in Loop: Header=BB144_6 Depth=1
	v_mov_b32_e32 v2, s25
	v_subrev_co_u32_e32 v4, vcc, s24, v4
	v_subb_co_u32_e32 v5, vcc, v5, v2, vcc
	v_mov_b32_e32 v8, 8
; %bb.268:                              ;   in Loop: Header=BB144_6 Depth=1
	s_or_b64 exec, exec, s[84:85]
	v_pk_mov_b32 v[6:7], v[4:5], v[4:5] op_sel:[0,1]
	s_mov_b64 s[94:95], s[68:69]
.LBB144_269:                            ;   in Loop: Header=BB144_6 Depth=1
	s_or_b64 exec, exec, s[80:81]
	s_mov_b64 s[84:85], exec
.LBB144_270:                            ;   in Loop: Header=BB144_6 Depth=1
	s_or_b64 exec, exec, s[78:79]
	s_orn2_b64 s[78:79], s[84:85], exec
	v_pk_mov_b32 v[4:5], v[6:7], v[6:7] op_sel:[0,1]
.LBB144_271:                            ;   in Loop: Header=BB144_6 Depth=1
	s_or_b64 exec, exec, s[54:55]
	s_andn2_b64 s[2:3], s[2:3], exec
	s_and_b64 s[4:5], s[4:5], exec
	s_or_b64 s[2:3], s[2:3], s[4:5]
	s_andn2_b64 s[4:5], s[50:51], exec
	s_and_b64 s[50:51], s[72:73], exec
	s_or_b64 s[50:51], s[4:5], s[50:51]
	;; [unrolled: 3-line block ×3, first 2 shown]
	s_and_b64 s[12:13], s[78:79], exec
	v_pk_mov_b32 v[6:7], v[4:5], v[4:5] op_sel:[0,1]
.LBB144_272:                            ;   in Loop: Header=BB144_6 Depth=1
	s_or_b64 exec, exec, s[52:53]
	s_and_b64 s[52:53], s[2:3], exec
	s_and_b64 s[50:51], s[50:51], exec
	;; [unrolled: 1-line block ×3, first 2 shown]
	s_orn2_b64 s[2:3], s[12:13], exec
.LBB144_273:                            ;   in Loop: Header=BB144_6 Depth=1
	s_or_b64 exec, exec, s[46:47]
	s_andn2_b64 s[12:13], s[26:27], exec
	s_and_b64 s[26:27], s[52:53], exec
	s_or_b64 s[26:27], s[12:13], s[26:27]
	s_andn2_b64 s[12:13], s[42:43], exec
	s_and_b64 s[42:43], s[50:51], exec
	s_or_b64 s[42:43], s[12:13], s[42:43]
	;; [unrolled: 3-line block ×3, first 2 shown]
	s_and_b64 s[46:47], s[2:3], exec
	v_pk_mov_b32 v[4:5], v[6:7], v[6:7] op_sel:[0,1]
.LBB144_274:                            ;   in Loop: Header=BB144_6 Depth=1
	s_or_b64 exec, exec, s[44:45]
	s_and_b64 s[12:13], s[26:27], exec
	s_and_b64 s[4:5], s[42:43], exec
	;; [unrolled: 1-line block ×3, first 2 shown]
	s_orn2_b64 s[28:29], s[46:47], exec
.LBB144_275:                            ;   in Loop: Header=BB144_6 Depth=1
	s_or_b64 exec, exec, s[6:7]
	s_mov_b64 s[6:7], 0
	s_mov_b64 s[26:27], 0
	s_and_saveexec_b64 s[42:43], s[28:29]
	s_xor_b64 s[28:29], exec, s[42:43]
; %bb.276:                              ;   in Loop: Header=BB144_6 Depth=1
	v_cmp_eq_u32_e32 vcc, 8, v8
	v_cmp_ne_u32_e64 s[6:7], 8, v8
	s_andn2_b64 s[12:13], s[12:13], exec
	s_andn2_b64 s[4:5], s[4:5], exec
	;; [unrolled: 1-line block ×3, first 2 shown]
	s_and_b64 s[26:27], s[6:7], exec
	s_and_b64 s[6:7], vcc, exec
; %bb.277:                              ;   in Loop: Header=BB144_6 Depth=1
	s_or_b64 exec, exec, s[28:29]
	s_andn2_b64 s[20:21], s[20:21], exec
	s_and_b64 s[12:13], s[12:13], exec
	s_or_b64 s[20:21], s[20:21], s[12:13]
	s_andn2_b64 s[12:13], s[36:37], exec
	s_and_b64 s[4:5], s[4:5], exec
	s_or_b64 s[36:37], s[12:13], s[4:5]
	;; [unrolled: 3-line block ×3, first 2 shown]
	s_and_b64 s[26:27], s[26:27], exec
	s_and_b64 s[28:29], s[6:7], exec
.LBB144_278:                            ;   in Loop: Header=BB144_6 Depth=1
	s_or_b64 exec, exec, s[40:41]
	s_and_b64 vcc, exec, s[38:39]
	s_cbranch_vccz .LBB144_94
.LBB144_279:                            ;   in Loop: Header=BB144_6 Depth=1
	s_cmp_eq_u64 s[24:25], 1
	s_cselect_b64 s[2:3], -1, 0
	s_and_b64 s[2:3], s[2:3], s[14:15]
	s_mov_b64 s[4:5], -1
                                        ; implicit-def: $sgpr14_sgpr15
                                        ; implicit-def: $sgpr38_sgpr39
                                        ; implicit-def: $sgpr20_sgpr21
	s_and_saveexec_b64 s[6:7], s[2:3]
	s_cbranch_execz .LBB144_311
; %bb.280:                              ;   in Loop: Header=BB144_6 Depth=1
	ds_read_b64 v[2:3], v15 offset:5120
	s_waitcnt lgkmcnt(0)
	s_barrier
	v_readfirstlane_b32 s4, v2
	v_readfirstlane_b32 s5, v3
	s_mov_b64 s[12:13], exec
	v_readlane_b32 s14, v54, 26
	v_readlane_b32 s15, v54, 27
	s_and_b64 s[14:15], s[12:13], s[14:15]
	s_mov_b64 exec, s[14:15]
	s_cbranch_execz .LBB144_282
; %bb.281:                              ;   in Loop: Header=BB144_6 Depth=1
	ds_write_b32 v39, v15
.LBB144_282:                            ;   in Loop: Header=BB144_6 Depth=1
	s_or_b64 exec, exec, s[12:13]
	v_or_b32_e32 v44, s82, v44
	v_or_b32_e32 v43, s82, v43
	s_cmp_eq_u64 s[4:5], 0
	s_waitcnt lgkmcnt(0)
	s_barrier
	s_cbranch_scc1 .LBB144_294
; %bb.283:                              ;   in Loop: Header=BB144_6 Depth=1
	v_readlane_b32 s12, v54, 30
	s_add_u32 s20, s12, s4
	v_readlane_b32 s12, v54, 32
	s_addc_u32 s13, s12, s5
	s_mov_b32 s12, s83
	s_cmp_lg_u64 s[12:13], 0
	s_cbranch_scc0 .LBB144_338
; %bb.284:                              ;   in Loop: Header=BB144_6 Depth=1
	v_cvt_f32_u32_e32 v2, s33
	s_sub_u32 s12, 0, s33
	s_subb_u32 s14, 0, 0
	v_mac_f32_e32 v2, 0, v42
	v_rcp_f32_e32 v2, v2
	v_mul_f32_e32 v2, 0x5f7ffffc, v2
	v_mul_f32_e32 v3, 0x2f800000, v2
	v_trunc_f32_e32 v3, v3
	v_mac_f32_e32 v2, 0xcf800000, v3
	v_cvt_u32_f32_e32 v3, v3
	v_cvt_u32_f32_e32 v2, v2
	v_readfirstlane_b32 s15, v3
	v_readfirstlane_b32 s21, v2
	s_mul_i32 s34, s12, s15
	s_mul_hi_u32 s36, s12, s21
	s_mul_i32 s35, s14, s21
	s_add_i32 s34, s36, s34
	s_mul_i32 s37, s12, s21
	s_add_i32 s34, s34, s35
	s_mul_hi_u32 s36, s21, s37
	s_mul_hi_u32 s35, s21, s34
	s_mul_i32 s21, s21, s34
	s_add_u32 s21, s36, s21
	s_addc_u32 s35, 0, s35
	s_mul_hi_u32 s38, s15, s37
	s_mul_i32 s37, s15, s37
	s_add_u32 s21, s21, s37
	s_mul_hi_u32 s36, s15, s34
	s_addc_u32 s21, s35, s38
	s_addc_u32 s35, s36, 0
	s_mul_i32 s34, s15, s34
	s_add_u32 s21, s21, s34
	s_addc_u32 s34, 0, s35
	v_add_co_u32_e32 v2, vcc, s21, v2
	s_cmp_lg_u64 vcc, 0
	s_addc_u32 s15, s15, s34
	v_readfirstlane_b32 s34, v2
	s_mul_i32 s21, s12, s15
	s_mul_hi_u32 s35, s12, s34
	s_add_i32 s21, s35, s21
	s_mul_i32 s14, s14, s34
	s_add_i32 s21, s21, s14
	s_mul_i32 s12, s12, s34
	s_mul_hi_u32 s35, s15, s12
	s_mul_i32 s36, s15, s12
	s_mul_i32 s38, s34, s21
	s_mul_hi_u32 s12, s34, s12
	s_mul_hi_u32 s37, s34, s21
	s_add_u32 s12, s12, s38
	s_addc_u32 s34, 0, s37
	s_add_u32 s12, s12, s36
	s_mul_hi_u32 s14, s15, s21
	s_addc_u32 s12, s34, s35
	s_addc_u32 s14, s14, 0
	s_mul_i32 s21, s15, s21
	s_add_u32 s12, s12, s21
	s_addc_u32 s14, 0, s14
	v_add_co_u32_e32 v2, vcc, s12, v2
	s_cmp_lg_u64 vcc, 0
	s_addc_u32 s12, s15, s14
	v_readfirstlane_b32 s21, v2
	s_mul_i32 s15, s20, s12
	s_mul_hi_u32 s34, s20, s21
	s_mul_hi_u32 s14, s20, s12
	s_add_u32 s15, s34, s15
	s_addc_u32 s14, 0, s14
	s_mul_hi_u32 s35, s13, s21
	s_mul_i32 s21, s13, s21
	s_add_u32 s15, s15, s21
	s_mul_hi_u32 s34, s13, s12
	s_addc_u32 s14, s14, s35
	s_addc_u32 s15, s34, 0
	s_mul_i32 s12, s13, s12
	s_add_u32 s12, s14, s12
	s_addc_u32 s14, 0, s15
	s_mul_hi_u32 s15, s33, s12
	s_mul_i32 s12, s33, s12
	s_mul_i32 s14, s33, s14
	v_mov_b32_e32 v2, s12
	s_add_i32 s15, s15, s14
	v_sub_co_u32_e32 v2, vcc, s20, v2
	s_cmp_lg_u64 vcc, 0
	s_subb_u32 s12, s13, s15
	v_subrev_co_u32_e32 v3, vcc, s33, v2
	s_cmp_lg_u64 vcc, 0
	s_subb_u32 s14, s12, 0
	v_subrev_co_u32_e32 v4, vcc, s33, v3
	s_cmp_lg_u64 vcc, 0
	s_subb_u32 s15, s14, 0
	v_cmp_le_u32_e32 vcc, s33, v3
	s_cmp_eq_u32 s14, 0
	v_cndmask_b32_e64 v5, 0, -1, vcc
	s_cselect_b64 vcc, -1, 0
	v_cndmask_b32_e32 v5, -1, v5, vcc
	v_mov_b32_e32 v6, s14
	v_mov_b32_e32 v7, s15
	v_cmp_ne_u32_e32 vcc, 0, v5
	v_cndmask_b32_e32 v5, v6, v7, vcc
	v_cndmask_b32_e32 v4, v3, v4, vcc
	v_cmp_le_u32_e32 vcc, s33, v2
	s_cmp_eq_u32 s12, 0
	v_cndmask_b32_e64 v3, 0, -1, vcc
	s_cselect_b64 vcc, -1, 0
	v_cndmask_b32_e32 v3, -1, v3, vcc
	v_mov_b32_e32 v6, s12
	v_cmp_ne_u32_e32 vcc, 0, v3
	v_cndmask_b32_e32 v3, v6, v5, vcc
	v_cndmask_b32_e32 v2, v2, v4, vcc
	s_cbranch_execnz .LBB144_286
.LBB144_285:                            ;   in Loop: Header=BB144_6 Depth=1
	v_cvt_f32_u32_e32 v2, s33
	s_sub_i32 s12, 0, s33
	v_rcp_iflag_f32_e32 v2, v2
	v_mul_f32_e32 v2, 0x4f7ffffe, v2
	v_cvt_u32_f32_e32 v2, v2
	v_mul_lo_u32 v3, s12, v2
	v_mul_hi_u32 v3, v2, v3
	v_add_u32_e32 v2, v2, v3
	v_mul_hi_u32 v2, s20, v2
	v_mul_lo_u32 v2, v2, s33
	v_sub_u32_e32 v2, s20, v2
	v_subrev_u32_e32 v3, s33, v2
	v_cmp_le_u32_e32 vcc, s33, v2
	v_cndmask_b32_e32 v2, v2, v3, vcc
	v_subrev_u32_e32 v3, s33, v2
	v_cmp_le_u32_e32 vcc, s33, v2
	v_cndmask_b32_e32 v14, v2, v3, vcc
	v_pk_mov_b32 v[2:3], v[14:15], v[14:15] op_sel:[0,1]
.LBB144_286:                            ;   in Loop: Header=BB144_6 Depth=1
	v_mov_b32_e32 v4, s13
	v_sub_co_u32_e32 v2, vcc, s20, v2
	v_subb_co_u32_e32 v3, vcc, v4, v3, vcc
	v_cmp_gt_u64_e32 vcc, v[2:3], v[0:1]
	s_mov_b64 s[12:13], 0
                                        ; implicit-def: $vgpr29
	s_and_saveexec_b64 s[14:15], vcc
	s_cbranch_execz .LBB144_296
; %bb.287:                              ;   in Loop: Header=BB144_6 Depth=1
	v_mov_b32_e32 v6, v16
	v_pk_mov_b32 v[4:5], v[0:1], v[0:1] op_sel:[0,1]
                                        ; implicit-def: $sgpr20_sgpr21
	s_branch .LBB144_289
.LBB144_288:                            ;   in Loop: Header=BB144_289 Depth=2
	s_or_b64 exec, exec, s[34:35]
	s_waitcnt lgkmcnt(0)
	s_barrier
	ds_read_b64 v[28:29], v15 offset:3072
	v_mov_b32_e32 v7, s0
	v_add_co_u32_e32 v4, vcc, s33, v4
	v_addc_co_u32_e32 v5, vcc, v5, v7, vcc
	s_waitcnt lgkmcnt(0)
	v_readfirstlane_b32 s34, v28
	s_cmp_lg_u32 s34, 0
	s_cselect_b64 s[34:35], -1, 0
	v_cmp_ge_u64_e32 vcc, v[4:5], v[2:3]
	s_or_b64 s[36:37], vcc, s[34:35]
	s_and_b64 s[36:37], exec, s[36:37]
	s_or_b64 s[12:13], s[36:37], s[12:13]
	s_andn2_b64 s[20:21], s[20:21], exec
	s_and_b64 s[34:35], s[34:35], exec
	v_add_u32_e32 v6, s88, v6
	s_or_b64 s[20:21], s[20:21], s[34:35]
	s_barrier
	s_andn2_b64 exec, exec, s[12:13]
	s_cbranch_execz .LBB144_295
.LBB144_289:                            ;   Parent Loop BB144_6 Depth=1
                                        ; =>  This Inner Loop Header: Depth=2
	v_cmp_gt_u64_e32 vcc, s[4:5], v[4:5]
	s_waitcnt vmcnt(0)
	v_mov_b32_e32 v27, 0
	s_and_saveexec_b64 s[34:35], vcc
	s_cbranch_execz .LBB144_291
; %bb.290:                              ;   in Loop: Header=BB144_289 Depth=2
	ds_read_b32 v27, v6
.LBB144_291:                            ;   in Loop: Header=BB144_289 Depth=2
	s_or_b64 exec, exec, s[34:35]
	s_and_saveexec_b64 s[34:35], vcc
	s_cbranch_execz .LBB144_288
; %bb.292:                              ;   in Loop: Header=BB144_289 Depth=2
	s_waitcnt lgkmcnt(0)
	v_xor_b32_e32 v7, 0x80000000, v27
	v_and_b32_e32 v7, v7, v43
	v_cmp_eq_u32_e32 vcc, v7, v44
	s_and_b64 exec, exec, vcc
	s_cbranch_execz .LBB144_288
; %bb.293:                              ;   in Loop: Header=BB144_289 Depth=2
	ds_write_b64 v15, v[26:27] offset:3072
	s_branch .LBB144_288
.LBB144_294:                            ;   in Loop: Header=BB144_6 Depth=1
	s_mov_b64 s[14:15], -1
	s_mov_b64 s[12:13], 0
                                        ; implicit-def: $sgpr38_sgpr39
                                        ; implicit-def: $vgpr29
	s_mov_b64 s[20:21], s[14:15]
	s_cbranch_execnz .LBB144_297
	s_branch .LBB144_310
.LBB144_295:                            ;   in Loop: Header=BB144_6 Depth=1
	s_or_b64 exec, exec, s[12:13]
	s_and_b64 s[12:13], s[20:21], exec
.LBB144_296:                            ;   in Loop: Header=BB144_6 Depth=1
	s_or_b64 exec, exec, s[14:15]
	s_mov_b64 s[14:15], 0
	s_mov_b64 s[38:39], -1
	s_mov_b64 s[20:21], s[14:15]
	s_branch .LBB144_310
.LBB144_297:                            ;   in Loop: Header=BB144_6 Depth=1
	v_readlane_b32 s12, v54, 33
	v_readlane_b32 s13, v54, 34
	s_mov_b32 s12, s83
	s_mov_b32 s5, s13
	s_cmp_lg_u64 s[12:13], 0
	v_writelane_b32 v54, s4, 33
	v_writelane_b32 v54, s5, 34
	s_cbranch_scc0 .LBB144_339
; %bb.298:                              ;   in Loop: Header=BB144_6 Depth=1
	v_cvt_f32_u32_e32 v2, s33
	s_sub_u32 s4, 0, s33
	s_subb_u32 s5, 0, 0
	v_mac_f32_e32 v2, 0, v42
	v_rcp_f32_e32 v2, v2
	v_mul_f32_e32 v2, 0x5f7ffffc, v2
	v_mul_f32_e32 v3, 0x2f800000, v2
	v_trunc_f32_e32 v3, v3
	v_mac_f32_e32 v2, 0xcf800000, v3
	v_cvt_u32_f32_e32 v3, v3
	v_cvt_u32_f32_e32 v2, v2
	v_readfirstlane_b32 s12, v3
	v_readfirstlane_b32 s13, v2
	s_mul_i32 s14, s4, s12
	s_mul_hi_u32 s20, s4, s13
	s_mul_i32 s15, s5, s13
	s_add_i32 s14, s20, s14
	s_mul_i32 s21, s4, s13
	s_add_i32 s14, s14, s15
	s_mul_hi_u32 s20, s13, s21
	s_mul_hi_u32 s15, s13, s14
	s_mul_i32 s13, s13, s14
	s_add_u32 s13, s20, s13
	s_addc_u32 s15, 0, s15
	s_mul_hi_u32 s34, s12, s21
	s_mul_i32 s21, s12, s21
	s_add_u32 s13, s13, s21
	s_mul_hi_u32 s20, s12, s14
	s_addc_u32 s13, s15, s34
	s_addc_u32 s15, s20, 0
	s_mul_i32 s14, s12, s14
	s_add_u32 s13, s13, s14
	s_addc_u32 s14, 0, s15
	v_add_co_u32_e32 v2, vcc, s13, v2
	s_cmp_lg_u64 vcc, 0
	s_addc_u32 s12, s12, s14
	v_readfirstlane_b32 s14, v2
	s_mul_i32 s13, s4, s12
	s_mul_hi_u32 s15, s4, s14
	s_add_i32 s13, s15, s13
	s_mul_i32 s5, s5, s14
	s_add_i32 s13, s13, s5
	s_mul_i32 s4, s4, s14
	s_mul_hi_u32 s15, s12, s4
	s_mul_i32 s20, s12, s4
	s_mul_i32 s34, s14, s13
	s_mul_hi_u32 s4, s14, s4
	s_mul_hi_u32 s21, s14, s13
	s_add_u32 s4, s4, s34
	s_addc_u32 s14, 0, s21
	s_add_u32 s4, s4, s20
	s_mul_hi_u32 s5, s12, s13
	s_addc_u32 s4, s14, s15
	s_addc_u32 s5, s5, 0
	s_mul_i32 s13, s12, s13
	s_add_u32 s4, s4, s13
	s_addc_u32 s5, 0, s5
	v_add_co_u32_e32 v2, vcc, s4, v2
	s_cmp_lg_u64 vcc, 0
	s_addc_u32 s4, s12, s5
	v_readlane_b32 s20, v54, 31
	v_readfirstlane_b32 s13, v2
	s_mul_i32 s12, s20, s4
	s_mul_hi_u32 s14, s20, s13
	s_add_u32 s12, s14, s12
	v_readlane_b32 s14, v54, 33
	v_readlane_b32 s34, v54, 33
	;; [unrolled: 1-line block ×4, first 2 shown]
	s_mul_hi_u32 s14, s15, s4
	s_mul_hi_u32 s15, s35, s13
	v_readlane_b32 s34, v54, 33
	s_mul_hi_u32 s5, s20, s4
	v_readlane_b32 s35, v54, 34
	s_addc_u32 s5, 0, s5
	s_mul_i32 s13, s35, s13
	s_add_u32 s12, s12, s13
	s_addc_u32 s5, s5, s15
	s_addc_u32 s12, s14, 0
	v_readlane_b32 s14, v54, 33
	v_readlane_b32 s15, v54, 34
	s_mul_i32 s4, s15, s4
	s_add_u32 s4, s5, s4
	s_addc_u32 s5, 0, s12
	s_mul_hi_u32 s12, s33, s4
	s_mul_i32 s4, s33, s4
	s_mul_i32 s5, s33, s5
	v_mov_b32_e32 v2, s4
	s_add_i32 s12, s12, s5
	v_sub_co_u32_e32 v2, vcc, s20, v2
	s_cmp_lg_u64 vcc, 0
	s_subb_u32 s4, s15, s12
	v_subrev_co_u32_e32 v3, vcc, s33, v2
	s_cmp_lg_u64 vcc, 0
	s_subb_u32 s5, s4, 0
	v_subrev_co_u32_e32 v4, vcc, s33, v3
	s_cmp_lg_u64 vcc, 0
	s_subb_u32 s12, s5, 0
	v_cmp_le_u32_e32 vcc, s33, v3
	s_cmp_eq_u32 s5, 0
	v_cndmask_b32_e64 v5, 0, -1, vcc
	s_cselect_b64 vcc, -1, 0
	v_cndmask_b32_e32 v5, -1, v5, vcc
	v_mov_b32_e32 v6, s5
	v_mov_b32_e32 v7, s12
	v_cmp_ne_u32_e32 vcc, 0, v5
	v_cndmask_b32_e32 v5, v6, v7, vcc
	v_cndmask_b32_e32 v4, v3, v4, vcc
	v_cmp_le_u32_e32 vcc, s33, v2
	s_cmp_eq_u32 s4, 0
	v_cndmask_b32_e64 v3, 0, -1, vcc
	s_cselect_b64 vcc, -1, 0
	v_cndmask_b32_e32 v3, -1, v3, vcc
	v_mov_b32_e32 v6, s4
	v_cmp_ne_u32_e32 vcc, 0, v3
	s_mov_b32 s13, s15
	v_cndmask_b32_e32 v3, v6, v5, vcc
	v_cndmask_b32_e32 v2, v2, v4, vcc
	s_cbranch_execnz .LBB144_300
.LBB144_299:                            ;   in Loop: Header=BB144_6 Depth=1
	v_cvt_f32_u32_e32 v2, s33
	s_sub_i32 s4, 0, s33
	v_rcp_iflag_f32_e32 v2, v2
	v_mul_f32_e32 v2, 0x4f7ffffe, v2
	v_cvt_u32_f32_e32 v2, v2
	v_mul_lo_u32 v3, s4, v2
	v_mul_hi_u32 v3, v2, v3
	v_add_u32_e32 v2, v2, v3
	v_readlane_b32 s4, v54, 31
	v_mul_hi_u32 v2, s4, v2
	v_mul_lo_u32 v2, v2, s33
	v_sub_u32_e32 v2, s4, v2
	v_subrev_u32_e32 v3, s33, v2
	v_cmp_le_u32_e32 vcc, s33, v2
	v_cndmask_b32_e32 v2, v2, v3, vcc
	v_subrev_u32_e32 v3, s33, v2
	v_cmp_le_u32_e32 vcc, s33, v2
	v_cndmask_b32_e32 v14, v2, v3, vcc
	v_pk_mov_b32 v[2:3], v[14:15], v[14:15] op_sel:[0,1]
.LBB144_300:                            ;   in Loop: Header=BB144_6 Depth=1
	v_readlane_b32 s4, v54, 31
	v_mov_b32_e32 v4, s13
	v_sub_co_u32_e32 v2, vcc, s4, v2
	v_subb_co_u32_e32 v3, vcc, v4, v3, vcc
	v_cmp_gt_u64_e32 vcc, v[2:3], v[0:1]
	s_mov_b64 s[12:13], 0
                                        ; implicit-def: $vgpr29
	s_and_saveexec_b64 s[4:5], vcc
	s_cbranch_execz .LBB144_309
; %bb.301:                              ;   in Loop: Header=BB144_6 Depth=1
	v_pk_mov_b32 v[4:5], v[12:13], v[12:13] op_sel:[0,1]
	v_pk_mov_b32 v[6:7], v[0:1], v[0:1] op_sel:[0,1]
                                        ; implicit-def: $sgpr14_sgpr15
	s_branch .LBB144_303
.LBB144_302:                            ;   in Loop: Header=BB144_303 Depth=2
	s_or_b64 exec, exec, s[20:21]
	s_waitcnt lgkmcnt(0)
	s_barrier
	ds_read_b64 v[28:29], v15 offset:3072
	v_mov_b32_e32 v8, s0
	v_add_co_u32_e32 v6, vcc, s33, v6
	v_addc_co_u32_e32 v7, vcc, v7, v8, vcc
	s_waitcnt lgkmcnt(0)
	v_readfirstlane_b32 s20, v28
	s_cmp_lg_u32 s20, 0
	s_cselect_b64 s[20:21], -1, 0
	v_cmp_ge_u64_e32 vcc, v[6:7], v[2:3]
	s_or_b64 s[34:35], vcc, s[20:21]
	s_and_b64 s[34:35], exec, s[34:35]
	s_or_b64 s[12:13], s[34:35], s[12:13]
	v_mov_b32_e32 v8, s61
	v_add_co_u32_e32 v4, vcc, s60, v4
	s_andn2_b64 s[14:15], s[14:15], exec
	s_and_b64 s[20:21], s[20:21], exec
	v_addc_co_u32_e32 v5, vcc, v5, v8, vcc
	s_or_b64 s[14:15], s[14:15], s[20:21]
	s_barrier
	s_andn2_b64 exec, exec, s[12:13]
	s_cbranch_execz .LBB144_308
.LBB144_303:                            ;   Parent Loop BB144_6 Depth=1
                                        ; =>  This Inner Loop Header: Depth=2
	v_cmp_gt_u64_e32 vcc, s[56:57], v[6:7]
	s_waitcnt vmcnt(0)
	v_mov_b32_e32 v27, 0
	s_and_saveexec_b64 s[20:21], vcc
	s_cbranch_execz .LBB144_305
; %bb.304:                              ;   in Loop: Header=BB144_303 Depth=2
	global_load_dword v27, v[4:5], off
.LBB144_305:                            ;   in Loop: Header=BB144_303 Depth=2
	s_or_b64 exec, exec, s[20:21]
	s_and_saveexec_b64 s[20:21], vcc
	s_cbranch_execz .LBB144_302
; %bb.306:                              ;   in Loop: Header=BB144_303 Depth=2
	s_waitcnt vmcnt(0)
	v_xor_b32_e32 v8, 0x80000000, v27
	v_and_b32_e32 v8, v8, v43
	v_cmp_eq_u32_e32 vcc, v8, v44
	s_and_b64 exec, exec, vcc
	s_cbranch_execz .LBB144_302
; %bb.307:                              ;   in Loop: Header=BB144_303 Depth=2
	ds_write_b64 v15, v[26:27] offset:3072
	s_branch .LBB144_302
.LBB144_308:                            ;   in Loop: Header=BB144_6 Depth=1
	s_or_b64 exec, exec, s[12:13]
	s_and_b64 s[12:13], s[14:15], exec
.LBB144_309:                            ;   in Loop: Header=BB144_6 Depth=1
	s_or_b64 exec, exec, s[4:5]
	s_mov_b64 s[38:39], 0
	s_mov_b64 s[14:15], -1
	s_mov_b64 s[20:21], 0
.LBB144_310:                            ;   in Loop: Header=BB144_6 Depth=1
	s_orn2_b64 s[4:5], s[12:13], exec
.LBB144_311:                            ;   in Loop: Header=BB144_6 Depth=1
	s_or_b64 exec, exec, s[6:7]
                                        ; implicit-def: $vgpr8
                                        ; implicit-def: $vgpr4_vgpr5
                                        ; implicit-def: $vgpr28
                                        ; implicit-def: $vgpr34
                                        ; implicit-def: $vgpr3
	s_and_saveexec_b64 s[34:35], s[4:5]
	s_cbranch_execz .LBB144_474
; %bb.312:                              ;   in Loop: Header=BB144_6 Depth=1
	v_mov_b32_e32 v4, 1
	s_xor_b64 s[4:5], s[2:3], -1
	s_mov_b64 s[6:7], 0
	v_mov_b32_e32 v5, 0
	v_mov_b32_e32 v8, 1
	s_and_saveexec_b64 s[2:3], s[4:5]
	s_cbranch_execz .LBB144_322
; %bb.313:                              ;   in Loop: Header=BB144_6 Depth=1
	v_cmp_ge_u64_e32 vcc, s[24:25], v[30:31]
                                        ; implicit-def: $sgpr12
                                        ; implicit-def: $sgpr4_sgpr5
	s_and_saveexec_b64 s[6:7], vcc
	s_xor_b64 s[6:7], exec, s[6:7]
	s_cbranch_execz .LBB144_319
; %bb.314:                              ;   in Loop: Header=BB144_6 Depth=1
	ds_read_b64 v[2:3], v15 offset:5120
	s_waitcnt lgkmcnt(0)
	v_cmp_ne_u64_e32 vcc, 0, v[2:3]
	s_cbranch_vccnz .LBB144_318
; %bb.315:                              ;   in Loop: Header=BB144_6 Depth=1
	s_mov_b64 s[4:5], exec
	v_readlane_b32 s12, v54, 8
	v_readlane_b32 s13, v54, 9
	s_and_b64 s[12:13], s[4:5], s[12:13]
	s_mov_b64 exec, s[12:13]
	s_cbranch_execz .LBB144_317
; %bb.316:                              ;   in Loop: Header=BB144_6 Depth=1
	v_pk_mov_b32 v[2:3], s[24:25], s[24:25] op_sel:[0,1]
	ds_write_b64 v15, v[2:3] offset:5128
.LBB144_317:                            ;   in Loop: Header=BB144_6 Depth=1
	s_or_b64 exec, exec, s[4:5]
	s_waitcnt lgkmcnt(0)
	s_barrier
.LBB144_318:                            ;   in Loop: Header=BB144_6 Depth=1
	v_or_b32_e32 v44, s82, v44
	v_or_b32_e32 v43, s82, v43
	s_mov_b64 s[4:5], 0
	s_mov_b32 s12, 5
.LBB144_319:                            ;   in Loop: Header=BB144_6 Depth=1
	s_or_saveexec_b64 s[6:7], s[6:7]
	v_mov_b32_e32 v8, s12
	s_xor_b64 exec, exec, s[6:7]
; %bb.320:                              ;   in Loop: Header=BB144_6 Depth=1
	v_mov_b32_e32 v2, s25
	v_subrev_co_u32_e32 v30, vcc, s24, v30
	v_subb_co_u32_e32 v31, vcc, v31, v2, vcc
	v_mov_b32_e32 v8, 0
	s_or_b64 s[4:5], s[4:5], exec
; %bb.321:                              ;   in Loop: Header=BB144_6 Depth=1
	s_or_b64 exec, exec, s[6:7]
	s_and_b64 s[6:7], s[4:5], exec
	v_pk_mov_b32 v[4:5], v[30:31], v[30:31] op_sel:[0,1]
.LBB144_322:                            ;   in Loop: Header=BB144_6 Depth=1
	s_or_b64 exec, exec, s[2:3]
	s_mov_b64 s[24:25], -1
                                        ; implicit-def: $sgpr2_sgpr3
                                        ; implicit-def: $sgpr4_sgpr5
                                        ; implicit-def: $sgpr12_sgpr13
	s_and_saveexec_b64 s[36:37], s[6:7]
	s_xor_b64 s[6:7], exec, s[36:37]
	s_cbranch_execz .LBB144_471
; %bb.323:                              ;   in Loop: Header=BB144_6 Depth=1
	s_cmp_eq_u64 s[22:23], 1
	s_cselect_b64 s[2:3], -1, 0
	v_cmp_eq_u64_e32 vcc, 1, v[4:5]
	s_and_b64 s[2:3], s[2:3], vcc
	s_mov_b64 s[4:5], -1
                                        ; implicit-def: $sgpr24_sgpr25
                                        ; implicit-def: $sgpr36_sgpr37
                                        ; implicit-def: $sgpr40_sgpr41
	s_and_saveexec_b64 s[42:43], s[2:3]
	s_cbranch_execz .LBB144_357
; %bb.324:                              ;   in Loop: Header=BB144_6 Depth=1
	ds_read_b64 v[2:3], v15 offset:5120
	s_waitcnt lgkmcnt(0)
	s_barrier
	v_readfirstlane_b32 s4, v2
	v_readfirstlane_b32 s5, v3
	s_mov_b64 s[12:13], exec
	v_readlane_b32 s24, v54, 26
	v_readlane_b32 s25, v54, 27
	s_and_b64 s[24:25], s[12:13], s[24:25]
	s_mov_b64 exec, s[24:25]
	s_cbranch_execz .LBB144_326
; %bb.325:                              ;   in Loop: Header=BB144_6 Depth=1
	ds_write_b32 v39, v15
.LBB144_326:                            ;   in Loop: Header=BB144_6 Depth=1
	s_or_b64 exec, exec, s[12:13]
	v_and_b32_e32 v2, s90, v44
	v_lshl_or_b32 v44, 2, s91, v2
	v_or_b32_e32 v43, s82, v43
	s_cmp_eq_u64 s[4:5], 0
	s_waitcnt lgkmcnt(0)
	s_barrier
	s_cbranch_scc1 .LBB144_340
; %bb.327:                              ;   in Loop: Header=BB144_6 Depth=1
	v_readlane_b32 s12, v54, 30
	s_add_u32 s36, s12, s4
	v_readlane_b32 s12, v54, 32
	s_addc_u32 s13, s12, s5
	s_mov_b32 s12, s83
	s_cmp_lg_u64 s[12:13], 0
	s_cbranch_scc0 .LBB144_384
; %bb.328:                              ;   in Loop: Header=BB144_6 Depth=1
	v_cvt_f32_u32_e32 v2, s33
	s_sub_u32 s12, 0, s33
	s_subb_u32 s24, 0, 0
	v_mac_f32_e32 v2, 0, v42
	v_rcp_f32_e32 v2, v2
	v_mul_f32_e32 v2, 0x5f7ffffc, v2
	v_mul_f32_e32 v3, 0x2f800000, v2
	v_trunc_f32_e32 v3, v3
	v_mac_f32_e32 v2, 0xcf800000, v3
	v_cvt_u32_f32_e32 v3, v3
	v_cvt_u32_f32_e32 v2, v2
	v_readfirstlane_b32 s25, v3
	v_readfirstlane_b32 s37, v2
	s_mul_i32 s40, s12, s25
	s_mul_hi_u32 s44, s12, s37
	s_mul_i32 s41, s24, s37
	s_add_i32 s40, s44, s40
	s_mul_i32 s45, s12, s37
	s_add_i32 s40, s40, s41
	s_mul_hi_u32 s44, s37, s45
	s_mul_hi_u32 s41, s37, s40
	s_mul_i32 s37, s37, s40
	s_add_u32 s37, s44, s37
	s_addc_u32 s41, 0, s41
	s_mul_hi_u32 s46, s25, s45
	s_mul_i32 s45, s25, s45
	s_add_u32 s37, s37, s45
	s_mul_hi_u32 s44, s25, s40
	s_addc_u32 s37, s41, s46
	s_addc_u32 s41, s44, 0
	s_mul_i32 s40, s25, s40
	s_add_u32 s37, s37, s40
	s_addc_u32 s40, 0, s41
	v_add_co_u32_e32 v2, vcc, s37, v2
	s_cmp_lg_u64 vcc, 0
	s_addc_u32 s25, s25, s40
	v_readfirstlane_b32 s40, v2
	s_mul_i32 s37, s12, s25
	s_mul_hi_u32 s41, s12, s40
	s_add_i32 s37, s41, s37
	s_mul_i32 s24, s24, s40
	s_add_i32 s37, s37, s24
	s_mul_i32 s12, s12, s40
	s_mul_hi_u32 s41, s25, s12
	s_mul_i32 s44, s25, s12
	s_mul_i32 s46, s40, s37
	s_mul_hi_u32 s12, s40, s12
	s_mul_hi_u32 s45, s40, s37
	s_add_u32 s12, s12, s46
	s_addc_u32 s40, 0, s45
	s_add_u32 s12, s12, s44
	s_mul_hi_u32 s24, s25, s37
	s_addc_u32 s12, s40, s41
	s_addc_u32 s24, s24, 0
	s_mul_i32 s37, s25, s37
	s_add_u32 s12, s12, s37
	s_addc_u32 s24, 0, s24
	v_add_co_u32_e32 v2, vcc, s12, v2
	s_cmp_lg_u64 vcc, 0
	s_addc_u32 s12, s25, s24
	v_readfirstlane_b32 s37, v2
	s_mul_i32 s25, s36, s12
	s_mul_hi_u32 s40, s36, s37
	s_mul_hi_u32 s24, s36, s12
	s_add_u32 s25, s40, s25
	s_addc_u32 s24, 0, s24
	s_mul_hi_u32 s41, s13, s37
	s_mul_i32 s37, s13, s37
	s_add_u32 s25, s25, s37
	s_mul_hi_u32 s40, s13, s12
	s_addc_u32 s24, s24, s41
	s_addc_u32 s25, s40, 0
	s_mul_i32 s12, s13, s12
	s_add_u32 s12, s24, s12
	s_addc_u32 s24, 0, s25
	s_mul_hi_u32 s25, s33, s12
	s_mul_i32 s12, s33, s12
	s_mul_i32 s24, s33, s24
	v_mov_b32_e32 v2, s12
	s_add_i32 s25, s25, s24
	v_sub_co_u32_e32 v2, vcc, s36, v2
	s_cmp_lg_u64 vcc, 0
	s_subb_u32 s12, s13, s25
	v_subrev_co_u32_e32 v3, vcc, s33, v2
	s_cmp_lg_u64 vcc, 0
	s_subb_u32 s24, s12, 0
	v_subrev_co_u32_e32 v6, vcc, s33, v3
	s_cmp_lg_u64 vcc, 0
	s_subb_u32 s25, s24, 0
	v_cmp_le_u32_e32 vcc, s33, v3
	s_cmp_eq_u32 s24, 0
	v_cndmask_b32_e64 v7, 0, -1, vcc
	s_cselect_b64 vcc, -1, 0
	v_cndmask_b32_e32 v7, -1, v7, vcc
	v_mov_b32_e32 v8, s24
	v_mov_b32_e32 v9, s25
	v_cmp_ne_u32_e32 vcc, 0, v7
	v_cndmask_b32_e32 v7, v8, v9, vcc
	v_cndmask_b32_e32 v6, v3, v6, vcc
	v_cmp_le_u32_e32 vcc, s33, v2
	s_cmp_eq_u32 s12, 0
	v_cndmask_b32_e64 v3, 0, -1, vcc
	s_cselect_b64 vcc, -1, 0
	v_cndmask_b32_e32 v3, -1, v3, vcc
	v_mov_b32_e32 v8, s12
	v_cmp_ne_u32_e32 vcc, 0, v3
	v_cndmask_b32_e32 v3, v8, v7, vcc
	v_cndmask_b32_e32 v2, v2, v6, vcc
	s_cbranch_execnz .LBB144_330
.LBB144_329:                            ;   in Loop: Header=BB144_6 Depth=1
	v_cvt_f32_u32_e32 v2, s33
	s_sub_i32 s12, 0, s33
	v_rcp_iflag_f32_e32 v2, v2
	v_mul_f32_e32 v2, 0x4f7ffffe, v2
	v_cvt_u32_f32_e32 v2, v2
	v_mul_lo_u32 v3, s12, v2
	v_mul_hi_u32 v3, v2, v3
	v_add_u32_e32 v2, v2, v3
	v_mul_hi_u32 v2, s36, v2
	v_mul_lo_u32 v2, v2, s33
	v_sub_u32_e32 v2, s36, v2
	v_subrev_u32_e32 v3, s33, v2
	v_cmp_le_u32_e32 vcc, s33, v2
	v_cndmask_b32_e32 v2, v2, v3, vcc
	v_subrev_u32_e32 v3, s33, v2
	v_cmp_le_u32_e32 vcc, s33, v2
	v_cndmask_b32_e32 v14, v2, v3, vcc
	v_pk_mov_b32 v[2:3], v[14:15], v[14:15] op_sel:[0,1]
.LBB144_330:                            ;   in Loop: Header=BB144_6 Depth=1
	v_mov_b32_e32 v6, s13
	v_sub_co_u32_e32 v2, vcc, s36, v2
	v_subb_co_u32_e32 v3, vcc, v6, v3, vcc
	v_cmp_gt_u64_e32 vcc, v[2:3], v[0:1]
	s_mov_b64 s[12:13], 0
                                        ; implicit-def: $vgpr29
	s_and_saveexec_b64 s[24:25], vcc
	s_cbranch_execz .LBB144_342
; %bb.331:                              ;   in Loop: Header=BB144_6 Depth=1
	v_mov_b32_e32 v8, v16
	v_pk_mov_b32 v[6:7], v[0:1], v[0:1] op_sel:[0,1]
                                        ; implicit-def: $sgpr36_sgpr37
	s_branch .LBB144_333
.LBB144_332:                            ;   in Loop: Header=BB144_333 Depth=2
	s_or_b64 exec, exec, s[40:41]
	s_waitcnt lgkmcnt(0)
	s_barrier
	ds_read_b64 v[28:29], v15 offset:3072
	v_mov_b32_e32 v9, s0
	v_add_co_u32_e32 v6, vcc, s33, v6
	v_addc_co_u32_e32 v7, vcc, v7, v9, vcc
	s_waitcnt lgkmcnt(0)
	v_readfirstlane_b32 s40, v28
	s_cmp_lg_u32 s40, 0
	s_cselect_b64 s[40:41], -1, 0
	v_cmp_ge_u64_e32 vcc, v[6:7], v[2:3]
	s_or_b64 s[44:45], vcc, s[40:41]
	s_and_b64 s[44:45], exec, s[44:45]
	s_or_b64 s[12:13], s[44:45], s[12:13]
	s_andn2_b64 s[36:37], s[36:37], exec
	s_and_b64 s[40:41], s[40:41], exec
	v_add_u32_e32 v8, s88, v8
	s_or_b64 s[36:37], s[36:37], s[40:41]
	s_barrier
	s_andn2_b64 exec, exec, s[12:13]
	s_cbranch_execz .LBB144_341
.LBB144_333:                            ;   Parent Loop BB144_6 Depth=1
                                        ; =>  This Inner Loop Header: Depth=2
	v_cmp_gt_u64_e32 vcc, s[4:5], v[6:7]
	s_waitcnt vmcnt(0)
	v_mov_b32_e32 v27, 0
	s_and_saveexec_b64 s[40:41], vcc
	s_cbranch_execz .LBB144_335
; %bb.334:                              ;   in Loop: Header=BB144_333 Depth=2
	ds_read_b32 v27, v8
.LBB144_335:                            ;   in Loop: Header=BB144_333 Depth=2
	s_or_b64 exec, exec, s[40:41]
	s_and_saveexec_b64 s[40:41], vcc
	s_cbranch_execz .LBB144_332
; %bb.336:                              ;   in Loop: Header=BB144_333 Depth=2
	s_waitcnt lgkmcnt(0)
	v_xor_b32_e32 v9, 0x80000000, v27
	v_and_b32_e32 v9, v9, v43
	v_cmp_eq_u32_e32 vcc, v9, v44
	s_and_b64 exec, exec, vcc
	s_cbranch_execz .LBB144_332
; %bb.337:                              ;   in Loop: Header=BB144_333 Depth=2
	ds_write_b64 v15, v[26:27] offset:3072
	s_branch .LBB144_332
.LBB144_338:                            ;   in Loop: Header=BB144_6 Depth=1
                                        ; implicit-def: $vgpr2_vgpr3
	s_branch .LBB144_285
.LBB144_339:                            ;   in Loop: Header=BB144_6 Depth=1
                                        ; implicit-def: $vgpr2_vgpr3
	s_branch .LBB144_299
.LBB144_340:                            ;   in Loop: Header=BB144_6 Depth=1
	s_mov_b64 s[24:25], -1
	s_mov_b64 s[12:13], 0
                                        ; implicit-def: $sgpr36_sgpr37
                                        ; implicit-def: $vgpr29
	s_mov_b64 s[40:41], s[24:25]
	s_cbranch_execnz .LBB144_343
	s_branch .LBB144_356
.LBB144_341:                            ;   in Loop: Header=BB144_6 Depth=1
	s_or_b64 exec, exec, s[12:13]
	s_and_b64 s[12:13], s[36:37], exec
.LBB144_342:                            ;   in Loop: Header=BB144_6 Depth=1
	s_or_b64 exec, exec, s[24:25]
	s_mov_b64 s[24:25], 0
	s_mov_b64 s[36:37], -1
	s_mov_b64 s[40:41], s[24:25]
	s_branch .LBB144_356
.LBB144_343:                            ;   in Loop: Header=BB144_6 Depth=1
	v_readlane_b32 s40, v54, 33
	v_readlane_b32 s41, v54, 34
	s_mov_b32 s40, s83
	s_cmp_lg_u64 s[40:41], 0
	v_writelane_b32 v54, s40, 33
	v_writelane_b32 v54, s41, 34
	s_cbranch_scc0 .LBB144_385
; %bb.344:                              ;   in Loop: Header=BB144_6 Depth=1
	v_cvt_f32_u32_e32 v2, s33
	s_sub_u32 s4, 0, s33
	s_subb_u32 s5, 0, 0
	v_mac_f32_e32 v2, 0, v42
	v_rcp_f32_e32 v2, v2
	v_mul_f32_e32 v2, 0x5f7ffffc, v2
	v_mul_f32_e32 v3, 0x2f800000, v2
	v_trunc_f32_e32 v3, v3
	v_mac_f32_e32 v2, 0xcf800000, v3
	v_cvt_u32_f32_e32 v3, v3
	v_cvt_u32_f32_e32 v2, v2
	v_readfirstlane_b32 s12, v3
	v_readfirstlane_b32 s13, v2
	s_mul_i32 s24, s4, s12
	s_mul_hi_u32 s36, s4, s13
	s_mul_i32 s25, s5, s13
	s_add_i32 s24, s36, s24
	s_mul_i32 s37, s4, s13
	s_add_i32 s24, s24, s25
	s_mul_hi_u32 s36, s13, s37
	s_mul_hi_u32 s25, s13, s24
	s_mul_i32 s13, s13, s24
	s_add_u32 s13, s36, s13
	s_addc_u32 s25, 0, s25
	s_mul_hi_u32 s40, s12, s37
	s_mul_i32 s37, s12, s37
	s_add_u32 s13, s13, s37
	s_mul_hi_u32 s36, s12, s24
	s_addc_u32 s13, s25, s40
	s_addc_u32 s25, s36, 0
	s_mul_i32 s24, s12, s24
	s_add_u32 s13, s13, s24
	s_addc_u32 s24, 0, s25
	v_add_co_u32_e32 v2, vcc, s13, v2
	s_cmp_lg_u64 vcc, 0
	s_addc_u32 s12, s12, s24
	v_readfirstlane_b32 s24, v2
	s_mul_i32 s13, s4, s12
	s_mul_hi_u32 s25, s4, s24
	s_add_i32 s13, s25, s13
	s_mul_i32 s5, s5, s24
	s_add_i32 s13, s13, s5
	s_mul_i32 s4, s4, s24
	s_mul_hi_u32 s25, s12, s4
	s_mul_i32 s36, s12, s4
	s_mul_i32 s40, s24, s13
	s_mul_hi_u32 s4, s24, s4
	s_mul_hi_u32 s37, s24, s13
	s_add_u32 s4, s4, s40
	s_addc_u32 s24, 0, s37
	s_add_u32 s4, s4, s36
	s_mul_hi_u32 s5, s12, s13
	s_addc_u32 s4, s24, s25
	s_addc_u32 s5, s5, 0
	s_mul_i32 s13, s12, s13
	s_add_u32 s4, s4, s13
	s_addc_u32 s5, 0, s5
	v_add_co_u32_e32 v2, vcc, s4, v2
	s_cmp_lg_u64 vcc, 0
	s_addc_u32 s4, s12, s5
	v_readlane_b32 s36, v54, 31
	v_readfirstlane_b32 s13, v2
	s_mul_i32 s12, s36, s4
	s_mul_hi_u32 s24, s36, s13
	s_mul_hi_u32 s5, s36, s4
	s_add_u32 s12, s24, s12
	s_addc_u32 s5, 0, s5
	s_mul_hi_u32 s25, s41, s13
	s_mul_i32 s13, s41, s13
	s_add_u32 s12, s12, s13
	s_mul_hi_u32 s24, s41, s4
	s_addc_u32 s5, s5, s25
	s_addc_u32 s12, s24, 0
	s_mul_i32 s4, s41, s4
	s_add_u32 s4, s5, s4
	s_addc_u32 s5, 0, s12
	s_mul_hi_u32 s12, s33, s4
	s_mul_i32 s4, s33, s4
	s_mul_i32 s5, s33, s5
	v_mov_b32_e32 v2, s4
	s_add_i32 s12, s12, s5
	v_sub_co_u32_e32 v2, vcc, s36, v2
	s_cmp_lg_u64 vcc, 0
	s_subb_u32 s4, s41, s12
	v_subrev_co_u32_e32 v3, vcc, s33, v2
	s_cmp_lg_u64 vcc, 0
	s_subb_u32 s5, s4, 0
	v_subrev_co_u32_e32 v6, vcc, s33, v3
	s_cmp_lg_u64 vcc, 0
	s_subb_u32 s12, s5, 0
	v_cmp_le_u32_e32 vcc, s33, v3
	s_cmp_eq_u32 s5, 0
	v_cndmask_b32_e64 v7, 0, -1, vcc
	s_cselect_b64 vcc, -1, 0
	v_cndmask_b32_e32 v7, -1, v7, vcc
	v_mov_b32_e32 v8, s5
	v_mov_b32_e32 v9, s12
	v_cmp_ne_u32_e32 vcc, 0, v7
	v_cndmask_b32_e32 v7, v8, v9, vcc
	v_cndmask_b32_e32 v6, v3, v6, vcc
	v_cmp_le_u32_e32 vcc, s33, v2
	s_cmp_eq_u32 s4, 0
	v_cndmask_b32_e64 v3, 0, -1, vcc
	s_cselect_b64 vcc, -1, 0
	v_cndmask_b32_e32 v3, -1, v3, vcc
	v_mov_b32_e32 v8, s4
	v_cmp_ne_u32_e32 vcc, 0, v3
	v_cndmask_b32_e32 v3, v8, v7, vcc
	v_cndmask_b32_e32 v2, v2, v6, vcc
	s_cbranch_execnz .LBB144_346
.LBB144_345:                            ;   in Loop: Header=BB144_6 Depth=1
	v_cvt_f32_u32_e32 v2, s33
	s_sub_i32 s4, 0, s33
	v_rcp_iflag_f32_e32 v2, v2
	v_mul_f32_e32 v2, 0x4f7ffffe, v2
	v_cvt_u32_f32_e32 v2, v2
	v_mul_lo_u32 v3, s4, v2
	v_mul_hi_u32 v3, v2, v3
	v_add_u32_e32 v2, v2, v3
	v_readlane_b32 s4, v54, 31
	v_mul_hi_u32 v2, s4, v2
	v_mul_lo_u32 v2, v2, s33
	v_sub_u32_e32 v2, s4, v2
	v_subrev_u32_e32 v3, s33, v2
	v_cmp_le_u32_e32 vcc, s33, v2
	v_cndmask_b32_e32 v2, v2, v3, vcc
	v_subrev_u32_e32 v3, s33, v2
	v_cmp_le_u32_e32 vcc, s33, v2
	v_cndmask_b32_e32 v14, v2, v3, vcc
	v_pk_mov_b32 v[2:3], v[14:15], v[14:15] op_sel:[0,1]
.LBB144_346:                            ;   in Loop: Header=BB144_6 Depth=1
	v_readlane_b32 s4, v54, 33
	v_readlane_b32 s5, v54, 34
	;; [unrolled: 1-line block ×3, first 2 shown]
	v_mov_b32_e32 v6, s5
	v_sub_co_u32_e32 v2, vcc, s4, v2
	v_subb_co_u32_e32 v3, vcc, v6, v3, vcc
	v_cmp_gt_u64_e32 vcc, v[2:3], v[0:1]
	s_mov_b64 s[12:13], 0
                                        ; implicit-def: $vgpr29
	s_and_saveexec_b64 s[4:5], vcc
	s_cbranch_execz .LBB144_355
; %bb.347:                              ;   in Loop: Header=BB144_6 Depth=1
	v_pk_mov_b32 v[6:7], v[12:13], v[12:13] op_sel:[0,1]
	v_pk_mov_b32 v[8:9], v[0:1], v[0:1] op_sel:[0,1]
                                        ; implicit-def: $sgpr24_sgpr25
	s_branch .LBB144_349
.LBB144_348:                            ;   in Loop: Header=BB144_349 Depth=2
	s_or_b64 exec, exec, s[36:37]
	s_waitcnt lgkmcnt(0)
	s_barrier
	ds_read_b64 v[28:29], v15 offset:3072
	v_mov_b32_e32 v14, s0
	v_add_co_u32_e32 v8, vcc, s33, v8
	v_addc_co_u32_e32 v9, vcc, v9, v14, vcc
	s_waitcnt lgkmcnt(0)
	v_readfirstlane_b32 s36, v28
	s_cmp_lg_u32 s36, 0
	s_cselect_b64 s[36:37], -1, 0
	v_cmp_ge_u64_e32 vcc, v[8:9], v[2:3]
	s_or_b64 s[40:41], vcc, s[36:37]
	s_and_b64 s[40:41], exec, s[40:41]
	s_or_b64 s[12:13], s[40:41], s[12:13]
	v_mov_b32_e32 v14, s61
	v_add_co_u32_e32 v6, vcc, s60, v6
	s_andn2_b64 s[24:25], s[24:25], exec
	s_and_b64 s[36:37], s[36:37], exec
	v_addc_co_u32_e32 v7, vcc, v7, v14, vcc
	s_or_b64 s[24:25], s[24:25], s[36:37]
	s_barrier
	s_andn2_b64 exec, exec, s[12:13]
	s_cbranch_execz .LBB144_354
.LBB144_349:                            ;   Parent Loop BB144_6 Depth=1
                                        ; =>  This Inner Loop Header: Depth=2
	v_cmp_gt_u64_e32 vcc, s[56:57], v[8:9]
	s_waitcnt vmcnt(0)
	v_mov_b32_e32 v27, 0
	s_and_saveexec_b64 s[36:37], vcc
	s_cbranch_execz .LBB144_351
; %bb.350:                              ;   in Loop: Header=BB144_349 Depth=2
	global_load_dword v27, v[6:7], off
.LBB144_351:                            ;   in Loop: Header=BB144_349 Depth=2
	s_or_b64 exec, exec, s[36:37]
	s_and_saveexec_b64 s[36:37], vcc
	s_cbranch_execz .LBB144_348
; %bb.352:                              ;   in Loop: Header=BB144_349 Depth=2
	s_waitcnt vmcnt(0)
	v_xor_b32_e32 v14, 0x80000000, v27
	v_and_b32_e32 v14, v14, v43
	v_cmp_eq_u32_e32 vcc, v14, v44
	s_and_b64 exec, exec, vcc
	s_cbranch_execz .LBB144_348
; %bb.353:                              ;   in Loop: Header=BB144_349 Depth=2
	ds_write_b64 v15, v[26:27] offset:3072
	s_branch .LBB144_348
.LBB144_354:                            ;   in Loop: Header=BB144_6 Depth=1
	s_or_b64 exec, exec, s[12:13]
	s_and_b64 s[12:13], s[24:25], exec
.LBB144_355:                            ;   in Loop: Header=BB144_6 Depth=1
	s_or_b64 exec, exec, s[4:5]
	s_mov_b64 s[36:37], 0
	s_mov_b64 s[24:25], -1
	s_mov_b64 s[40:41], 0
.LBB144_356:                            ;   in Loop: Header=BB144_6 Depth=1
	s_orn2_b64 s[4:5], s[12:13], exec
.LBB144_357:                            ;   in Loop: Header=BB144_6 Depth=1
	s_or_b64 exec, exec, s[42:43]
	s_mov_b64 s[44:45], 0
                                        ; implicit-def: $vgpr8
	s_and_saveexec_b64 s[42:43], s[4:5]
	s_cbranch_execz .LBB144_470
; %bb.358:                              ;   in Loop: Header=BB144_6 Depth=1
	v_mov_b32_e32 v2, 1
	s_xor_b64 s[4:5], s[2:3], -1
	s_mov_b64 s[12:13], 0
	v_mov_b32_e32 v3, 0
	v_mov_b32_e32 v8, 1
	s_and_saveexec_b64 s[2:3], s[4:5]
	s_cbranch_execz .LBB144_368
; %bb.359:                              ;   in Loop: Header=BB144_6 Depth=1
	v_cmp_ge_u64_e32 vcc, s[22:23], v[4:5]
                                        ; implicit-def: $sgpr44
                                        ; implicit-def: $sgpr4_sgpr5
	s_and_saveexec_b64 s[12:13], vcc
	s_xor_b64 s[12:13], exec, s[12:13]
	s_cbranch_execz .LBB144_365
; %bb.360:                              ;   in Loop: Header=BB144_6 Depth=1
	ds_read_b64 v[2:3], v15 offset:5120
	s_waitcnt lgkmcnt(0)
	v_cmp_ne_u64_e32 vcc, 0, v[2:3]
	s_cbranch_vccnz .LBB144_364
; %bb.361:                              ;   in Loop: Header=BB144_6 Depth=1
	s_mov_b64 s[4:5], exec
	v_readlane_b32 s44, v54, 8
	v_readlane_b32 s45, v54, 9
	s_and_b64 s[44:45], s[4:5], s[44:45]
	s_mov_b64 exec, s[44:45]
	s_cbranch_execz .LBB144_363
; %bb.362:                              ;   in Loop: Header=BB144_6 Depth=1
	v_pk_mov_b32 v[2:3], s[22:23], s[22:23] op_sel:[0,1]
	ds_write_b64 v15, v[2:3] offset:5128
.LBB144_363:                            ;   in Loop: Header=BB144_6 Depth=1
	s_or_b64 exec, exec, s[4:5]
	s_waitcnt lgkmcnt(0)
	s_barrier
.LBB144_364:                            ;   in Loop: Header=BB144_6 Depth=1
	v_and_b32_e32 v2, s90, v44
	v_lshl_or_b32 v44, 2, s91, v2
	v_or_b32_e32 v43, s82, v43
	s_mov_b64 s[4:5], 0
	s_mov_b32 s44, 5
.LBB144_365:                            ;   in Loop: Header=BB144_6 Depth=1
	s_or_saveexec_b64 s[12:13], s[12:13]
	v_mov_b32_e32 v8, s44
	s_xor_b64 exec, exec, s[12:13]
; %bb.366:                              ;   in Loop: Header=BB144_6 Depth=1
	v_mov_b32_e32 v2, s23
	v_subrev_co_u32_e32 v4, vcc, s22, v4
	v_subb_co_u32_e32 v5, vcc, v5, v2, vcc
	v_mov_b32_e32 v8, 0
	s_or_b64 s[4:5], s[4:5], exec
; %bb.367:                              ;   in Loop: Header=BB144_6 Depth=1
	s_or_b64 exec, exec, s[12:13]
	s_and_b64 s[12:13], s[4:5], exec
	v_pk_mov_b32 v[2:3], v[4:5], v[4:5] op_sel:[0,1]
.LBB144_368:                            ;   in Loop: Header=BB144_6 Depth=1
	s_or_b64 exec, exec, s[2:3]
	s_mov_b64 s[2:3], -1
                                        ; implicit-def: $sgpr4_sgpr5
                                        ; implicit-def: $sgpr44_sgpr45
                                        ; implicit-def: $sgpr48_sgpr49
	s_and_saveexec_b64 s[22:23], s[12:13]
	s_cbranch_execz .LBB144_469
; %bb.369:                              ;   in Loop: Header=BB144_6 Depth=1
	s_cmp_eq_u64 s[18:19], 1
	s_cselect_b64 s[2:3], -1, 0
	v_cmp_eq_u64_e32 vcc, 1, v[2:3]
	s_and_b64 s[50:51], s[2:3], vcc
	s_mov_b64 s[4:5], -1
                                        ; implicit-def: $sgpr2_sgpr3
                                        ; implicit-def: $sgpr44_sgpr45
                                        ; implicit-def: $sgpr46_sgpr47
	s_and_saveexec_b64 s[48:49], s[50:51]
	s_cbranch_execz .LBB144_403
; %bb.370:                              ;   in Loop: Header=BB144_6 Depth=1
	ds_read_b64 v[4:5], v15 offset:5120
	s_waitcnt lgkmcnt(0)
	s_barrier
	v_readfirstlane_b32 s2, v4
	v_readfirstlane_b32 s3, v5
	s_mov_b64 s[4:5], exec
	v_readlane_b32 s12, v54, 26
	v_readlane_b32 s13, v54, 27
	s_and_b64 s[12:13], s[4:5], s[12:13]
	s_mov_b64 exec, s[12:13]
	s_cbranch_execz .LBB144_372
; %bb.371:                              ;   in Loop: Header=BB144_6 Depth=1
	ds_write_b32 v39, v15
.LBB144_372:                            ;   in Loop: Header=BB144_6 Depth=1
	s_or_b64 exec, exec, s[4:5]
	v_and_b32_e32 v4, s90, v44
	v_lshl_or_b32 v44, 1, s91, v4
	v_or_b32_e32 v43, s82, v43
	s_cmp_eq_u64 s[2:3], 0
	s_waitcnt lgkmcnt(0)
	s_barrier
	s_cbranch_scc1 .LBB144_386
; %bb.373:                              ;   in Loop: Header=BB144_6 Depth=1
	v_readlane_b32 s4, v54, 30
	s_add_u32 s44, s4, s2
	v_readlane_b32 s4, v54, 32
	s_addc_u32 s5, s4, s3
	s_mov_b32 s4, s83
	s_cmp_lg_u64 s[4:5], 0
	s_cbranch_scc0 .LBB144_421
; %bb.374:                              ;   in Loop: Header=BB144_6 Depth=1
	v_cvt_f32_u32_e32 v4, s33
	s_sub_u32 s4, 0, s33
	s_subb_u32 s12, 0, 0
	v_mac_f32_e32 v4, 0, v42
	v_rcp_f32_e32 v4, v4
	v_mul_f32_e32 v4, 0x5f7ffffc, v4
	v_mul_f32_e32 v5, 0x2f800000, v4
	v_trunc_f32_e32 v5, v5
	v_mac_f32_e32 v4, 0xcf800000, v5
	v_cvt_u32_f32_e32 v5, v5
	v_cvt_u32_f32_e32 v4, v4
	v_readfirstlane_b32 s13, v5
	v_readfirstlane_b32 s45, v4
	s_mul_i32 s46, s4, s13
	s_mul_hi_u32 s52, s4, s45
	s_mul_i32 s47, s12, s45
	s_add_i32 s46, s52, s46
	s_mul_i32 s53, s4, s45
	s_add_i32 s46, s46, s47
	s_mul_hi_u32 s52, s45, s53
	s_mul_hi_u32 s47, s45, s46
	s_mul_i32 s45, s45, s46
	s_add_u32 s45, s52, s45
	s_addc_u32 s47, 0, s47
	s_mul_hi_u32 s54, s13, s53
	s_mul_i32 s53, s13, s53
	s_add_u32 s45, s45, s53
	s_mul_hi_u32 s52, s13, s46
	s_addc_u32 s45, s47, s54
	s_addc_u32 s47, s52, 0
	s_mul_i32 s46, s13, s46
	s_add_u32 s45, s45, s46
	s_addc_u32 s46, 0, s47
	v_add_co_u32_e32 v4, vcc, s45, v4
	s_cmp_lg_u64 vcc, 0
	s_addc_u32 s13, s13, s46
	v_readfirstlane_b32 s46, v4
	s_mul_i32 s45, s4, s13
	s_mul_hi_u32 s47, s4, s46
	s_add_i32 s45, s47, s45
	s_mul_i32 s12, s12, s46
	s_add_i32 s45, s45, s12
	s_mul_i32 s4, s4, s46
	s_mul_hi_u32 s47, s13, s4
	s_mul_i32 s52, s13, s4
	s_mul_i32 s54, s46, s45
	s_mul_hi_u32 s4, s46, s4
	s_mul_hi_u32 s53, s46, s45
	s_add_u32 s4, s4, s54
	s_addc_u32 s46, 0, s53
	s_add_u32 s4, s4, s52
	s_mul_hi_u32 s12, s13, s45
	s_addc_u32 s4, s46, s47
	s_addc_u32 s12, s12, 0
	s_mul_i32 s45, s13, s45
	s_add_u32 s4, s4, s45
	s_addc_u32 s12, 0, s12
	v_add_co_u32_e32 v4, vcc, s4, v4
	s_cmp_lg_u64 vcc, 0
	s_addc_u32 s4, s13, s12
	v_readfirstlane_b32 s45, v4
	s_mul_i32 s13, s44, s4
	s_mul_hi_u32 s46, s44, s45
	s_mul_hi_u32 s12, s44, s4
	s_add_u32 s13, s46, s13
	s_addc_u32 s12, 0, s12
	s_mul_hi_u32 s47, s5, s45
	s_mul_i32 s45, s5, s45
	s_add_u32 s13, s13, s45
	s_mul_hi_u32 s46, s5, s4
	s_addc_u32 s12, s12, s47
	s_addc_u32 s13, s46, 0
	s_mul_i32 s4, s5, s4
	s_add_u32 s4, s12, s4
	s_addc_u32 s12, 0, s13
	s_mul_hi_u32 s13, s33, s4
	s_mul_i32 s4, s33, s4
	s_mul_i32 s12, s33, s12
	v_mov_b32_e32 v4, s4
	s_add_i32 s13, s13, s12
	v_sub_co_u32_e32 v4, vcc, s44, v4
	s_cmp_lg_u64 vcc, 0
	s_subb_u32 s4, s5, s13
	v_subrev_co_u32_e32 v5, vcc, s33, v4
	s_cmp_lg_u64 vcc, 0
	s_subb_u32 s12, s4, 0
	v_subrev_co_u32_e32 v6, vcc, s33, v5
	s_cmp_lg_u64 vcc, 0
	s_subb_u32 s13, s12, 0
	v_cmp_le_u32_e32 vcc, s33, v5
	s_cmp_eq_u32 s12, 0
	v_cndmask_b32_e64 v7, 0, -1, vcc
	s_cselect_b64 vcc, -1, 0
	v_cndmask_b32_e32 v7, -1, v7, vcc
	v_mov_b32_e32 v8, s12
	v_mov_b32_e32 v9, s13
	v_cmp_ne_u32_e32 vcc, 0, v7
	v_cndmask_b32_e32 v7, v8, v9, vcc
	v_cndmask_b32_e32 v6, v5, v6, vcc
	v_cmp_le_u32_e32 vcc, s33, v4
	s_cmp_eq_u32 s4, 0
	v_cndmask_b32_e64 v5, 0, -1, vcc
	s_cselect_b64 vcc, -1, 0
	v_cndmask_b32_e32 v5, -1, v5, vcc
	v_mov_b32_e32 v8, s4
	v_cmp_ne_u32_e32 vcc, 0, v5
	v_cndmask_b32_e32 v5, v8, v7, vcc
	v_cndmask_b32_e32 v4, v4, v6, vcc
	s_cbranch_execnz .LBB144_376
.LBB144_375:                            ;   in Loop: Header=BB144_6 Depth=1
	v_cvt_f32_u32_e32 v4, s33
	s_sub_i32 s4, 0, s33
	v_rcp_iflag_f32_e32 v4, v4
	v_mul_f32_e32 v4, 0x4f7ffffe, v4
	v_cvt_u32_f32_e32 v4, v4
	v_mul_lo_u32 v5, s4, v4
	v_mul_hi_u32 v5, v4, v5
	v_add_u32_e32 v4, v4, v5
	v_mul_hi_u32 v4, s44, v4
	v_mul_lo_u32 v4, v4, s33
	v_sub_u32_e32 v4, s44, v4
	v_subrev_u32_e32 v5, s33, v4
	v_cmp_le_u32_e32 vcc, s33, v4
	v_cndmask_b32_e32 v4, v4, v5, vcc
	v_subrev_u32_e32 v5, s33, v4
	v_cmp_le_u32_e32 vcc, s33, v4
	v_cndmask_b32_e32 v14, v4, v5, vcc
	v_pk_mov_b32 v[4:5], v[14:15], v[14:15] op_sel:[0,1]
.LBB144_376:                            ;   in Loop: Header=BB144_6 Depth=1
	v_mov_b32_e32 v6, s5
	v_sub_co_u32_e32 v4, vcc, s44, v4
	v_subb_co_u32_e32 v5, vcc, v6, v5, vcc
	v_cmp_gt_u64_e32 vcc, v[4:5], v[0:1]
	s_mov_b64 s[4:5], 0
                                        ; implicit-def: $vgpr29
	s_and_saveexec_b64 s[12:13], vcc
	s_cbranch_execz .LBB144_388
; %bb.377:                              ;   in Loop: Header=BB144_6 Depth=1
	v_mov_b32_e32 v8, v16
	v_pk_mov_b32 v[6:7], v[0:1], v[0:1] op_sel:[0,1]
                                        ; implicit-def: $sgpr44_sgpr45
	s_branch .LBB144_379
.LBB144_378:                            ;   in Loop: Header=BB144_379 Depth=2
	s_or_b64 exec, exec, s[46:47]
	s_waitcnt lgkmcnt(0)
	s_barrier
	ds_read_b64 v[28:29], v15 offset:3072
	v_mov_b32_e32 v9, s0
	v_add_co_u32_e32 v6, vcc, s33, v6
	v_addc_co_u32_e32 v7, vcc, v7, v9, vcc
	s_waitcnt lgkmcnt(0)
	v_readfirstlane_b32 s46, v28
	s_cmp_lg_u32 s46, 0
	s_cselect_b64 s[46:47], -1, 0
	v_cmp_ge_u64_e32 vcc, v[6:7], v[4:5]
	s_or_b64 s[52:53], vcc, s[46:47]
	s_and_b64 s[52:53], exec, s[52:53]
	s_or_b64 s[4:5], s[52:53], s[4:5]
	s_andn2_b64 s[44:45], s[44:45], exec
	s_and_b64 s[46:47], s[46:47], exec
	v_add_u32_e32 v8, s88, v8
	s_or_b64 s[44:45], s[44:45], s[46:47]
	s_barrier
	s_andn2_b64 exec, exec, s[4:5]
	s_cbranch_execz .LBB144_387
.LBB144_379:                            ;   Parent Loop BB144_6 Depth=1
                                        ; =>  This Inner Loop Header: Depth=2
	v_cmp_gt_u64_e32 vcc, s[2:3], v[6:7]
	s_waitcnt vmcnt(0)
	v_mov_b32_e32 v27, 0
	s_and_saveexec_b64 s[46:47], vcc
	s_cbranch_execz .LBB144_381
; %bb.380:                              ;   in Loop: Header=BB144_379 Depth=2
	ds_read_b32 v27, v8
.LBB144_381:                            ;   in Loop: Header=BB144_379 Depth=2
	s_or_b64 exec, exec, s[46:47]
	s_and_saveexec_b64 s[46:47], vcc
	s_cbranch_execz .LBB144_378
; %bb.382:                              ;   in Loop: Header=BB144_379 Depth=2
	s_waitcnt lgkmcnt(0)
	v_xor_b32_e32 v9, 0x80000000, v27
	v_and_b32_e32 v9, v9, v43
	v_cmp_eq_u32_e32 vcc, v9, v44
	s_and_b64 exec, exec, vcc
	s_cbranch_execz .LBB144_378
; %bb.383:                              ;   in Loop: Header=BB144_379 Depth=2
	ds_write_b64 v15, v[26:27] offset:3072
	s_branch .LBB144_378
.LBB144_384:                            ;   in Loop: Header=BB144_6 Depth=1
                                        ; implicit-def: $vgpr2_vgpr3
	s_branch .LBB144_329
.LBB144_385:                            ;   in Loop: Header=BB144_6 Depth=1
                                        ; implicit-def: $vgpr2_vgpr3
	s_branch .LBB144_345
.LBB144_386:                            ;   in Loop: Header=BB144_6 Depth=1
	s_mov_b64 s[2:3], -1
	s_mov_b64 s[4:5], 0
                                        ; implicit-def: $sgpr44_sgpr45
                                        ; implicit-def: $vgpr29
	s_mov_b64 s[46:47], s[2:3]
	s_cbranch_execnz .LBB144_389
	s_branch .LBB144_402
.LBB144_387:                            ;   in Loop: Header=BB144_6 Depth=1
	s_or_b64 exec, exec, s[4:5]
	s_and_b64 s[4:5], s[44:45], exec
.LBB144_388:                            ;   in Loop: Header=BB144_6 Depth=1
	s_or_b64 exec, exec, s[12:13]
	s_mov_b64 s[2:3], 0
	s_mov_b64 s[44:45], -1
	s_mov_b64 s[46:47], s[2:3]
	s_branch .LBB144_402
.LBB144_389:                            ;   in Loop: Header=BB144_6 Depth=1
	v_readlane_b32 s46, v54, 33
	v_readlane_b32 s47, v54, 34
	s_mov_b32 s46, s83
	s_cmp_lg_u64 s[46:47], 0
	v_writelane_b32 v54, s46, 33
	v_writelane_b32 v54, s47, 34
	s_cbranch_scc0 .LBB144_422
; %bb.390:                              ;   in Loop: Header=BB144_6 Depth=1
	v_cvt_f32_u32_e32 v4, s33
	s_sub_u32 s2, 0, s33
	s_subb_u32 s3, 0, 0
	v_mac_f32_e32 v4, 0, v42
	v_rcp_f32_e32 v4, v4
	v_mul_f32_e32 v4, 0x5f7ffffc, v4
	v_mul_f32_e32 v5, 0x2f800000, v4
	v_trunc_f32_e32 v5, v5
	v_mac_f32_e32 v4, 0xcf800000, v5
	v_cvt_u32_f32_e32 v5, v5
	v_cvt_u32_f32_e32 v4, v4
	v_readfirstlane_b32 s4, v5
	v_readfirstlane_b32 s5, v4
	s_mul_i32 s12, s2, s4
	s_mul_hi_u32 s44, s2, s5
	s_mul_i32 s13, s3, s5
	s_add_i32 s12, s44, s12
	s_mul_i32 s45, s2, s5
	s_add_i32 s12, s12, s13
	s_mul_hi_u32 s44, s5, s45
	s_mul_hi_u32 s13, s5, s12
	s_mul_i32 s5, s5, s12
	s_add_u32 s5, s44, s5
	s_addc_u32 s13, 0, s13
	s_mul_hi_u32 s46, s4, s45
	s_mul_i32 s45, s4, s45
	s_add_u32 s5, s5, s45
	s_mul_hi_u32 s44, s4, s12
	s_addc_u32 s5, s13, s46
	s_addc_u32 s13, s44, 0
	s_mul_i32 s12, s4, s12
	s_add_u32 s5, s5, s12
	s_addc_u32 s12, 0, s13
	v_add_co_u32_e32 v4, vcc, s5, v4
	s_cmp_lg_u64 vcc, 0
	s_addc_u32 s4, s4, s12
	v_readfirstlane_b32 s12, v4
	s_mul_i32 s5, s2, s4
	s_mul_hi_u32 s13, s2, s12
	s_add_i32 s5, s13, s5
	s_mul_i32 s3, s3, s12
	s_add_i32 s5, s5, s3
	s_mul_i32 s2, s2, s12
	s_mul_hi_u32 s13, s4, s2
	s_mul_i32 s44, s4, s2
	s_mul_i32 s46, s12, s5
	s_mul_hi_u32 s2, s12, s2
	s_mul_hi_u32 s45, s12, s5
	s_add_u32 s2, s2, s46
	s_addc_u32 s12, 0, s45
	s_add_u32 s2, s2, s44
	s_mul_hi_u32 s3, s4, s5
	s_addc_u32 s2, s12, s13
	s_addc_u32 s3, s3, 0
	s_mul_i32 s5, s4, s5
	s_add_u32 s2, s2, s5
	s_addc_u32 s3, 0, s3
	v_add_co_u32_e32 v4, vcc, s2, v4
	s_cmp_lg_u64 vcc, 0
	s_addc_u32 s2, s4, s3
	v_readlane_b32 s44, v54, 31
	v_readfirstlane_b32 s5, v4
	s_mul_i32 s4, s44, s2
	s_mul_hi_u32 s12, s44, s5
	s_mul_hi_u32 s3, s44, s2
	s_add_u32 s4, s12, s4
	s_addc_u32 s3, 0, s3
	s_mul_hi_u32 s13, s47, s5
	s_mul_i32 s5, s47, s5
	s_add_u32 s4, s4, s5
	s_mul_hi_u32 s12, s47, s2
	s_addc_u32 s3, s3, s13
	s_addc_u32 s4, s12, 0
	s_mul_i32 s2, s47, s2
	s_add_u32 s2, s3, s2
	s_addc_u32 s3, 0, s4
	s_mul_hi_u32 s4, s33, s2
	s_mul_i32 s2, s33, s2
	s_mul_i32 s3, s33, s3
	v_mov_b32_e32 v4, s2
	s_add_i32 s4, s4, s3
	v_sub_co_u32_e32 v4, vcc, s44, v4
	s_cmp_lg_u64 vcc, 0
	s_subb_u32 s2, s47, s4
	v_subrev_co_u32_e32 v5, vcc, s33, v4
	s_cmp_lg_u64 vcc, 0
	s_subb_u32 s3, s2, 0
	v_subrev_co_u32_e32 v6, vcc, s33, v5
	s_cmp_lg_u64 vcc, 0
	s_subb_u32 s4, s3, 0
	v_cmp_le_u32_e32 vcc, s33, v5
	s_cmp_eq_u32 s3, 0
	v_cndmask_b32_e64 v7, 0, -1, vcc
	s_cselect_b64 vcc, -1, 0
	v_cndmask_b32_e32 v7, -1, v7, vcc
	v_mov_b32_e32 v8, s3
	v_mov_b32_e32 v9, s4
	v_cmp_ne_u32_e32 vcc, 0, v7
	v_cndmask_b32_e32 v7, v8, v9, vcc
	v_cndmask_b32_e32 v6, v5, v6, vcc
	v_cmp_le_u32_e32 vcc, s33, v4
	s_cmp_eq_u32 s2, 0
	v_cndmask_b32_e64 v5, 0, -1, vcc
	s_cselect_b64 vcc, -1, 0
	v_cndmask_b32_e32 v5, -1, v5, vcc
	v_mov_b32_e32 v8, s2
	v_cmp_ne_u32_e32 vcc, 0, v5
	v_cndmask_b32_e32 v5, v8, v7, vcc
	v_cndmask_b32_e32 v4, v4, v6, vcc
	s_cbranch_execnz .LBB144_392
.LBB144_391:                            ;   in Loop: Header=BB144_6 Depth=1
	v_cvt_f32_u32_e32 v4, s33
	s_sub_i32 s2, 0, s33
	v_rcp_iflag_f32_e32 v4, v4
	v_mul_f32_e32 v4, 0x4f7ffffe, v4
	v_cvt_u32_f32_e32 v4, v4
	v_mul_lo_u32 v5, s2, v4
	v_mul_hi_u32 v5, v4, v5
	v_add_u32_e32 v4, v4, v5
	v_readlane_b32 s2, v54, 31
	v_mul_hi_u32 v4, s2, v4
	v_mul_lo_u32 v4, v4, s33
	v_sub_u32_e32 v4, s2, v4
	v_subrev_u32_e32 v5, s33, v4
	v_cmp_le_u32_e32 vcc, s33, v4
	v_cndmask_b32_e32 v4, v4, v5, vcc
	v_subrev_u32_e32 v5, s33, v4
	v_cmp_le_u32_e32 vcc, s33, v4
	v_cndmask_b32_e32 v14, v4, v5, vcc
	v_pk_mov_b32 v[4:5], v[14:15], v[14:15] op_sel:[0,1]
.LBB144_392:                            ;   in Loop: Header=BB144_6 Depth=1
	v_readlane_b32 s2, v54, 33
	v_readlane_b32 s3, v54, 34
	;; [unrolled: 1-line block ×3, first 2 shown]
	v_mov_b32_e32 v6, s3
	v_sub_co_u32_e32 v4, vcc, s2, v4
	v_subb_co_u32_e32 v5, vcc, v6, v5, vcc
	v_cmp_gt_u64_e32 vcc, v[4:5], v[0:1]
	s_mov_b64 s[4:5], 0
                                        ; implicit-def: $vgpr29
	s_and_saveexec_b64 s[2:3], vcc
	s_cbranch_execz .LBB144_401
; %bb.393:                              ;   in Loop: Header=BB144_6 Depth=1
	v_pk_mov_b32 v[6:7], v[12:13], v[12:13] op_sel:[0,1]
	v_pk_mov_b32 v[8:9], v[0:1], v[0:1] op_sel:[0,1]
                                        ; implicit-def: $sgpr12_sgpr13
	s_branch .LBB144_395
.LBB144_394:                            ;   in Loop: Header=BB144_395 Depth=2
	s_or_b64 exec, exec, s[44:45]
	s_waitcnt lgkmcnt(0)
	s_barrier
	ds_read_b64 v[28:29], v15 offset:3072
	v_mov_b32_e32 v14, s0
	v_add_co_u32_e32 v8, vcc, s33, v8
	v_addc_co_u32_e32 v9, vcc, v9, v14, vcc
	s_waitcnt lgkmcnt(0)
	v_readfirstlane_b32 s44, v28
	s_cmp_lg_u32 s44, 0
	s_cselect_b64 s[44:45], -1, 0
	v_cmp_ge_u64_e32 vcc, v[8:9], v[4:5]
	s_or_b64 s[46:47], vcc, s[44:45]
	s_and_b64 s[46:47], exec, s[46:47]
	s_or_b64 s[4:5], s[46:47], s[4:5]
	v_mov_b32_e32 v14, s61
	v_add_co_u32_e32 v6, vcc, s60, v6
	s_andn2_b64 s[12:13], s[12:13], exec
	s_and_b64 s[44:45], s[44:45], exec
	v_addc_co_u32_e32 v7, vcc, v7, v14, vcc
	s_or_b64 s[12:13], s[12:13], s[44:45]
	s_barrier
	s_andn2_b64 exec, exec, s[4:5]
	s_cbranch_execz .LBB144_400
.LBB144_395:                            ;   Parent Loop BB144_6 Depth=1
                                        ; =>  This Inner Loop Header: Depth=2
	v_cmp_gt_u64_e32 vcc, s[56:57], v[8:9]
	s_waitcnt vmcnt(0)
	v_mov_b32_e32 v27, 0
	s_and_saveexec_b64 s[44:45], vcc
	s_cbranch_execz .LBB144_397
; %bb.396:                              ;   in Loop: Header=BB144_395 Depth=2
	global_load_dword v27, v[6:7], off
.LBB144_397:                            ;   in Loop: Header=BB144_395 Depth=2
	s_or_b64 exec, exec, s[44:45]
	s_and_saveexec_b64 s[44:45], vcc
	s_cbranch_execz .LBB144_394
; %bb.398:                              ;   in Loop: Header=BB144_395 Depth=2
	s_waitcnt vmcnt(0)
	v_xor_b32_e32 v14, 0x80000000, v27
	v_and_b32_e32 v14, v14, v43
	v_cmp_eq_u32_e32 vcc, v14, v44
	s_and_b64 exec, exec, vcc
	s_cbranch_execz .LBB144_394
; %bb.399:                              ;   in Loop: Header=BB144_395 Depth=2
	ds_write_b64 v15, v[26:27] offset:3072
	s_branch .LBB144_394
.LBB144_400:                            ;   in Loop: Header=BB144_6 Depth=1
	s_or_b64 exec, exec, s[4:5]
	s_and_b64 s[4:5], s[12:13], exec
.LBB144_401:                            ;   in Loop: Header=BB144_6 Depth=1
	s_or_b64 exec, exec, s[2:3]
	s_mov_b64 s[44:45], 0
	s_mov_b64 s[2:3], -1
	s_mov_b64 s[46:47], 0
.LBB144_402:                            ;   in Loop: Header=BB144_6 Depth=1
	s_orn2_b64 s[4:5], s[4:5], exec
.LBB144_403:                            ;   in Loop: Header=BB144_6 Depth=1
	s_or_b64 exec, exec, s[48:49]
	s_mov_b64 s[12:13], 0
                                        ; implicit-def: $vgpr8
	s_and_saveexec_b64 s[48:49], s[4:5]
	s_cbranch_execz .LBB144_468
; %bb.404:                              ;   in Loop: Header=BB144_6 Depth=1
	v_mov_b32_e32 v4, 1
	s_xor_b64 s[12:13], s[50:51], -1
	s_mov_b64 s[52:53], 0
	v_mov_b32_e32 v5, 0
	v_mov_b32_e32 v8, 1
	s_and_saveexec_b64 s[4:5], s[12:13]
	s_cbranch_execz .LBB144_414
; %bb.405:                              ;   in Loop: Header=BB144_6 Depth=1
	v_cmp_ge_u64_e32 vcc, s[18:19], v[2:3]
                                        ; implicit-def: $sgpr52
                                        ; implicit-def: $sgpr12_sgpr13
	s_and_saveexec_b64 s[50:51], vcc
	s_xor_b64 s[50:51], exec, s[50:51]
	s_cbranch_execz .LBB144_411
; %bb.406:                              ;   in Loop: Header=BB144_6 Depth=1
	ds_read_b64 v[4:5], v15 offset:5120
	s_waitcnt lgkmcnt(0)
	v_cmp_ne_u64_e32 vcc, 0, v[4:5]
	s_cbranch_vccnz .LBB144_410
; %bb.407:                              ;   in Loop: Header=BB144_6 Depth=1
	s_mov_b64 s[12:13], exec
	v_readlane_b32 s52, v54, 8
	v_readlane_b32 s53, v54, 9
	s_and_b64 s[52:53], s[12:13], s[52:53]
	s_mov_b64 exec, s[52:53]
	s_cbranch_execz .LBB144_409
; %bb.408:                              ;   in Loop: Header=BB144_6 Depth=1
	v_pk_mov_b32 v[4:5], s[18:19], s[18:19] op_sel:[0,1]
	ds_write_b64 v15, v[4:5] offset:5128
.LBB144_409:                            ;   in Loop: Header=BB144_6 Depth=1
	s_or_b64 exec, exec, s[12:13]
	s_waitcnt lgkmcnt(0)
	s_barrier
.LBB144_410:                            ;   in Loop: Header=BB144_6 Depth=1
	v_and_b32_e32 v4, s90, v44
	v_lshl_or_b32 v44, 1, s91, v4
	v_or_b32_e32 v43, s82, v43
	s_mov_b64 s[12:13], 0
	s_mov_b32 s52, 5
.LBB144_411:                            ;   in Loop: Header=BB144_6 Depth=1
	s_or_saveexec_b64 s[50:51], s[50:51]
	v_mov_b32_e32 v8, s52
	s_xor_b64 exec, exec, s[50:51]
; %bb.412:                              ;   in Loop: Header=BB144_6 Depth=1
	v_mov_b32_e32 v4, s19
	v_subrev_co_u32_e32 v2, vcc, s18, v2
	v_subb_co_u32_e32 v3, vcc, v3, v4, vcc
	v_mov_b32_e32 v8, 0
	s_or_b64 s[12:13], s[12:13], exec
; %bb.413:                              ;   in Loop: Header=BB144_6 Depth=1
	s_or_b64 exec, exec, s[50:51]
	s_and_b64 s[52:53], s[12:13], exec
	v_pk_mov_b32 v[4:5], v[2:3], v[2:3] op_sel:[0,1]
.LBB144_414:                            ;   in Loop: Header=BB144_6 Depth=1
	s_or_b64 exec, exec, s[4:5]
	s_mov_b64 s[50:51], -1
                                        ; implicit-def: $sgpr4_sgpr5
                                        ; implicit-def: $sgpr12_sgpr13
                                        ; implicit-def: $sgpr54_sgpr55
	s_and_saveexec_b64 s[18:19], s[52:53]
	s_cbranch_execz .LBB144_467
; %bb.415:                              ;   in Loop: Header=BB144_6 Depth=1
	s_cmp_eq_u64 s[16:17], 1
	s_cselect_b64 s[4:5], -1, 0
	v_cmp_eq_u64_e32 vcc, 1, v[4:5]
	s_and_b64 s[50:51], s[4:5], vcc
	s_mov_b64 s[72:73], -1
                                        ; implicit-def: $sgpr4_sgpr5
                                        ; implicit-def: $sgpr12_sgpr13
                                        ; implicit-def: $sgpr54_sgpr55
	s_and_saveexec_b64 s[52:53], s[50:51]
	s_cbranch_execz .LBB144_454
; %bb.416:                              ;   in Loop: Header=BB144_6 Depth=1
	ds_read_b64 v[2:3], v15 offset:5120
	s_waitcnt lgkmcnt(0)
	s_barrier
	v_readfirstlane_b32 s4, v2
	v_readfirstlane_b32 s5, v3
	s_mov_b64 s[12:13], exec
	v_readlane_b32 s54, v54, 26
	v_readlane_b32 s55, v54, 27
	s_and_b64 s[54:55], s[12:13], s[54:55]
	s_mov_b64 exec, s[54:55]
	s_cbranch_execz .LBB144_418
; %bb.417:                              ;   in Loop: Header=BB144_6 Depth=1
	ds_write_b32 v39, v15
.LBB144_418:                            ;   in Loop: Header=BB144_6 Depth=1
	s_or_b64 exec, exec, s[12:13]
	v_and_b32_e32 v44, s90, v44
	v_or_b32_e32 v43, s82, v43
	s_cmp_eq_u64 s[4:5], 0
	s_waitcnt lgkmcnt(0)
	s_barrier
	s_cbranch_scc1 .LBB144_423
; %bb.419:                              ;   in Loop: Header=BB144_6 Depth=1
	v_readlane_b32 s12, v54, 30
	s_add_u32 s72, s12, s4
	v_readlane_b32 s12, v54, 32
	s_addc_u32 s13, s12, s5
	s_mov_b32 s12, s83
	s_cmp_lg_u64 s[12:13], 0
	s_cbranch_scc0 .LBB144_424
; %bb.420:                              ;   in Loop: Header=BB144_6 Depth=1
	v_cvt_f32_u32_e32 v2, s33
	s_sub_u32 s12, 0, s33
	s_subb_u32 s54, 0, 0
	v_mac_f32_e32 v2, 0, v42
	v_rcp_f32_e32 v2, v2
	v_mul_f32_e32 v2, 0x5f7ffffc, v2
	v_mul_f32_e32 v3, 0x2f800000, v2
	v_trunc_f32_e32 v3, v3
	v_mac_f32_e32 v2, 0xcf800000, v3
	v_cvt_u32_f32_e32 v3, v3
	v_cvt_u32_f32_e32 v2, v2
	v_readfirstlane_b32 s55, v3
	v_readfirstlane_b32 s73, v2
	s_mul_i32 s78, s12, s55
	s_mul_hi_u32 s80, s12, s73
	s_mul_i32 s79, s54, s73
	s_add_i32 s78, s80, s78
	s_mul_i32 s81, s12, s73
	s_add_i32 s78, s78, s79
	s_mul_hi_u32 s80, s73, s81
	s_mul_hi_u32 s79, s73, s78
	s_mul_i32 s73, s73, s78
	s_add_u32 s73, s80, s73
	s_addc_u32 s79, 0, s79
	s_mul_hi_u32 s84, s55, s81
	s_mul_i32 s81, s55, s81
	s_add_u32 s73, s73, s81
	s_mul_hi_u32 s80, s55, s78
	s_addc_u32 s73, s79, s84
	s_addc_u32 s79, s80, 0
	s_mul_i32 s78, s55, s78
	s_add_u32 s73, s73, s78
	s_addc_u32 s78, 0, s79
	v_add_co_u32_e32 v2, vcc, s73, v2
	s_cmp_lg_u64 vcc, 0
	s_addc_u32 s55, s55, s78
	v_readfirstlane_b32 s78, v2
	s_mul_i32 s73, s12, s55
	s_mul_hi_u32 s79, s12, s78
	s_add_i32 s73, s79, s73
	s_mul_i32 s54, s54, s78
	s_add_i32 s73, s73, s54
	s_mul_i32 s12, s12, s78
	s_mul_hi_u32 s79, s55, s12
	s_mul_i32 s80, s55, s12
	s_mul_i32 s84, s78, s73
	s_mul_hi_u32 s12, s78, s12
	s_mul_hi_u32 s81, s78, s73
	s_add_u32 s12, s12, s84
	s_addc_u32 s78, 0, s81
	s_add_u32 s12, s12, s80
	s_mul_hi_u32 s54, s55, s73
	s_addc_u32 s12, s78, s79
	s_addc_u32 s54, s54, 0
	s_mul_i32 s73, s55, s73
	s_add_u32 s12, s12, s73
	s_addc_u32 s54, 0, s54
	v_add_co_u32_e32 v2, vcc, s12, v2
	s_cmp_lg_u64 vcc, 0
	s_addc_u32 s12, s55, s54
	v_readfirstlane_b32 s73, v2
	s_mul_i32 s55, s72, s12
	s_mul_hi_u32 s78, s72, s73
	s_mul_hi_u32 s54, s72, s12
	s_add_u32 s55, s78, s55
	s_addc_u32 s54, 0, s54
	s_mul_hi_u32 s79, s13, s73
	s_mul_i32 s73, s13, s73
	s_add_u32 s55, s55, s73
	s_mul_hi_u32 s78, s13, s12
	s_addc_u32 s54, s54, s79
	s_addc_u32 s55, s78, 0
	s_mul_i32 s12, s13, s12
	s_add_u32 s12, s54, s12
	s_addc_u32 s54, 0, s55
	s_mul_hi_u32 s55, s33, s12
	s_mul_i32 s12, s33, s12
	s_mul_i32 s54, s33, s54
	v_mov_b32_e32 v2, s12
	s_add_i32 s55, s55, s54
	v_sub_co_u32_e32 v2, vcc, s72, v2
	s_cmp_lg_u64 vcc, 0
	s_subb_u32 s12, s13, s55
	v_subrev_co_u32_e32 v3, vcc, s33, v2
	s_cmp_lg_u64 vcc, 0
	s_subb_u32 s54, s12, 0
	v_subrev_co_u32_e32 v6, vcc, s33, v3
	s_cmp_lg_u64 vcc, 0
	s_subb_u32 s55, s54, 0
	v_cmp_le_u32_e32 vcc, s33, v3
	s_cmp_eq_u32 s54, 0
	v_cndmask_b32_e64 v7, 0, -1, vcc
	s_cselect_b64 vcc, -1, 0
	v_cndmask_b32_e32 v7, -1, v7, vcc
	v_mov_b32_e32 v8, s54
	v_mov_b32_e32 v9, s55
	v_cmp_ne_u32_e32 vcc, 0, v7
	v_cndmask_b32_e32 v7, v8, v9, vcc
	v_cndmask_b32_e32 v6, v3, v6, vcc
	v_cmp_le_u32_e32 vcc, s33, v2
	s_cmp_eq_u32 s12, 0
	v_cndmask_b32_e64 v3, 0, -1, vcc
	s_cselect_b64 vcc, -1, 0
	v_cndmask_b32_e32 v3, -1, v3, vcc
	v_mov_b32_e32 v8, s12
	v_cmp_ne_u32_e32 vcc, 0, v3
	v_cndmask_b32_e32 v3, v8, v7, vcc
	v_cndmask_b32_e32 v2, v2, v6, vcc
	s_mov_b64 s[54:55], 0
	s_branch .LBB144_425
.LBB144_421:                            ;   in Loop: Header=BB144_6 Depth=1
                                        ; implicit-def: $vgpr4_vgpr5
	s_branch .LBB144_375
.LBB144_422:                            ;   in Loop: Header=BB144_6 Depth=1
                                        ; implicit-def: $vgpr4_vgpr5
	s_branch .LBB144_391
.LBB144_423:                            ;   in Loop: Header=BB144_6 Depth=1
	s_mov_b64 s[4:5], -1
	s_mov_b64 s[72:73], 0
                                        ; implicit-def: $sgpr12_sgpr13
                                        ; implicit-def: $vgpr29
	s_branch .LBB144_437
.LBB144_424:                            ;   in Loop: Header=BB144_6 Depth=1
	s_mov_b64 s[54:55], -1
                                        ; implicit-def: $vgpr2_vgpr3
.LBB144_425:                            ;   in Loop: Header=BB144_6 Depth=1
	s_andn2_b64 vcc, exec, s[54:55]
	s_cbranch_vccnz .LBB144_427
; %bb.426:                              ;   in Loop: Header=BB144_6 Depth=1
	v_cvt_f32_u32_e32 v2, s33
	s_sub_i32 s12, 0, s33
	v_rcp_iflag_f32_e32 v2, v2
	v_mul_f32_e32 v2, 0x4f7ffffe, v2
	v_cvt_u32_f32_e32 v2, v2
	v_mul_lo_u32 v3, s12, v2
	v_mul_hi_u32 v3, v2, v3
	v_add_u32_e32 v2, v2, v3
	v_mul_hi_u32 v2, s72, v2
	v_mul_lo_u32 v2, v2, s33
	v_sub_u32_e32 v2, s72, v2
	v_subrev_u32_e32 v3, s33, v2
	v_cmp_le_u32_e32 vcc, s33, v2
	v_cndmask_b32_e32 v2, v2, v3, vcc
	v_subrev_u32_e32 v3, s33, v2
	v_cmp_le_u32_e32 vcc, s33, v2
	v_cndmask_b32_e32 v14, v2, v3, vcc
	v_pk_mov_b32 v[2:3], v[14:15], v[14:15] op_sel:[0,1]
.LBB144_427:                            ;   in Loop: Header=BB144_6 Depth=1
	v_mov_b32_e32 v6, s13
	v_sub_co_u32_e32 v2, vcc, s72, v2
	v_subb_co_u32_e32 v3, vcc, v6, v3, vcc
	v_cmp_gt_u64_e32 vcc, v[2:3], v[0:1]
	s_mov_b64 s[72:73], 0
                                        ; implicit-def: $vgpr29
	s_and_saveexec_b64 s[12:13], vcc
	s_cbranch_execz .LBB144_436
; %bb.428:                              ;   in Loop: Header=BB144_6 Depth=1
	s_mov_b64 s[54:55], 0
	v_mov_b32_e32 v8, v16
	v_pk_mov_b32 v[6:7], v[0:1], v[0:1] op_sel:[0,1]
                                        ; implicit-def: $sgpr72_sgpr73
	s_branch .LBB144_430
.LBB144_429:                            ;   in Loop: Header=BB144_430 Depth=2
	s_or_b64 exec, exec, s[78:79]
	s_waitcnt lgkmcnt(0)
	s_barrier
	ds_read_b64 v[28:29], v15 offset:3072
	v_mov_b32_e32 v9, s0
	v_add_co_u32_e32 v6, vcc, s33, v6
	v_addc_co_u32_e32 v7, vcc, v7, v9, vcc
	s_waitcnt lgkmcnt(0)
	v_readfirstlane_b32 s78, v28
	s_cmp_lg_u32 s78, 0
	s_cselect_b64 s[78:79], -1, 0
	v_cmp_ge_u64_e32 vcc, v[6:7], v[2:3]
	s_or_b64 s[80:81], vcc, s[78:79]
	s_and_b64 s[80:81], exec, s[80:81]
	s_or_b64 s[54:55], s[80:81], s[54:55]
	s_andn2_b64 s[72:73], s[72:73], exec
	s_and_b64 s[78:79], s[78:79], exec
	v_add_u32_e32 v8, s88, v8
	s_or_b64 s[72:73], s[72:73], s[78:79]
	s_barrier
	s_andn2_b64 exec, exec, s[54:55]
	s_cbranch_execz .LBB144_435
.LBB144_430:                            ;   Parent Loop BB144_6 Depth=1
                                        ; =>  This Inner Loop Header: Depth=2
	v_cmp_gt_u64_e32 vcc, s[4:5], v[6:7]
	s_waitcnt vmcnt(0)
	v_mov_b32_e32 v27, 0
	s_and_saveexec_b64 s[78:79], vcc
	s_cbranch_execz .LBB144_432
; %bb.431:                              ;   in Loop: Header=BB144_430 Depth=2
	ds_read_b32 v27, v8
.LBB144_432:                            ;   in Loop: Header=BB144_430 Depth=2
	s_or_b64 exec, exec, s[78:79]
	s_and_saveexec_b64 s[78:79], vcc
	s_cbranch_execz .LBB144_429
; %bb.433:                              ;   in Loop: Header=BB144_430 Depth=2
	s_waitcnt lgkmcnt(0)
	v_xor_b32_e32 v9, 0x80000000, v27
	v_and_b32_e32 v9, v9, v43
	v_cmp_eq_u32_e32 vcc, v9, v44
	s_and_b64 exec, exec, vcc
	s_cbranch_execz .LBB144_429
; %bb.434:                              ;   in Loop: Header=BB144_430 Depth=2
	ds_write_b64 v15, v[26:27] offset:3072
	s_branch .LBB144_429
.LBB144_435:                            ;   in Loop: Header=BB144_6 Depth=1
	s_or_b64 exec, exec, s[54:55]
	s_and_b64 s[72:73], s[72:73], exec
.LBB144_436:                            ;   in Loop: Header=BB144_6 Depth=1
	s_or_b64 exec, exec, s[12:13]
	s_mov_b64 s[4:5], 0
	s_mov_b64 s[12:13], -1
.LBB144_437:                            ;   in Loop: Header=BB144_6 Depth=1
	s_and_b64 vcc, exec, s[4:5]
	s_mov_b64 s[54:55], s[4:5]
	s_cbranch_vccz .LBB144_453
; %bb.438:                              ;   in Loop: Header=BB144_6 Depth=1
	v_readlane_b32 s68, v54, 33
	v_readlane_b32 s69, v54, 34
	s_mov_b32 s68, s83
	s_cmp_lg_u64 s[68:69], 0
	v_writelane_b32 v54, s68, 33
	v_writelane_b32 v54, s69, 34
	s_cbranch_scc0 .LBB144_440
; %bb.439:                              ;   in Loop: Header=BB144_6 Depth=1
	v_cvt_f32_u32_e32 v2, s33
	s_sub_u32 s4, 0, s33
	s_subb_u32 s5, 0, 0
	v_readlane_b32 s68, v54, 31
	v_mac_f32_e32 v2, 0, v42
	v_rcp_f32_e32 v2, v2
	v_mul_f32_e32 v2, 0x5f7ffffc, v2
	v_mul_f32_e32 v3, 0x2f800000, v2
	v_trunc_f32_e32 v3, v3
	v_mac_f32_e32 v2, 0xcf800000, v3
	v_cvt_u32_f32_e32 v3, v3
	v_cvt_u32_f32_e32 v2, v2
	v_readfirstlane_b32 s12, v3
	v_readfirstlane_b32 s13, v2
	s_mul_i32 s54, s4, s12
	s_mul_hi_u32 s72, s4, s13
	s_mul_i32 s55, s5, s13
	s_add_i32 s54, s72, s54
	s_mul_i32 s73, s4, s13
	s_add_i32 s54, s54, s55
	s_mul_hi_u32 s72, s13, s73
	s_mul_hi_u32 s55, s13, s54
	s_mul_i32 s13, s13, s54
	s_add_u32 s13, s72, s13
	s_addc_u32 s55, 0, s55
	s_mul_hi_u32 s78, s12, s73
	s_mul_i32 s73, s12, s73
	s_add_u32 s13, s13, s73
	s_mul_hi_u32 s72, s12, s54
	s_addc_u32 s13, s55, s78
	s_addc_u32 s55, s72, 0
	s_mul_i32 s54, s12, s54
	s_add_u32 s13, s13, s54
	s_addc_u32 s54, 0, s55
	v_add_co_u32_e32 v2, vcc, s13, v2
	s_cmp_lg_u64 vcc, 0
	s_addc_u32 s12, s12, s54
	v_readfirstlane_b32 s54, v2
	s_mul_i32 s13, s4, s12
	s_mul_hi_u32 s55, s4, s54
	s_add_i32 s13, s55, s13
	s_mul_i32 s5, s5, s54
	s_add_i32 s13, s13, s5
	s_mul_i32 s4, s4, s54
	s_mul_hi_u32 s55, s12, s4
	s_mul_i32 s72, s12, s4
	s_mul_i32 s78, s54, s13
	s_mul_hi_u32 s4, s54, s4
	s_mul_hi_u32 s73, s54, s13
	s_add_u32 s4, s4, s78
	s_addc_u32 s54, 0, s73
	s_add_u32 s4, s4, s72
	s_mul_hi_u32 s5, s12, s13
	s_addc_u32 s4, s54, s55
	s_addc_u32 s5, s5, 0
	s_mul_i32 s13, s12, s13
	s_add_u32 s4, s4, s13
	s_addc_u32 s5, 0, s5
	v_add_co_u32_e32 v2, vcc, s4, v2
	s_cmp_lg_u64 vcc, 0
	s_addc_u32 s4, s12, s5
	v_readfirstlane_b32 s13, v2
	s_mul_i32 s12, s68, s4
	s_mul_hi_u32 s54, s68, s13
	s_mul_hi_u32 s5, s68, s4
	s_add_u32 s12, s54, s12
	s_addc_u32 s5, 0, s5
	s_mul_hi_u32 s55, s69, s13
	s_mul_i32 s13, s69, s13
	s_add_u32 s12, s12, s13
	s_mul_hi_u32 s54, s69, s4
	s_addc_u32 s5, s5, s55
	s_addc_u32 s12, s54, 0
	s_mul_i32 s4, s69, s4
	s_add_u32 s4, s5, s4
	s_addc_u32 s5, 0, s12
	s_mul_hi_u32 s12, s33, s4
	s_mul_i32 s4, s33, s4
	s_mul_i32 s5, s33, s5
	v_mov_b32_e32 v2, s4
	s_add_i32 s12, s12, s5
	v_sub_co_u32_e32 v2, vcc, s68, v2
	s_cmp_lg_u64 vcc, 0
	s_subb_u32 s4, s69, s12
	v_subrev_co_u32_e32 v3, vcc, s33, v2
	s_cmp_lg_u64 vcc, 0
	s_subb_u32 s5, s4, 0
	v_subrev_co_u32_e32 v6, vcc, s33, v3
	s_cmp_lg_u64 vcc, 0
	s_subb_u32 s12, s5, 0
	v_cmp_le_u32_e32 vcc, s33, v3
	s_cmp_eq_u32 s5, 0
	v_cndmask_b32_e64 v7, 0, -1, vcc
	s_cselect_b64 vcc, -1, 0
	v_cndmask_b32_e32 v7, -1, v7, vcc
	v_mov_b32_e32 v8, s5
	v_mov_b32_e32 v9, s12
	v_cmp_ne_u32_e32 vcc, 0, v7
	v_cndmask_b32_e32 v7, v8, v9, vcc
	v_cndmask_b32_e32 v6, v3, v6, vcc
	v_cmp_le_u32_e32 vcc, s33, v2
	s_cmp_eq_u32 s4, 0
	v_cndmask_b32_e64 v3, 0, -1, vcc
	s_cselect_b64 vcc, -1, 0
	v_cndmask_b32_e32 v3, -1, v3, vcc
	v_mov_b32_e32 v8, s4
	v_cmp_ne_u32_e32 vcc, 0, v3
	v_cndmask_b32_e32 v3, v8, v7, vcc
	v_cndmask_b32_e32 v2, v2, v6, vcc
	s_mov_b64 s[4:5], 0
	s_branch .LBB144_441
.LBB144_440:                            ;   in Loop: Header=BB144_6 Depth=1
	s_mov_b64 s[4:5], -1
                                        ; implicit-def: $vgpr2_vgpr3
.LBB144_441:                            ;   in Loop: Header=BB144_6 Depth=1
	s_andn2_b64 vcc, exec, s[4:5]
	s_cbranch_vccnz .LBB144_443
; %bb.442:                              ;   in Loop: Header=BB144_6 Depth=1
	v_cvt_f32_u32_e32 v2, s33
	s_sub_i32 s4, 0, s33
	v_rcp_iflag_f32_e32 v2, v2
	v_mul_f32_e32 v2, 0x4f7ffffe, v2
	v_cvt_u32_f32_e32 v2, v2
	v_mul_lo_u32 v3, s4, v2
	v_mul_hi_u32 v3, v2, v3
	v_add_u32_e32 v2, v2, v3
	v_readlane_b32 s4, v54, 31
	v_mul_hi_u32 v2, s4, v2
	v_mul_lo_u32 v2, v2, s33
	v_sub_u32_e32 v2, s4, v2
	v_subrev_u32_e32 v3, s33, v2
	v_cmp_le_u32_e32 vcc, s33, v2
	v_cndmask_b32_e32 v2, v2, v3, vcc
	v_subrev_u32_e32 v3, s33, v2
	v_cmp_le_u32_e32 vcc, s33, v2
	v_cndmask_b32_e32 v14, v2, v3, vcc
	v_pk_mov_b32 v[2:3], v[14:15], v[14:15] op_sel:[0,1]
.LBB144_443:                            ;   in Loop: Header=BB144_6 Depth=1
	v_readlane_b32 s4, v54, 33
	v_readlane_b32 s5, v54, 34
	v_readlane_b32 s4, v54, 31
	v_mov_b32_e32 v6, s5
	v_sub_co_u32_e32 v2, vcc, s4, v2
	v_subb_co_u32_e32 v3, vcc, v6, v3, vcc
	v_cmp_gt_u64_e32 vcc, v[2:3], v[0:1]
	s_mov_b64 s[72:73], 0
                                        ; implicit-def: $vgpr29
	s_and_saveexec_b64 s[4:5], vcc
	s_cbranch_execz .LBB144_452
; %bb.444:                              ;   in Loop: Header=BB144_6 Depth=1
	s_mov_b64 s[12:13], 0
	v_pk_mov_b32 v[6:7], v[12:13], v[12:13] op_sel:[0,1]
	v_pk_mov_b32 v[8:9], v[0:1], v[0:1] op_sel:[0,1]
                                        ; implicit-def: $sgpr54_sgpr55
	s_branch .LBB144_446
.LBB144_445:                            ;   in Loop: Header=BB144_446 Depth=2
	s_or_b64 exec, exec, s[72:73]
	s_waitcnt lgkmcnt(0)
	s_barrier
	ds_read_b64 v[28:29], v15 offset:3072
	v_mov_b32_e32 v14, s0
	v_add_co_u32_e32 v8, vcc, s33, v8
	v_addc_co_u32_e32 v9, vcc, v9, v14, vcc
	s_waitcnt lgkmcnt(0)
	v_readfirstlane_b32 s72, v28
	s_cmp_lg_u32 s72, 0
	s_cselect_b64 s[72:73], -1, 0
	v_cmp_ge_u64_e32 vcc, v[8:9], v[2:3]
	s_or_b64 s[78:79], vcc, s[72:73]
	s_and_b64 s[78:79], exec, s[78:79]
	s_or_b64 s[12:13], s[78:79], s[12:13]
	v_mov_b32_e32 v14, s61
	v_add_co_u32_e32 v6, vcc, s60, v6
	s_andn2_b64 s[54:55], s[54:55], exec
	s_and_b64 s[72:73], s[72:73], exec
	v_addc_co_u32_e32 v7, vcc, v7, v14, vcc
	s_or_b64 s[54:55], s[54:55], s[72:73]
	s_barrier
	s_andn2_b64 exec, exec, s[12:13]
	s_cbranch_execz .LBB144_451
.LBB144_446:                            ;   Parent Loop BB144_6 Depth=1
                                        ; =>  This Inner Loop Header: Depth=2
	v_cmp_gt_u64_e32 vcc, s[56:57], v[8:9]
	s_waitcnt vmcnt(0)
	v_mov_b32_e32 v27, 0
	s_and_saveexec_b64 s[72:73], vcc
	s_cbranch_execz .LBB144_448
; %bb.447:                              ;   in Loop: Header=BB144_446 Depth=2
	global_load_dword v27, v[6:7], off
.LBB144_448:                            ;   in Loop: Header=BB144_446 Depth=2
	s_or_b64 exec, exec, s[72:73]
	s_and_saveexec_b64 s[72:73], vcc
	s_cbranch_execz .LBB144_445
; %bb.449:                              ;   in Loop: Header=BB144_446 Depth=2
	s_waitcnt vmcnt(0)
	v_xor_b32_e32 v14, 0x80000000, v27
	v_and_b32_e32 v14, v14, v43
	v_cmp_eq_u32_e32 vcc, v14, v44
	s_and_b64 exec, exec, vcc
	s_cbranch_execz .LBB144_445
; %bb.450:                              ;   in Loop: Header=BB144_446 Depth=2
	ds_write_b64 v15, v[26:27] offset:3072
	s_branch .LBB144_445
.LBB144_451:                            ;   in Loop: Header=BB144_6 Depth=1
	s_or_b64 exec, exec, s[12:13]
	s_and_b64 s[72:73], s[54:55], exec
.LBB144_452:                            ;   in Loop: Header=BB144_6 Depth=1
	s_or_b64 exec, exec, s[4:5]
	s_mov_b64 s[12:13], 0
	s_mov_b64 s[4:5], -1
	s_mov_b64 s[54:55], 0
.LBB144_453:                            ;   in Loop: Header=BB144_6 Depth=1
	s_orn2_b64 s[72:73], s[72:73], exec
.LBB144_454:                            ;   in Loop: Header=BB144_6 Depth=1
	s_or_b64 exec, exec, s[52:53]
	s_mov_b64 s[78:79], 0
                                        ; implicit-def: $vgpr8
                                        ; implicit-def: $vgpr2_vgpr3
	s_and_saveexec_b64 s[52:53], s[72:73]
	s_cbranch_execz .LBB144_466
; %bb.455:                              ;   in Loop: Header=BB144_6 Depth=1
	v_mov_b32_e32 v2, 1
	s_xor_b64 s[72:73], s[50:51], -1
	v_mov_b32_e32 v8, 1
	v_mov_b32_e32 v3, 0
	s_and_saveexec_b64 s[50:51], s[72:73]
	s_cbranch_execz .LBB144_465
; %bb.456:                              ;   in Loop: Header=BB144_6 Depth=1
	v_cmp_ge_u64_e32 vcc, s[16:17], v[4:5]
                                        ; implicit-def: $sgpr78
	s_and_saveexec_b64 s[72:73], vcc
	s_xor_b64 s[72:73], exec, s[72:73]
	s_cbranch_execz .LBB144_462
; %bb.457:                              ;   in Loop: Header=BB144_6 Depth=1
	ds_read_b64 v[2:3], v15 offset:5120
	s_waitcnt lgkmcnt(0)
	v_cmp_ne_u64_e32 vcc, 0, v[2:3]
	s_cbranch_vccnz .LBB144_461
; %bb.458:                              ;   in Loop: Header=BB144_6 Depth=1
	v_readlane_b32 s68, v54, 8
	v_readlane_b32 s69, v54, 9
	s_and_saveexec_b64 s[78:79], s[68:69]
	s_cbranch_execz .LBB144_460
; %bb.459:                              ;   in Loop: Header=BB144_6 Depth=1
	v_pk_mov_b32 v[2:3], s[16:17], s[16:17] op_sel:[0,1]
	ds_write_b64 v15, v[2:3] offset:5128
.LBB144_460:                            ;   in Loop: Header=BB144_6 Depth=1
	s_or_b64 exec, exec, s[78:79]
	s_waitcnt lgkmcnt(0)
	s_barrier
.LBB144_461:                            ;   in Loop: Header=BB144_6 Depth=1
	v_and_b32_e32 v44, s90, v44
	v_or_b32_e32 v43, s82, v43
	s_mov_b32 s78, 5
.LBB144_462:                            ;   in Loop: Header=BB144_6 Depth=1
	s_or_saveexec_b64 s[72:73], s[72:73]
	v_mov_b32_e32 v8, s78
	s_xor_b64 exec, exec, s[72:73]
; %bb.463:                              ;   in Loop: Header=BB144_6 Depth=1
	v_mov_b32_e32 v2, s17
	v_subrev_co_u32_e32 v4, vcc, s16, v4
	v_subb_co_u32_e32 v5, vcc, v5, v2, vcc
	v_mov_b32_e32 v8, 5
; %bb.464:                              ;   in Loop: Header=BB144_6 Depth=1
	s_or_b64 exec, exec, s[72:73]
	v_pk_mov_b32 v[2:3], v[4:5], v[4:5] op_sel:[0,1]
.LBB144_465:                            ;   in Loop: Header=BB144_6 Depth=1
	s_or_b64 exec, exec, s[50:51]
	s_mov_b64 s[78:79], exec
.LBB144_466:                            ;   in Loop: Header=BB144_6 Depth=1
	s_or_b64 exec, exec, s[52:53]
	s_orn2_b64 s[50:51], s[78:79], exec
	v_pk_mov_b32 v[4:5], v[2:3], v[2:3] op_sel:[0,1]
.LBB144_467:                            ;   in Loop: Header=BB144_6 Depth=1
	s_or_b64 exec, exec, s[18:19]
	s_andn2_b64 s[2:3], s[2:3], exec
	s_and_b64 s[4:5], s[4:5], exec
	s_or_b64 s[2:3], s[2:3], s[4:5]
	s_andn2_b64 s[4:5], s[44:45], exec
	s_and_b64 s[12:13], s[12:13], exec
	s_or_b64 s[44:45], s[4:5], s[12:13]
	;; [unrolled: 3-line block ×3, first 2 shown]
	s_and_b64 s[12:13], s[50:51], exec
	v_pk_mov_b32 v[2:3], v[4:5], v[4:5] op_sel:[0,1]
.LBB144_468:                            ;   in Loop: Header=BB144_6 Depth=1
	s_or_b64 exec, exec, s[48:49]
	s_and_b64 s[48:49], s[2:3], exec
	s_and_b64 s[44:45], s[44:45], exec
	;; [unrolled: 1-line block ×3, first 2 shown]
	s_orn2_b64 s[2:3], s[12:13], exec
.LBB144_469:                            ;   in Loop: Header=BB144_6 Depth=1
	s_or_b64 exec, exec, s[22:23]
	s_andn2_b64 s[12:13], s[24:25], exec
	s_and_b64 s[16:17], s[48:49], exec
	s_or_b64 s[24:25], s[12:13], s[16:17]
	s_andn2_b64 s[12:13], s[36:37], exec
	s_and_b64 s[16:17], s[44:45], exec
	s_or_b64 s[36:37], s[12:13], s[16:17]
	;; [unrolled: 3-line block ×3, first 2 shown]
	s_and_b64 s[44:45], s[2:3], exec
	v_pk_mov_b32 v[4:5], v[2:3], v[2:3] op_sel:[0,1]
.LBB144_470:                            ;   in Loop: Header=BB144_6 Depth=1
	s_or_b64 exec, exec, s[42:43]
	s_and_b64 s[12:13], s[24:25], exec
	s_and_b64 s[4:5], s[36:37], exec
	;; [unrolled: 1-line block ×3, first 2 shown]
	s_orn2_b64 s[24:25], s[44:45], exec
.LBB144_471:                            ;   in Loop: Header=BB144_6 Depth=1
	s_or_b64 exec, exec, s[6:7]
	s_mov_b64 s[6:7], s[28:29]
	s_mov_b64 s[16:17], s[26:27]
	s_and_saveexec_b64 s[18:19], s[24:25]
; %bb.472:                              ;   in Loop: Header=BB144_6 Depth=1
	v_cmp_ne_u32_e64 s[6:7], 5, v8
	v_cmp_eq_u32_e32 vcc, 5, v8
	s_andn2_b64 s[16:17], s[26:27], exec
	s_and_b64 s[6:7], s[6:7], exec
	s_or_b64 s[16:17], s[16:17], s[6:7]
	s_andn2_b64 s[6:7], s[28:29], exec
	s_and_b64 s[22:23], vcc, exec
	s_andn2_b64 s[12:13], s[12:13], exec
	s_andn2_b64 s[4:5], s[4:5], exec
	;; [unrolled: 1-line block ×3, first 2 shown]
	s_or_b64 s[6:7], s[6:7], s[22:23]
; %bb.473:                              ;   in Loop: Header=BB144_6 Depth=1
	s_or_b64 exec, exec, s[18:19]
	s_andn2_b64 s[14:15], s[14:15], exec
	s_and_b64 s[12:13], s[12:13], exec
	s_or_b64 s[14:15], s[14:15], s[12:13]
	s_andn2_b64 s[12:13], s[38:39], exec
	s_and_b64 s[4:5], s[4:5], exec
	s_or_b64 s[38:39], s[12:13], s[4:5]
	;; [unrolled: 3-line block ×5, first 2 shown]
	v_mov_b32_e32 v28, v44
	v_mov_b32_e32 v34, v43
	v_mov_b32_e32 v3, v29
.LBB144_474:                            ;   in Loop: Header=BB144_6 Depth=1
	s_or_b64 exec, exec, s[34:35]
	s_mov_b64 s[36:37], s[20:21]
	s_mov_b64 s[34:35], s[20:21]
	s_and_saveexec_b64 s[2:3], s[28:29]
.LBB144_475:                            ;   in Loop: Header=BB144_6 Depth=1
	v_mov_b32_e32 v8, 0
	s_andn2_b64 s[20:21], s[20:21], exec
	s_andn2_b64 s[14:15], s[14:15], exec
	;; [unrolled: 1-line block ×5, first 2 shown]
	s_or_b64 s[26:27], s[26:27], exec
.LBB144_476:                            ;   in Loop: Header=BB144_6 Depth=1
	s_or_b64 exec, exec, s[2:3]
	s_andn2_b64 s[2:3], s[86:87], exec
	s_and_b64 s[6:7], s[20:21], exec
	s_or_b64 s[86:87], s[2:3], s[6:7]
	s_andn2_b64 s[2:3], s[10:11], exec
	s_and_b64 s[6:7], s[14:15], exec
	s_or_b64 s[10:11], s[2:3], s[6:7]
	;; [unrolled: 3-line block ×3, first 2 shown]
	v_readlane_b32 s2, v54, 50
	v_readlane_b32 s3, v54, 51
	s_andn2_b64 s[2:3], s[2:3], exec
	s_and_b64 s[6:7], s[36:37], exec
	s_or_b64 s[36:37], s[2:3], s[6:7]
	v_readlane_b32 s2, v54, 48
	v_readlane_b32 s3, v54, 49
	s_andn2_b64 s[2:3], s[2:3], exec
	s_and_b64 s[6:7], s[34:35], exec
	s_mov_b64 s[4:5], -1
	s_or_b64 s[28:29], s[2:3], s[6:7]
                                        ; implicit-def: $vgpr43
                                        ; implicit-def: $vgpr44
                                        ; implicit-def: $vgpr30_vgpr31
                                        ; implicit-def: $vgpr29
	s_and_saveexec_b64 s[2:3], s[26:27]
	s_xor_b64 s[2:3], exec, s[2:3]
	s_cbranch_execz .LBB144_5
; %bb.477:                              ;   in Loop: Header=BB144_6 Depth=1
	v_cmp_eq_u32_e32 vcc, 0, v8
	s_mov_b64 s[6:7], -1
	s_and_saveexec_b64 s[12:13], vcc
	s_cbranch_execz .LBB144_4
; %bb.478:                              ;   in Loop: Header=BB144_6 Depth=1
	v_readlane_b32 s4, v54, 47
	s_xor_b32 s4, s4, 1
	v_writelane_b32 v54, s4, 47
	v_readlane_b32 s4, v54, 46
	s_add_i32 s14, s4, -2
	s_cmp_eq_u32 s4, 0
	s_cselect_b64 s[4:5], -1, 0
	s_xor_b64 s[6:7], exec, -1
	s_orn2_b64 s[4:5], s[4:5], exec
	v_writelane_b32 v54, s14, 46
	s_branch .LBB144_4
.LBB144_479:
	s_or_b64 exec, exec, s[74:75]
	s_xor_b64 s[4:5], s[92:93], -1
	s_xor_b64 s[14:15], s[64:65], -1
	;; [unrolled: 1-line block ×5, first 2 shown]
	s_mov_b64 s[8:9], 0
	s_and_saveexec_b64 s[10:11], s[6:7]
	s_xor_b64 s[6:7], exec, s[10:11]
	s_cbranch_execnz .LBB144_484
; %bb.480:
	s_andn2_saveexec_b64 s[0:1], s[6:7]
	s_cbranch_execnz .LBB144_503
.LBB144_481:
	s_or_b64 exec, exec, s[0:1]
	s_and_saveexec_b64 s[0:1], s[8:9]
.LBB144_482:
	; divergent unreachable
.LBB144_483:
	s_endpgm
.LBB144_484:
	s_mov_b64 s[10:11], 0
	s_and_saveexec_b64 s[8:9], s[12:13]
	s_xor_b64 s[8:9], exec, s[8:9]
	s_cbranch_execz .LBB144_501
; %bb.485:
	s_mov_b64 s[12:13], 0
	s_and_saveexec_b64 s[10:11], s[14:15]
	s_xor_b64 s[10:11], exec, s[10:11]
	s_cbranch_execz .LBB144_499
; %bb.486:
	;; [unrolled: 5-line block ×3, first 2 shown]
	s_and_saveexec_b64 s[4:5], s[2:3]
	s_xor_b64 s[2:3], exec, s[4:5]
; %bb.488:
	v_xor_b32_e32 v3, 0x80000000, v28
; %bb.489:
	s_or_b64 exec, exec, s[2:3]
	s_mov_b64 s[2:3], exec
	v_readlane_b32 s20, v54, 10
	v_readlane_b32 s21, v54, 11
	s_load_dwordx2 s[38:39], s[20:21], 0x0
	v_readlane_b32 s4, v54, 8
	v_readlane_b32 s5, v54, 9
	;; [unrolled: 1-line block ×3, first 2 shown]
	s_and_b64 s[4:5], s[2:3], s[4:5]
	v_readlane_b32 s41, v54, 17
	s_mov_b64 exec, s[4:5]
	s_cbranch_execz .LBB144_491
; %bb.490:
	v_mov_b32_e32 v4, 0
	v_mov_b32_e32 v5, v4
	ds_write_b64 v4, v[4:5] offset:5136
.LBB144_491:
	s_or_b64 exec, exec, s[2:3]
	v_mov_b32_e32 v21, 0
	s_waitcnt lgkmcnt(0)
	s_barrier
	s_mov_b64 s[2:3], exec
	v_readlane_b32 s4, v54, 24
	v_readlane_b32 s5, v54, 25
	s_and_b64 s[4:5], s[2:3], s[4:5]
	s_mov_b64 exec, s[4:5]
	s_cbranch_execz .LBB144_493
; %bb.492:
	global_load_dword v21, v[12:13], off
.LBB144_493:
	s_or_b64 exec, exec, s[2:3]
	v_readlane_b32 s4, v54, 4
	s_add_u32 s1, s56, 63
	v_readlane_b32 s2, v54, 12
	v_readlane_b32 s5, v54, 5
	;; [unrolled: 1-line block ×3, first 2 shown]
	s_addc_u32 s15, s57, 0
	s_and_b32 s14, s1, 0xffffffc0
	v_readlane_b32 s3, v54, 13
	s_mov_b32 s16, s2
	s_mul_i32 s1, s5, s2
	s_mul_hi_u32 s2, s4, s2
	v_readlane_b32 s19, v54, 1
	s_add_i32 s3, s2, s1
	s_mul_i32 s2, s4, s16
	s_mul_i32 s1, s19, s16
	s_mul_hi_u32 s4, s18, s16
	s_add_i32 s5, s4, s1
	s_mul_i32 s4, s18, s16
	s_lshl_b64 s[2:3], s[2:3], 2
	v_readlane_b32 s16, v54, 6
	v_readlane_b32 s17, v54, 7
	s_add_u32 s1, s16, s2
	s_addc_u32 s46, s17, s3
	s_load_dwordx2 s[16:17], s[20:21], 0x368
	s_load_dwordx2 s[18:19], s[20:21], 0x510
	s_lshl_b64 s[2:3], s[4:5], 3
	v_readlane_b32 s4, v54, 2
	v_readlane_b32 s5, v54, 3
	s_add_u32 s47, s4, s2
	s_addc_u32 s48, s5, s3
	v_cmp_gt_u64_e32 vcc, s[14:15], v[0:1]
	s_mov_b64 s[22:23], -1
	s_mov_b64 s[2:3], 0
	v_add_u32_e32 v2, s33, v0
	s_mov_b64 s[4:5], 0
	s_and_saveexec_b64 s[20:21], vcc
	s_cbranch_execnz .LBB144_504
; %bb.494:
	s_or_b64 exec, exec, s[20:21]
	s_and_saveexec_b64 s[20:21], s[22:23]
	s_cbranch_execnz .LBB144_519
.LBB144_495:
	s_or_b64 exec, exec, s[20:21]
	s_and_saveexec_b64 s[0:1], s[4:5]
	s_xor_b64 s[0:1], exec, s[0:1]
	s_cbranch_execnz .LBB144_541
.LBB144_496:
	s_or_b64 exec, exec, s[0:1]
	s_and_b64 s[14:15], s[2:3], exec
.LBB144_497:
	s_andn2_saveexec_b64 s[0:1], s[12:13]
	s_cbranch_execnz .LBB144_544
.LBB144_498:
	s_or_b64 exec, exec, s[0:1]
	s_and_b64 s[12:13], s[14:15], exec
.LBB144_499:
	s_andn2_saveexec_b64 s[0:1], s[10:11]
	s_cbranch_execnz .LBB144_543
.LBB144_500:
	s_or_b64 exec, exec, s[0:1]
	s_and_b64 s[10:11], s[12:13], exec
.LBB144_501:
	s_andn2_saveexec_b64 s[0:1], s[8:9]
	s_cbranch_execnz .LBB144_542
.LBB144_502:
	s_or_b64 exec, exec, s[0:1]
	s_and_b64 s[8:9], s[10:11], exec
	s_andn2_saveexec_b64 s[0:1], s[6:7]
	s_cbranch_execz .LBB144_481
.LBB144_503:
	s_or_b64 s[8:9], s[8:9], exec
	s_trap 2
	s_or_b64 exec, exec, s[0:1]
	s_and_saveexec_b64 s[0:1], s[8:9]
	s_cbranch_execnz .LBB144_482
	s_branch .LBB144_483
.LBB144_504:
	v_mad_u64_u32 v[4:5], s[4:5], s62, v2, 0
	v_mov_b32_e32 v6, v5
	v_mad_u64_u32 v[6:7], s[4:5], s63, v2, v[6:7]
	v_readlane_b32 s4, v54, 14
	v_mov_b32_e32 v5, v6
	v_readlane_b32 s5, v54, 15
	s_add_u32 s4, s38, s4
	v_lshlrev_b64 v[4:5], 2, v[4:5]
	s_addc_u32 s5, s39, s5
	v_mov_b32_e32 v6, s5
	v_add_co_u32_e32 v4, vcc, s4, v4
	v_xor_b32_e32 v20, 0x80000000, v3
	v_addc_co_u32_e32 v5, vcc, v6, v5, vcc
	s_mov_b64 s[22:23], 0
	v_mov_b32_e32 v22, s0
	v_mov_b32_e32 v7, 0
	v_pk_mov_b32 v[16:17], v[0:1], v[0:1] op_sel:[0,1]
                                        ; implicit-def: $sgpr24_sgpr25
                                        ; implicit-def: $vgpr14_vgpr15
	s_branch .LBB144_506
.LBB144_505:                            ;   in Loop: Header=BB144_506 Depth=1
	s_or_b64 exec, exec, s[26:27]
	s_xor_b64 s[26:27], s[30:31], -1
	s_and_b64 s[4:5], exec, s[4:5]
	s_or_b64 s[22:23], s[4:5], s[22:23]
	s_andn2_b64 s[4:5], s[24:25], exec
	s_and_b64 s[24:25], s[26:27], exec
	s_or_b64 s[24:25], s[4:5], s[24:25]
	v_mov_b32_e32 v21, v23
	v_pk_mov_b32 v[16:17], v[8:9], v[8:9] op_sel:[0,1]
	s_andn2_b64 exec, exec, s[22:23]
	s_cbranch_execz .LBB144_518
.LBB144_506:                            ; =>This Inner Loop Header: Depth=1
	v_add_co_u32_e32 v8, vcc, s33, v16
	v_addc_co_u32_e32 v9, vcc, v17, v22, vcc
	v_cmp_gt_u64_e32 vcc, s[56:57], v[8:9]
	v_mov_b32_e32 v23, 0
	s_and_saveexec_b64 s[4:5], vcc
	s_cbranch_execz .LBB144_508
; %bb.507:                              ;   in Loop: Header=BB144_506 Depth=1
	global_load_dword v23, v[4:5], off
.LBB144_508:                            ;   in Loop: Header=BB144_506 Depth=1
	s_or_b64 exec, exec, s[4:5]
	s_waitcnt vmcnt(0)
	v_xor_b32_e32 v6, 0x80000000, v21
	v_cmp_gt_u32_e64 s[4:5], v6, v20
	v_cndmask_b32_e64 v18, 0, 1, s[4:5]
	v_cmp_lt_u32_e64 s[4:5], v6, v20
	v_cndmask_b32_e64 v6, 0, 1, s[4:5]
	v_cndmask_b32_e64 v6, v6, v18, s[40:41]
	v_and_b32_e32 v6, 1, v6
	v_cmp_gt_u64_e32 vcc, s[56:57], v[16:17]
	v_cmp_eq_u32_e64 s[4:5], 1, v6
	s_and_b64 s[28:29], vcc, s[4:5]
	v_cndmask_b32_e64 v6, 0, 1, s[28:29]
	v_cmp_ne_u32_e32 vcc, 0, v6
	s_cmp_lg_u64 vcc, 0
	s_cselect_b64 s[4:5], -1, 0
	s_and_b64 s[4:5], s[94:95], s[4:5]
	s_and_saveexec_b64 s[26:27], s[4:5]
	s_cbranch_execz .LBB144_512
; %bb.509:                              ;   in Loop: Header=BB144_506 Depth=1
	s_mov_b64 s[34:35], exec
	v_mbcnt_lo_u32_b32 v6, s34, 0
	v_mbcnt_hi_u32_b32 v18, s35, v6
	s_bcnt1_i32_b64 s36, vcc
	v_cmp_eq_u32_e64 s[4:5], 0, v18
                                        ; implicit-def: $vgpr14_vgpr15
	s_and_saveexec_b64 s[30:31], s[4:5]
	s_cbranch_execz .LBB144_511
; %bb.510:                              ;   in Loop: Header=BB144_506 Depth=1
	s_bcnt1_i32_b64 s4, s[34:35]
	s_mul_i32 s4, s36, s4
	v_mov_b32_e32 v6, s4
	s_waitcnt lgkmcnt(0)
	ds_add_rtn_u64 v[14:15], v7, v[6:7] offset:5136
.LBB144_511:                            ;   in Loop: Header=BB144_506 Depth=1
	s_or_b64 exec, exec, s[30:31]
	s_waitcnt lgkmcnt(0)
	v_readfirstlane_b32 s4, v15
	v_readfirstlane_b32 s5, v14
	v_mov_b32_e32 v14, s5
	v_mov_b32_e32 v15, s4
	v_mad_u64_u32 v[14:15], s[4:5], s36, v18, v[14:15]
.LBB144_512:                            ;   in Loop: Header=BB144_506 Depth=1
	s_or_b64 exec, exec, s[26:27]
	s_waitcnt lgkmcnt(0)
	ds_bpermute_b32 v14, v36, v14
	ds_bpermute_b32 v15, v36, v15
	s_mov_b64 s[4:5], -1
	s_mov_b64 s[34:35], -1
                                        ; implicit-def: $sgpr30_sgpr31
	s_and_saveexec_b64 s[26:27], s[28:29]
	s_cbranch_execz .LBB144_516
; %bb.513:                              ;   in Loop: Header=BB144_506 Depth=1
	v_and_b32_e32 v18, vcc_lo, v10
	v_and_b32_e32 v6, vcc_hi, v11
	v_bcnt_u32_b32 v18, v18, 0
	v_bcnt_u32_b32 v6, v6, v18
	s_waitcnt lgkmcnt(0)
	v_add_co_u32_e32 v18, vcc, v14, v6
	v_addc_co_u32_e32 v19, vcc, 0, v15, vcc
	v_cmp_gt_u64_e32 vcc, s[58:59], v[18:19]
	s_mov_b64 s[28:29], 0
	s_and_saveexec_b64 s[30:31], vcc
	s_cbranch_execz .LBB144_515
; %bb.514:                              ;   in Loop: Header=BB144_506 Depth=1
	v_mul_lo_u32 v6, v19, s16
	v_mul_lo_u32 v26, v18, s17
	v_mad_u64_u32 v[24:25], s[34:35], v18, s16, 0
	v_add3_u32 v25, v25, v26, v6
	v_mul_lo_u32 v6, v19, s18
	v_mul_lo_u32 v26, v18, s19
	v_mad_u64_u32 v[18:19], s[34:35], v18, s18, 0
	v_lshlrev_b64 v[24:25], 2, v[24:25]
	v_add3_u32 v19, v19, v26, v6
	v_mov_b32_e32 v6, s46
	v_add_co_u32_e32 v24, vcc, s1, v24
	v_addc_co_u32_e32 v25, vcc, v6, v25, vcc
	v_lshlrev_b64 v[18:19], 3, v[18:19]
	v_mov_b32_e32 v6, s48
	v_add_co_u32_e32 v18, vcc, s47, v18
	s_mov_b64 s[28:29], exec
	v_addc_co_u32_e32 v19, vcc, v6, v19, vcc
	global_store_dword v[24:25], v21, off
	global_store_dwordx2 v[18:19], v[16:17], off
.LBB144_515:                            ;   in Loop: Header=BB144_506 Depth=1
	s_or_b64 exec, exec, s[30:31]
	s_mov_b64 s[30:31], -1
	s_orn2_b64 s[34:35], s[28:29], exec
.LBB144_516:                            ;   in Loop: Header=BB144_506 Depth=1
	s_or_b64 exec, exec, s[26:27]
	s_and_saveexec_b64 s[26:27], s[34:35]
	s_cbranch_execz .LBB144_505
; %bb.517:                              ;   in Loop: Header=BB144_506 Depth=1
	v_mov_b32_e32 v6, s61
	v_add_co_u32_e32 v4, vcc, s60, v4
	v_addc_co_u32_e32 v5, vcc, v5, v6, vcc
	v_cmp_le_u64_e32 vcc, s[14:15], v[8:9]
	s_andn2_b64 s[30:31], s[30:31], exec
	s_orn2_b64 s[4:5], vcc, exec
	s_branch .LBB144_505
.LBB144_518:
	s_or_b64 exec, exec, s[22:23]
	s_mov_b64 s[4:5], exec
	s_orn2_b64 s[22:23], s[24:25], exec
	s_or_b64 exec, exec, s[20:21]
	s_and_saveexec_b64 s[20:21], s[22:23]
	s_cbranch_execz .LBB144_495
.LBB144_519:
	v_mov_b32_e32 v5, 0
	s_waitcnt lgkmcnt(0)
	v_mov_b32_e32 v14, 0
	s_barrier
	s_mov_b64 s[2:3], exec
	v_readlane_b32 s22, v54, 24
	v_readlane_b32 s23, v54, 25
	s_and_b64 s[22:23], s[2:3], s[22:23]
	s_mov_b64 exec, s[22:23]
	s_cbranch_execz .LBB144_521
; %bb.520:
	global_load_dword v14, v[12:13], off
.LBB144_521:
	s_or_b64 exec, exec, s[2:3]
	v_mad_u64_u32 v[6:7], s[2:3], s62, v2, 0
	v_mov_b32_e32 v4, v7
	v_mad_u64_u32 v[8:9], s[2:3], s63, v2, v[4:5]
	v_readlane_b32 s2, v54, 14
	v_mov_b32_e32 v7, v8
	v_readlane_b32 s3, v54, 15
	s_add_u32 s2, s38, s2
	v_lshlrev_b64 v[6:7], 2, v[6:7]
	s_addc_u32 s3, s39, s3
	v_mov_b32_e32 v2, s3
	v_add_co_u32_e32 v6, vcc, s2, v6
	v_addc_co_u32_e32 v7, vcc, v2, v7, vcc
	s_mov_b64 s[24:25], 0
                                        ; implicit-def: $sgpr22_sgpr23
                                        ; implicit-def: $sgpr26_sgpr27
                                        ; implicit-def: $sgpr28_sgpr29
                                        ; implicit-def: $vgpr8_vgpr9
	s_branch .LBB144_524
.LBB144_522:                            ;   in Loop: Header=BB144_524 Depth=1
	s_or_b64 exec, exec, s[36:37]
	s_andn2_b64 s[28:29], s[28:29], exec
	s_and_b64 s[34:35], s[40:41], exec
	s_andn2_b64 s[26:27], s[26:27], exec
	s_and_b64 s[2:3], s[2:3], exec
	s_or_b64 s[28:29], s[28:29], s[34:35]
	s_or_b64 s[26:27], s[26:27], s[2:3]
	v_pk_mov_b32 v[0:1], v[12:13], v[12:13] op_sel:[0,1]
.LBB144_523:                            ;   in Loop: Header=BB144_524 Depth=1
	s_or_b64 exec, exec, s[30:31]
	s_xor_b64 s[2:3], s[28:29], -1
	s_and_b64 s[30:31], exec, s[26:27]
	s_or_b64 s[24:25], s[30:31], s[24:25]
	s_andn2_b64 s[22:23], s[22:23], exec
	s_and_b64 s[2:3], s[2:3], exec
	s_or_b64 s[22:23], s[22:23], s[2:3]
	s_andn2_b64 exec, exec, s[24:25]
	s_cbranch_execz .LBB144_539
.LBB144_524:                            ; =>This Inner Loop Header: Depth=1
	v_cmp_gt_u64_e32 vcc, s[14:15], v[0:1]
	s_or_b64 s[28:29], s[28:29], exec
	s_or_b64 s[26:27], s[26:27], exec
	s_and_saveexec_b64 s[30:31], vcc
	s_cbranch_execz .LBB144_523
; %bb.525:                              ;   in Loop: Header=BB144_524 Depth=1
	v_mov_b32_e32 v2, s0
	v_add_co_u32_e32 v12, vcc, s33, v0
	v_addc_co_u32_e32 v13, vcc, v1, v2, vcc
	v_cmp_gt_u64_e32 vcc, s[56:57], v[12:13]
	v_mov_b32_e32 v2, 0
	s_and_saveexec_b64 s[2:3], vcc
	s_cbranch_execz .LBB144_527
; %bb.526:                              ;   in Loop: Header=BB144_524 Depth=1
	global_load_dword v2, v[6:7], off
.LBB144_527:                            ;   in Loop: Header=BB144_524 Depth=1
	s_or_b64 exec, exec, s[2:3]
	v_cmp_gt_u64_e32 vcc, s[56:57], v[0:1]
	s_waitcnt vmcnt(0)
	v_cmp_eq_u32_e64 s[2:3], v14, v3
	s_and_b64 s[36:37], vcc, s[2:3]
	v_cndmask_b32_e64 v4, 0, 1, s[36:37]
	v_cmp_ne_u32_e32 vcc, 0, v4
	s_cmp_lg_u64 vcc, 0
	s_cselect_b64 s[2:3], -1, 0
	s_and_b64 s[2:3], s[94:95], s[2:3]
	s_and_saveexec_b64 s[34:35], s[2:3]
	s_cbranch_execz .LBB144_531
; %bb.528:                              ;   in Loop: Header=BB144_524 Depth=1
	s_mov_b64 s[40:41], exec
	v_mbcnt_lo_u32_b32 v4, s40, 0
	v_mbcnt_hi_u32_b32 v15, s41, v4
	s_bcnt1_i32_b64 s42, vcc
	v_cmp_eq_u32_e64 s[2:3], 0, v15
                                        ; implicit-def: $vgpr8_vgpr9
	s_and_saveexec_b64 s[38:39], s[2:3]
	s_cbranch_execz .LBB144_530
; %bb.529:                              ;   in Loop: Header=BB144_524 Depth=1
	s_bcnt1_i32_b64 s2, s[40:41]
	s_mul_i32 s2, s42, s2
	v_mov_b32_e32 v4, s2
	ds_add_rtn_u64 v[8:9], v5, v[4:5] offset:5136
.LBB144_530:                            ;   in Loop: Header=BB144_524 Depth=1
	s_or_b64 exec, exec, s[38:39]
	s_waitcnt lgkmcnt(0)
	v_readfirstlane_b32 s2, v9
	v_readfirstlane_b32 s3, v8
	v_mov_b32_e32 v8, s3
	v_mov_b32_e32 v9, s2
	v_mad_u64_u32 v[8:9], s[2:3], s42, v15, v[8:9]
.LBB144_531:                            ;   in Loop: Header=BB144_524 Depth=1
	s_or_b64 exec, exec, s[34:35]
	ds_bpermute_b32 v8, v36, v8
	ds_bpermute_b32 v9, v36, v9
	s_cmp_eq_u64 vcc, 0
	s_cselect_b64 s[34:35], -1, 0
	s_mov_b64 s[38:39], -1
	s_mov_b64 s[40:41], -1
	s_waitcnt lgkmcnt(0)
	v_cmp_gt_u64_e64 s[2:3], s[58:59], v[8:9]
	s_or_b64 s[34:35], s[34:35], s[2:3]
	v_cndmask_b32_e64 v14, v14, v2, s[34:35]
	s_and_b64 s[42:43], s[36:37], s[34:35]
	s_mov_b64 s[2:3], -1
	s_and_saveexec_b64 s[36:37], s[42:43]
	s_cbranch_execz .LBB144_537
; %bb.532:                              ;   in Loop: Header=BB144_524 Depth=1
	v_and_b32_e32 v14, vcc_lo, v10
	v_and_b32_e32 v4, vcc_hi, v11
	v_bcnt_u32_b32 v14, v14, 0
	v_bcnt_u32_b32 v4, v4, v14
	v_mov_b32_e32 v15, s59
	v_sub_co_u32_e32 v14, vcc, s58, v8
	v_subb_co_u32_e32 v15, vcc, v15, v9, vcc
	v_cmp_le_u64_e64 s[38:39], v[14:15], v[4:5]
	v_cmp_gt_u64_e32 vcc, v[14:15], v[4:5]
	s_mov_b64 s[42:43], -1
	s_and_saveexec_b64 s[40:41], vcc
	s_cbranch_execz .LBB144_536
; %bb.533:                              ;   in Loop: Header=BB144_524 Depth=1
	v_add_co_u32_e32 v14, vcc, v8, v4
	v_addc_co_u32_e32 v15, vcc, 0, v9, vcc
	v_cmp_gt_u64_e32 vcc, s[58:59], v[14:15]
	s_mov_b64 s[44:45], s[38:39]
	s_and_saveexec_b64 s[42:43], vcc
	s_cbranch_execz .LBB144_535
; %bb.534:                              ;   in Loop: Header=BB144_524 Depth=1
	v_mul_lo_u32 v4, v15, s16
	v_mul_lo_u32 v18, v14, s17
	v_mad_u64_u32 v[16:17], s[44:45], v14, s16, 0
	v_add3_u32 v17, v17, v18, v4
	v_mul_lo_u32 v4, v15, s18
	v_mul_lo_u32 v18, v14, s19
	v_mad_u64_u32 v[14:15], s[44:45], v14, s18, 0
	v_lshlrev_b64 v[16:17], 2, v[16:17]
	v_add3_u32 v15, v15, v18, v4
	v_mov_b32_e32 v4, s46
	v_add_co_u32_e32 v16, vcc, s1, v16
	v_addc_co_u32_e32 v17, vcc, v4, v17, vcc
	v_lshlrev_b64 v[14:15], 3, v[14:15]
	v_mov_b32_e32 v4, s48
	v_add_co_u32_e32 v14, vcc, s47, v14
	v_addc_co_u32_e32 v15, vcc, v4, v15, vcc
	s_or_b64 s[44:45], s[38:39], exec
	global_store_dword v[16:17], v3, off
	global_store_dwordx2 v[14:15], v[0:1], off
.LBB144_535:                            ;   in Loop: Header=BB144_524 Depth=1
	s_or_b64 exec, exec, s[42:43]
	s_andn2_b64 s[38:39], s[38:39], exec
	s_and_b64 s[44:45], s[44:45], exec
	s_xor_b64 s[42:43], exec, -1
	s_or_b64 s[38:39], s[38:39], s[44:45]
.LBB144_536:                            ;   in Loop: Header=BB144_524 Depth=1
	s_or_b64 exec, exec, s[40:41]
	s_orn2_b64 s[40:41], s[42:43], exec
	s_or_b64 s[34:35], s[34:35], exec
	s_orn2_b64 s[38:39], s[38:39], exec
	v_mov_b32_e32 v14, v2
.LBB144_537:                            ;   in Loop: Header=BB144_524 Depth=1
	s_or_b64 exec, exec, s[36:37]
	s_and_saveexec_b64 s[36:37], s[38:39]
	s_cbranch_execz .LBB144_522
; %bb.538:                              ;   in Loop: Header=BB144_524 Depth=1
	s_xor_b64 s[2:3], s[34:35], -1
	v_mov_b32_e32 v0, s61
	v_add_co_u32_e32 v6, vcc, s60, v6
	v_addc_co_u32_e32 v7, vcc, v7, v0, vcc
	s_or_b64 s[40:41], s[40:41], exec
	s_orn2_b64 s[2:3], s[2:3], exec
	s_branch .LBB144_522
.LBB144_539:
	s_or_b64 exec, exec, s[24:25]
	s_mov_b64 s[0:1], 0
	s_and_saveexec_b64 s[2:3], s[22:23]
	s_xor_b64 s[2:3], exec, s[2:3]
	s_cbranch_execnz .LBB144_545
.LBB144_540:
	s_or_b64 exec, exec, s[2:3]
	s_and_b64 s[2:3], s[0:1], exec
	s_andn2_b64 s[4:5], s[4:5], exec
	s_or_b64 exec, exec, s[20:21]
	s_and_saveexec_b64 s[0:1], s[4:5]
	s_xor_b64 s[0:1], exec, s[0:1]
	s_cbranch_execz .LBB144_496
.LBB144_541:
	s_or_b64 s[2:3], s[2:3], exec
	s_trap 2
	s_branch .LBB144_496
.LBB144_542:
	s_or_b64 s[10:11], s[10:11], exec
	s_trap 2
	s_branch .LBB144_502
.LBB144_543:
	s_or_b64 s[12:13], s[12:13], exec
	s_trap 2
	s_branch .LBB144_500
.LBB144_544:
	s_trap 2
	s_or_b64 s[14:15], s[14:15], exec
	s_branch .LBB144_498
.LBB144_545:
	s_mov_b64 s[0:1], exec
	s_trap 2
	s_branch .LBB144_540
	.section	.rodata,"a",@progbits
	.p2align	6, 0x0
	.amdhsa_kernel _ZN2at6native6sbtopk10gatherTopKIimLi1ELb0EEEvNS_4cuda6detail10TensorInfoIKT_T0_EES8_S8_bS8_S8_NS5_IS6_S8_EES8_NS5_IlS8_EES8_PS6_
		.amdhsa_group_segment_fixed_size 5152
		.amdhsa_private_segment_fixed_size 0
		.amdhsa_kernarg_size 1568
		.amdhsa_user_sgpr_count 6
		.amdhsa_user_sgpr_private_segment_buffer 1
		.amdhsa_user_sgpr_dispatch_ptr 0
		.amdhsa_user_sgpr_queue_ptr 0
		.amdhsa_user_sgpr_kernarg_segment_ptr 1
		.amdhsa_user_sgpr_dispatch_id 0
		.amdhsa_user_sgpr_flat_scratch_init 0
		.amdhsa_user_sgpr_kernarg_preload_length 0
		.amdhsa_user_sgpr_kernarg_preload_offset 0
		.amdhsa_user_sgpr_private_segment_size 0
		.amdhsa_uses_dynamic_stack 0
		.amdhsa_system_sgpr_private_segment_wavefront_offset 0
		.amdhsa_system_sgpr_workgroup_id_x 1
		.amdhsa_system_sgpr_workgroup_id_y 1
		.amdhsa_system_sgpr_workgroup_id_z 1
		.amdhsa_system_sgpr_workgroup_info 0
		.amdhsa_system_vgpr_workitem_id 0
		.amdhsa_next_free_vgpr 55
		.amdhsa_next_free_sgpr 96
		.amdhsa_accum_offset 56
		.amdhsa_reserve_vcc 1
		.amdhsa_reserve_flat_scratch 0
		.amdhsa_float_round_mode_32 0
		.amdhsa_float_round_mode_16_64 0
		.amdhsa_float_denorm_mode_32 3
		.amdhsa_float_denorm_mode_16_64 3
		.amdhsa_dx10_clamp 1
		.amdhsa_ieee_mode 1
		.amdhsa_fp16_overflow 0
		.amdhsa_tg_split 0
		.amdhsa_exception_fp_ieee_invalid_op 0
		.amdhsa_exception_fp_denorm_src 0
		.amdhsa_exception_fp_ieee_div_zero 0
		.amdhsa_exception_fp_ieee_overflow 0
		.amdhsa_exception_fp_ieee_underflow 0
		.amdhsa_exception_fp_ieee_inexact 0
		.amdhsa_exception_int_div_zero 0
	.end_amdhsa_kernel
	.section	.text._ZN2at6native6sbtopk10gatherTopKIimLi1ELb0EEEvNS_4cuda6detail10TensorInfoIKT_T0_EES8_S8_bS8_S8_NS5_IS6_S8_EES8_NS5_IlS8_EES8_PS6_,"axG",@progbits,_ZN2at6native6sbtopk10gatherTopKIimLi1ELb0EEEvNS_4cuda6detail10TensorInfoIKT_T0_EES8_S8_bS8_S8_NS5_IS6_S8_EES8_NS5_IlS8_EES8_PS6_,comdat
.Lfunc_end144:
	.size	_ZN2at6native6sbtopk10gatherTopKIimLi1ELb0EEEvNS_4cuda6detail10TensorInfoIKT_T0_EES8_S8_bS8_S8_NS5_IS6_S8_EES8_NS5_IlS8_EES8_PS6_, .Lfunc_end144-_ZN2at6native6sbtopk10gatherTopKIimLi1ELb0EEEvNS_4cuda6detail10TensorInfoIKT_T0_EES8_S8_bS8_S8_NS5_IS6_S8_EES8_NS5_IlS8_EES8_PS6_
                                        ; -- End function
	.section	.AMDGPU.csdata,"",@progbits
; Kernel info:
; codeLenInByte = 26476
; NumSgprs: 100
; NumVgprs: 55
; NumAgprs: 0
; TotalNumVgprs: 55
; ScratchSize: 0
; MemoryBound: 0
; FloatMode: 240
; IeeeMode: 1
; LDSByteSize: 5152 bytes/workgroup (compile time only)
; SGPRBlocks: 12
; VGPRBlocks: 6
; NumSGPRsForWavesPerEU: 100
; NumVGPRsForWavesPerEU: 55
; AccumOffset: 56
; Occupancy: 8
; WaveLimiterHint : 1
; COMPUTE_PGM_RSRC2:SCRATCH_EN: 0
; COMPUTE_PGM_RSRC2:USER_SGPR: 6
; COMPUTE_PGM_RSRC2:TRAP_HANDLER: 0
; COMPUTE_PGM_RSRC2:TGID_X_EN: 1
; COMPUTE_PGM_RSRC2:TGID_Y_EN: 1
; COMPUTE_PGM_RSRC2:TGID_Z_EN: 1
; COMPUTE_PGM_RSRC2:TIDIG_COMP_CNT: 0
; COMPUTE_PGM_RSRC3_GFX90A:ACCUM_OFFSET: 13
; COMPUTE_PGM_RSRC3_GFX90A:TG_SPLIT: 0
	.section	.text._ZN2at6native6mbtopk23computeBlockDigitCountsIimjLi2EEEvNS_4cuda6detail10TensorInfoIKT_T0_EEjPjjS8_iijT1_PSB_Ps,"axG",@progbits,_ZN2at6native6mbtopk23computeBlockDigitCountsIimjLi2EEEvNS_4cuda6detail10TensorInfoIKT_T0_EEjPjjS8_iijT1_PSB_Ps,comdat
	.protected	_ZN2at6native6mbtopk23computeBlockDigitCountsIimjLi2EEEvNS_4cuda6detail10TensorInfoIKT_T0_EEjPjjS8_iijT1_PSB_Ps ; -- Begin function _ZN2at6native6mbtopk23computeBlockDigitCountsIimjLi2EEEvNS_4cuda6detail10TensorInfoIKT_T0_EEjPjjS8_iijT1_PSB_Ps
	.globl	_ZN2at6native6mbtopk23computeBlockDigitCountsIimjLi2EEEvNS_4cuda6detail10TensorInfoIKT_T0_EEjPjjS8_iijT1_PSB_Ps
	.p2align	8
	.type	_ZN2at6native6mbtopk23computeBlockDigitCountsIimjLi2EEEvNS_4cuda6detail10TensorInfoIKT_T0_EEjPjjS8_iijT1_PSB_Ps,@function
_ZN2at6native6mbtopk23computeBlockDigitCountsIimjLi2EEEvNS_4cuda6detail10TensorInfoIKT_T0_EEjPjjS8_iijT1_PSB_Ps: ; @_ZN2at6native6mbtopk23computeBlockDigitCountsIimjLi2EEEvNS_4cuda6detail10TensorInfoIKT_T0_EEjPjjS8_iijT1_PSB_Ps
; %bb.0:
	s_load_dwordx4 s[12:15], s[4:5], 0x1c0
	s_load_dword s2, s[4:5], 0x1b0
	s_load_dwordx2 s[0:1], s[4:5], 0x1e0
	s_waitcnt lgkmcnt(0)
	v_cvt_f32_u32_e32 v1, s14
	s_sub_i32 s3, 0, s14
	s_mul_i32 s1, s1, s8
	s_add_i32 s1, s1, s7
	v_rcp_iflag_f32_e32 v1, v1
	s_mul_i32 s18, s1, s0
	s_add_i32 s18, s18, s6
	s_mov_b32 s7, 0
	v_mul_f32_e32 v1, 0x4f7ffffe, v1
	v_cvt_u32_f32_e32 v1, v1
	v_readfirstlane_b32 s0, v1
	s_mul_i32 s3, s3, s0
	s_mul_hi_u32 s1, s0, s3
	s_add_i32 s0, s0, s1
	s_mul_hi_u32 s0, s18, s0
	s_mul_i32 s1, s0, s14
	s_sub_i32 s1, s18, s1
	s_add_i32 s3, s0, 1
	s_sub_i32 s6, s1, s14
	s_cmp_ge_u32 s1, s14
	s_cselect_b32 s0, s3, s0
	s_cselect_b32 s1, s6, s1
	s_add_i32 s3, s0, 1
	s_cmp_ge_u32 s1, s14
	s_cselect_b32 s6, s3, s0
	s_cmp_ge_u32 s6, s2
	s_cbranch_scc1 .LBB145_25
; %bb.1:
	s_load_dwordx4 s[0:3], s[4:5], 0x1d0
	s_load_dwordx2 s[8:9], s[4:5], 0x10
	s_lshl_b64 s[10:11], s[6:7], 2
	s_waitcnt lgkmcnt(0)
	s_add_u32 s0, s0, s10
	v_pk_mov_b32 v[2:3], s[8:9], s[8:9] op_sel:[0,1]
	v_cmp_lt_u64_e32 vcc, s[6:7], v[2:3]
	s_addc_u32 s1, s1, s11
	s_mov_b64 s[10:11], 0
	s_cbranch_vccnz .LBB145_3
; %bb.2:
	v_cvt_f32_u32_e32 v1, s8
	s_sub_i32 s7, 0, s8
	v_rcp_iflag_f32_e32 v1, v1
	v_mul_f32_e32 v1, 0x4f7ffffe, v1
	v_cvt_u32_f32_e32 v1, v1
	v_readfirstlane_b32 s10, v1
	s_mul_i32 s7, s7, s10
	s_mul_hi_u32 s7, s10, s7
	s_add_i32 s10, s10, s7
	s_mul_hi_u32 s7, s6, s10
	s_mul_i32 s11, s7, s8
	s_sub_i32 s11, s6, s11
	s_add_i32 s10, s7, 1
	s_sub_i32 s16, s11, s8
	s_cmp_ge_u32 s11, s8
	s_cselect_b32 s7, s10, s7
	s_cselect_b32 s11, s16, s11
	s_add_i32 s10, s7, 1
	s_cmp_ge_u32 s11, s8
	s_cselect_b32 s10, s10, s7
.LBB145_3:
	s_movk_i32 s7, 0x100
	v_cmp_gt_u32_e32 vcc, s7, v0
	v_lshlrev_b32_e32 v1, 2, v0
	s_and_saveexec_b64 s[16:17], vcc
	s_cbranch_execz .LBB145_5
; %bb.4:
	v_mov_b32_e32 v2, 0
	ds_write_b32 v1, v2
.LBB145_5:
	s_or_b64 exec, exec, s[16:17]
	s_load_dword s11, s[4:5], 0x1a0
	s_mul_i32 s7, s6, s14
	s_sub_i32 s7, s18, s7
	s_add_i32 s17, s7, 1
	s_mul_i32 s7, s13, s7
	s_lshl_b32 s16, s7, 8
	s_waitcnt lgkmcnt(0)
	s_sub_i32 s7, s11, s16
	s_add_u32 s7, s7, 0xff
	s_addc_u32 s19, 0, 0
	v_mov_b32_e32 v2, s7
	v_alignbit_b32 v2, s19, v2, 8
	s_cmp_lt_u32 s17, s14
	v_readfirstlane_b32 s7, v2
	s_cselect_b32 s14, s13, s7
	s_cmp_lt_i32 s14, 1
	s_mov_b32 s7, 0
	s_barrier
	s_cbranch_scc1 .LBB145_21
; %bb.6:
	s_load_dwordx2 s[24:25], s[4:5], 0x0
	s_load_dwordx4 s[20:23], s[4:5], 0xd0
	s_load_dword s13, s[0:1], 0x0
	s_mul_i32 s0, s10, s9
	s_mul_hi_u32 s1, s10, s8
	s_add_i32 s1, s1, s0
	s_mul_i32 s0, s10, s8
	s_sub_u32 s0, s6, s0
	s_subb_u32 s1, 0, s1
	s_waitcnt lgkmcnt(0)
	s_mul_i32 s6, s0, s23
	s_mul_hi_u32 s8, s0, s22
	s_add_i32 s6, s8, s6
	s_mul_i32 s1, s1, s22
	s_add_i32 s1, s6, s1
	s_mul_i32 s6, s10, s21
	s_mul_hi_u32 s8, s10, s20
	s_add_i32 s9, s8, s6
	s_mul_i32 s8, s10, s20
	s_lshl_b64 s[8:9], s[8:9], 2
	s_mul_i32 s0, s0, s22
	s_add_u32 s6, s24, s8
	s_load_dwordx2 s[4:5], s[4:5], 0x1b8
	s_addc_u32 s8, s25, s9
	s_lshl_b64 s[0:1], s[0:1], 2
	s_add_u32 s9, s6, s0
	s_addc_u32 s10, s8, s1
	s_and_b32 s8, s12, 0xff
	s_cmp_eq_u32 s14, 1
	v_add_u32_e32 v2, s16, v0
	s_cbranch_scc1 .LBB145_16
; %bb.7:
	s_and_b32 s12, s14, 0x7ffffffe
	s_mov_b32 s16, 0
	v_mov_b32_e32 v3, 1
	v_mov_b32_e32 v4, v2
	s_branch .LBB145_9
.LBB145_8:                              ;   in Loop: Header=BB145_9 Depth=1
	s_or_b64 exec, exec, s[6:7]
	s_add_i32 s16, s16, 2
	s_cmp_eq_u32 s12, s16
	v_add_u32_e32 v4, 0x200, v4
	s_cbranch_scc1 .LBB145_15
.LBB145_9:                              ; =>This Inner Loop Header: Depth=1
	v_cmp_gt_u32_e64 s[0:1], s11, v4
	s_and_saveexec_b64 s[6:7], s[0:1]
	s_cbranch_execz .LBB145_12
; %bb.10:                               ;   in Loop: Header=BB145_9 Depth=1
	s_waitcnt lgkmcnt(0)
	v_mad_u64_u32 v[6:7], s[0:1], v4, s4, 0
	v_mov_b32_e32 v8, v7
	v_mad_u64_u32 v[8:9], s[0:1], v4, s5, v[8:9]
	v_mov_b32_e32 v7, v8
	v_lshlrev_b64 v[6:7], 2, v[6:7]
	v_mov_b32_e32 v5, s10
	v_add_co_u32_e64 v6, s[0:1], s9, v6
	v_addc_co_u32_e64 v7, s[0:1], v5, v7, s[0:1]
	global_load_dword v5, v[6:7], off
	s_waitcnt vmcnt(0)
	v_xor_b32_e32 v5, 0x80000000, v5
	v_xor_b32_e32 v6, s13, v5
	v_and_b32_e32 v6, s15, v6
	v_cmp_eq_u32_e64 s[0:1], 0, v6
	s_and_b64 exec, exec, s[0:1]
	s_cbranch_execz .LBB145_12
; %bb.11:                               ;   in Loop: Header=BB145_9 Depth=1
	v_bfe_u32 v5, v5, s8, 8
	v_lshlrev_b32_e32 v5, 2, v5
	ds_add_u32 v5, v3
.LBB145_12:                             ;   in Loop: Header=BB145_9 Depth=1
	s_or_b64 exec, exec, s[6:7]
	v_add_u32_e32 v5, 0x100, v4
	v_cmp_gt_u32_e64 s[0:1], s11, v5
	s_and_saveexec_b64 s[6:7], s[0:1]
	s_cbranch_execz .LBB145_8
; %bb.13:                               ;   in Loop: Header=BB145_9 Depth=1
	s_waitcnt lgkmcnt(0)
	v_mad_u64_u32 v[6:7], s[0:1], v5, s4, 0
	v_mov_b32_e32 v8, v7
	v_mad_u64_u32 v[8:9], s[0:1], v5, s5, v[8:9]
	v_mov_b32_e32 v7, v8
	v_lshlrev_b64 v[6:7], 2, v[6:7]
	v_mov_b32_e32 v5, s10
	v_add_co_u32_e64 v6, s[0:1], s9, v6
	v_addc_co_u32_e64 v7, s[0:1], v5, v7, s[0:1]
	global_load_dword v5, v[6:7], off
	s_waitcnt vmcnt(0)
	v_xor_b32_e32 v5, 0x80000000, v5
	v_xor_b32_e32 v6, s13, v5
	v_and_b32_e32 v6, s15, v6
	v_cmp_eq_u32_e64 s[0:1], 0, v6
	s_and_b64 exec, exec, s[0:1]
	s_cbranch_execz .LBB145_8
; %bb.14:                               ;   in Loop: Header=BB145_9 Depth=1
	v_bfe_u32 v5, v5, s8, 8
	v_lshlrev_b32_e32 v5, 2, v5
	ds_add_u32 v5, v3
	s_branch .LBB145_8
.LBB145_15:
	s_lshl_b32 s7, s12, 8
.LBB145_16:
	s_bitcmp0_b32 s14, 0
	s_cbranch_scc1 .LBB145_21
; %bb.17:
	v_add_u32_e32 v2, s7, v2
	v_cmp_gt_u32_e64 s[0:1], s11, v2
	s_and_saveexec_b64 s[6:7], s[0:1]
	s_cbranch_execz .LBB145_20
; %bb.18:
	s_waitcnt lgkmcnt(0)
	v_mad_u64_u32 v[4:5], s[0:1], v2, s4, 0
	v_mov_b32_e32 v6, v5
	v_mad_u64_u32 v[2:3], s[0:1], v2, s5, v[6:7]
	v_mov_b32_e32 v5, v2
	v_lshlrev_b64 v[2:3], 2, v[4:5]
	v_mov_b32_e32 v4, s10
	v_add_co_u32_e64 v2, s[0:1], s9, v2
	v_addc_co_u32_e64 v3, s[0:1], v4, v3, s[0:1]
	global_load_dword v2, v[2:3], off
	s_waitcnt vmcnt(0)
	v_xor_b32_e32 v2, 0x80000000, v2
	v_xor_b32_e32 v3, s13, v2
	v_and_b32_e32 v3, s15, v3
	v_cmp_eq_u32_e64 s[0:1], 0, v3
	s_and_b64 exec, exec, s[0:1]
	s_cbranch_execz .LBB145_20
; %bb.19:
	v_bfe_u32 v2, v2, s8, 8
	v_lshlrev_b32_e32 v2, 2, v2
	v_mov_b32_e32 v3, 1
	ds_add_u32 v2, v3
.LBB145_20:
	s_or_b64 exec, exec, s[6:7]
.LBB145_21:
	v_mov_b32_e32 v2, 0
	s_waitcnt lgkmcnt(0)
	s_barrier
	s_and_saveexec_b64 s[0:1], vcc
	s_cbranch_execz .LBB145_23
; %bb.22:
	ds_read_b32 v2, v1
.LBB145_23:
	s_or_b64 exec, exec, s[0:1]
	s_and_saveexec_b64 s[0:1], vcc
	s_cbranch_execz .LBB145_25
; %bb.24:
	v_lshl_or_b32 v0, s18, 8, v0
	v_mov_b32_e32 v1, 0
	v_lshlrev_b64 v[0:1], 1, v[0:1]
	v_mov_b32_e32 v3, s3
	v_add_co_u32_e32 v0, vcc, s2, v0
	v_addc_co_u32_e32 v1, vcc, v3, v1, vcc
	s_waitcnt lgkmcnt(0)
	global_store_short v[0:1], v2, off
.LBB145_25:
	s_endpgm
	.section	.rodata,"a",@progbits
	.p2align	6, 0x0
	.amdhsa_kernel _ZN2at6native6mbtopk23computeBlockDigitCountsIimjLi2EEEvNS_4cuda6detail10TensorInfoIKT_T0_EEjPjjS8_iijT1_PSB_Ps
		.amdhsa_group_segment_fixed_size 1024
		.amdhsa_private_segment_fixed_size 0
		.amdhsa_kernarg_size 736
		.amdhsa_user_sgpr_count 6
		.amdhsa_user_sgpr_private_segment_buffer 1
		.amdhsa_user_sgpr_dispatch_ptr 0
		.amdhsa_user_sgpr_queue_ptr 0
		.amdhsa_user_sgpr_kernarg_segment_ptr 1
		.amdhsa_user_sgpr_dispatch_id 0
		.amdhsa_user_sgpr_flat_scratch_init 0
		.amdhsa_user_sgpr_kernarg_preload_length 0
		.amdhsa_user_sgpr_kernarg_preload_offset 0
		.amdhsa_user_sgpr_private_segment_size 0
		.amdhsa_uses_dynamic_stack 0
		.amdhsa_system_sgpr_private_segment_wavefront_offset 0
		.amdhsa_system_sgpr_workgroup_id_x 1
		.amdhsa_system_sgpr_workgroup_id_y 1
		.amdhsa_system_sgpr_workgroup_id_z 1
		.amdhsa_system_sgpr_workgroup_info 0
		.amdhsa_system_vgpr_workitem_id 0
		.amdhsa_next_free_vgpr 10
		.amdhsa_next_free_sgpr 26
		.amdhsa_accum_offset 12
		.amdhsa_reserve_vcc 1
		.amdhsa_reserve_flat_scratch 0
		.amdhsa_float_round_mode_32 0
		.amdhsa_float_round_mode_16_64 0
		.amdhsa_float_denorm_mode_32 3
		.amdhsa_float_denorm_mode_16_64 3
		.amdhsa_dx10_clamp 1
		.amdhsa_ieee_mode 1
		.amdhsa_fp16_overflow 0
		.amdhsa_tg_split 0
		.amdhsa_exception_fp_ieee_invalid_op 0
		.amdhsa_exception_fp_denorm_src 0
		.amdhsa_exception_fp_ieee_div_zero 0
		.amdhsa_exception_fp_ieee_overflow 0
		.amdhsa_exception_fp_ieee_underflow 0
		.amdhsa_exception_fp_ieee_inexact 0
		.amdhsa_exception_int_div_zero 0
	.end_amdhsa_kernel
	.section	.text._ZN2at6native6mbtopk23computeBlockDigitCountsIimjLi2EEEvNS_4cuda6detail10TensorInfoIKT_T0_EEjPjjS8_iijT1_PSB_Ps,"axG",@progbits,_ZN2at6native6mbtopk23computeBlockDigitCountsIimjLi2EEEvNS_4cuda6detail10TensorInfoIKT_T0_EEjPjjS8_iijT1_PSB_Ps,comdat
.Lfunc_end145:
	.size	_ZN2at6native6mbtopk23computeBlockDigitCountsIimjLi2EEEvNS_4cuda6detail10TensorInfoIKT_T0_EEjPjjS8_iijT1_PSB_Ps, .Lfunc_end145-_ZN2at6native6mbtopk23computeBlockDigitCountsIimjLi2EEEvNS_4cuda6detail10TensorInfoIKT_T0_EEjPjjS8_iijT1_PSB_Ps
                                        ; -- End function
	.section	.AMDGPU.csdata,"",@progbits
; Kernel info:
; codeLenInByte = 1128
; NumSgprs: 30
; NumVgprs: 10
; NumAgprs: 0
; TotalNumVgprs: 10
; ScratchSize: 0
; MemoryBound: 0
; FloatMode: 240
; IeeeMode: 1
; LDSByteSize: 1024 bytes/workgroup (compile time only)
; SGPRBlocks: 3
; VGPRBlocks: 1
; NumSGPRsForWavesPerEU: 30
; NumVGPRsForWavesPerEU: 10
; AccumOffset: 12
; Occupancy: 8
; WaveLimiterHint : 1
; COMPUTE_PGM_RSRC2:SCRATCH_EN: 0
; COMPUTE_PGM_RSRC2:USER_SGPR: 6
; COMPUTE_PGM_RSRC2:TRAP_HANDLER: 0
; COMPUTE_PGM_RSRC2:TGID_X_EN: 1
; COMPUTE_PGM_RSRC2:TGID_Y_EN: 1
; COMPUTE_PGM_RSRC2:TGID_Z_EN: 1
; COMPUTE_PGM_RSRC2:TIDIG_COMP_CNT: 0
; COMPUTE_PGM_RSRC3_GFX90A:ACCUM_OFFSET: 2
; COMPUTE_PGM_RSRC3_GFX90A:TG_SPLIT: 0
	.section	.text._ZN2at6native6mbtopk10gatherTopKIimLi2EEEvNS_4cuda6detail10TensorInfoIKT_T0_EES8_S8_bjS8_NS5_IS6_S8_EES8_NS5_IlS8_EES8_jjPS6_PjSD_j,"axG",@progbits,_ZN2at6native6mbtopk10gatherTopKIimLi2EEEvNS_4cuda6detail10TensorInfoIKT_T0_EES8_S8_bjS8_NS5_IS6_S8_EES8_NS5_IlS8_EES8_jjPS6_PjSD_j,comdat
	.protected	_ZN2at6native6mbtopk10gatherTopKIimLi2EEEvNS_4cuda6detail10TensorInfoIKT_T0_EES8_S8_bjS8_NS5_IS6_S8_EES8_NS5_IlS8_EES8_jjPS6_PjSD_j ; -- Begin function _ZN2at6native6mbtopk10gatherTopKIimLi2EEEvNS_4cuda6detail10TensorInfoIKT_T0_EES8_S8_bjS8_NS5_IS6_S8_EES8_NS5_IlS8_EES8_jjPS6_PjSD_j
	.globl	_ZN2at6native6mbtopk10gatherTopKIimLi2EEEvNS_4cuda6detail10TensorInfoIKT_T0_EES8_S8_bjS8_NS5_IS6_S8_EES8_NS5_IlS8_EES8_jjPS6_PjSD_j
	.p2align	8
	.type	_ZN2at6native6mbtopk10gatherTopKIimLi2EEEvNS_4cuda6detail10TensorInfoIKT_T0_EES8_S8_bjS8_NS5_IS6_S8_EES8_NS5_IlS8_EES8_jjPS6_PjSD_j,@function
_ZN2at6native6mbtopk10gatherTopKIimLi2EEEvNS_4cuda6detail10TensorInfoIKT_T0_EES8_S8_bjS8_NS5_IS6_S8_EES8_NS5_IlS8_EES8_jjPS6_PjSD_j: ; @_ZN2at6native6mbtopk10gatherTopKIimLi2EEEvNS_4cuda6detail10TensorInfoIKT_T0_EES8_S8_bjS8_NS5_IS6_S8_EES8_NS5_IlS8_EES8_jjPS6_PjSD_j
; %bb.0:
	s_load_dwordx2 s[0:1], s[4:5], 0x538
	s_load_dword s2, s[4:5], 0x530
	s_waitcnt lgkmcnt(0)
	s_mul_i32 s1, s1, s8
	s_add_i32 s1, s1, s7
	s_mul_i32 s0, s1, s0
	s_add_i32 s0, s0, s6
	s_cmp_ge_u32 s0, s2
	s_cbranch_scc1 .LBB146_48
; %bb.1:
	s_load_dwordx2 s[34:35], s[4:5], 0x510
	s_load_dwordx2 s[38:39], s[4:5], 0x1d0
	s_load_dwordx4 s[8:11], s[4:5], 0x1a0
	s_load_dwordx2 s[36:37], s[4:5], 0x10
	s_mov_b32 s7, 0
	s_waitcnt lgkmcnt(0)
	v_cvt_f32_u32_e32 v1, s35
	s_sub_i32 s2, 0, s35
	s_lshl_b32 s1, s34, 8
	v_rcp_iflag_f32_e32 v1, v1
	v_mul_f32_e32 v1, 0x4f7ffffe, v1
	v_cvt_u32_f32_e32 v1, v1
	v_readfirstlane_b32 s3, v1
	s_mul_i32 s2, s2, s3
	s_mul_hi_u32 s2, s3, s2
	s_add_i32 s3, s3, s2
	s_mul_hi_u32 s2, s0, s3
	s_mul_i32 s3, s2, s35
	s_sub_i32 s3, s0, s3
	s_add_i32 s6, s2, 1
	s_sub_i32 s12, s3, s35
	s_cmp_ge_u32 s3, s35
	s_cselect_b32 s2, s6, s2
	s_cselect_b32 s3, s12, s3
	s_add_i32 s6, s2, 1
	s_cmp_ge_u32 s3, s35
	s_cselect_b32 s6, s6, s2
	s_mul_i32 s20, s6, s35
	s_sub_i32 s28, s0, s20
	s_add_i32 s0, s28, 1
	s_cmp_lt_u32 s0, s35
	s_mul_i32 s50, s28, s1
	s_cbranch_scc1 .LBB146_3
; %bb.2:
	s_sub_u32 s0, s8, s50
	s_subb_u32 s1, s9, 0
	s_add_u32 s0, s0, 0xff
	s_addc_u32 s1, s1, 0
	s_ashr_i32 s2, s1, 31
	s_lshr_b32 s2, s2, 24
	s_add_u32 s0, s0, s2
	s_addc_u32 s1, s1, 0
	v_mov_b32_e32 v1, s0
	v_alignbit_b32 v1, s1, v1, 8
	v_readfirstlane_b32 s34, v1
.LBB146_3:
	s_load_dwordx2 s[40:41], s[4:5], 0x378
	v_pk_mov_b32 v[2:3], s[36:37], s[36:37] op_sel:[0,1]
	v_cmp_lt_u64_e32 vcc, s[6:7], v[2:3]
	s_mov_b64 s[44:45], 0
	s_mov_b64 s[42:43], 0
	s_cbranch_vccnz .LBB146_5
; %bb.4:
	v_cvt_f32_u32_e32 v1, s36
	s_sub_i32 s0, 0, s36
	v_rcp_iflag_f32_e32 v1, v1
	v_mul_f32_e32 v1, 0x4f7ffffe, v1
	v_cvt_u32_f32_e32 v1, v1
	v_readfirstlane_b32 s1, v1
	s_mul_i32 s0, s0, s1
	s_mul_hi_u32 s0, s1, s0
	s_add_i32 s1, s1, s0
	s_mul_hi_u32 s0, s6, s1
	s_mul_i32 s2, s0, s36
	s_sub_i32 s2, s6, s2
	s_add_i32 s1, s0, 1
	s_sub_i32 s3, s2, s36
	s_cmp_ge_u32 s2, s36
	s_cselect_b32 s0, s1, s0
	s_cselect_b32 s2, s3, s2
	s_add_i32 s1, s0, 1
	s_cmp_ge_u32 s2, s36
	s_cselect_b32 s42, s1, s0
.LBB146_5:
	v_pk_mov_b32 v[2:3], s[38:39], s[38:39] op_sel:[0,1]
	v_cmp_lt_u64_e32 vcc, s[6:7], v[2:3]
	s_cbranch_vccnz .LBB146_7
; %bb.6:
	v_cvt_f32_u32_e32 v1, s38
	s_sub_i32 s0, 0, s38
	v_rcp_iflag_f32_e32 v1, v1
	v_mul_f32_e32 v1, 0x4f7ffffe, v1
	v_cvt_u32_f32_e32 v1, v1
	v_readfirstlane_b32 s1, v1
	s_mul_i32 s0, s0, s1
	s_mul_hi_u32 s0, s1, s0
	s_add_i32 s1, s1, s0
	s_mul_hi_u32 s0, s6, s1
	s_mul_i32 s2, s0, s38
	s_sub_i32 s2, s6, s2
	s_add_i32 s1, s0, 1
	s_sub_i32 s3, s2, s38
	s_cmp_ge_u32 s2, s38
	s_cselect_b32 s0, s1, s0
	s_cselect_b32 s2, s3, s2
	s_add_i32 s1, s0, 1
	s_cmp_ge_u32 s2, s38
	s_cselect_b32 s44, s1, s0
.LBB146_7:
	s_waitcnt lgkmcnt(0)
	v_pk_mov_b32 v[2:3], s[40:41], s[40:41] op_sel:[0,1]
	v_cmp_lt_u64_e32 vcc, s[6:7], v[2:3]
	s_mov_b64 s[46:47], 0
	s_cbranch_vccnz .LBB146_9
; %bb.8:
	v_cvt_f32_u32_e32 v1, s40
	s_sub_i32 s0, 0, s40
	v_rcp_iflag_f32_e32 v1, v1
	v_mul_f32_e32 v1, 0x4f7ffffe, v1
	v_cvt_u32_f32_e32 v1, v1
	v_readfirstlane_b32 s1, v1
	s_mul_i32 s0, s0, s1
	s_mul_hi_u32 s0, s1, s0
	s_add_i32 s1, s1, s0
	s_mul_hi_u32 s0, s6, s1
	s_mul_i32 s2, s0, s40
	s_sub_i32 s2, s6, s2
	s_add_i32 s1, s0, 1
	s_sub_i32 s3, s2, s40
	s_cmp_ge_u32 s2, s40
	s_cselect_b32 s0, s1, s0
	s_cselect_b32 s2, s3, s2
	s_add_i32 s1, s0, 1
	s_cmp_ge_u32 s2, s40
	s_cselect_b32 s46, s1, s0
.LBB146_9:
	s_load_dwordx4 s[12:15], s[4:5], 0x518
	s_load_dwordx2 s[48:49], s[4:5], 0x0
	s_lshl_b64 s[0:1], s[6:7], 2
	s_mov_b32 s21, 0
	v_cmp_eq_u32_e64 s[2:3], 0, v0
	s_waitcnt lgkmcnt(0)
	s_add_u32 s0, s12, s0
	s_addc_u32 s1, s13, s1
	s_load_dword s33, s[0:1], 0x0
	v_cmp_ne_u32_e64 s[0:1], 0, v0
	s_and_saveexec_b64 s[12:13], s[2:3]
	s_cbranch_execz .LBB146_25
; %bb.10:
	s_load_dwordx2 s[22:23], s[4:5], 0x528
	s_lshl_b64 s[24:25], s[20:21], 2
	s_add_u32 s16, s14, s24
	s_addc_u32 s17, s15, s25
	s_mov_b32 s20, 0
	s_waitcnt lgkmcnt(0)
	s_add_u32 s18, s22, s24
	s_addc_u32 s19, s23, s25
	s_cmp_lt_u32 s35, 4
	s_cbranch_scc1 .LBB146_22
; %bb.11:
	s_mov_b32 s29, 0
.LBB146_12:                             ; =>This Inner Loop Header: Depth=1
	s_add_u32 s16, s14, s24
	s_addc_u32 s17, s15, s25
	s_load_dwordx4 s[16:19], s[16:17], 0x0
	s_add_u32 s26, s22, s24
	s_addc_u32 s27, s23, s25
	s_cmp_ge_u32 s29, s28
	s_cbranch_scc0 .LBB146_19
; %bb.13:                               ;   in Loop: Header=BB146_12 Depth=1
	s_add_i32 s30, s29, 1
	s_cmp_ge_u32 s30, s28
	s_cbranch_scc0 .LBB146_20
.LBB146_14:                             ;   in Loop: Header=BB146_12 Depth=1
	s_add_i32 s30, s30, 1
	s_cmp_ge_u32 s30, s28
	s_cbranch_scc0 .LBB146_21
.LBB146_15:                             ;   in Loop: Header=BB146_12 Depth=1
	s_add_i32 s30, s30, 1
	s_cmp_ge_u32 s30, s28
	s_cbranch_scc1 .LBB146_17
.LBB146_16:                             ;   in Loop: Header=BB146_12 Depth=1
	s_load_dword s26, s[26:27], 0xc
	s_waitcnt lgkmcnt(0)
	s_add_i32 s21, s21, s19
	s_add_i32 s7, s26, s7
.LBB146_17:                             ;   in Loop: Header=BB146_12 Depth=1
	s_waitcnt lgkmcnt(0)
	s_add_i32 s16, s16, s20
	s_add_i32 s16, s16, s17
	;; [unrolled: 1-line block ×4, first 2 shown]
	s_add_u32 s14, s14, 16
	s_addc_u32 s15, s15, 0
	s_add_u32 s22, s22, 16
	s_addc_u32 s23, s23, 0
	s_add_i32 s27, s30, 4
	s_add_u32 s18, s22, s24
	s_addc_u32 s19, s23, s25
	s_add_u32 s16, s14, s24
	s_addc_u32 s17, s15, s25
	s_add_i32 s26, s30, 1
	s_cmp_ge_u32 s27, s35
	s_cbranch_scc1 .LBB146_23
; %bb.18:                               ;   in Loop: Header=BB146_12 Depth=1
	s_mov_b32 s29, s26
	s_branch .LBB146_12
.LBB146_19:                             ;   in Loop: Header=BB146_12 Depth=1
	s_load_dword s30, s[26:27], 0x0
	s_waitcnt lgkmcnt(0)
	s_add_i32 s21, s16, s21
	s_add_i32 s7, s30, s7
	;; [unrolled: 1-line block ×3, first 2 shown]
	s_cmp_ge_u32 s30, s28
	s_cbranch_scc1 .LBB146_14
.LBB146_20:                             ;   in Loop: Header=BB146_12 Depth=1
	s_load_dword s31, s[26:27], 0x4
	s_waitcnt lgkmcnt(0)
	s_add_i32 s21, s21, s17
	s_add_i32 s7, s31, s7
	;; [unrolled: 1-line block ×3, first 2 shown]
	s_cmp_ge_u32 s30, s28
	s_cbranch_scc1 .LBB146_15
.LBB146_21:                             ;   in Loop: Header=BB146_12 Depth=1
	s_load_dword s31, s[26:27], 0x8
	s_waitcnt lgkmcnt(0)
	s_add_i32 s21, s21, s18
	s_add_i32 s7, s31, s7
	;; [unrolled: 1-line block ×3, first 2 shown]
	s_cmp_ge_u32 s30, s28
	s_cbranch_scc0 .LBB146_16
	s_branch .LBB146_17
.LBB146_22:
	s_mov_b32 s14, 0
	s_cmp_ge_u32 s14, s35
	s_cbranch_scc0 .LBB146_46
	s_branch .LBB146_24
.LBB146_23:
	s_add_i32 s14, s29, 4
	s_cmp_ge_u32 s14, s35
	s_cbranch_scc0 .LBB146_46
.LBB146_24:
	v_mov_b32_e32 v2, s7
	v_mov_b32_e32 v3, s20
	;; [unrolled: 1-line block ×4, first 2 shown]
	ds_write_b96 v1, v[2:4] offset:1056
.LBB146_25:
	s_or_b64 exec, exec, s[12:13]
	s_load_dwordx4 s[12:15], s[4:5], 0x1b8
	s_load_dwordx4 s[24:27], s[4:5], 0xd0
	;; [unrolled: 1-line block ×5, first 2 shown]
	s_cmp_eq_u32 s34, 0
	s_waitcnt lgkmcnt(0)
	s_barrier
	s_cbranch_scc1 .LBB146_48
; %bb.26:
	s_mul_i32 s7, s44, s39
	s_mul_hi_u32 s35, s44, s38
	s_add_i32 s35, s35, s7
	s_mul_i32 s7, s44, s38
	s_sub_u32 s7, s6, s7
	s_subb_u32 s35, 0, s35
	s_mul_i32 s31, s7, s31
	s_mul_hi_u32 s38, s7, s30
	s_add_i32 s31, s38, s31
	s_mul_i32 s35, s35, s30
	s_mul_i32 s30, s7, s30
	;; [unrolled: 1-line block ×3, first 2 shown]
	s_mul_hi_u32 s29, s44, s28
	s_add_i32 s31, s31, s35
	s_add_i32 s29, s29, s7
	s_mul_i32 s7, s42, s37
	s_mul_hi_u32 s35, s42, s36
	s_add_i32 s35, s35, s7
	s_mul_i32 s7, s42, s36
	s_sub_u32 s7, s6, s7
	s_subb_u32 s35, 0, s35
	s_mul_i32 s27, s7, s27
	s_mul_hi_u32 s36, s7, s26
	s_add_i32 s27, s36, s27
	s_mul_i32 s35, s35, s26
	s_mul_i32 s26, s7, s26
	;; [unrolled: 1-line block ×3, first 2 shown]
	s_mul_hi_u32 s25, s42, s24
	s_add_i32 s27, s27, s35
	s_add_i32 s25, s25, s7
	s_mul_i32 s7, s46, s41
	s_mul_hi_u32 s35, s46, s40
	s_add_i32 s35, s35, s7
	s_mul_i32 s7, s46, s40
	s_sub_u32 s6, s6, s7
	s_subb_u32 s7, 0, s35
	s_mul_i32 s23, s6, s23
	s_mul_hi_u32 s35, s6, s22
	s_mul_i32 s24, s42, s24
	s_add_i32 s23, s35, s23
	s_mul_i32 s7, s7, s22
	s_mul_i32 s6, s6, s22
	s_mul_i32 s21, s46, s21
	s_mul_hi_u32 s22, s46, s20
	s_add_i32 s7, s23, s7
	s_add_i32 s37, s22, s21
	s_mul_i32 s36, s46, s20
	s_lshl_b64 s[20:21], s[24:25], 2
	s_add_u32 s22, s48, s20
	s_addc_u32 s23, s49, s21
	s_lshl_b64 s[20:21], s[26:27], 2
	s_mul_i32 s28, s44, s28
	s_add_u32 s20, s22, s20
	s_addc_u32 s21, s23, s21
	s_lshl_b64 s[22:23], s[28:29], 2
	s_add_u32 s22, s14, s22
	v_mov_b32_e32 v1, 0
	s_addc_u32 s23, s15, s23
	s_lshl_b64 s[14:15], s[30:31], 2
	ds_read_b96 v[2:4], v1 offset:1056
	s_add_u32 s22, s22, s14
	s_addc_u32 s23, s23, s15
	s_lshl_b64 s[14:15], s[36:37], 3
	s_add_u32 s14, s18, s14
	s_addc_u32 s15, s19, s15
	s_lshl_b64 s[6:7], s[6:7], 3
	s_add_u32 s24, s14, s6
	s_load_dword s6, s[4:5], 0x1b0
	s_waitcnt lgkmcnt(0)
	v_add_u32_e32 v2, v2, v3
	v_lshrrev_b32_e32 v3, 5, v0
	v_add_lshl_u32 v5, v3, v0, 2
	v_lshlrev_b32_e32 v3, 2, v0
	v_lshrrev_b32_e32 v6, 3, v0
	s_addc_u32 s25, s15, s7
	s_load_dwordx2 s[14:15], s[4:5], 0x508
	v_add_lshl_u32 v8, v6, v3, 2
	v_add_u32_e32 v3, -1, v0
	v_lshrrev_b32_e32 v6, 5, v3
	s_xor_b32 s26, s33, 0x80000000
	v_add_lshl_u32 v9, v6, v3, 2
	v_mbcnt_lo_u32_b32 v3, -1, 0
	s_bitcmp1_b32 s6, 0
	v_mbcnt_hi_u32_b32 v10, -1, v3
	s_cselect_b64 s[4:5], -1, 0
	v_cmp_gt_u32_e64 s[6:7], 64, v0
	v_add_u32_e32 v0, s50, v0
	v_and_b32_e32 v11, 15, v10
	v_bfe_i32 v12, v10, 4, 1
	v_add_u32_e32 v13, -1, v10
	v_and_b32_e32 v14, 64, v10
                                        ; implicit-def: $vgpr15
	s_branch .LBB146_29
.LBB146_27:                             ;   in Loop: Header=BB146_29 Depth=1
	s_or_b64 exec, exec, s[18:19]
	v_add_u32_e32 v2, v3, v2
.LBB146_28:                             ;   in Loop: Header=BB146_29 Depth=1
	s_add_i32 s34, s34, -1
	v_add_u32_e32 v4, v16, v4
	s_cmp_lg_u32 s34, 0
	v_add_u32_e32 v0, 0x100, v0
	s_cbranch_scc0 .LBB146_48
.LBB146_29:                             ; =>This Inner Loop Header: Depth=1
	v_cmp_gt_u64_e32 vcc, s[8:9], v[0:1]
	v_mov_b32_e32 v3, v1
	v_mov_b32_e32 v6, v1
	s_and_saveexec_b64 s[18:19], vcc
	s_cbranch_execz .LBB146_31
; %bb.30:                               ;   in Loop: Header=BB146_29 Depth=1
	v_mad_u64_u32 v[6:7], s[28:29], v0, s12, 0
	v_mov_b32_e32 v16, v7
	v_mad_u64_u32 v[16:17], s[28:29], v0, s13, v[16:17]
	v_mov_b32_e32 v7, v16
	v_lshlrev_b64 v[6:7], 2, v[6:7]
	v_mov_b32_e32 v3, s21
	v_add_co_u32_e32 v6, vcc, s20, v6
	v_addc_co_u32_e32 v7, vcc, v3, v7, vcc
	global_load_dword v15, v[6:7], off
	s_waitcnt vmcnt(0)
	v_xor_b32_e32 v3, 0x80000000, v15
	v_cmp_lt_u32_e32 vcc, s26, v3
	v_cndmask_b32_e64 v6, 0, 1, vcc
	v_cmp_gt_u32_e32 vcc, s26, v3
	v_cndmask_b32_e64 v3, 0, 1, vcc
	v_cndmask_b32_e64 v3, v3, v6, s[4:5]
	v_cmp_eq_u32_e32 vcc, s33, v15
	v_and_b32_e32 v3, 1, v3
	v_cndmask_b32_e64 v6, 0, 1, vcc
.LBB146_31:                             ;   in Loop: Header=BB146_29 Depth=1
	s_or_b64 exec, exec, s[18:19]
	ds_write_b32 v5, v3
	s_waitcnt lgkmcnt(0)
	s_barrier
	s_and_saveexec_b64 s[18:19], s[6:7]
	s_cbranch_execz .LBB146_33
; %bb.32:                               ;   in Loop: Header=BB146_29 Depth=1
	ds_read2_b32 v[16:17], v8 offset1:1
	ds_read2_b32 v[18:19], v8 offset0:2 offset1:3
	v_cmp_ne_u32_e32 vcc, 0, v11
	; wave barrier
	s_waitcnt lgkmcnt(1)
	v_add_u32_e32 v7, v17, v16
	s_waitcnt lgkmcnt(0)
	v_add3_u32 v7, v7, v18, v19
	s_nop 1
	v_mov_b32_dpp v17, v7 row_shr:1 row_mask:0xf bank_mask:0xf
	v_cndmask_b32_e32 v17, 0, v17, vcc
	v_add_u32_e32 v7, v17, v7
	v_cmp_lt_u32_e32 vcc, 1, v11
	s_nop 0
	v_mov_b32_dpp v17, v7 row_shr:2 row_mask:0xf bank_mask:0xf
	v_cndmask_b32_e32 v17, 0, v17, vcc
	v_add_u32_e32 v7, v7, v17
	v_cmp_lt_u32_e32 vcc, 3, v11
	;; [unrolled: 5-line block ×4, first 2 shown]
	s_nop 0
	v_mov_b32_dpp v17, v7 row_bcast:15 row_mask:0xf bank_mask:0xf
	v_and_b32_e32 v17, v12, v17
	v_add_u32_e32 v7, v7, v17
	s_nop 1
	v_mov_b32_dpp v17, v7 row_bcast:31 row_mask:0xf bank_mask:0xf
	v_cndmask_b32_e32 v17, 0, v17, vcc
	v_cmp_lt_i32_e32 vcc, v13, v14
	v_add_u32_e32 v7, v7, v17
	v_cndmask_b32_e32 v17, v13, v10, vcc
	v_lshlrev_b32_e32 v17, 2, v17
	ds_bpermute_b32 v7, v17, v7
	s_waitcnt lgkmcnt(0)
	v_add_u32_e32 v7, v7, v16
	v_cndmask_b32_e64 v7, v7, v3, s[2:3]
	ds_write_b32 v8, v7
	; wave barrier
	ds_read2_b32 v[16:17], v8 offset0:1 offset1:2
	ds_read_b32 v18, v8 offset:12
	s_waitcnt lgkmcnt(1)
	v_add_u32_e32 v7, v16, v7
	v_add_u32_e32 v16, v17, v7
	ds_write2_b32 v8, v7, v16 offset0:1 offset1:2
	s_waitcnt lgkmcnt(1)
	v_add_u32_e32 v7, v18, v16
	ds_write_b32 v8, v7 offset:12
.LBB146_33:                             ;   in Loop: Header=BB146_29 Depth=1
	s_or_b64 exec, exec, s[18:19]
	v_mov_b32_e32 v7, 0
	s_waitcnt lgkmcnt(0)
	s_barrier
	s_and_saveexec_b64 s[18:19], s[0:1]
	s_cbranch_execz .LBB146_35
; %bb.34:                               ;   in Loop: Header=BB146_29 Depth=1
	ds_read_b32 v7, v9
.LBB146_35:                             ;   in Loop: Header=BB146_29 Depth=1
	s_or_b64 exec, exec, s[18:19]
	ds_read_b32 v16, v1 offset:1048
	v_cmp_ne_u32_e32 vcc, 0, v3
	s_waitcnt lgkmcnt(0)
	s_barrier
	s_and_saveexec_b64 s[18:19], vcc
	s_cbranch_execz .LBB146_37
; %bb.36:                               ;   in Loop: Header=BB146_29 Depth=1
	v_add_u32_e32 v3, v7, v4
	v_mad_u64_u32 v[18:19], s[28:29], v3, s16, 0
	v_mov_b32_e32 v20, v19
	v_mad_u64_u32 v[20:21], s[28:29], v3, s17, v[20:21]
	v_mov_b32_e32 v19, v20
	v_lshlrev_b64 v[18:19], 2, v[18:19]
	v_mov_b32_e32 v7, s23
	v_add_co_u32_e32 v18, vcc, s22, v18
	v_addc_co_u32_e32 v19, vcc, v7, v19, vcc
	global_store_dword v[18:19], v15, off
	v_mad_u64_u32 v[18:19], s[28:29], v3, s14, 0
	v_mov_b32_e32 v20, v19
	v_mad_u64_u32 v[20:21], s[28:29], v3, s15, v[20:21]
	v_mov_b32_e32 v19, v20
	v_lshlrev_b64 v[18:19], 3, v[18:19]
	v_mov_b32_e32 v3, s25
	v_add_co_u32_e32 v18, vcc, s24, v18
	v_addc_co_u32_e32 v19, vcc, v3, v19, vcc
	global_store_dwordx2 v[18:19], v[0:1], off
.LBB146_37:                             ;   in Loop: Header=BB146_29 Depth=1
	s_or_b64 exec, exec, s[18:19]
	v_mov_b32_e32 v3, v1
	v_cmp_le_u64_e32 vcc, s[10:11], v[2:3]
	s_cbranch_vccnz .LBB146_28
; %bb.38:                               ;   in Loop: Header=BB146_29 Depth=1
	ds_write_b32 v5, v6
	s_waitcnt lgkmcnt(0)
	s_barrier
	s_and_saveexec_b64 s[18:19], s[6:7]
	s_cbranch_execz .LBB146_40
; %bb.39:                               ;   in Loop: Header=BB146_29 Depth=1
	ds_read2_b32 v[18:19], v8 offset1:1
	ds_read2_b32 v[20:21], v8 offset0:2 offset1:3
	v_cmp_ne_u32_e32 vcc, 0, v11
	; wave barrier
	s_waitcnt lgkmcnt(1)
	v_add_u32_e32 v3, v19, v18
	s_waitcnt lgkmcnt(0)
	v_add3_u32 v3, v3, v20, v21
	s_nop 1
	v_mov_b32_dpp v7, v3 row_shr:1 row_mask:0xf bank_mask:0xf
	v_cndmask_b32_e32 v7, 0, v7, vcc
	v_add_u32_e32 v3, v7, v3
	v_cmp_lt_u32_e32 vcc, 1, v11
	s_nop 0
	v_mov_b32_dpp v7, v3 row_shr:2 row_mask:0xf bank_mask:0xf
	v_cndmask_b32_e32 v7, 0, v7, vcc
	v_add_u32_e32 v3, v3, v7
	v_cmp_lt_u32_e32 vcc, 3, v11
	;; [unrolled: 5-line block ×4, first 2 shown]
	s_nop 0
	v_mov_b32_dpp v7, v3 row_bcast:15 row_mask:0xf bank_mask:0xf
	v_and_b32_e32 v7, v12, v7
	v_add_u32_e32 v3, v3, v7
	s_nop 1
	v_mov_b32_dpp v7, v3 row_bcast:31 row_mask:0xf bank_mask:0xf
	v_cndmask_b32_e32 v7, 0, v7, vcc
	v_cmp_lt_i32_e32 vcc, v13, v14
	v_add_u32_e32 v3, v3, v7
	v_cndmask_b32_e32 v7, v13, v10, vcc
	v_lshlrev_b32_e32 v7, 2, v7
	ds_bpermute_b32 v3, v7, v3
	s_waitcnt lgkmcnt(0)
	v_add_u32_e32 v3, v3, v18
	v_cndmask_b32_e64 v3, v3, v6, s[2:3]
	ds_write_b32 v8, v3
	; wave barrier
	ds_read2_b32 v[18:19], v8 offset0:1 offset1:2
	ds_read_b32 v7, v8 offset:12
	s_waitcnt lgkmcnt(1)
	v_add_u32_e32 v3, v18, v3
	v_add_u32_e32 v17, v19, v3
	ds_write2_b32 v8, v3, v17 offset0:1 offset1:2
	s_waitcnt lgkmcnt(1)
	v_add_u32_e32 v3, v7, v17
	ds_write_b32 v8, v3 offset:12
.LBB146_40:                             ;   in Loop: Header=BB146_29 Depth=1
	s_or_b64 exec, exec, s[18:19]
	v_mov_b32_e32 v7, 0
	s_waitcnt lgkmcnt(0)
	s_barrier
	s_and_saveexec_b64 s[18:19], s[0:1]
	s_cbranch_execz .LBB146_42
; %bb.41:                               ;   in Loop: Header=BB146_29 Depth=1
	ds_read_b32 v7, v9
.LBB146_42:                             ;   in Loop: Header=BB146_29 Depth=1
	s_or_b64 exec, exec, s[18:19]
	ds_read_b32 v3, v1 offset:1048
	v_cmp_ne_u32_e32 vcc, 0, v6
	s_waitcnt lgkmcnt(0)
	s_barrier
	s_and_saveexec_b64 s[18:19], vcc
	s_cbranch_execz .LBB146_27
; %bb.43:                               ;   in Loop: Header=BB146_29 Depth=1
	v_add_u32_e32 v6, v7, v2
	v_mov_b32_e32 v7, v1
	v_cmp_gt_u64_e32 vcc, s[10:11], v[6:7]
	s_and_b64 exec, exec, vcc
	s_cbranch_execz .LBB146_27
; %bb.44:                               ;   in Loop: Header=BB146_29 Depth=1
	v_mad_u64_u32 v[18:19], s[28:29], v6, s16, 0
	v_mov_b32_e32 v20, v19
	v_mad_u64_u32 v[20:21], s[28:29], v6, s17, v[20:21]
	v_mov_b32_e32 v19, v20
	v_lshlrev_b64 v[18:19], 2, v[18:19]
	v_mov_b32_e32 v7, s23
	v_add_co_u32_e32 v18, vcc, s22, v18
	v_addc_co_u32_e32 v19, vcc, v7, v19, vcc
	global_store_dword v[18:19], v15, off
	v_mad_u64_u32 v[18:19], s[28:29], v6, s14, 0
	v_mov_b32_e32 v20, v19
	v_mad_u64_u32 v[6:7], s[28:29], v6, s15, v[20:21]
	v_mov_b32_e32 v19, v6
	v_lshlrev_b64 v[6:7], 3, v[18:19]
	v_mov_b32_e32 v17, s25
	v_add_co_u32_e32 v6, vcc, s24, v6
	v_addc_co_u32_e32 v7, vcc, v17, v7, vcc
	global_store_dwordx2 v[6:7], v[0:1], off
	s_branch .LBB146_27
.LBB146_45:                             ;   in Loop: Header=BB146_46 Depth=1
	s_add_u32 s16, s16, 4
	s_addc_u32 s17, s17, 0
	s_waitcnt lgkmcnt(0)
	s_add_i32 s20, s15, s20
	s_add_u32 s18, s18, 4
	s_addc_u32 s19, s19, 0
	s_add_i32 s14, s14, 1
	s_cmp_lt_u32 s14, s35
	s_cbranch_scc0 .LBB146_24
.LBB146_46:                             ; =>This Inner Loop Header: Depth=1
	s_load_dword s15, s[16:17], 0x0
	s_cmp_ge_u32 s14, s28
	s_cbranch_scc1 .LBB146_45
; %bb.47:                               ;   in Loop: Header=BB146_46 Depth=1
	s_load_dword s22, s[18:19], 0x0
	s_waitcnt lgkmcnt(0)
	s_add_i32 s21, s15, s21
	s_add_i32 s7, s22, s7
	s_branch .LBB146_45
.LBB146_48:
	s_endpgm
	.section	.rodata,"a",@progbits
	.p2align	6, 0x0
	.amdhsa_kernel _ZN2at6native6mbtopk10gatherTopKIimLi2EEEvNS_4cuda6detail10TensorInfoIKT_T0_EES8_S8_bjS8_NS5_IS6_S8_EES8_NS5_IlS8_EES8_jjPS6_PjSD_j
		.amdhsa_group_segment_fixed_size 1068
		.amdhsa_private_segment_fixed_size 0
		.amdhsa_kernarg_size 1592
		.amdhsa_user_sgpr_count 6
		.amdhsa_user_sgpr_private_segment_buffer 1
		.amdhsa_user_sgpr_dispatch_ptr 0
		.amdhsa_user_sgpr_queue_ptr 0
		.amdhsa_user_sgpr_kernarg_segment_ptr 1
		.amdhsa_user_sgpr_dispatch_id 0
		.amdhsa_user_sgpr_flat_scratch_init 0
		.amdhsa_user_sgpr_kernarg_preload_length 0
		.amdhsa_user_sgpr_kernarg_preload_offset 0
		.amdhsa_user_sgpr_private_segment_size 0
		.amdhsa_uses_dynamic_stack 0
		.amdhsa_system_sgpr_private_segment_wavefront_offset 0
		.amdhsa_system_sgpr_workgroup_id_x 1
		.amdhsa_system_sgpr_workgroup_id_y 1
		.amdhsa_system_sgpr_workgroup_id_z 1
		.amdhsa_system_sgpr_workgroup_info 0
		.amdhsa_system_vgpr_workitem_id 0
		.amdhsa_next_free_vgpr 22
		.amdhsa_next_free_sgpr 51
		.amdhsa_accum_offset 24
		.amdhsa_reserve_vcc 1
		.amdhsa_reserve_flat_scratch 0
		.amdhsa_float_round_mode_32 0
		.amdhsa_float_round_mode_16_64 0
		.amdhsa_float_denorm_mode_32 3
		.amdhsa_float_denorm_mode_16_64 3
		.amdhsa_dx10_clamp 1
		.amdhsa_ieee_mode 1
		.amdhsa_fp16_overflow 0
		.amdhsa_tg_split 0
		.amdhsa_exception_fp_ieee_invalid_op 0
		.amdhsa_exception_fp_denorm_src 0
		.amdhsa_exception_fp_ieee_div_zero 0
		.amdhsa_exception_fp_ieee_overflow 0
		.amdhsa_exception_fp_ieee_underflow 0
		.amdhsa_exception_fp_ieee_inexact 0
		.amdhsa_exception_int_div_zero 0
	.end_amdhsa_kernel
	.section	.text._ZN2at6native6mbtopk10gatherTopKIimLi2EEEvNS_4cuda6detail10TensorInfoIKT_T0_EES8_S8_bjS8_NS5_IS6_S8_EES8_NS5_IlS8_EES8_jjPS6_PjSD_j,"axG",@progbits,_ZN2at6native6mbtopk10gatherTopKIimLi2EEEvNS_4cuda6detail10TensorInfoIKT_T0_EES8_S8_bjS8_NS5_IS6_S8_EES8_NS5_IlS8_EES8_jjPS6_PjSD_j,comdat
.Lfunc_end146:
	.size	_ZN2at6native6mbtopk10gatherTopKIimLi2EEEvNS_4cuda6detail10TensorInfoIKT_T0_EES8_S8_bjS8_NS5_IS6_S8_EES8_NS5_IlS8_EES8_jjPS6_PjSD_j, .Lfunc_end146-_ZN2at6native6mbtopk10gatherTopKIimLi2EEEvNS_4cuda6detail10TensorInfoIKT_T0_EES8_S8_bjS8_NS5_IS6_S8_EES8_NS5_IlS8_EES8_jjPS6_PjSD_j
                                        ; -- End function
	.section	.AMDGPU.csdata,"",@progbits
; Kernel info:
; codeLenInByte = 2696
; NumSgprs: 55
; NumVgprs: 22
; NumAgprs: 0
; TotalNumVgprs: 22
; ScratchSize: 0
; MemoryBound: 0
; FloatMode: 240
; IeeeMode: 1
; LDSByteSize: 1068 bytes/workgroup (compile time only)
; SGPRBlocks: 6
; VGPRBlocks: 2
; NumSGPRsForWavesPerEU: 55
; NumVGPRsForWavesPerEU: 22
; AccumOffset: 24
; Occupancy: 8
; WaveLimiterHint : 1
; COMPUTE_PGM_RSRC2:SCRATCH_EN: 0
; COMPUTE_PGM_RSRC2:USER_SGPR: 6
; COMPUTE_PGM_RSRC2:TRAP_HANDLER: 0
; COMPUTE_PGM_RSRC2:TGID_X_EN: 1
; COMPUTE_PGM_RSRC2:TGID_Y_EN: 1
; COMPUTE_PGM_RSRC2:TGID_Z_EN: 1
; COMPUTE_PGM_RSRC2:TIDIG_COMP_CNT: 0
; COMPUTE_PGM_RSRC3_GFX90A:ACCUM_OFFSET: 5
; COMPUTE_PGM_RSRC3_GFX90A:TG_SPLIT: 0
	.section	.text._ZN2at6native6sbtopk10gatherTopKIimLi2ELb0EEEvNS_4cuda6detail10TensorInfoIKT_T0_EES8_S8_bS8_S8_NS5_IS6_S8_EES8_NS5_IlS8_EES8_PS6_,"axG",@progbits,_ZN2at6native6sbtopk10gatherTopKIimLi2ELb0EEEvNS_4cuda6detail10TensorInfoIKT_T0_EES8_S8_bS8_S8_NS5_IS6_S8_EES8_NS5_IlS8_EES8_PS6_,comdat
	.protected	_ZN2at6native6sbtopk10gatherTopKIimLi2ELb0EEEvNS_4cuda6detail10TensorInfoIKT_T0_EES8_S8_bS8_S8_NS5_IS6_S8_EES8_NS5_IlS8_EES8_PS6_ ; -- Begin function _ZN2at6native6sbtopk10gatherTopKIimLi2ELb0EEEvNS_4cuda6detail10TensorInfoIKT_T0_EES8_S8_bS8_S8_NS5_IS6_S8_EES8_NS5_IlS8_EES8_PS6_
	.globl	_ZN2at6native6sbtopk10gatherTopKIimLi2ELb0EEEvNS_4cuda6detail10TensorInfoIKT_T0_EES8_S8_bS8_S8_NS5_IS6_S8_EES8_NS5_IlS8_EES8_PS6_
	.p2align	8
	.type	_ZN2at6native6sbtopk10gatherTopKIimLi2ELb0EEEvNS_4cuda6detail10TensorInfoIKT_T0_EES8_S8_bS8_S8_NS5_IS6_S8_EES8_NS5_IlS8_EES8_PS6_,@function
_ZN2at6native6sbtopk10gatherTopKIimLi2ELb0EEEvNS_4cuda6detail10TensorInfoIKT_T0_EES8_S8_bS8_S8_NS5_IS6_S8_EES8_NS5_IlS8_EES8_PS6_: ; @_ZN2at6native6sbtopk10gatherTopKIimLi2ELb0EEEvNS_4cuda6detail10TensorInfoIKT_T0_EES8_S8_bS8_S8_NS5_IS6_S8_EES8_NS5_IlS8_EES8_PS6_
; %bb.0:
	s_load_dwordx4 s[56:59], s[4:5], 0x1b8
	s_load_dwordx2 s[10:11], s[4:5], 0x520
	s_add_u32 s20, s4, 0x520
	s_addc_u32 s21, s5, 0
	s_mov_b32 s23, 0
	s_waitcnt lgkmcnt(0)
	v_mov_b32_e32 v2, s56
	s_mul_i32 s0, s11, s8
	s_add_i32 s0, s0, s7
	s_mul_i32 s0, s0, s10
	v_mov_b32_e32 v3, s57
	s_add_i32 s22, s0, s6
	v_cmp_ge_u64_e32 vcc, s[22:23], v[2:3]
	s_cbranch_vccnz .LBB147_489
; %bb.1:
	s_load_dwordx2 s[8:9], s[4:5], 0x10
	s_load_dwordx2 s[16:17], s[4:5], 0x380
	;; [unrolled: 1-line block ×3, first 2 shown]
	s_mov_b64 s[0:1], 0
                                        ; implicit-def: $vgpr46 : SGPR spill to VGPR lane
	s_mov_b64 s[12:13], 0
	s_waitcnt lgkmcnt(0)
	v_pk_mov_b32 v[2:3], s[8:9], s[8:9] op_sel:[0,1]
	v_cmp_lt_u64_e32 vcc, s[22:23], v[2:3]
	v_writelane_b32 v46, s0, 0
	v_writelane_b32 v46, s1, 1
	s_cbranch_vccnz .LBB147_3
; %bb.2:
	v_cvt_f32_u32_e32 v1, s8
	s_sub_i32 s0, 0, s8
	v_rcp_iflag_f32_e32 v1, v1
	v_mul_f32_e32 v1, 0x4f7ffffe, v1
	v_cvt_u32_f32_e32 v1, v1
	v_readfirstlane_b32 s1, v1
	s_mul_i32 s0, s0, s1
	s_mul_hi_u32 s0, s1, s0
	s_add_i32 s1, s1, s0
	s_mul_hi_u32 s0, s22, s1
	s_mul_i32 s2, s0, s8
	s_sub_i32 s2, s22, s2
	s_add_i32 s1, s0, 1
	s_sub_i32 s3, s2, s8
	s_cmp_ge_u32 s2, s8
	s_cselect_b32 s0, s1, s0
	s_cselect_b32 s2, s3, s2
	s_add_i32 s1, s0, 1
	s_cmp_ge_u32 s2, s8
	s_cselect_b32 s12, s1, s0
.LBB147_3:
	v_pk_mov_b32 v[2:3], s[14:15], s[14:15] op_sel:[0,1]
	v_cmp_lt_u64_e32 vcc, s[22:23], v[2:3]
	s_cbranch_vccnz .LBB147_5
; %bb.4:
	v_cvt_f32_u32_e32 v1, s14
	s_sub_i32 s0, 0, s14
	v_rcp_iflag_f32_e32 v1, v1
	v_mul_f32_e32 v1, 0x4f7ffffe, v1
	v_cvt_u32_f32_e32 v1, v1
	v_readfirstlane_b32 s1, v1
	s_mul_i32 s0, s0, s1
	s_mul_hi_u32 s0, s1, s0
	s_add_i32 s1, s1, s0
	s_mul_hi_u32 s0, s22, s1
	s_mul_i32 s2, s0, s14
	s_sub_i32 s2, s22, s2
	s_add_i32 s1, s0, 1
	s_sub_i32 s3, s2, s14
	s_cmp_ge_u32 s2, s14
	s_cselect_b32 s0, s1, s0
	s_cselect_b32 s2, s3, s2
	s_add_i32 s1, s0, 1
	s_cmp_ge_u32 s2, s14
	s_cselect_b32 s0, s1, s0
	v_writelane_b32 v46, s0, 0
	v_writelane_b32 v46, s1, 1
.LBB147_5:
	v_writelane_b32 v46, s14, 2
	v_writelane_b32 v46, s15, 3
	s_load_dwordx2 s[14:15], s[4:5], 0x0
	v_pk_mov_b32 v[2:3], s[16:17], s[16:17] op_sel:[0,1]
	v_cmp_lt_u64_e32 vcc, s[22:23], v[2:3]
	s_mov_b64 s[0:1], 0
	v_writelane_b32 v46, s0, 4
	v_writelane_b32 v46, s1, 5
	s_cbranch_vccnz .LBB147_7
; %bb.6:
	v_cvt_f32_u32_e32 v1, s16
	s_sub_i32 s0, 0, s16
	v_rcp_iflag_f32_e32 v1, v1
	v_mul_f32_e32 v1, 0x4f7ffffe, v1
	v_cvt_u32_f32_e32 v1, v1
	v_readfirstlane_b32 s1, v1
	s_mul_i32 s0, s0, s1
	s_mul_hi_u32 s0, s1, s0
	s_add_i32 s1, s1, s0
	s_mul_hi_u32 s0, s22, s1
	s_mul_i32 s2, s0, s16
	s_sub_i32 s2, s22, s2
	s_add_i32 s1, s0, 1
	s_sub_i32 s3, s2, s16
	s_cmp_ge_u32 s2, s16
	s_cselect_b32 s0, s1, s0
	s_cselect_b32 s2, s3, s2
	s_add_i32 s1, s0, 1
	s_cmp_ge_u32 s2, s16
	s_cselect_b32 s0, s1, s0
	v_writelane_b32 v46, s0, 4
	v_writelane_b32 v46, s1, 5
.LBB147_7:
	s_load_dwordx2 s[0:1], s[4:5], 0x370
	v_writelane_b32 v46, s16, 6
	v_writelane_b32 v46, s17, 7
	s_mov_b32 s85, 0
	v_cmp_eq_u32_e64 s[18:19], 0, v0
	s_waitcnt lgkmcnt(0)
	v_writelane_b32 v46, s0, 8
	v_writelane_b32 v46, s1, 9
	s_load_dwordx2 s[0:1], s[4:5], 0x1c8
	s_waitcnt lgkmcnt(0)
	v_writelane_b32 v46, s0, 10
	v_writelane_b32 v46, s1, 11
	s_load_dwordx4 s[0:3], s[4:5], 0xd0
	s_load_dwordx4 s[60:63], s[4:5], 0x1a0
	s_mov_b64 s[16:17], exec
	v_writelane_b32 v46, s18, 12
	v_writelane_b32 v46, s19, 13
	s_and_b64 s[18:19], s[16:17], s[18:19]
	s_mov_b64 exec, s[18:19]
	s_cbranch_execz .LBB147_9
; %bb.8:
	v_mov_b32_e32 v2, 0
	s_waitcnt lgkmcnt(0)
	v_mov_b32_e32 v4, s60
	v_mov_b32_e32 v5, s61
	;; [unrolled: 1-line block ×3, first 2 shown]
	ds_write_b32 v2, v2 offset:5144
	ds_write_b128 v2, v[2:5] offset:5120
.LBB147_9:
	s_or_b64 exec, exec, s[16:17]
	s_mul_i32 s7, s12, s9
	s_mul_hi_u32 s9, s12, s8
	s_add_i32 s9, s9, s7
	s_mul_i32 s7, s12, s8
	s_mov_b32 s8, s22
	v_writelane_b32 v46, s8, 14
	s_sub_u32 s7, s22, s7
	v_writelane_b32 v46, s9, 15
	s_subb_u32 s8, 0, s9
	s_waitcnt lgkmcnt(0)
	s_mul_i32 s3, s7, s3
	s_mul_hi_u32 s9, s7, s2
	s_mul_i32 s8, s8, s2
	s_mul_i32 s2, s7, s2
	s_mul_i32 s1, s12, s1
	s_mul_hi_u32 s7, s12, s0
	s_load_dwordx4 s[16:19], s[4:5], 0x298
	s_add_i32 s3, s9, s3
	s_add_i32 s1, s7, s1
	s_mul_i32 s0, s12, s0
	s_add_i32 s3, s3, s8
	s_load_dword s8, s[4:5], 0x1b0
	s_lshl_b64 s[0:1], s[0:1], 2
	s_add_u32 s7, s14, s0
	s_addc_u32 s9, s15, s1
	s_lshl_b64 s[0:1], s[2:3], 2
	s_waitcnt lgkmcnt(0)
	v_writelane_b32 v46, s16, 16
	s_add_u32 s33, s7, s0
	v_writelane_b32 v46, s17, 17
	s_addc_u32 s86, s9, s1
	v_writelane_b32 v46, s18, 18
	s_bitcmp1_b32 s8, 0
	v_writelane_b32 v46, s19, 19
	s_cselect_b64 s[0:1], -1, 0
	v_writelane_b32 v46, s0, 20
	v_mbcnt_lo_u32_b32 v1, -1, 0
	v_writelane_b32 v46, s1, 21
	s_xor_b64 s[0:1], s[0:1], -1
	v_mbcnt_hi_u32_b32 v29, -1, v1
	v_writelane_b32 v46, s0, 22
	v_cmp_gt_u32_e32 vcc, 64, v0
	v_cmp_gt_i32_e64 s[2:3], 4, v29
	v_writelane_b32 v46, s1, 23
	s_and_b64 s[2:3], vcc, s[2:3]
	v_mov_b32_e32 v2, 0x300
	v_writelane_b32 v46, s2, 24
	v_mov_b32_e32 v3, 0
	v_mov_b32_e32 v15, 0
	v_writelane_b32 v46, s3, 25
	v_cmp_gt_u64_e64 s[2:3], s[60:61], v[2:3]
	v_writelane_b32 v46, s2, 26
	v_mov_b32_e32 v1, v15
	v_writelane_b32 v46, s3, 27
	v_cmp_gt_u64_e64 s[2:3], s[60:61], v[0:1]
	v_writelane_b32 v46, s2, 28
	v_writelane_b32 v46, s3, 29
	v_mad_u64_u32 v[2:3], s[2:3], v0, s58, 0
	v_mov_b32_e32 v4, v3
	v_mad_u64_u32 v[4:5], s[2:3], v0, s59, v[4:5]
	v_cmp_gt_u32_e64 s[2:3], 2, v0
	v_writelane_b32 v46, s2, 30
	s_barrier
	v_writelane_b32 v46, s3, 31
	s_load_dword s2, s[20:21], 0xc
	v_mov_b32_e32 v3, v4
	v_lshlrev_b64 v[2:3], 2, v[2:3]
	v_add_co_u32_e32 v12, vcc, s33, v2
	s_waitcnt lgkmcnt(0)
	s_and_b32 s87, s2, 0xffff
	s_bfe_u32 s3, s2, 0xa0006
	v_cmp_gt_u16_e64 s[8:9], s2, 63
	v_writelane_b32 v46, s8, 32
	s_add_u32 s2, s87, -1
	v_writelane_b32 v46, s9, 33
	s_addc_u32 s7, 0, -1
	v_writelane_b32 v46, s2, 34
	s_add_u32 s2, s2, s60
	s_addc_u32 s93, s7, s61
	s_cmp_lt_u32 s6, s10
	v_writelane_b32 v46, s2, 35
	s_cselect_b32 s2, 12, 18
	s_add_u32 s6, s20, s2
	v_writelane_b32 v46, s7, 36
	s_addc_u32 s7, s21, 0
	v_writelane_b32 v46, s6, 37
	v_writelane_b32 v46, s7, 38
	s_add_i32 s2, s3, -1
	s_bfe_u32 s6, s87, 0x30006
	s_cmp_gt_u32 s2, 6
	s_cselect_b64 s[8:9], -1, 0
	v_writelane_b32 v46, s8, 39
	s_and_b32 s94, s3, 0x3f8
	v_writelane_b32 v46, s9, 40
	s_cmp_lg_u32 s6, 0
	v_writelane_b32 v46, s6, 41
	s_cselect_b64 s[2:3], -1, 0
	v_writelane_b32 v46, s2, 42
	v_writelane_b32 v46, s3, 43
	;; [unrolled: 1-line block ×4, first 2 shown]
	s_load_dwordx4 s[4:7], s[4:5], 0x440
	v_lshrrev_b32_e32 v2, 4, v0
	v_mov_b32_e32 v30, s86
	v_and_b32_e32 v31, 60, v2
	v_lshlrev_b32_e32 v2, 2, v29
	s_waitcnt lgkmcnt(0)
	v_writelane_b32 v46, s4, 46
	v_addc_co_u32_e32 v13, vcc, v30, v3, vcc
	v_and_b32_e32 v28, 0x100, v2
	v_lshlrev_b64 v[2:3], v29, -1
	v_writelane_b32 v46, s5, 47
	v_lshlrev_b32_e32 v16, 2, v0
	v_not_b32_e32 v10, v2
	v_mov_b32_e32 v2, 0xc00
	v_writelane_b32 v46, s6, 48
	v_cmp_eq_u32_e64 s[0:1], 0, v29
	v_mov_b32_e32 v17, v15
	v_add_u32_e32 v32, 0xc00, v16
	v_not_b32_e32 v11, v3
	s_mov_b32 s88, s85
	v_lshlrev_b32_e32 v33, 4, v0
	v_lshl_or_b32 v34, v29, 3, v2
	s_lshl_b32 s95, s87, 2
	s_mov_b32 s89, 30
	s_mov_b64 s[64:65], 0
	v_pk_mov_b32 v[22:23], s[62:63], s[62:63] op_sel:[0,1]
	v_mov_b32_e32 v18, 1
	v_mov_b32_e32 v35, 0x4f800000
	v_writelane_b32 v46, s7, 49
	v_mov_b32_e32 v21, 0
	s_mov_b32 s2, 0
	v_mov_b32_e32 v37, 0
	v_mov_b32_e32 v36, 0
                                        ; implicit-def: $sgpr66_sgpr67
                                        ; implicit-def: $sgpr70_sgpr71
                                        ; implicit-def: $sgpr78_sgpr79
                                        ; implicit-def: $sgpr72_sgpr73
                                        ; implicit-def: $sgpr76_sgpr77
                                        ; implicit-def: $sgpr74_sgpr75
                                        ; implicit-def: $sgpr30_sgpr31
                                        ; implicit-def: $sgpr68_sgpr69
                                        ; implicit-def: $sgpr80_sgpr81
	v_writelane_b32 v46, s2, 50
                                        ; implicit-def: $sgpr82_sgpr83
	s_branch .LBB147_12
.LBB147_10:                             ;   in Loop: Header=BB147_12 Depth=1
	s_or_b64 exec, exec, s[8:9]
	s_andn2_b64 s[8:9], s[82:83], exec
	s_and_b64 s[6:7], s[6:7], exec
	s_or_b64 s[82:83], s[8:9], s[6:7]
	s_andn2_b64 s[80:81], s[80:81], exec
	s_andn2_b64 s[68:69], s[68:69], exec
	s_andn2_b64 s[30:31], s[30:31], exec
	s_andn2_b64 s[74:75], s[74:75], exec
	s_orn2_b64 s[4:5], s[4:5], exec
	v_mov_b32_e32 v36, v24
	v_mov_b32_e32 v37, v20
	v_pk_mov_b32 v[22:23], v[4:5], v[4:5] op_sel:[0,1]
	v_mov_b32_e32 v21, v3
.LBB147_11:                             ;   in Loop: Header=BB147_12 Depth=1
	s_or_b64 exec, exec, s[2:3]
	s_and_b64 s[2:3], exec, s[4:5]
	s_or_b64 s[64:65], s[2:3], s[64:65]
	s_andn2_b64 s[2:3], s[76:77], exec
	s_and_b64 s[4:5], s[82:83], exec
	s_or_b64 s[76:77], s[2:3], s[4:5]
	s_andn2_b64 s[2:3], s[72:73], exec
	s_and_b64 s[4:5], s[80:81], exec
	;; [unrolled: 3-line block ×5, first 2 shown]
	s_or_b64 s[66:67], s[2:3], s[4:5]
	s_andn2_b64 exec, exec, s[64:65]
	s_cbranch_execz .LBB147_485
.LBB147_12:                             ; =>This Loop Header: Depth=1
                                        ;     Child Loop BB147_20 Depth 2
                                        ;     Child Loop BB147_35 Depth 2
	;; [unrolled: 1-line block ×24, first 2 shown]
	ds_read_b128 v[2:5], v15 offset:5120
	s_waitcnt lgkmcnt(0)
	v_readfirstlane_b32 s9, v3
	v_readfirstlane_b32 s8, v2
	s_cmp_lg_u64 s[8:9], 0
	s_cbranch_scc1 .LBB147_42
; %bb.13:                               ;   in Loop: Header=BB147_12 Depth=1
	v_readlane_b32 s2, v46, 26
	v_readlane_b32 s3, v46, 27
	s_and_b64 vcc, exec, s[2:3]
	s_cbranch_vccz .LBB147_28
; %bb.14:                               ;   in Loop: Header=BB147_12 Depth=1
	s_mov_b64 s[2:3], 0x301
	v_cmp_gt_u64_e32 vcc, s[2:3], v[4:5]
	s_mov_b64 s[8:9], 0
	s_mov_b64 s[2:3], 0
	s_cbranch_vccz .LBB147_29
; %bb.15:                               ;   in Loop: Header=BB147_12 Depth=1
	v_mov_b32_e32 v4, 0
	s_mov_b64 s[2:3], exec
	v_readlane_b32 s4, v46, 28
	v_readlane_b32 s5, v46, 29
	s_and_b64 s[4:5], s[2:3], s[4:5]
	s_mov_b64 exec, s[4:5]
	s_cbranch_execz .LBB147_17
; %bb.16:                               ;   in Loop: Header=BB147_12 Depth=1
	global_load_dword v4, v[12:13], off
.LBB147_17:                             ;   in Loop: Header=BB147_12 Depth=1
	s_or_b64 exec, exec, s[2:3]
	s_mov_b64 s[2:3], exec
	v_readlane_b32 s4, v46, 28
	v_readlane_b32 s5, v46, 29
	s_and_b64 s[4:5], s[2:3], s[4:5]
	s_mov_b64 exec, s[4:5]
	s_cbranch_execz .LBB147_101
; %bb.18:                               ;   in Loop: Header=BB147_12 Depth=1
	v_readlane_b32 s4, v46, 37
	v_readlane_b32 s5, v46, 38
	v_pk_mov_b32 v[2:3], v[0:1], v[0:1] op_sel:[0,1]
	s_nop 3
	global_load_ushort v5, v15, s[4:5]
	s_mov_b64 s[4:5], 0
	s_branch .LBB147_20
.LBB147_19:                             ;   in Loop: Header=BB147_20 Depth=2
	s_or_b64 exec, exec, s[6:7]
	s_waitcnt vmcnt(0)
	v_mov_b32_e32 v4, v6
	s_andn2_b64 exec, exec, s[4:5]
	s_cbranch_execz .LBB147_101
.LBB147_20:                             ;   Parent Loop BB147_12 Depth=1
                                        ; =>  This Inner Loop Header: Depth=2
	s_waitcnt vmcnt(0)
	v_add_co_u32_sdwa v2, vcc, v2, v5 dst_sel:DWORD dst_unused:UNUSED_PAD src0_sel:DWORD src1_sel:WORD_0
	v_addc_co_u32_e32 v3, vcc, 0, v3, vcc
	v_cmp_gt_u64_e64 s[6:7], s[60:61], v[2:3]
	v_cmp_le_u64_e32 vcc, s[60:61], v[2:3]
	s_waitcnt lgkmcnt(0)
	v_mov_b32_e32 v7, 0
	v_mov_b32_e32 v6, 0
	s_and_saveexec_b64 s[10:11], s[6:7]
	s_cbranch_execz .LBB147_22
; %bb.21:                               ;   in Loop: Header=BB147_20 Depth=2
	v_mul_lo_u32 v6, v3, s58
	v_mul_lo_u32 v14, v2, s59
	v_mad_u64_u32 v[8:9], s[6:7], v2, s58, 0
	v_add3_u32 v9, v9, v14, v6
	v_lshlrev_b64 v[8:9], 2, v[8:9]
	v_add_co_u32_e64 v8, s[6:7], s33, v8
	v_addc_co_u32_e64 v9, s[6:7], v30, v9, s[6:7]
	global_load_dword v6, v[8:9], off
.LBB147_22:                             ;   in Loop: Header=BB147_20 Depth=2
	s_or_b64 exec, exec, s[10:11]
	v_xor_b32_e32 v8, 0x80000000, v4
	v_and_b32_e32 v8, v8, v36
	v_cmp_eq_u32_e64 s[14:15], v8, v37
	s_cmp_lg_u64 s[14:15], 0
	s_cselect_b64 s[6:7], -1, 0
	s_and_b64 s[6:7], s[0:1], s[6:7]
	s_and_saveexec_b64 s[10:11], s[6:7]
	s_cbranch_execz .LBB147_26
; %bb.23:                               ;   in Loop: Header=BB147_20 Depth=2
	s_mov_b64 s[16:17], exec
	v_mbcnt_lo_u32_b32 v7, s16, 0
	v_mbcnt_hi_u32_b32 v7, s17, v7
	s_bcnt1_i32_b64 s18, s[14:15]
	v_cmp_eq_u32_e64 s[6:7], 0, v7
                                        ; implicit-def: $vgpr8
	s_and_saveexec_b64 s[12:13], s[6:7]
	s_cbranch_execz .LBB147_25
; %bb.24:                               ;   in Loop: Header=BB147_20 Depth=2
	s_bcnt1_i32_b64 s6, s[16:17]
	s_mul_i32 s6, s18, s6
	v_mov_b32_e32 v8, s6
	ds_add_rtn_u32 v8, v15, v8 offset:5144
.LBB147_25:                             ;   in Loop: Header=BB147_20 Depth=2
	s_or_b64 exec, exec, s[12:13]
	s_waitcnt lgkmcnt(0)
	v_readfirstlane_b32 s6, v8
	v_mov_b32_e32 v8, s6
	v_mad_u32_u24 v7, s18, v7, v8
.LBB147_26:                             ;   in Loop: Header=BB147_20 Depth=2
	s_or_b64 exec, exec, s[10:11]
	ds_bpermute_b32 v7, v28, v7
	s_and_b64 s[6:7], exec, vcc
	s_or_b64 s[4:5], s[6:7], s[4:5]
	s_and_saveexec_b64 s[6:7], s[14:15]
	s_cbranch_execz .LBB147_19
; %bb.27:                               ;   in Loop: Header=BB147_20 Depth=2
	v_and_b32_e32 v9, s14, v10
	v_and_b32_e32 v8, s15, v11
	v_bcnt_u32_b32 v9, v9, 0
	v_bcnt_u32_b32 v8, v8, v9
	v_lshlrev_b32_e32 v8, 2, v8
	s_waitcnt lgkmcnt(0)
	v_lshl_add_u32 v7, v7, 2, v8
	ds_write_b32 v7, v4
	s_branch .LBB147_19
.LBB147_28:                             ;   in Loop: Header=BB147_12 Depth=1
	s_mov_b64 s[8:9], -1
	s_mov_b64 s[2:3], 0
.LBB147_29:                             ;   in Loop: Header=BB147_12 Depth=1
	s_and_b64 vcc, exec, s[8:9]
	s_cbranch_vccz .LBB147_40
.LBB147_30:                             ;   in Loop: Header=BB147_12 Depth=1
	s_waitcnt vmcnt(0)
	v_mov_b32_e32 v4, 0
	s_mov_b64 s[2:3], exec
	v_readlane_b32 s4, v46, 28
	v_readlane_b32 s5, v46, 29
	s_and_b64 s[4:5], s[2:3], s[4:5]
	s_mov_b64 exec, s[4:5]
	s_cbranch_execz .LBB147_32
; %bb.31:                               ;   in Loop: Header=BB147_12 Depth=1
	global_load_dword v4, v[12:13], off
.LBB147_32:                             ;   in Loop: Header=BB147_12 Depth=1
	s_or_b64 exec, exec, s[2:3]
	s_mov_b64 s[2:3], exec
	v_readlane_b32 s4, v46, 28
	v_readlane_b32 s5, v46, 29
	s_and_b64 s[4:5], s[2:3], s[4:5]
	s_mov_b64 exec, s[4:5]
	s_cbranch_execz .LBB147_37
; %bb.33:                               ;   in Loop: Header=BB147_12 Depth=1
	v_readlane_b32 s4, v46, 37
	v_readlane_b32 s5, v46, 38
	v_mov_b32_e32 v5, v16
	s_nop 3
	global_load_ushort v2, v15, s[4:5]
	s_mov_b64 s[4:5], 0
	s_waitcnt vmcnt(0)
	v_and_b32_e32 v6, 0xffff, v2
	v_lshlrev_b32_e32 v7, 2, v6
	v_pk_mov_b32 v[2:3], v[0:1], v[0:1] op_sel:[0,1]
	s_branch .LBB147_35
.LBB147_34:                             ;   in Loop: Header=BB147_35 Depth=2
	s_or_b64 exec, exec, s[8:9]
	s_and_b64 s[6:7], exec, vcc
	s_or_b64 s[4:5], s[6:7], s[4:5]
	ds_write_b32 v5, v4
	v_add_u32_e32 v5, v5, v7
	s_waitcnt vmcnt(0)
	v_mov_b32_e32 v4, v8
	s_andn2_b64 exec, exec, s[4:5]
	s_cbranch_execz .LBB147_37
.LBB147_35:                             ;   Parent Loop BB147_12 Depth=1
                                        ; =>  This Inner Loop Header: Depth=2
	v_add_co_u32_e32 v2, vcc, v2, v6
	v_addc_co_u32_e32 v3, vcc, 0, v3, vcc
	v_cmp_gt_u64_e64 s[6:7], s[60:61], v[2:3]
	v_cmp_le_u64_e32 vcc, s[60:61], v[2:3]
	v_mov_b32_e32 v8, 0
	s_and_saveexec_b64 s[8:9], s[6:7]
	s_cbranch_execz .LBB147_34
; %bb.36:                               ;   in Loop: Header=BB147_35 Depth=2
	v_mul_lo_u32 v14, v3, s58
	v_mul_lo_u32 v19, v2, s59
	v_mad_u64_u32 v[8:9], s[6:7], v2, s58, 0
	v_add3_u32 v9, v9, v19, v14
	v_lshlrev_b64 v[8:9], 2, v[8:9]
	v_mov_b32_e32 v14, s86
	v_add_co_u32_e64 v8, s[6:7], s33, v8
	v_addc_co_u32_e64 v9, s[6:7], v14, v9, s[6:7]
	global_load_dword v8, v[8:9], off
	s_branch .LBB147_34
.LBB147_37:                             ;   in Loop: Header=BB147_12 Depth=1
	s_or_b64 exec, exec, s[2:3]
	s_waitcnt lgkmcnt(0)
	s_barrier
	s_mov_b64 s[2:3], exec
	v_readlane_b32 s4, v46, 12
	v_readlane_b32 s5, v46, 13
	s_and_b64 s[4:5], s[2:3], s[4:5]
	s_mov_b64 exec, s[4:5]
	s_cbranch_execz .LBB147_39
; %bb.38:                               ;   in Loop: Header=BB147_12 Depth=1
	v_pk_mov_b32 v[2:3], s[60:61], s[60:61] op_sel:[0,1]
	ds_write_b64 v15, v[2:3] offset:5120
.LBB147_39:                             ;   in Loop: Header=BB147_12 Depth=1
	s_or_b64 exec, exec, s[2:3]
	s_mov_b64 s[2:3], -1
	s_waitcnt lgkmcnt(0)
	s_barrier
                                        ; implicit-def: $sgpr8_sgpr9
.LBB147_40:                             ;   in Loop: Header=BB147_12 Depth=1
	s_and_b64 vcc, exec, s[2:3]
	s_cbranch_vccz .LBB147_42
; %bb.41:                               ;   in Loop: Header=BB147_12 Depth=1
	ds_read_b64 v[2:3], v15 offset:5120
	s_waitcnt lgkmcnt(0)
	v_readfirstlane_b32 s8, v2
.LBB147_42:                             ;   in Loop: Header=BB147_12 Depth=1
	s_cmp_lt_i32 s8, 1
	s_cbranch_scc0 .LBB147_57
; %bb.43:                               ;   in Loop: Header=BB147_12 Depth=1
	v_readlane_b32 s2, v46, 37
	v_readlane_b32 s3, v46, 38
	s_nop 4
	global_load_ushort v19, v15, s[2:3]
	s_mov_b32 s2, s85
	s_waitcnt vmcnt(0)
	v_readfirstlane_b32 s3, v19
	s_and_b32 s3, 0xffff, s3
	s_lshl_b32 s9, s3, 2
	s_mov_b32 s3, s61
	s_cmp_lg_u64 s[2:3], 0
	s_cbranch_scc0 .LBB147_77
; %bb.44:                               ;   in Loop: Header=BB147_12 Depth=1
	v_cvt_f32_u32_e32 v2, s9
	s_sub_u32 s2, 0, s9
	s_subb_u32 s3, 0, 0
	v_mac_f32_e32 v2, 0, v35
	v_rcp_f32_e32 v2, v2
	v_mul_f32_e32 v2, 0x5f7ffffc, v2
	v_mul_f32_e32 v3, 0x2f800000, v2
	v_trunc_f32_e32 v3, v3
	v_mac_f32_e32 v2, 0xcf800000, v3
	v_cvt_u32_f32_e32 v3, v3
	v_cvt_u32_f32_e32 v2, v2
	v_readfirstlane_b32 s4, v3
	v_readfirstlane_b32 s5, v2
	s_mul_i32 s6, s2, s4
	s_mul_hi_u32 s10, s2, s5
	s_mul_i32 s7, s3, s5
	s_add_i32 s6, s10, s6
	s_mul_i32 s11, s2, s5
	s_add_i32 s6, s6, s7
	s_mul_hi_u32 s10, s5, s11
	s_mul_hi_u32 s7, s5, s6
	s_mul_i32 s5, s5, s6
	s_add_u32 s5, s10, s5
	s_addc_u32 s7, 0, s7
	s_mul_hi_u32 s12, s4, s11
	s_mul_i32 s11, s4, s11
	s_add_u32 s5, s5, s11
	s_mul_hi_u32 s10, s4, s6
	s_addc_u32 s5, s7, s12
	s_addc_u32 s7, s10, 0
	s_mul_i32 s6, s4, s6
	s_add_u32 s5, s5, s6
	s_addc_u32 s6, 0, s7
	v_add_co_u32_e32 v2, vcc, s5, v2
	s_cmp_lg_u64 vcc, 0
	s_addc_u32 s4, s4, s6
	v_readfirstlane_b32 s6, v2
	s_mul_i32 s5, s2, s4
	s_mul_hi_u32 s7, s2, s6
	s_add_i32 s5, s7, s5
	s_mul_i32 s3, s3, s6
	s_add_i32 s5, s5, s3
	s_mul_i32 s2, s2, s6
	s_mul_hi_u32 s7, s4, s2
	s_mul_i32 s10, s4, s2
	s_mul_i32 s12, s6, s5
	s_mul_hi_u32 s2, s6, s2
	s_mul_hi_u32 s11, s6, s5
	s_add_u32 s2, s2, s12
	s_addc_u32 s6, 0, s11
	s_add_u32 s2, s2, s10
	s_mul_hi_u32 s3, s4, s5
	s_addc_u32 s2, s6, s7
	s_addc_u32 s3, s3, 0
	s_mul_i32 s5, s4, s5
	s_add_u32 s2, s2, s5
	s_addc_u32 s3, 0, s3
	v_add_co_u32_e32 v2, vcc, s2, v2
	s_cmp_lg_u64 vcc, 0
	s_addc_u32 s2, s4, s3
	v_readfirstlane_b32 s5, v2
	s_mul_i32 s4, s60, s2
	s_mul_hi_u32 s6, s60, s5
	s_mul_hi_u32 s3, s60, s2
	s_add_u32 s4, s6, s4
	s_addc_u32 s3, 0, s3
	s_mul_hi_u32 s7, s61, s5
	s_mul_i32 s5, s61, s5
	s_add_u32 s4, s4, s5
	s_mul_hi_u32 s6, s61, s2
	s_addc_u32 s3, s3, s7
	s_addc_u32 s4, s6, 0
	s_mul_i32 s2, s61, s2
	s_add_u32 s2, s3, s2
	s_addc_u32 s3, 0, s4
	s_mul_hi_u32 s4, s9, s2
	s_mul_i32 s2, s9, s2
	s_mul_i32 s3, s9, s3
	v_mov_b32_e32 v2, s2
	s_add_i32 s4, s4, s3
	v_sub_co_u32_e32 v2, vcc, s60, v2
	s_cmp_lg_u64 vcc, 0
	s_subb_u32 s2, s61, s4
	v_subrev_co_u32_e32 v3, vcc, s9, v2
	s_cmp_lg_u64 vcc, 0
	s_subb_u32 s3, s2, 0
	v_subrev_co_u32_e32 v4, vcc, s9, v3
	s_cmp_lg_u64 vcc, 0
	s_subb_u32 s4, s3, 0
	v_cmp_le_u32_e32 vcc, s9, v3
	s_cmp_eq_u32 s3, 0
	v_cndmask_b32_e64 v5, 0, -1, vcc
	s_cselect_b64 vcc, -1, 0
	v_cndmask_b32_e32 v5, -1, v5, vcc
	v_mov_b32_e32 v6, s3
	v_mov_b32_e32 v7, s4
	v_cmp_ne_u32_e32 vcc, 0, v5
	v_cndmask_b32_e32 v5, v6, v7, vcc
	v_cndmask_b32_e32 v4, v3, v4, vcc
	v_cmp_le_u32_e32 vcc, s9, v2
	s_cmp_eq_u32 s2, 0
	v_cndmask_b32_e64 v3, 0, -1, vcc
	s_cselect_b64 vcc, -1, 0
	v_cndmask_b32_e32 v3, -1, v3, vcc
	v_mov_b32_e32 v6, s2
	v_cmp_ne_u32_e32 vcc, 0, v3
	v_cndmask_b32_e32 v3, v6, v5, vcc
	v_cndmask_b32_e32 v2, v2, v4, vcc
	s_cbranch_execnz .LBB147_46
.LBB147_45:                             ;   in Loop: Header=BB147_12 Depth=1
	v_cvt_f32_u32_e32 v2, s9
	s_sub_i32 s2, 0, s9
	v_rcp_iflag_f32_e32 v2, v2
	v_mul_f32_e32 v2, 0x4f7ffffe, v2
	v_cvt_u32_f32_e32 v2, v2
	v_mul_lo_u32 v3, s2, v2
	v_mul_hi_u32 v3, v2, v3
	v_add_u32_e32 v2, v2, v3
	v_mul_hi_u32 v2, s60, v2
	v_mul_lo_u32 v2, v2, s9
	v_sub_u32_e32 v2, s60, v2
	v_subrev_u32_e32 v3, s9, v2
	v_cmp_le_u32_e32 vcc, s9, v2
	v_cndmask_b32_e32 v2, v2, v3, vcc
	v_subrev_u32_e32 v3, s9, v2
	v_cmp_le_u32_e32 vcc, s9, v2
	v_cndmask_b32_e32 v14, v2, v3, vcc
	v_pk_mov_b32 v[2:3], v[14:15], v[14:15] op_sel:[0,1]
.LBB147_46:                             ;   in Loop: Header=BB147_12 Depth=1
	v_mov_b32_e32 v4, s61
	v_sub_co_u32_e32 v24, vcc, s60, v2
	v_subb_co_u32_e32 v25, vcc, v4, v3, vcc
	v_pk_mov_b32 v[2:3], 0, 0
	v_cmp_gt_u64_e32 vcc, v[24:25], v[16:17]
	s_mov_b64 s[54:55], 0
	v_pk_mov_b32 v[4:5], v[2:3], v[2:3] op_sel:[0,1]
	v_pk_mov_b32 v[6:7], v[2:3], v[2:3] op_sel:[0,1]
	;; [unrolled: 1-line block ×3, first 2 shown]
	s_and_saveexec_b64 s[10:11], vcc
	s_cbranch_execz .LBB147_50
; %bb.47:                               ;   in Loop: Header=BB147_12 Depth=1
	s_and_b32 s84, s89, 0xfe
	s_mov_b64 s[56:57], 0
	s_mov_b64 s[90:91], 0
	s_mov_b64 s[2:3], 0
	s_mov_b64 s[12:13], 0
	v_pk_mov_b32 v[26:27], v[16:17], v[16:17] op_sel:[0,1]
.LBB147_48:                             ;   Parent Loop BB147_12 Depth=1
                                        ; =>  This Inner Loop Header: Depth=2
	v_mul_lo_u32 v4, v27, s58
	v_mul_lo_u32 v5, v26, s59
	v_mad_u64_u32 v[2:3], s[4:5], v26, s58, 0
	v_add3_u32 v3, v3, v5, v4
	v_lshlrev_b64 v[2:3], 2, v[2:3]
	v_mov_b32_e32 v6, s86
	v_add_co_u32_e64 v2, s[6:7], s33, v2
	s_lshl_b64 s[4:5], s[58:59], 2
	v_addc_co_u32_e64 v3, s[6:7], v6, v3, s[6:7]
	v_mov_b32_e32 v7, s5
	v_add_co_u32_e64 v4, s[6:7], s4, v2
	v_addc_co_u32_e64 v5, s[6:7], v3, v7, s[6:7]
	global_load_dword v6, v[2:3], off
	global_load_dword v8, v[4:5], off
	v_add_co_u32_e64 v2, s[6:7], s4, v4
	v_addc_co_u32_e64 v3, s[6:7], v5, v7, s[6:7]
	global_load_dword v4, v[2:3], off
	v_add_co_u32_e64 v2, s[6:7], s4, v2
	v_addc_co_u32_e64 v3, s[6:7], v3, v7, s[6:7]
	global_load_dword v2, v[2:3], off
	v_add_co_u32_e32 v26, vcc, s9, v26
	v_addc_co_u32_e32 v27, vcc, 0, v27, vcc
	v_cmp_ge_u64_e32 vcc, v[26:27], v[24:25]
	s_waitcnt vmcnt(3)
	v_xor_b32_e32 v3, 0x80000000, v6
	s_waitcnt vmcnt(2)
	v_xor_b32_e32 v5, 0x80000000, v8
	v_and_b32_e32 v6, v3, v36
	v_bfe_u32 v3, v3, s84, 2
	v_cmp_eq_u32_e64 s[14:15], v6, v37
	v_and_b32_e32 v6, v5, v36
	s_waitcnt vmcnt(1)
	v_xor_b32_e32 v4, 0x80000000, v4
	v_bfe_u32 v5, v5, s84, 2
	v_cmp_eq_u32_e64 s[6:7], 0, v3
	v_cmp_eq_u32_e64 s[34:35], 1, v3
	;; [unrolled: 1-line block ×4, first 2 shown]
	s_waitcnt vmcnt(0)
	v_xor_b32_e32 v2, 0x80000000, v2
	v_cmp_eq_u32_e64 s[16:17], v6, v37
	v_and_b32_e32 v3, v4, v36
	v_bfe_u32 v4, v4, s84, 2
	v_cmp_eq_u32_e64 s[26:27], 0, v5
	s_and_b64 s[4:5], s[14:15], s[6:7]
	v_cmp_eq_u32_e64 s[38:39], 1, v5
	v_cmp_eq_u32_e64 s[40:41], 2, v5
	;; [unrolled: 1-line block ×3, first 2 shown]
	v_cndmask_b32_e64 v5, 0, 1, s[4:5]
	v_cmp_eq_u32_e64 s[22:23], v3, v37
	v_and_b32_e32 v3, v2, v36
	v_bfe_u32 v2, v2, s84, 2
	v_cmp_eq_u32_e64 s[6:7], 0, v4
	s_and_b64 s[4:5], s[16:17], s[26:27]
	v_cmp_eq_u32_e64 s[42:43], 1, v4
	v_cmp_eq_u32_e64 s[44:45], 2, v4
	;; [unrolled: 1-line block ×3, first 2 shown]
	v_cndmask_b32_e64 v4, 0, 1, s[4:5]
	v_cmp_eq_u32_e64 s[26:27], v3, v37
	v_cmp_eq_u32_e64 s[48:49], 0, v2
	s_and_b64 s[4:5], s[22:23], s[6:7]
	v_cmp_eq_u32_e64 s[50:51], 1, v2
	v_cmp_eq_u32_e64 s[52:53], 2, v2
	;; [unrolled: 1-line block ×3, first 2 shown]
	v_cndmask_b32_e64 v2, 0, 1, s[4:5]
	s_and_b64 s[4:5], s[26:27], s[48:49]
	v_cmp_ne_u32_e64 s[46:47], 0, v5
	v_cmp_ne_u32_e64 s[6:7], 0, v2
	v_cndmask_b32_e64 v2, 0, 1, s[4:5]
	s_bcnt1_i32_b64 s92, s[46:47]
	v_cmp_ne_u32_e64 s[46:47], 0, v4
	s_bcnt1_i32_b64 s4, s[6:7]
	v_cmp_ne_u32_e64 s[6:7], 0, v2
	s_bcnt1_i32_b64 s46, s[46:47]
	s_bcnt1_i32_b64 s5, s[6:7]
	s_add_u32 s6, s92, s12
	s_addc_u32 s7, 0, s13
	s_add_u32 s6, s6, s46
	s_addc_u32 s7, s7, 0
	s_add_u32 s4, s6, s4
	s_addc_u32 s6, s7, 0
	s_add_u32 s12, s4, s5
	s_addc_u32 s13, s6, 0
	s_and_b64 s[4:5], s[14:15], s[34:35]
	v_cndmask_b32_e64 v4, 0, 1, s[4:5]
	s_and_b64 s[4:5], s[16:17], s[38:39]
	v_cndmask_b32_e64 v5, 0, 1, s[4:5]
	s_and_b64 s[4:5], s[22:23], s[42:43]
	v_cndmask_b32_e64 v6, 0, 1, s[4:5]
	s_and_b64 s[4:5], s[26:27], s[50:51]
	v_cndmask_b32_e64 v7, 0, 1, s[4:5]
	v_cmp_ne_u32_e64 s[6:7], 0, v4
	v_cmp_ne_u32_e64 s[34:35], 0, v5
	v_cmp_ne_u32_e64 s[38:39], 0, v6
	v_cmp_ne_u32_e64 s[42:43], 0, v7
	s_bcnt1_i32_b64 s4, s[6:7]
	s_bcnt1_i32_b64 s5, s[34:35]
	s_bcnt1_i32_b64 s6, s[38:39]
	s_bcnt1_i32_b64 s7, s[42:43]
	s_add_u32 s2, s4, s2
	s_addc_u32 s3, 0, s3
	s_add_u32 s2, s2, s5
	s_addc_u32 s3, s3, 0
	s_add_u32 s2, s2, s6
	s_addc_u32 s3, s3, 0
	s_add_u32 s2, s2, s7
	s_addc_u32 s3, s3, 0
	s_and_b64 s[4:5], s[14:15], s[36:37]
	v_cndmask_b32_e64 v6, 0, 1, s[4:5]
	s_and_b64 s[4:5], s[16:17], s[40:41]
	v_cndmask_b32_e64 v7, 0, 1, s[4:5]
	s_and_b64 s[4:5], s[22:23], s[44:45]
	v_cndmask_b32_e64 v8, 0, 1, s[4:5]
	s_and_b64 s[4:5], s[26:27], s[52:53]
	v_cndmask_b32_e64 v9, 0, 1, s[4:5]
	v_cmp_ne_u32_e64 s[6:7], 0, v6
	v_cmp_ne_u32_e64 s[34:35], 0, v7
	v_cmp_ne_u32_e64 s[36:37], 0, v8
	v_cmp_ne_u32_e64 s[38:39], 0, v9
	s_bcnt1_i32_b64 s4, s[6:7]
	s_bcnt1_i32_b64 s5, s[34:35]
	;; [unrolled: 24-line block ×3, first 2 shown]
	s_bcnt1_i32_b64 s6, s[16:17]
	s_bcnt1_i32_b64 s7, s[18:19]
	s_add_u32 s4, s4, s56
	s_addc_u32 s14, 0, s57
	s_add_u32 s4, s4, s5
	s_addc_u32 s5, s14, 0
	;; [unrolled: 2-line block ×4, first 2 shown]
	v_pk_mov_b32 v[2:3], s[12:13], s[12:13] op_sel:[0,1]
	v_pk_mov_b32 v[4:5], s[2:3], s[2:3] op_sel:[0,1]
	;; [unrolled: 1-line block ×3, first 2 shown]
	s_or_b64 s[54:55], vcc, s[54:55]
	v_pk_mov_b32 v[8:9], s[56:57], s[56:57] op_sel:[0,1]
	s_andn2_b64 exec, exec, s[54:55]
	s_cbranch_execnz .LBB147_48
; %bb.49:                               ;   in Loop: Header=BB147_12 Depth=1
	s_or_b64 exec, exec, s[54:55]
.LBB147_50:                             ;   in Loop: Header=BB147_12 Depth=1
	s_or_b64 exec, exec, s[10:11]
	v_add_co_u32_e32 v24, vcc, v24, v0
	v_addc_co_u32_e32 v25, vcc, 0, v25, vcc
	v_cmp_gt_u64_e32 vcc, s[60:61], v[24:25]
	v_mov_b32_e32 v14, 0
	s_and_saveexec_b64 s[2:3], vcc
	s_cbranch_execz .LBB147_52
; %bb.51:                               ;   in Loop: Header=BB147_12 Depth=1
	v_mul_lo_u32 v14, v25, s58
	v_mul_lo_u32 v20, v24, s59
	v_mad_u64_u32 v[26:27], s[4:5], v24, s58, 0
	v_add3_u32 v27, v27, v20, v14
	v_lshlrev_b64 v[26:27], 2, v[26:27]
	v_mov_b32_e32 v14, s86
	v_add_co_u32_e64 v26, s[6:7], s33, v26
	v_addc_co_u32_e64 v27, s[6:7], v14, v27, s[6:7]
	global_load_dword v14, v[26:27], off
.LBB147_52:                             ;   in Loop: Header=BB147_12 Depth=1
	s_or_b64 exec, exec, s[2:3]
	s_and_saveexec_b64 s[2:3], vcc
	s_cbranch_execz .LBB147_59
; %bb.53:                               ;   in Loop: Header=BB147_12 Depth=1
	s_and_b32 s9, s89, 0xfe
	s_mov_b64 s[4:5], 0
	s_branch .LBB147_55
.LBB147_54:                             ;   in Loop: Header=BB147_55 Depth=2
	s_or_b64 exec, exec, s[10:11]
	s_waitcnt vmcnt(0)
	v_xor_b32_e32 v14, 0x80000000, v14
	s_and_b64 s[6:7], exec, vcc
	v_and_b32_e32 v26, v14, v36
	v_bfe_u32 v14, v14, s9, 2
	s_or_b64 s[4:5], s[6:7], s[4:5]
	v_cmp_eq_u32_e32 vcc, v26, v37
	v_cmp_eq_u32_e64 s[6:7], 0, v14
	s_and_b64 s[6:7], vcc, s[6:7]
	v_cndmask_b32_e64 v26, 0, 1, s[6:7]
	v_cmp_ne_u32_e64 s[6:7], 0, v26
	s_bcnt1_i32_b64 s6, s[6:7]
	v_add_co_u32_e64 v2, s[6:7], s6, v2
	v_addc_co_u32_e64 v3, s[6:7], 0, v3, s[6:7]
	v_cmp_eq_u32_e64 s[6:7], 1, v14
	s_and_b64 s[6:7], vcc, s[6:7]
	v_cndmask_b32_e64 v26, 0, 1, s[6:7]
	v_cmp_ne_u32_e64 s[6:7], 0, v26
	s_bcnt1_i32_b64 s6, s[6:7]
	v_add_co_u32_e64 v4, s[6:7], s6, v4
	v_addc_co_u32_e64 v5, s[6:7], 0, v5, s[6:7]
	;; [unrolled: 7-line block ×3, first 2 shown]
	v_cmp_eq_u32_e64 s[6:7], 3, v14
	s_and_b64 s[6:7], vcc, s[6:7]
	v_cndmask_b32_e64 v14, 0, 1, s[6:7]
	v_cmp_ne_u32_e32 vcc, 0, v14
	s_bcnt1_i32_b64 s6, vcc
	v_add_co_u32_e32 v8, vcc, s6, v8
	v_addc_co_u32_e32 v9, vcc, 0, v9, vcc
	v_mov_b32_e32 v14, v20
	s_andn2_b64 exec, exec, s[4:5]
	s_cbranch_execz .LBB147_58
.LBB147_55:                             ;   Parent Loop BB147_12 Depth=1
                                        ; =>  This Inner Loop Header: Depth=2
	v_add_co_u32_sdwa v24, vcc, v24, v19 dst_sel:DWORD dst_unused:UNUSED_PAD src0_sel:DWORD src1_sel:WORD_0
	v_addc_co_u32_e32 v25, vcc, 0, v25, vcc
	v_cmp_gt_u64_e64 s[6:7], s[60:61], v[24:25]
	v_cmp_le_u64_e32 vcc, s[60:61], v[24:25]
	v_mov_b32_e32 v20, 0
	s_and_saveexec_b64 s[10:11], s[6:7]
	s_cbranch_execz .LBB147_54
; %bb.56:                               ;   in Loop: Header=BB147_55 Depth=2
	v_mul_lo_u32 v20, v25, s58
	v_mul_lo_u32 v38, v24, s59
	v_mad_u64_u32 v[26:27], s[6:7], v24, s58, 0
	v_add3_u32 v27, v27, v38, v20
	v_lshlrev_b64 v[26:27], 2, v[26:27]
	v_mov_b32_e32 v20, s86
	v_add_co_u32_e64 v26, s[6:7], s33, v26
	v_addc_co_u32_e64 v27, s[6:7], v20, v27, s[6:7]
	global_load_dword v20, v[26:27], off
	s_branch .LBB147_54
.LBB147_57:                             ;   in Loop: Header=BB147_12 Depth=1
                                        ; implicit-def: $vgpr8_vgpr9
                                        ; implicit-def: $vgpr4_vgpr5
	s_cbranch_execnz .LBB147_60
	s_branch .LBB147_69
.LBB147_58:                             ;   in Loop: Header=BB147_12 Depth=1
	s_or_b64 exec, exec, s[4:5]
.LBB147_59:                             ;   in Loop: Header=BB147_12 Depth=1
	s_or_b64 exec, exec, s[2:3]
	s_branch .LBB147_69
.LBB147_60:                             ;   in Loop: Header=BB147_12 Depth=1
	v_readlane_b32 s2, v46, 37
	v_readlane_b32 s3, v46, 38
	s_nop 4
	global_load_ushort v8, v15, s[2:3]
	s_waitcnt vmcnt(0)
	v_readfirstlane_b32 s2, v8
	s_and_b32 s2, 0xffff, s2
	s_lshl_b32 s9, s2, 2
	v_cvt_f32_u32_e32 v2, s9
	s_sub_i32 s4, 0, s9
	s_mov_b64 s[2:3], 0
	v_and_b32_e32 v19, 0xffff, v8
	v_rcp_iflag_f32_e32 v6, v2
	v_pk_mov_b32 v[2:3], 0, 0
	v_pk_mov_b32 v[4:5], v[2:3], v[2:3] op_sel:[0,1]
	v_mul_f32_e32 v6, 0x4f7ffffe, v6
	v_cvt_u32_f32_e32 v9, v6
	v_pk_mov_b32 v[6:7], v[2:3], v[2:3] op_sel:[0,1]
	v_readfirstlane_b32 s5, v9
	s_mul_i32 s4, s4, s5
	s_mul_hi_u32 s4, s5, s4
	s_add_i32 s5, s5, s4
	s_mul_hi_u32 s4, s8, s5
	s_mul_i32 s4, s4, s9
	s_sub_i32 s4, s8, s4
	s_sub_i32 s5, s4, s9
	s_cmp_ge_u32 s4, s9
	s_cselect_b32 s4, s5, s4
	s_sub_i32 s5, s4, s9
	s_cmp_ge_u32 s4, s9
	s_cselect_b32 s4, s5, s4
	s_sub_i32 s84, s8, s4
	v_cmp_gt_u32_e32 vcc, s84, v16
	v_pk_mov_b32 v[8:9], v[2:3], v[2:3] op_sel:[0,1]
	s_and_saveexec_b64 s[10:11], vcc
	s_cbranch_execz .LBB147_64
; %bb.61:                               ;   in Loop: Header=BB147_12 Depth=1
	s_and_b32 s92, s89, 0xfe
	v_lshlrev_b32_e32 v14, 4, v19
	v_mov_b32_e32 v20, v33
	s_mov_b64 s[12:13], 0
	s_mov_b64 s[56:57], 0
	;; [unrolled: 1-line block ×4, first 2 shown]
	v_pk_mov_b32 v[24:25], v[16:17], v[16:17] op_sel:[0,1]
.LBB147_62:                             ;   Parent Loop BB147_12 Depth=1
                                        ; =>  This Inner Loop Header: Depth=2
	ds_read_b128 v[2:5], v20
	v_add_co_u32_e32 v24, vcc, s9, v24
	v_addc_co_u32_e32 v25, vcc, 0, v25, vcc
	s_waitcnt lgkmcnt(0)
	v_xor_b32_e32 v2, 0x80000000, v2
	v_xor_b32_e32 v3, 0x80000000, v3
	v_and_b32_e32 v6, v2, v36
	v_bfe_u32 v2, v2, s92, 2
	v_xor_b32_e32 v4, 0x80000000, v4
	v_and_b32_e32 v7, v3, v36
	v_bfe_u32 v3, v3, s92, 2
	v_cmp_eq_u32_e64 s[20:21], v6, v37
	v_cmp_eq_u32_e64 s[6:7], 0, v2
	v_xor_b32_e32 v5, 0x80000000, v5
	v_and_b32_e32 v8, v4, v36
	v_bfe_u32 v4, v4, s92, 2
	v_cmp_eq_u32_e64 s[18:19], v7, v37
	v_cmp_eq_u32_e64 s[34:35], 0, v3
	s_and_b64 s[6:7], s[20:21], s[6:7]
	v_and_b32_e32 v9, v5, v36
	v_bfe_u32 v5, v5, s92, 2
	v_cmp_eq_u32_e64 s[16:17], v8, v37
	v_cmp_eq_u32_e64 s[36:37], 0, v4
	;; [unrolled: 1-line block ×5, first 2 shown]
	v_cndmask_b32_e64 v2, 0, 1, s[6:7]
	s_and_b64 s[6:7], s[18:19], s[34:35]
	v_cmp_eq_u32_e64 s[14:15], v9, v37
	v_cmp_eq_u32_e64 s[38:39], 0, v5
	;; [unrolled: 1-line block ×5, first 2 shown]
	v_cndmask_b32_e64 v3, 0, 1, s[6:7]
	s_and_b64 s[6:7], s[16:17], s[36:37]
	v_cmp_eq_u32_e64 s[44:45], 1, v4
	v_cmp_eq_u32_e64 s[52:53], 2, v4
	;; [unrolled: 1-line block ×3, first 2 shown]
	v_cndmask_b32_e64 v4, 0, 1, s[6:7]
	s_and_b64 s[6:7], s[14:15], s[38:39]
	v_cmp_eq_u32_e64 s[46:47], 1, v5
	v_cmp_eq_u32_e64 s[54:55], 2, v5
	;; [unrolled: 1-line block ×3, first 2 shown]
	v_cndmask_b32_e64 v5, 0, 1, s[6:7]
	v_cmp_ne_u32_e64 s[6:7], 0, v2
	v_cmp_ne_u32_e64 s[34:35], 0, v3
	v_cmp_ne_u32_e64 s[36:37], 0, v4
	v_cmp_ne_u32_e64 s[38:39], 0, v5
	s_bcnt1_i32_b64 s6, s[6:7]
	s_bcnt1_i32_b64 s7, s[34:35]
	s_bcnt1_i32_b64 s34, s[36:37]
	s_bcnt1_i32_b64 s35, s[38:39]
	s_add_u32 s4, s6, s4
	s_addc_u32 s5, 0, s5
	s_add_u32 s4, s4, s7
	s_addc_u32 s5, s5, 0
	s_add_u32 s4, s4, s34
	s_addc_u32 s5, s5, 0
	s_add_u32 s4, s4, s35
	s_addc_u32 s5, s5, 0
	s_and_b64 s[6:7], s[20:21], s[40:41]
	v_cndmask_b32_e64 v4, 0, 1, s[6:7]
	s_and_b64 s[6:7], s[18:19], s[42:43]
	v_cndmask_b32_e64 v5, 0, 1, s[6:7]
	s_and_b64 s[6:7], s[16:17], s[44:45]
	v_cndmask_b32_e64 v6, 0, 1, s[6:7]
	s_and_b64 s[6:7], s[14:15], s[46:47]
	v_cndmask_b32_e64 v7, 0, 1, s[6:7]
	v_cmp_ne_u32_e64 s[6:7], 0, v4
	v_cmp_ne_u32_e64 s[34:35], 0, v5
	v_cmp_ne_u32_e64 s[36:37], 0, v6
	v_cmp_ne_u32_e64 s[38:39], 0, v7
	s_bcnt1_i32_b64 s6, s[6:7]
	s_bcnt1_i32_b64 s7, s[34:35]
	s_bcnt1_i32_b64 s34, s[36:37]
	s_bcnt1_i32_b64 s35, s[38:39]
	s_add_u32 s6, s6, s90
	s_addc_u32 s36, 0, s91
	s_add_u32 s6, s6, s7
	s_addc_u32 s7, s36, 0
	s_add_u32 s6, s6, s34
	s_addc_u32 s7, s7, 0
	s_add_u32 s90, s6, s35
	s_addc_u32 s91, s7, 0
	s_and_b64 s[6:7], s[20:21], s[48:49]
	v_cndmask_b32_e64 v6, 0, 1, s[6:7]
	s_and_b64 s[6:7], s[18:19], s[50:51]
	v_cndmask_b32_e64 v7, 0, 1, s[6:7]
	s_and_b64 s[6:7], s[16:17], s[52:53]
	v_cndmask_b32_e64 v8, 0, 1, s[6:7]
	s_and_b64 s[6:7], s[14:15], s[54:55]
	;; [unrolled: 24-line block ×3, first 2 shown]
	v_cndmask_b32_e64 v27, 0, 1, s[6:7]
	v_cmp_ne_u32_e64 s[6:7], 0, v8
	v_cmp_ne_u32_e64 s[14:15], 0, v9
	;; [unrolled: 1-line block ×4, first 2 shown]
	s_bcnt1_i32_b64 s6, s[6:7]
	s_bcnt1_i32_b64 s7, s[14:15]
	;; [unrolled: 1-line block ×4, first 2 shown]
	s_add_u32 s6, s6, s12
	s_addc_u32 s12, 0, s13
	s_add_u32 s6, s6, s7
	s_addc_u32 s7, s12, 0
	;; [unrolled: 2-line block ×3, first 2 shown]
	s_add_u32 s12, s6, s15
	v_cmp_le_u64_e32 vcc, s[84:85], v[24:25]
	s_addc_u32 s13, s7, 0
	v_add_u32_e32 v20, v20, v14
	v_pk_mov_b32 v[2:3], s[4:5], s[4:5] op_sel:[0,1]
	v_pk_mov_b32 v[4:5], s[90:91], s[90:91] op_sel:[0,1]
	;; [unrolled: 1-line block ×3, first 2 shown]
	s_or_b64 s[2:3], vcc, s[2:3]
	v_pk_mov_b32 v[8:9], s[12:13], s[12:13] op_sel:[0,1]
	s_andn2_b64 exec, exec, s[2:3]
	s_cbranch_execnz .LBB147_62
; %bb.63:                               ;   in Loop: Header=BB147_12 Depth=1
	s_or_b64 exec, exec, s[2:3]
.LBB147_64:                             ;   in Loop: Header=BB147_12 Depth=1
	s_or_b64 exec, exec, s[10:11]
	v_add_u32_e32 v14, s84, v0
	v_cmp_gt_u32_e32 vcc, s8, v14
	s_and_saveexec_b64 s[2:3], vcc
	s_cbranch_execz .LBB147_68
; %bb.65:                               ;   in Loop: Header=BB147_12 Depth=1
	s_and_b32 s84, s8, 0x7fffffff
	s_and_b32 s8, s89, 0xfe
	v_lshlrev_b32_e32 v20, 2, v14
	s_mov_b64 s[4:5], 0
	v_pk_mov_b32 v[24:25], v[14:15], v[14:15] op_sel:[0,1]
.LBB147_66:                             ;   Parent Loop BB147_12 Depth=1
                                        ; =>  This Inner Loop Header: Depth=2
	ds_read_b32 v14, v20
	v_add_co_u32_e32 v24, vcc, v24, v19
	v_addc_co_u32_e32 v25, vcc, 0, v25, vcc
	s_waitcnt lgkmcnt(0)
	v_xor_b32_e32 v14, 0x80000000, v14
	v_and_b32_e32 v26, v14, v36
	v_bfe_u32 v14, v14, s8, 2
	v_cmp_eq_u32_e64 s[6:7], v26, v37
	v_cmp_eq_u32_e64 s[14:15], 0, v14
	;; [unrolled: 1-line block ×3, first 2 shown]
	s_and_b64 s[10:11], s[6:7], s[14:15]
	v_cmp_eq_u32_e64 s[18:19], 2, v14
	v_cmp_eq_u32_e64 s[20:21], 3, v14
	v_cndmask_b32_e64 v14, 0, 1, s[10:11]
	s_and_b64 s[10:11], s[6:7], s[16:17]
	v_cndmask_b32_e64 v26, 0, 1, s[10:11]
	s_and_b64 s[10:11], s[6:7], s[18:19]
	s_and_b64 s[6:7], s[6:7], s[20:21]
	v_cndmask_b32_e64 v27, 0, 1, s[10:11]
	v_cndmask_b32_e64 v38, 0, 1, s[6:7]
	v_cmp_ne_u32_e64 s[6:7], 0, v14
	v_cmp_ne_u32_e64 s[14:15], 0, v26
	;; [unrolled: 1-line block ×4, first 2 shown]
	v_cmp_le_u64_e32 vcc, s[84:85], v[24:25]
	s_bcnt1_i32_b64 s6, s[6:7]
	s_bcnt1_i32_b64 s7, s[14:15]
	;; [unrolled: 1-line block ×4, first 2 shown]
	s_or_b64 s[4:5], vcc, s[4:5]
	v_add_co_u32_e32 v2, vcc, s6, v2
	v_addc_co_u32_e32 v3, vcc, 0, v3, vcc
	v_add_co_u32_e32 v4, vcc, s7, v4
	v_addc_co_u32_e32 v5, vcc, 0, v5, vcc
	v_add_co_u32_e32 v6, vcc, s10, v6
	v_addc_co_u32_e32 v7, vcc, 0, v7, vcc
	v_add_co_u32_e32 v8, vcc, s11, v8
	v_add_u32_e32 v20, s9, v20
	v_addc_co_u32_e32 v9, vcc, 0, v9, vcc
	s_andn2_b64 exec, exec, s[4:5]
	s_cbranch_execnz .LBB147_66
; %bb.67:                               ;   in Loop: Header=BB147_12 Depth=1
	s_or_b64 exec, exec, s[4:5]
.LBB147_68:                             ;   in Loop: Header=BB147_12 Depth=1
	s_or_b64 exec, exec, s[2:3]
.LBB147_69:                             ;   in Loop: Header=BB147_12 Depth=1
	v_readlane_b32 s2, v46, 50
	s_lshl_b32 s4, s2, 6
	s_and_saveexec_b64 s[2:3], s[0:1]
	s_cbranch_execz .LBB147_71
; %bb.70:                               ;   in Loop: Header=BB147_12 Depth=1
	s_waitcnt vmcnt(0)
	v_or_b32_e32 v14, s4, v31
	v_lshlrev_b32_e32 v14, 3, v14
	ds_write_b128 v14, v[2:5] offset:3072
	ds_write_b128 v14, v[6:9] offset:3088
.LBB147_71:                             ;   in Loop: Header=BB147_12 Depth=1
	s_or_b64 exec, exec, s[2:3]
	s_waitcnt lgkmcnt(0)
	s_barrier
	s_mov_b64 s[2:3], exec
	v_readlane_b32 s6, v46, 24
	v_readlane_b32 s7, v46, 25
	s_and_b64 s[6:7], s[2:3], s[6:7]
	s_mov_b64 exec, s[6:7]
	s_cbranch_execz .LBB147_83
; %bb.72:                               ;   in Loop: Header=BB147_12 Depth=1
	v_readlane_b32 s6, v46, 32
	v_readlane_b32 s7, v46, 33
	s_andn2_b64 vcc, exec, s[6:7]
	v_pk_mov_b32 v[2:3], 0, 0
	s_cbranch_vccnz .LBB147_82
; %bb.73:                               ;   in Loop: Header=BB147_12 Depth=1
	v_readlane_b32 s6, v46, 39
	v_readlane_b32 s7, v46, 40
	s_andn2_b64 vcc, exec, s[6:7]
	s_cbranch_vccnz .LBB147_78
; %bb.74:                               ;   in Loop: Header=BB147_12 Depth=1
	v_readlane_b32 s5, v46, 50
	s_waitcnt vmcnt(0)
	v_lshl_add_u32 v4, s5, 9, v34
	s_mov_b32 s5, 0
	v_pk_mov_b32 v[2:3], 0, 0
.LBB147_75:                             ;   Parent Loop BB147_12 Depth=1
                                        ; =>  This Inner Loop Header: Depth=2
	ds_read2_b64 v[6:9], v4 offset1:4
	ds_read2_b64 v[24:27], v4 offset0:8 offset1:12
	ds_read2_b64 v[38:41], v4 offset0:16 offset1:20
	;; [unrolled: 1-line block ×3, first 2 shown]
	s_add_i32 s5, s5, 8
	s_waitcnt lgkmcnt(3)
	v_add_co_u32_e32 v2, vcc, v6, v2
	v_addc_co_u32_e32 v3, vcc, v7, v3, vcc
	v_add_co_u32_e32 v2, vcc, v8, v2
	v_addc_co_u32_e32 v3, vcc, v9, v3, vcc
	s_waitcnt lgkmcnt(2)
	v_add_co_u32_e32 v2, vcc, v24, v2
	v_addc_co_u32_e32 v3, vcc, v25, v3, vcc
	v_add_co_u32_e32 v2, vcc, v26, v2
	v_addc_co_u32_e32 v3, vcc, v27, v3, vcc
	;; [unrolled: 5-line block ×3, first 2 shown]
	s_waitcnt lgkmcnt(0)
	v_add_co_u32_e32 v2, vcc, v42, v2
	v_addc_co_u32_e32 v3, vcc, v43, v3, vcc
	v_add_co_u32_e32 v2, vcc, v44, v2
	v_add_u32_e32 v4, 0x100, v4
	s_cmp_eq_u32 s94, s5
	v_addc_co_u32_e32 v3, vcc, v45, v3, vcc
	s_cbranch_scc0 .LBB147_75
; %bb.76:                               ;   in Loop: Header=BB147_12 Depth=1
	s_mov_b32 s5, s94
	s_branch .LBB147_79
.LBB147_77:                             ;   in Loop: Header=BB147_12 Depth=1
                                        ; implicit-def: $vgpr2_vgpr3
	s_branch .LBB147_45
.LBB147_78:                             ;   in Loop: Header=BB147_12 Depth=1
	s_mov_b32 s5, 0
	v_pk_mov_b32 v[2:3], 0, 0
.LBB147_79:                             ;   in Loop: Header=BB147_12 Depth=1
	v_readlane_b32 s6, v46, 42
	v_readlane_b32 s7, v46, 43
	s_andn2_b64 vcc, exec, s[6:7]
	s_cbranch_vccnz .LBB147_82
; %bb.80:                               ;   in Loop: Header=BB147_12 Depth=1
	v_readlane_b32 s6, v46, 50
	s_lshl_b32 s6, s6, 9
	s_lshl_b32 s5, s5, 5
	s_add_i32 s6, s6, s5
	s_waitcnt vmcnt(0)
	v_add_u32_e32 v4, s6, v34
	v_readlane_b32 s5, v46, 41
.LBB147_81:                             ;   Parent Loop BB147_12 Depth=1
                                        ; =>  This Inner Loop Header: Depth=2
	ds_read_b64 v[6:7], v4
	s_add_i32 s5, s5, -1
	v_add_u32_e32 v4, 32, v4
	s_cmp_lg_u32 s5, 0
	s_waitcnt lgkmcnt(0)
	v_add_co_u32_e32 v2, vcc, v6, v2
	v_addc_co_u32_e32 v3, vcc, v7, v3, vcc
	s_cbranch_scc1 .LBB147_81
.LBB147_82:                             ;   in Loop: Header=BB147_12 Depth=1
	s_waitcnt vmcnt(0)
	v_add_lshl_u32 v4, s4, v29, 3
	ds_write_b64 v4, v[2:3] offset:3072
.LBB147_83:                             ;   in Loop: Header=BB147_12 Depth=1
	s_or_b64 exec, exec, s[2:3]
	s_lshl_b32 s2, s4, 3
	v_mov_b32_e32 v6, s2
	s_waitcnt lgkmcnt(0)
	s_barrier
	s_waitcnt vmcnt(0)
	ds_read_b128 v[2:5], v6 offset:3072
	ds_read_b128 v[6:9], v6 offset:3088
	s_and_b32 s49, s89, 0xfe
	v_readlane_b32 s2, v46, 22
	s_lshl_b32 s84, 3, s49
	v_readlane_b32 s3, v46, 23
	s_waitcnt lgkmcnt(1)
	v_readfirstlane_b32 s17, v3
	v_readfirstlane_b32 s16, v2
	;; [unrolled: 1-line block ×4, first 2 shown]
	s_waitcnt lgkmcnt(0)
	v_readfirstlane_b32 s23, v7
	v_readfirstlane_b32 s22, v6
	;; [unrolled: 1-line block ×4, first 2 shown]
	s_not_b32 s48, s84
	s_andn2_b64 vcc, exec, s[2:3]
	v_cmp_eq_u64_e64 s[14:15], 1, v[22:23]
	s_cbranch_vccnz .LBB147_99
; %bb.84:                               ;   in Loop: Header=BB147_12 Depth=1
	s_cmp_eq_u64 s[16:17], 1
	s_cselect_b64 s[2:3], -1, 0
	s_and_b64 s[8:9], s[2:3], s[14:15]
	s_mov_b64 s[2:3], -1
	v_mov_b32_e32 v20, v37
	v_mov_b32_e32 v24, v36
	;; [unrolled: 1-line block ×3, first 2 shown]
                                        ; implicit-def: $sgpr20_sgpr21
                                        ; implicit-def: $sgpr36_sgpr37
                                        ; implicit-def: $sgpr34_sgpr35
	s_and_saveexec_b64 s[10:11], s[8:9]
	s_cbranch_execz .LBB147_121
; %bb.85:                               ;   in Loop: Header=BB147_12 Depth=1
	ds_read_b64 v[2:3], v15 offset:5120
	s_waitcnt lgkmcnt(0)
	s_barrier
	v_readfirstlane_b32 s2, v2
	v_readfirstlane_b32 s3, v3
	s_mov_b64 s[4:5], exec
	v_readlane_b32 s6, v46, 30
	v_readlane_b32 s7, v46, 31
	s_and_b64 s[6:7], s[4:5], s[6:7]
	s_mov_b64 exec, s[6:7]
	s_cbranch_execz .LBB147_87
; %bb.86:                               ;   in Loop: Header=BB147_12 Depth=1
	ds_write_b32 v32, v15
.LBB147_87:                             ;   in Loop: Header=BB147_12 Depth=1
	s_or_b64 exec, exec, s[4:5]
	v_and_b32_e32 v20, s48, v37
	v_or_b32_e32 v24, s84, v36
	s_cmp_eq_u64 s[2:3], 0
	s_waitcnt lgkmcnt(0)
	s_barrier
	s_cbranch_scc1 .LBB147_104
; %bb.88:                               ;   in Loop: Header=BB147_12 Depth=1
	v_readlane_b32 s4, v46, 34
	s_add_u32 s12, s4, s2
	v_readlane_b32 s4, v46, 36
	s_addc_u32 s5, s4, s3
	s_mov_b32 s4, s85
	s_cmp_lg_u64 s[4:5], 0
	s_cbranch_scc0 .LBB147_148
; %bb.89:                               ;   in Loop: Header=BB147_12 Depth=1
	v_cvt_f32_u32_e32 v2, s87
	s_sub_u32 s4, 0, s87
	s_subb_u32 s6, 0, 0
	v_mac_f32_e32 v2, 0, v35
	v_rcp_f32_e32 v2, v2
	v_mul_f32_e32 v2, 0x5f7ffffc, v2
	v_mul_f32_e32 v3, 0x2f800000, v2
	v_trunc_f32_e32 v3, v3
	v_mac_f32_e32 v2, 0xcf800000, v3
	v_cvt_u32_f32_e32 v3, v3
	v_cvt_u32_f32_e32 v2, v2
	v_readfirstlane_b32 s7, v3
	v_readfirstlane_b32 s13, v2
	s_mul_i32 s20, s4, s7
	s_mul_hi_u32 s26, s4, s13
	s_mul_i32 s21, s6, s13
	s_add_i32 s20, s26, s20
	s_mul_i32 s27, s4, s13
	s_add_i32 s20, s20, s21
	s_mul_hi_u32 s26, s13, s27
	s_mul_hi_u32 s21, s13, s20
	s_mul_i32 s13, s13, s20
	s_add_u32 s13, s26, s13
	s_addc_u32 s21, 0, s21
	s_mul_hi_u32 s28, s7, s27
	s_mul_i32 s27, s7, s27
	s_add_u32 s13, s13, s27
	s_mul_hi_u32 s26, s7, s20
	s_addc_u32 s13, s21, s28
	s_addc_u32 s21, s26, 0
	s_mul_i32 s20, s7, s20
	s_add_u32 s13, s13, s20
	s_addc_u32 s20, 0, s21
	v_add_co_u32_e32 v2, vcc, s13, v2
	s_cmp_lg_u64 vcc, 0
	s_addc_u32 s7, s7, s20
	v_readfirstlane_b32 s20, v2
	s_mul_i32 s13, s4, s7
	s_mul_hi_u32 s21, s4, s20
	s_add_i32 s13, s21, s13
	s_mul_i32 s6, s6, s20
	s_add_i32 s13, s13, s6
	s_mul_i32 s4, s4, s20
	s_mul_hi_u32 s21, s7, s4
	s_mul_i32 s26, s7, s4
	s_mul_i32 s28, s20, s13
	s_mul_hi_u32 s4, s20, s4
	s_mul_hi_u32 s27, s20, s13
	s_add_u32 s4, s4, s28
	s_addc_u32 s20, 0, s27
	s_add_u32 s4, s4, s26
	s_mul_hi_u32 s6, s7, s13
	s_addc_u32 s4, s20, s21
	s_addc_u32 s6, s6, 0
	s_mul_i32 s13, s7, s13
	s_add_u32 s4, s4, s13
	s_addc_u32 s6, 0, s6
	v_add_co_u32_e32 v2, vcc, s4, v2
	s_cmp_lg_u64 vcc, 0
	s_addc_u32 s4, s7, s6
	v_readfirstlane_b32 s13, v2
	s_mul_i32 s7, s12, s4
	s_mul_hi_u32 s20, s12, s13
	s_mul_hi_u32 s6, s12, s4
	s_add_u32 s7, s20, s7
	s_addc_u32 s6, 0, s6
	s_mul_hi_u32 s21, s5, s13
	s_mul_i32 s13, s5, s13
	s_add_u32 s7, s7, s13
	s_mul_hi_u32 s20, s5, s4
	s_addc_u32 s6, s6, s21
	s_addc_u32 s7, s20, 0
	s_mul_i32 s4, s5, s4
	s_add_u32 s4, s6, s4
	s_addc_u32 s6, 0, s7
	s_mul_hi_u32 s7, s87, s4
	s_mul_i32 s4, s87, s4
	s_mul_i32 s6, s87, s6
	v_mov_b32_e32 v2, s4
	s_add_i32 s7, s7, s6
	v_sub_co_u32_e32 v2, vcc, s12, v2
	s_cmp_lg_u64 vcc, 0
	s_subb_u32 s4, s5, s7
	v_subrev_co_u32_e32 v3, vcc, s87, v2
	s_cmp_lg_u64 vcc, 0
	s_subb_u32 s6, s4, 0
	v_subrev_co_u32_e32 v4, vcc, s87, v3
	s_cmp_lg_u64 vcc, 0
	s_subb_u32 s7, s6, 0
	v_cmp_le_u32_e32 vcc, s87, v3
	s_cmp_eq_u32 s6, 0
	v_cndmask_b32_e64 v5, 0, -1, vcc
	s_cselect_b64 vcc, -1, 0
	v_cndmask_b32_e32 v5, -1, v5, vcc
	v_mov_b32_e32 v6, s6
	v_mov_b32_e32 v7, s7
	v_cmp_ne_u32_e32 vcc, 0, v5
	v_cndmask_b32_e32 v5, v6, v7, vcc
	v_cndmask_b32_e32 v4, v3, v4, vcc
	v_cmp_le_u32_e32 vcc, s87, v2
	s_cmp_eq_u32 s4, 0
	v_cndmask_b32_e64 v3, 0, -1, vcc
	s_cselect_b64 vcc, -1, 0
	v_cndmask_b32_e32 v3, -1, v3, vcc
	v_mov_b32_e32 v6, s4
	v_cmp_ne_u32_e32 vcc, 0, v3
	v_cndmask_b32_e32 v3, v6, v5, vcc
	v_cndmask_b32_e32 v2, v2, v4, vcc
	s_cbranch_execnz .LBB147_91
.LBB147_90:                             ;   in Loop: Header=BB147_12 Depth=1
	v_cvt_f32_u32_e32 v2, s87
	s_sub_i32 s4, 0, s87
	v_rcp_iflag_f32_e32 v2, v2
	v_mul_f32_e32 v2, 0x4f7ffffe, v2
	v_cvt_u32_f32_e32 v2, v2
	v_mul_lo_u32 v3, s4, v2
	v_mul_hi_u32 v3, v2, v3
	v_add_u32_e32 v2, v2, v3
	v_mul_hi_u32 v2, s12, v2
	v_mul_lo_u32 v2, v2, s87
	v_sub_u32_e32 v2, s12, v2
	v_subrev_u32_e32 v3, s87, v2
	v_cmp_le_u32_e32 vcc, s87, v2
	v_cndmask_b32_e32 v2, v2, v3, vcc
	v_subrev_u32_e32 v3, s87, v2
	v_cmp_le_u32_e32 vcc, s87, v2
	v_cndmask_b32_e32 v14, v2, v3, vcc
	v_pk_mov_b32 v[2:3], v[14:15], v[14:15] op_sel:[0,1]
.LBB147_91:                             ;   in Loop: Header=BB147_12 Depth=1
	v_mov_b32_e32 v5, s5
	v_sub_co_u32_e32 v4, vcc, s12, v2
	v_subb_co_u32_e32 v5, vcc, v5, v3, vcc
	v_cmp_gt_u64_e32 vcc, v[4:5], v[0:1]
	s_mov_b64 s[4:5], 0
                                        ; implicit-def: $vgpr3
	s_and_saveexec_b64 s[6:7], vcc
	s_cbranch_execz .LBB147_106
; %bb.92:                               ;   in Loop: Header=BB147_12 Depth=1
	v_mov_b32_e32 v8, v16
	v_pk_mov_b32 v[6:7], v[0:1], v[0:1] op_sel:[0,1]
                                        ; implicit-def: $sgpr12_sgpr13
	s_branch .LBB147_94
.LBB147_93:                             ;   in Loop: Header=BB147_94 Depth=2
	s_or_b64 exec, exec, s[20:21]
	s_waitcnt lgkmcnt(0)
	s_barrier
	ds_read_b64 v[2:3], v15 offset:3072
	v_add_co_u32_e32 v6, vcc, s87, v6
	v_add_u32_e32 v8, s95, v8
	s_waitcnt lgkmcnt(0)
	v_readfirstlane_b32 s20, v2
	v_mov_b32_e32 v2, s88
	s_cmp_lg_u32 s20, 0
	v_addc_co_u32_e32 v7, vcc, v7, v2, vcc
	s_cselect_b64 s[20:21], -1, 0
	v_cmp_ge_u64_e32 vcc, v[6:7], v[4:5]
	s_or_b64 s[26:27], vcc, s[20:21]
	s_and_b64 s[26:27], exec, s[26:27]
	s_or_b64 s[4:5], s[26:27], s[4:5]
	s_andn2_b64 s[12:13], s[12:13], exec
	s_and_b64 s[20:21], s[20:21], exec
	s_or_b64 s[12:13], s[12:13], s[20:21]
	s_barrier
	s_andn2_b64 exec, exec, s[4:5]
	s_cbranch_execz .LBB147_105
.LBB147_94:                             ;   Parent Loop BB147_12 Depth=1
                                        ; =>  This Inner Loop Header: Depth=2
	v_cmp_gt_u64_e32 vcc, s[2:3], v[6:7]
	v_mov_b32_e32 v19, 0
	s_and_saveexec_b64 s[20:21], vcc
	s_cbranch_execz .LBB147_96
; %bb.95:                               ;   in Loop: Header=BB147_94 Depth=2
	ds_read_b32 v19, v8
.LBB147_96:                             ;   in Loop: Header=BB147_94 Depth=2
	s_or_b64 exec, exec, s[20:21]
	s_and_saveexec_b64 s[20:21], vcc
	s_cbranch_execz .LBB147_93
; %bb.97:                               ;   in Loop: Header=BB147_94 Depth=2
	s_waitcnt lgkmcnt(0)
	v_xor_b32_e32 v2, 0x80000000, v19
	v_and_b32_e32 v2, v2, v24
	v_cmp_eq_u32_e32 vcc, v2, v20
	s_and_b64 exec, exec, vcc
	s_cbranch_execz .LBB147_93
; %bb.98:                               ;   in Loop: Header=BB147_94 Depth=2
	ds_write_b64 v15, v[18:19] offset:3072
	s_branch .LBB147_93
.LBB147_99:                             ;   in Loop: Header=BB147_12 Depth=1
	s_mov_b64 s[28:29], 0
	s_mov_b64 s[26:27], 0
                                        ; implicit-def: $sgpr34_sgpr35
                                        ; implicit-def: $sgpr36_sgpr37
                                        ; implicit-def: $sgpr20_sgpr21
                                        ; implicit-def: $vgpr8
                                        ; implicit-def: $vgpr4_vgpr5
                                        ; implicit-def: $vgpr20
                                        ; implicit-def: $vgpr24
                                        ; implicit-def: $vgpr3
	s_cbranch_execnz .LBB147_285
.LBB147_100:                            ;   in Loop: Header=BB147_12 Depth=1
	s_mov_b64 s[14:15], s[20:21]
	s_mov_b64 s[38:39], s[20:21]
	s_and_saveexec_b64 s[2:3], s[28:29]
	s_cbranch_execnz .LBB147_481
	s_branch .LBB147_482
.LBB147_101:                            ;   in Loop: Header=BB147_12 Depth=1
	s_or_b64 exec, exec, s[2:3]
	s_waitcnt lgkmcnt(0)
	s_barrier
	s_mov_b64 s[2:3], exec
	v_readlane_b32 s4, v46, 12
	v_readlane_b32 s5, v46, 13
	s_and_b64 s[4:5], s[2:3], s[4:5]
	s_mov_b64 exec, s[4:5]
	s_cbranch_execz .LBB147_103
; %bb.102:                              ;   in Loop: Header=BB147_12 Depth=1
	ds_read_b32 v2, v15 offset:5144
	s_waitcnt lgkmcnt(0)
	v_ashrrev_i32_e32 v3, 31, v2
	ds_write_b64 v15, v[2:3] offset:5120
.LBB147_103:                            ;   in Loop: Header=BB147_12 Depth=1
	s_or_b64 exec, exec, s[2:3]
	s_waitcnt lgkmcnt(0)
	s_barrier
	s_mov_b64 s[2:3], -1
	s_and_b64 vcc, exec, s[8:9]
	s_cbranch_vccnz .LBB147_30
	s_branch .LBB147_40
.LBB147_104:                            ;   in Loop: Header=BB147_12 Depth=1
	s_mov_b64 s[20:21], -1
	s_mov_b64 s[4:5], 0
                                        ; implicit-def: $sgpr34_sgpr35
                                        ; implicit-def: $vgpr3
	s_mov_b64 s[36:37], s[20:21]
	s_cbranch_execnz .LBB147_107
	s_branch .LBB147_120
.LBB147_105:                            ;   in Loop: Header=BB147_12 Depth=1
	s_or_b64 exec, exec, s[4:5]
	s_and_b64 s[4:5], s[12:13], exec
.LBB147_106:                            ;   in Loop: Header=BB147_12 Depth=1
	s_or_b64 exec, exec, s[6:7]
	s_mov_b64 s[34:35], -1
	s_mov_b64 s[20:21], 0
	s_mov_b64 s[36:37], s[20:21]
	s_branch .LBB147_120
.LBB147_107:                            ;   in Loop: Header=BB147_12 Depth=1
	s_mov_b32 s92, s85
	s_cmp_lg_u64 s[92:93], 0
	s_cbranch_scc0 .LBB147_149
; %bb.108:                              ;   in Loop: Header=BB147_12 Depth=1
	v_cvt_f32_u32_e32 v2, s87
	s_sub_u32 s2, 0, s87
	s_subb_u32 s3, 0, 0
	v_mac_f32_e32 v2, 0, v35
	v_rcp_f32_e32 v2, v2
	v_mul_f32_e32 v2, 0x5f7ffffc, v2
	v_mul_f32_e32 v3, 0x2f800000, v2
	v_trunc_f32_e32 v3, v3
	v_mac_f32_e32 v2, 0xcf800000, v3
	v_cvt_u32_f32_e32 v3, v3
	v_cvt_u32_f32_e32 v2, v2
	v_readfirstlane_b32 s4, v3
	v_readfirstlane_b32 s5, v2
	s_mul_i32 s6, s2, s4
	s_mul_hi_u32 s12, s2, s5
	s_mul_i32 s7, s3, s5
	s_add_i32 s6, s12, s6
	s_mul_i32 s13, s2, s5
	s_add_i32 s6, s6, s7
	s_mul_hi_u32 s12, s5, s13
	s_mul_hi_u32 s7, s5, s6
	s_mul_i32 s5, s5, s6
	s_add_u32 s5, s12, s5
	s_addc_u32 s7, 0, s7
	s_mul_hi_u32 s20, s4, s13
	s_mul_i32 s13, s4, s13
	s_add_u32 s5, s5, s13
	s_mul_hi_u32 s12, s4, s6
	s_addc_u32 s5, s7, s20
	s_addc_u32 s7, s12, 0
	s_mul_i32 s6, s4, s6
	s_add_u32 s5, s5, s6
	s_addc_u32 s6, 0, s7
	v_add_co_u32_e32 v2, vcc, s5, v2
	s_cmp_lg_u64 vcc, 0
	s_addc_u32 s4, s4, s6
	v_readfirstlane_b32 s6, v2
	s_mul_i32 s5, s2, s4
	s_mul_hi_u32 s7, s2, s6
	s_add_i32 s5, s7, s5
	s_mul_i32 s3, s3, s6
	s_add_i32 s5, s5, s3
	s_mul_i32 s2, s2, s6
	s_mul_hi_u32 s7, s4, s2
	s_mul_i32 s12, s4, s2
	s_mul_i32 s20, s6, s5
	s_mul_hi_u32 s2, s6, s2
	s_mul_hi_u32 s13, s6, s5
	s_add_u32 s2, s2, s20
	s_addc_u32 s6, 0, s13
	s_add_u32 s2, s2, s12
	s_mul_hi_u32 s3, s4, s5
	s_addc_u32 s2, s6, s7
	s_addc_u32 s3, s3, 0
	s_mul_i32 s5, s4, s5
	s_add_u32 s2, s2, s5
	s_addc_u32 s3, 0, s3
	v_add_co_u32_e32 v2, vcc, s2, v2
	s_cmp_lg_u64 vcc, 0
	s_addc_u32 s2, s4, s3
	v_readlane_b32 s12, v46, 35
	v_readfirstlane_b32 s5, v2
	s_mul_i32 s4, s12, s2
	s_mul_hi_u32 s6, s12, s5
	s_mul_hi_u32 s3, s12, s2
	s_add_u32 s4, s6, s4
	s_addc_u32 s3, 0, s3
	s_mul_hi_u32 s7, s93, s5
	s_mul_i32 s5, s93, s5
	s_add_u32 s4, s4, s5
	s_mul_hi_u32 s6, s93, s2
	s_addc_u32 s3, s3, s7
	s_addc_u32 s4, s6, 0
	s_mul_i32 s2, s93, s2
	s_add_u32 s2, s3, s2
	s_addc_u32 s3, 0, s4
	s_mul_hi_u32 s4, s87, s2
	s_mul_i32 s2, s87, s2
	s_mul_i32 s3, s87, s3
	v_mov_b32_e32 v2, s2
	s_add_i32 s4, s4, s3
	v_sub_co_u32_e32 v2, vcc, s12, v2
	s_cmp_lg_u64 vcc, 0
	s_subb_u32 s2, s93, s4
	v_subrev_co_u32_e32 v3, vcc, s87, v2
	s_cmp_lg_u64 vcc, 0
	s_subb_u32 s3, s2, 0
	v_subrev_co_u32_e32 v4, vcc, s87, v3
	s_cmp_lg_u64 vcc, 0
	s_subb_u32 s4, s3, 0
	v_cmp_le_u32_e32 vcc, s87, v3
	s_cmp_eq_u32 s3, 0
	v_cndmask_b32_e64 v5, 0, -1, vcc
	s_cselect_b64 vcc, -1, 0
	v_cndmask_b32_e32 v5, -1, v5, vcc
	v_mov_b32_e32 v6, s3
	v_mov_b32_e32 v7, s4
	v_cmp_ne_u32_e32 vcc, 0, v5
	v_cndmask_b32_e32 v5, v6, v7, vcc
	v_cndmask_b32_e32 v4, v3, v4, vcc
	v_cmp_le_u32_e32 vcc, s87, v2
	s_cmp_eq_u32 s2, 0
	v_cndmask_b32_e64 v3, 0, -1, vcc
	s_cselect_b64 vcc, -1, 0
	v_cndmask_b32_e32 v3, -1, v3, vcc
	v_mov_b32_e32 v6, s2
	v_cmp_ne_u32_e32 vcc, 0, v3
	v_cndmask_b32_e32 v3, v6, v5, vcc
	v_cndmask_b32_e32 v2, v2, v4, vcc
	s_cbranch_execnz .LBB147_110
.LBB147_109:                            ;   in Loop: Header=BB147_12 Depth=1
	v_cvt_f32_u32_e32 v2, s87
	s_sub_i32 s2, 0, s87
	v_rcp_iflag_f32_e32 v2, v2
	v_mul_f32_e32 v2, 0x4f7ffffe, v2
	v_cvt_u32_f32_e32 v2, v2
	v_mul_lo_u32 v3, s2, v2
	v_mul_hi_u32 v3, v2, v3
	v_add_u32_e32 v2, v2, v3
	v_readlane_b32 s2, v46, 35
	v_mul_hi_u32 v2, s2, v2
	v_mul_lo_u32 v2, v2, s87
	v_sub_u32_e32 v2, s2, v2
	v_subrev_u32_e32 v3, s87, v2
	v_cmp_le_u32_e32 vcc, s87, v2
	v_cndmask_b32_e32 v2, v2, v3, vcc
	v_subrev_u32_e32 v3, s87, v2
	v_cmp_le_u32_e32 vcc, s87, v2
	v_cndmask_b32_e32 v14, v2, v3, vcc
	v_pk_mov_b32 v[2:3], v[14:15], v[14:15] op_sel:[0,1]
.LBB147_110:                            ;   in Loop: Header=BB147_12 Depth=1
	v_readlane_b32 s2, v46, 35
	v_mov_b32_e32 v5, s93
	v_sub_co_u32_e32 v4, vcc, s2, v2
	v_subb_co_u32_e32 v5, vcc, v5, v3, vcc
	v_cmp_gt_u64_e32 vcc, v[4:5], v[0:1]
	s_mov_b64 s[4:5], 0
                                        ; implicit-def: $vgpr3
	s_and_saveexec_b64 s[2:3], vcc
	s_cbranch_execz .LBB147_119
; %bb.111:                              ;   in Loop: Header=BB147_12 Depth=1
	v_pk_mov_b32 v[6:7], v[0:1], v[0:1] op_sel:[0,1]
                                        ; implicit-def: $sgpr12_sgpr13
	s_branch .LBB147_113
.LBB147_112:                            ;   in Loop: Header=BB147_113 Depth=2
	s_or_b64 exec, exec, s[6:7]
	s_waitcnt lgkmcnt(0)
	s_barrier
	ds_read_b64 v[2:3], v15 offset:3072
	v_add_co_u32_e32 v6, vcc, s87, v6
	s_waitcnt lgkmcnt(0)
	s_barrier
	v_readfirstlane_b32 s6, v2
	v_mov_b32_e32 v2, s88
	s_cmp_lg_u32 s6, 0
	v_addc_co_u32_e32 v7, vcc, v7, v2, vcc
	s_cselect_b64 s[6:7], -1, 0
	v_cmp_ge_u64_e32 vcc, v[6:7], v[4:5]
	s_or_b64 s[20:21], vcc, s[6:7]
	s_and_b64 s[20:21], exec, s[20:21]
	s_or_b64 s[4:5], s[20:21], s[4:5]
	s_andn2_b64 s[12:13], s[12:13], exec
	s_and_b64 s[6:7], s[6:7], exec
	s_or_b64 s[12:13], s[12:13], s[6:7]
	s_andn2_b64 exec, exec, s[4:5]
	s_cbranch_execz .LBB147_118
.LBB147_113:                            ;   Parent Loop BB147_12 Depth=1
                                        ; =>  This Inner Loop Header: Depth=2
	v_cmp_gt_u64_e32 vcc, s[60:61], v[6:7]
	s_waitcnt vmcnt(0)
	v_mov_b32_e32 v19, 0
	s_and_saveexec_b64 s[20:21], vcc
	s_cbranch_execz .LBB147_115
; %bb.114:                              ;   in Loop: Header=BB147_113 Depth=2
	v_mul_lo_u32 v8, v7, s58
	v_mul_lo_u32 v9, v6, s59
	v_mad_u64_u32 v[2:3], s[6:7], v6, s58, 0
	v_add3_u32 v3, v3, v9, v8
	v_lshlrev_b64 v[2:3], 2, v[2:3]
	v_mov_b32_e32 v8, s86
	v_add_co_u32_e64 v2, s[6:7], s33, v2
	v_addc_co_u32_e64 v3, s[6:7], v8, v3, s[6:7]
	global_load_dword v19, v[2:3], off
.LBB147_115:                            ;   in Loop: Header=BB147_113 Depth=2
	s_or_b64 exec, exec, s[20:21]
	s_and_saveexec_b64 s[6:7], vcc
	s_cbranch_execz .LBB147_112
; %bb.116:                              ;   in Loop: Header=BB147_113 Depth=2
	s_waitcnt vmcnt(0)
	v_xor_b32_e32 v2, 0x80000000, v19
	v_and_b32_e32 v2, v2, v24
	v_cmp_eq_u32_e32 vcc, v2, v20
	s_and_b64 exec, exec, vcc
	s_cbranch_execz .LBB147_112
; %bb.117:                              ;   in Loop: Header=BB147_113 Depth=2
	ds_write_b64 v15, v[18:19] offset:3072
	s_branch .LBB147_112
.LBB147_118:                            ;   in Loop: Header=BB147_12 Depth=1
	s_or_b64 exec, exec, s[4:5]
	s_and_b64 s[4:5], s[12:13], exec
.LBB147_119:                            ;   in Loop: Header=BB147_12 Depth=1
	s_or_b64 exec, exec, s[2:3]
	s_mov_b64 s[36:37], -1
	s_mov_b64 s[20:21], 0
	s_mov_b64 s[34:35], 0
.LBB147_120:                            ;   in Loop: Header=BB147_12 Depth=1
	s_orn2_b64 s[2:3], s[4:5], exec
.LBB147_121:                            ;   in Loop: Header=BB147_12 Depth=1
	s_or_b64 exec, exec, s[10:11]
	s_mov_b64 s[38:39], 0
	s_mov_b64 s[28:29], 0
	;; [unrolled: 1-line block ×3, first 2 shown]
                                        ; implicit-def: $vgpr8
                                        ; implicit-def: $vgpr4_vgpr5
	s_and_saveexec_b64 s[40:41], s[2:3]
	s_cbranch_execz .LBB147_284
; %bb.122:                              ;   in Loop: Header=BB147_12 Depth=1
	v_mov_b32_e32 v4, 1
	s_xor_b64 s[4:5], s[8:9], -1
	s_mov_b64 s[6:7], 0
	v_mov_b32_e32 v5, 0
	v_mov_b32_e32 v8, 1
	s_and_saveexec_b64 s[2:3], s[4:5]
	s_cbranch_execz .LBB147_132
; %bb.123:                              ;   in Loop: Header=BB147_12 Depth=1
	v_cmp_ge_u64_e32 vcc, s[16:17], v[22:23]
                                        ; implicit-def: $sgpr8
                                        ; implicit-def: $sgpr4_sgpr5
	s_and_saveexec_b64 s[6:7], vcc
	s_xor_b64 s[6:7], exec, s[6:7]
	s_cbranch_execz .LBB147_129
; %bb.124:                              ;   in Loop: Header=BB147_12 Depth=1
	ds_read_b64 v[4:5], v15 offset:5120
	s_waitcnt lgkmcnt(0)
	v_cmp_ne_u64_e32 vcc, 0, v[4:5]
	s_cbranch_vccnz .LBB147_128
; %bb.125:                              ;   in Loop: Header=BB147_12 Depth=1
	s_mov_b64 s[4:5], exec
	v_readlane_b32 s8, v46, 12
	v_readlane_b32 s9, v46, 13
	s_and_b64 s[8:9], s[4:5], s[8:9]
	s_mov_b64 exec, s[8:9]
	s_cbranch_execz .LBB147_127
; %bb.126:                              ;   in Loop: Header=BB147_12 Depth=1
	v_pk_mov_b32 v[4:5], s[16:17], s[16:17] op_sel:[0,1]
	ds_write_b64 v15, v[4:5] offset:5128
.LBB147_127:                            ;   in Loop: Header=BB147_12 Depth=1
	s_or_b64 exec, exec, s[4:5]
	s_waitcnt lgkmcnt(0)
	s_barrier
.LBB147_128:                            ;   in Loop: Header=BB147_12 Depth=1
	v_and_b32_e32 v20, s48, v20
	v_or_b32_e32 v24, s84, v24
	s_mov_b64 s[4:5], 0
	s_mov_b32 s8, 8
.LBB147_129:                            ;   in Loop: Header=BB147_12 Depth=1
	s_or_saveexec_b64 s[6:7], s[6:7]
	v_mov_b32_e32 v8, s8
	v_pk_mov_b32 v[4:5], v[22:23], v[22:23] op_sel:[0,1]
	s_xor_b64 exec, exec, s[6:7]
; %bb.130:                              ;   in Loop: Header=BB147_12 Depth=1
	v_mov_b32_e32 v2, s17
	v_subrev_co_u32_e32 v4, vcc, s16, v22
	v_subb_co_u32_e32 v5, vcc, v23, v2, vcc
	v_mov_b32_e32 v8, 0
	s_or_b64 s[4:5], s[4:5], exec
; %bb.131:                              ;   in Loop: Header=BB147_12 Depth=1
	s_or_b64 exec, exec, s[6:7]
	s_and_b64 s[6:7], s[4:5], exec
.LBB147_132:                            ;   in Loop: Header=BB147_12 Depth=1
	s_or_b64 exec, exec, s[2:3]
	s_mov_b64 s[12:13], -1
                                        ; implicit-def: $sgpr2_sgpr3
                                        ; implicit-def: $sgpr4_sgpr5
                                        ; implicit-def: $sgpr8_sgpr9
	s_and_saveexec_b64 s[10:11], s[6:7]
	s_xor_b64 s[26:27], exec, s[10:11]
	s_cbranch_execz .LBB147_281
; %bb.133:                              ;   in Loop: Header=BB147_12 Depth=1
	s_cmp_eq_u64 s[18:19], 1
	s_cselect_b64 s[2:3], -1, 0
	v_cmp_eq_u64_e32 vcc, 1, v[4:5]
	s_and_b64 s[8:9], s[2:3], vcc
	s_mov_b64 s[2:3], -1
                                        ; implicit-def: $sgpr28_sgpr29
                                        ; implicit-def: $sgpr44_sgpr45
                                        ; implicit-def: $sgpr42_sgpr43
	s_and_saveexec_b64 s[10:11], s[8:9]
	s_cbranch_execz .LBB147_167
; %bb.134:                              ;   in Loop: Header=BB147_12 Depth=1
	ds_read_b64 v[2:3], v15 offset:5120
	s_waitcnt lgkmcnt(0)
	s_barrier
	v_readfirstlane_b32 s2, v2
	v_readfirstlane_b32 s3, v3
	s_mov_b64 s[4:5], exec
	v_readlane_b32 s6, v46, 30
	v_readlane_b32 s7, v46, 31
	s_and_b64 s[6:7], s[4:5], s[6:7]
	s_mov_b64 exec, s[6:7]
	s_cbranch_execz .LBB147_136
; %bb.135:                              ;   in Loop: Header=BB147_12 Depth=1
	ds_write_b32 v32, v15
.LBB147_136:                            ;   in Loop: Header=BB147_12 Depth=1
	s_or_b64 exec, exec, s[4:5]
	v_and_b32_e32 v2, s48, v20
	v_lshl_or_b32 v20, 1, s49, v2
	v_or_b32_e32 v24, s84, v24
	s_cmp_eq_u64 s[2:3], 0
	s_waitcnt lgkmcnt(0)
	s_barrier
	s_cbranch_scc1 .LBB147_150
; %bb.137:                              ;   in Loop: Header=BB147_12 Depth=1
	v_readlane_b32 s4, v46, 34
	s_add_u32 s12, s4, s2
	v_readlane_b32 s4, v46, 36
	s_addc_u32 s5, s4, s3
	s_mov_b32 s4, s85
	s_cmp_lg_u64 s[4:5], 0
	s_cbranch_scc0 .LBB147_194
; %bb.138:                              ;   in Loop: Header=BB147_12 Depth=1
	v_cvt_f32_u32_e32 v2, s87
	s_sub_u32 s4, 0, s87
	s_subb_u32 s6, 0, 0
	v_mac_f32_e32 v2, 0, v35
	v_rcp_f32_e32 v2, v2
	v_mul_f32_e32 v2, 0x5f7ffffc, v2
	v_mul_f32_e32 v3, 0x2f800000, v2
	v_trunc_f32_e32 v3, v3
	v_mac_f32_e32 v2, 0xcf800000, v3
	v_cvt_u32_f32_e32 v3, v3
	v_cvt_u32_f32_e32 v2, v2
	v_readfirstlane_b32 s7, v3
	v_readfirstlane_b32 s13, v2
	s_mul_i32 s28, s4, s7
	s_mul_hi_u32 s42, s4, s13
	s_mul_i32 s29, s6, s13
	s_add_i32 s28, s42, s28
	s_mul_i32 s43, s4, s13
	s_add_i32 s28, s28, s29
	s_mul_hi_u32 s42, s13, s43
	s_mul_hi_u32 s29, s13, s28
	s_mul_i32 s13, s13, s28
	s_add_u32 s13, s42, s13
	s_addc_u32 s29, 0, s29
	s_mul_hi_u32 s44, s7, s43
	s_mul_i32 s43, s7, s43
	s_add_u32 s13, s13, s43
	s_mul_hi_u32 s42, s7, s28
	s_addc_u32 s13, s29, s44
	s_addc_u32 s29, s42, 0
	s_mul_i32 s28, s7, s28
	s_add_u32 s13, s13, s28
	s_addc_u32 s28, 0, s29
	v_add_co_u32_e32 v2, vcc, s13, v2
	s_cmp_lg_u64 vcc, 0
	s_addc_u32 s7, s7, s28
	v_readfirstlane_b32 s28, v2
	s_mul_i32 s13, s4, s7
	s_mul_hi_u32 s29, s4, s28
	s_add_i32 s13, s29, s13
	s_mul_i32 s6, s6, s28
	s_add_i32 s13, s13, s6
	s_mul_i32 s4, s4, s28
	s_mul_hi_u32 s29, s7, s4
	s_mul_i32 s42, s7, s4
	s_mul_i32 s44, s28, s13
	s_mul_hi_u32 s4, s28, s4
	s_mul_hi_u32 s43, s28, s13
	s_add_u32 s4, s4, s44
	s_addc_u32 s28, 0, s43
	s_add_u32 s4, s4, s42
	s_mul_hi_u32 s6, s7, s13
	s_addc_u32 s4, s28, s29
	s_addc_u32 s6, s6, 0
	s_mul_i32 s13, s7, s13
	s_add_u32 s4, s4, s13
	s_addc_u32 s6, 0, s6
	v_add_co_u32_e32 v2, vcc, s4, v2
	s_cmp_lg_u64 vcc, 0
	s_addc_u32 s4, s7, s6
	v_readfirstlane_b32 s13, v2
	s_mul_i32 s7, s12, s4
	s_mul_hi_u32 s28, s12, s13
	s_mul_hi_u32 s6, s12, s4
	s_add_u32 s7, s28, s7
	s_addc_u32 s6, 0, s6
	s_mul_hi_u32 s29, s5, s13
	s_mul_i32 s13, s5, s13
	s_add_u32 s7, s7, s13
	s_mul_hi_u32 s28, s5, s4
	s_addc_u32 s6, s6, s29
	s_addc_u32 s7, s28, 0
	s_mul_i32 s4, s5, s4
	s_add_u32 s4, s6, s4
	s_addc_u32 s6, 0, s7
	s_mul_hi_u32 s7, s87, s4
	s_mul_i32 s4, s87, s4
	s_mul_i32 s6, s87, s6
	v_mov_b32_e32 v2, s4
	s_add_i32 s7, s7, s6
	v_sub_co_u32_e32 v2, vcc, s12, v2
	s_cmp_lg_u64 vcc, 0
	s_subb_u32 s4, s5, s7
	v_subrev_co_u32_e32 v3, vcc, s87, v2
	s_cmp_lg_u64 vcc, 0
	s_subb_u32 s6, s4, 0
	v_subrev_co_u32_e32 v6, vcc, s87, v3
	s_cmp_lg_u64 vcc, 0
	s_subb_u32 s7, s6, 0
	v_cmp_le_u32_e32 vcc, s87, v3
	s_cmp_eq_u32 s6, 0
	v_cndmask_b32_e64 v7, 0, -1, vcc
	s_cselect_b64 vcc, -1, 0
	v_cndmask_b32_e32 v7, -1, v7, vcc
	v_mov_b32_e32 v8, s6
	v_mov_b32_e32 v9, s7
	v_cmp_ne_u32_e32 vcc, 0, v7
	v_cndmask_b32_e32 v7, v8, v9, vcc
	v_cndmask_b32_e32 v6, v3, v6, vcc
	v_cmp_le_u32_e32 vcc, s87, v2
	s_cmp_eq_u32 s4, 0
	v_cndmask_b32_e64 v3, 0, -1, vcc
	s_cselect_b64 vcc, -1, 0
	v_cndmask_b32_e32 v3, -1, v3, vcc
	v_mov_b32_e32 v8, s4
	v_cmp_ne_u32_e32 vcc, 0, v3
	v_cndmask_b32_e32 v3, v8, v7, vcc
	v_cndmask_b32_e32 v2, v2, v6, vcc
	s_cbranch_execnz .LBB147_140
.LBB147_139:                            ;   in Loop: Header=BB147_12 Depth=1
	v_cvt_f32_u32_e32 v2, s87
	s_sub_i32 s4, 0, s87
	v_rcp_iflag_f32_e32 v2, v2
	v_mul_f32_e32 v2, 0x4f7ffffe, v2
	v_cvt_u32_f32_e32 v2, v2
	v_mul_lo_u32 v3, s4, v2
	v_mul_hi_u32 v3, v2, v3
	v_add_u32_e32 v2, v2, v3
	v_mul_hi_u32 v2, s12, v2
	v_mul_lo_u32 v2, v2, s87
	v_sub_u32_e32 v2, s12, v2
	v_subrev_u32_e32 v3, s87, v2
	v_cmp_le_u32_e32 vcc, s87, v2
	v_cndmask_b32_e32 v2, v2, v3, vcc
	v_subrev_u32_e32 v3, s87, v2
	v_cmp_le_u32_e32 vcc, s87, v2
	v_cndmask_b32_e32 v14, v2, v3, vcc
	v_pk_mov_b32 v[2:3], v[14:15], v[14:15] op_sel:[0,1]
.LBB147_140:                            ;   in Loop: Header=BB147_12 Depth=1
	v_mov_b32_e32 v7, s5
	v_sub_co_u32_e32 v6, vcc, s12, v2
	v_subb_co_u32_e32 v7, vcc, v7, v3, vcc
	v_cmp_gt_u64_e32 vcc, v[6:7], v[0:1]
	s_mov_b64 s[4:5], 0
                                        ; implicit-def: $vgpr3
	s_and_saveexec_b64 s[6:7], vcc
	s_cbranch_execz .LBB147_152
; %bb.141:                              ;   in Loop: Header=BB147_12 Depth=1
	v_mov_b32_e32 v14, v16
	v_pk_mov_b32 v[8:9], v[0:1], v[0:1] op_sel:[0,1]
                                        ; implicit-def: $sgpr12_sgpr13
	s_branch .LBB147_143
.LBB147_142:                            ;   in Loop: Header=BB147_143 Depth=2
	s_or_b64 exec, exec, s[28:29]
	s_waitcnt lgkmcnt(0)
	s_barrier
	ds_read_b64 v[2:3], v15 offset:3072
	v_add_co_u32_e32 v8, vcc, s87, v8
	v_add_u32_e32 v14, s95, v14
	s_waitcnt lgkmcnt(0)
	v_readfirstlane_b32 s28, v2
	v_mov_b32_e32 v2, s88
	s_cmp_lg_u32 s28, 0
	v_addc_co_u32_e32 v9, vcc, v9, v2, vcc
	s_cselect_b64 s[28:29], -1, 0
	v_cmp_ge_u64_e32 vcc, v[8:9], v[6:7]
	s_or_b64 s[42:43], vcc, s[28:29]
	s_and_b64 s[42:43], exec, s[42:43]
	s_or_b64 s[4:5], s[42:43], s[4:5]
	s_andn2_b64 s[12:13], s[12:13], exec
	s_and_b64 s[28:29], s[28:29], exec
	s_or_b64 s[12:13], s[12:13], s[28:29]
	s_barrier
	s_andn2_b64 exec, exec, s[4:5]
	s_cbranch_execz .LBB147_151
.LBB147_143:                            ;   Parent Loop BB147_12 Depth=1
                                        ; =>  This Inner Loop Header: Depth=2
	v_cmp_gt_u64_e32 vcc, s[2:3], v[8:9]
	s_waitcnt vmcnt(0)
	v_mov_b32_e32 v19, 0
	s_and_saveexec_b64 s[28:29], vcc
	s_cbranch_execz .LBB147_145
; %bb.144:                              ;   in Loop: Header=BB147_143 Depth=2
	ds_read_b32 v19, v14
.LBB147_145:                            ;   in Loop: Header=BB147_143 Depth=2
	s_or_b64 exec, exec, s[28:29]
	s_and_saveexec_b64 s[28:29], vcc
	s_cbranch_execz .LBB147_142
; %bb.146:                              ;   in Loop: Header=BB147_143 Depth=2
	s_waitcnt lgkmcnt(0)
	v_xor_b32_e32 v2, 0x80000000, v19
	v_and_b32_e32 v2, v2, v24
	v_cmp_eq_u32_e32 vcc, v2, v20
	s_and_b64 exec, exec, vcc
	s_cbranch_execz .LBB147_142
; %bb.147:                              ;   in Loop: Header=BB147_143 Depth=2
	ds_write_b64 v15, v[18:19] offset:3072
	s_branch .LBB147_142
.LBB147_148:                            ;   in Loop: Header=BB147_12 Depth=1
                                        ; implicit-def: $vgpr2_vgpr3
	s_branch .LBB147_90
.LBB147_149:                            ;   in Loop: Header=BB147_12 Depth=1
                                        ; implicit-def: $vgpr2_vgpr3
	s_branch .LBB147_109
.LBB147_150:                            ;   in Loop: Header=BB147_12 Depth=1
	s_mov_b64 s[28:29], -1
	s_mov_b64 s[4:5], 0
                                        ; implicit-def: $sgpr42_sgpr43
                                        ; implicit-def: $vgpr3
	s_mov_b64 s[44:45], s[28:29]
	s_cbranch_execnz .LBB147_153
	s_branch .LBB147_166
.LBB147_151:                            ;   in Loop: Header=BB147_12 Depth=1
	s_or_b64 exec, exec, s[4:5]
	s_and_b64 s[4:5], s[12:13], exec
.LBB147_152:                            ;   in Loop: Header=BB147_12 Depth=1
	s_or_b64 exec, exec, s[6:7]
	s_mov_b64 s[42:43], -1
	s_mov_b64 s[28:29], 0
	s_mov_b64 s[44:45], s[28:29]
	s_branch .LBB147_166
.LBB147_153:                            ;   in Loop: Header=BB147_12 Depth=1
	s_mov_b32 s92, s85
	s_cmp_lg_u64 s[92:93], 0
	s_cbranch_scc0 .LBB147_195
; %bb.154:                              ;   in Loop: Header=BB147_12 Depth=1
	v_cvt_f32_u32_e32 v2, s87
	s_sub_u32 s2, 0, s87
	s_subb_u32 s3, 0, 0
	v_mac_f32_e32 v2, 0, v35
	v_rcp_f32_e32 v2, v2
	v_mul_f32_e32 v2, 0x5f7ffffc, v2
	v_mul_f32_e32 v3, 0x2f800000, v2
	v_trunc_f32_e32 v3, v3
	v_mac_f32_e32 v2, 0xcf800000, v3
	v_cvt_u32_f32_e32 v3, v3
	v_cvt_u32_f32_e32 v2, v2
	v_readfirstlane_b32 s4, v3
	v_readfirstlane_b32 s5, v2
	s_mul_i32 s6, s2, s4
	s_mul_hi_u32 s12, s2, s5
	s_mul_i32 s7, s3, s5
	s_add_i32 s6, s12, s6
	s_mul_i32 s13, s2, s5
	s_add_i32 s6, s6, s7
	s_mul_hi_u32 s12, s5, s13
	s_mul_hi_u32 s7, s5, s6
	s_mul_i32 s5, s5, s6
	s_add_u32 s5, s12, s5
	s_addc_u32 s7, 0, s7
	s_mul_hi_u32 s28, s4, s13
	s_mul_i32 s13, s4, s13
	s_add_u32 s5, s5, s13
	s_mul_hi_u32 s12, s4, s6
	s_addc_u32 s5, s7, s28
	s_addc_u32 s7, s12, 0
	s_mul_i32 s6, s4, s6
	s_add_u32 s5, s5, s6
	s_addc_u32 s6, 0, s7
	v_add_co_u32_e32 v2, vcc, s5, v2
	s_cmp_lg_u64 vcc, 0
	s_addc_u32 s4, s4, s6
	v_readfirstlane_b32 s6, v2
	s_mul_i32 s5, s2, s4
	s_mul_hi_u32 s7, s2, s6
	s_add_i32 s5, s7, s5
	s_mul_i32 s3, s3, s6
	s_add_i32 s5, s5, s3
	s_mul_i32 s2, s2, s6
	s_mul_hi_u32 s7, s4, s2
	s_mul_i32 s12, s4, s2
	s_mul_i32 s28, s6, s5
	s_mul_hi_u32 s2, s6, s2
	s_mul_hi_u32 s13, s6, s5
	s_add_u32 s2, s2, s28
	s_addc_u32 s6, 0, s13
	s_add_u32 s2, s2, s12
	s_mul_hi_u32 s3, s4, s5
	s_addc_u32 s2, s6, s7
	s_addc_u32 s3, s3, 0
	s_mul_i32 s5, s4, s5
	s_add_u32 s2, s2, s5
	s_addc_u32 s3, 0, s3
	v_add_co_u32_e32 v2, vcc, s2, v2
	s_cmp_lg_u64 vcc, 0
	s_addc_u32 s2, s4, s3
	v_readlane_b32 s12, v46, 35
	v_readfirstlane_b32 s5, v2
	s_mul_i32 s4, s12, s2
	s_mul_hi_u32 s6, s12, s5
	s_mul_hi_u32 s3, s12, s2
	s_add_u32 s4, s6, s4
	s_addc_u32 s3, 0, s3
	s_mul_hi_u32 s7, s93, s5
	s_mul_i32 s5, s93, s5
	s_add_u32 s4, s4, s5
	s_mul_hi_u32 s6, s93, s2
	s_addc_u32 s3, s3, s7
	s_addc_u32 s4, s6, 0
	s_mul_i32 s2, s93, s2
	s_add_u32 s2, s3, s2
	s_addc_u32 s3, 0, s4
	s_mul_hi_u32 s4, s87, s2
	s_mul_i32 s2, s87, s2
	s_mul_i32 s3, s87, s3
	v_mov_b32_e32 v2, s2
	s_add_i32 s4, s4, s3
	v_sub_co_u32_e32 v2, vcc, s12, v2
	s_cmp_lg_u64 vcc, 0
	s_subb_u32 s2, s93, s4
	v_subrev_co_u32_e32 v3, vcc, s87, v2
	s_cmp_lg_u64 vcc, 0
	s_subb_u32 s3, s2, 0
	v_subrev_co_u32_e32 v6, vcc, s87, v3
	s_cmp_lg_u64 vcc, 0
	s_subb_u32 s4, s3, 0
	v_cmp_le_u32_e32 vcc, s87, v3
	s_cmp_eq_u32 s3, 0
	v_cndmask_b32_e64 v7, 0, -1, vcc
	s_cselect_b64 vcc, -1, 0
	v_cndmask_b32_e32 v7, -1, v7, vcc
	v_mov_b32_e32 v8, s3
	v_mov_b32_e32 v9, s4
	v_cmp_ne_u32_e32 vcc, 0, v7
	v_cndmask_b32_e32 v7, v8, v9, vcc
	v_cndmask_b32_e32 v6, v3, v6, vcc
	v_cmp_le_u32_e32 vcc, s87, v2
	s_cmp_eq_u32 s2, 0
	v_cndmask_b32_e64 v3, 0, -1, vcc
	s_cselect_b64 vcc, -1, 0
	v_cndmask_b32_e32 v3, -1, v3, vcc
	v_mov_b32_e32 v8, s2
	v_cmp_ne_u32_e32 vcc, 0, v3
	v_cndmask_b32_e32 v3, v8, v7, vcc
	v_cndmask_b32_e32 v2, v2, v6, vcc
	s_cbranch_execnz .LBB147_156
.LBB147_155:                            ;   in Loop: Header=BB147_12 Depth=1
	v_cvt_f32_u32_e32 v2, s87
	s_sub_i32 s2, 0, s87
	v_rcp_iflag_f32_e32 v2, v2
	v_mul_f32_e32 v2, 0x4f7ffffe, v2
	v_cvt_u32_f32_e32 v2, v2
	v_mul_lo_u32 v3, s2, v2
	v_mul_hi_u32 v3, v2, v3
	v_add_u32_e32 v2, v2, v3
	v_readlane_b32 s2, v46, 35
	v_mul_hi_u32 v2, s2, v2
	v_mul_lo_u32 v2, v2, s87
	v_sub_u32_e32 v2, s2, v2
	v_subrev_u32_e32 v3, s87, v2
	v_cmp_le_u32_e32 vcc, s87, v2
	v_cndmask_b32_e32 v2, v2, v3, vcc
	v_subrev_u32_e32 v3, s87, v2
	v_cmp_le_u32_e32 vcc, s87, v2
	v_cndmask_b32_e32 v14, v2, v3, vcc
	v_pk_mov_b32 v[2:3], v[14:15], v[14:15] op_sel:[0,1]
.LBB147_156:                            ;   in Loop: Header=BB147_12 Depth=1
	v_readlane_b32 s2, v46, 35
	v_mov_b32_e32 v7, s93
	v_sub_co_u32_e32 v6, vcc, s2, v2
	v_subb_co_u32_e32 v7, vcc, v7, v3, vcc
	v_cmp_gt_u64_e32 vcc, v[6:7], v[0:1]
	s_mov_b64 s[4:5], 0
                                        ; implicit-def: $vgpr3
	s_and_saveexec_b64 s[2:3], vcc
	s_cbranch_execz .LBB147_165
; %bb.157:                              ;   in Loop: Header=BB147_12 Depth=1
	v_pk_mov_b32 v[8:9], v[0:1], v[0:1] op_sel:[0,1]
                                        ; implicit-def: $sgpr12_sgpr13
	s_branch .LBB147_159
.LBB147_158:                            ;   in Loop: Header=BB147_159 Depth=2
	s_or_b64 exec, exec, s[6:7]
	s_waitcnt lgkmcnt(0)
	s_barrier
	ds_read_b64 v[2:3], v15 offset:3072
	v_add_co_u32_e32 v8, vcc, s87, v8
	s_waitcnt lgkmcnt(0)
	s_barrier
	v_readfirstlane_b32 s6, v2
	v_mov_b32_e32 v2, s88
	s_cmp_lg_u32 s6, 0
	v_addc_co_u32_e32 v9, vcc, v9, v2, vcc
	s_cselect_b64 s[6:7], -1, 0
	v_cmp_ge_u64_e32 vcc, v[8:9], v[6:7]
	s_or_b64 s[28:29], vcc, s[6:7]
	s_and_b64 s[28:29], exec, s[28:29]
	s_or_b64 s[4:5], s[28:29], s[4:5]
	s_andn2_b64 s[12:13], s[12:13], exec
	s_and_b64 s[6:7], s[6:7], exec
	s_or_b64 s[12:13], s[12:13], s[6:7]
	s_andn2_b64 exec, exec, s[4:5]
	s_cbranch_execz .LBB147_164
.LBB147_159:                            ;   Parent Loop BB147_12 Depth=1
                                        ; =>  This Inner Loop Header: Depth=2
	v_cmp_gt_u64_e32 vcc, s[60:61], v[8:9]
	s_waitcnt vmcnt(0)
	v_mov_b32_e32 v19, 0
	s_and_saveexec_b64 s[28:29], vcc
	s_cbranch_execz .LBB147_161
; %bb.160:                              ;   in Loop: Header=BB147_159 Depth=2
	v_mul_lo_u32 v14, v9, s58
	v_mul_lo_u32 v19, v8, s59
	v_mad_u64_u32 v[2:3], s[6:7], v8, s58, 0
	v_add3_u32 v3, v3, v19, v14
	v_lshlrev_b64 v[2:3], 2, v[2:3]
	v_mov_b32_e32 v14, s86
	v_add_co_u32_e64 v2, s[6:7], s33, v2
	v_addc_co_u32_e64 v3, s[6:7], v14, v3, s[6:7]
	global_load_dword v19, v[2:3], off
.LBB147_161:                            ;   in Loop: Header=BB147_159 Depth=2
	s_or_b64 exec, exec, s[28:29]
	s_and_saveexec_b64 s[6:7], vcc
	s_cbranch_execz .LBB147_158
; %bb.162:                              ;   in Loop: Header=BB147_159 Depth=2
	s_waitcnt vmcnt(0)
	v_xor_b32_e32 v2, 0x80000000, v19
	v_and_b32_e32 v2, v2, v24
	v_cmp_eq_u32_e32 vcc, v2, v20
	s_and_b64 exec, exec, vcc
	s_cbranch_execz .LBB147_158
; %bb.163:                              ;   in Loop: Header=BB147_159 Depth=2
	ds_write_b64 v15, v[18:19] offset:3072
	s_branch .LBB147_158
.LBB147_164:                            ;   in Loop: Header=BB147_12 Depth=1
	s_or_b64 exec, exec, s[4:5]
	s_and_b64 s[4:5], s[12:13], exec
.LBB147_165:                            ;   in Loop: Header=BB147_12 Depth=1
	s_or_b64 exec, exec, s[2:3]
	s_mov_b64 s[44:45], -1
	s_mov_b64 s[28:29], 0
	s_mov_b64 s[42:43], 0
.LBB147_166:                            ;   in Loop: Header=BB147_12 Depth=1
	s_orn2_b64 s[2:3], s[4:5], exec
.LBB147_167:                            ;   in Loop: Header=BB147_12 Depth=1
	s_or_b64 exec, exec, s[10:11]
	s_mov_b64 s[6:7], 0
                                        ; implicit-def: $vgpr8
	s_and_saveexec_b64 s[46:47], s[2:3]
	s_cbranch_execz .LBB147_280
; %bb.168:                              ;   in Loop: Header=BB147_12 Depth=1
	v_mov_b32_e32 v6, 1
	s_xor_b64 s[4:5], s[8:9], -1
	s_mov_b64 s[10:11], 0
	v_mov_b32_e32 v7, 0
	v_mov_b32_e32 v8, 1
	s_and_saveexec_b64 s[2:3], s[4:5]
	s_cbranch_execz .LBB147_178
; %bb.169:                              ;   in Loop: Header=BB147_12 Depth=1
	v_cmp_ge_u64_e32 vcc, s[18:19], v[4:5]
                                        ; implicit-def: $sgpr8
                                        ; implicit-def: $sgpr4_sgpr5
	s_and_saveexec_b64 s[6:7], vcc
	s_xor_b64 s[6:7], exec, s[6:7]
	s_cbranch_execz .LBB147_175
; %bb.170:                              ;   in Loop: Header=BB147_12 Depth=1
	ds_read_b64 v[6:7], v15 offset:5120
	s_waitcnt lgkmcnt(0)
	v_cmp_ne_u64_e32 vcc, 0, v[6:7]
	s_cbranch_vccnz .LBB147_174
; %bb.171:                              ;   in Loop: Header=BB147_12 Depth=1
	s_mov_b64 s[4:5], exec
	v_readlane_b32 s8, v46, 12
	v_readlane_b32 s9, v46, 13
	s_and_b64 s[8:9], s[4:5], s[8:9]
	s_mov_b64 exec, s[8:9]
	s_cbranch_execz .LBB147_173
; %bb.172:                              ;   in Loop: Header=BB147_12 Depth=1
	v_pk_mov_b32 v[6:7], s[18:19], s[18:19] op_sel:[0,1]
	ds_write_b64 v15, v[6:7] offset:5128
.LBB147_173:                            ;   in Loop: Header=BB147_12 Depth=1
	s_or_b64 exec, exec, s[4:5]
	s_waitcnt lgkmcnt(0)
	s_barrier
.LBB147_174:                            ;   in Loop: Header=BB147_12 Depth=1
	v_and_b32_e32 v2, s48, v20
	v_lshl_or_b32 v20, 1, s49, v2
	v_or_b32_e32 v24, s84, v24
	s_mov_b64 s[4:5], 0
	s_mov_b32 s8, 8
.LBB147_175:                            ;   in Loop: Header=BB147_12 Depth=1
	s_or_saveexec_b64 s[6:7], s[6:7]
	v_mov_b32_e32 v8, s8
	s_xor_b64 exec, exec, s[6:7]
; %bb.176:                              ;   in Loop: Header=BB147_12 Depth=1
	v_mov_b32_e32 v2, s19
	v_subrev_co_u32_e32 v4, vcc, s18, v4
	v_subb_co_u32_e32 v5, vcc, v5, v2, vcc
	v_mov_b32_e32 v8, 0
	s_or_b64 s[4:5], s[4:5], exec
; %bb.177:                              ;   in Loop: Header=BB147_12 Depth=1
	s_or_b64 exec, exec, s[6:7]
	s_and_b64 s[10:11], s[4:5], exec
	v_pk_mov_b32 v[6:7], v[4:5], v[4:5] op_sel:[0,1]
.LBB147_178:                            ;   in Loop: Header=BB147_12 Depth=1
	s_or_b64 exec, exec, s[2:3]
	s_mov_b64 s[2:3], -1
                                        ; implicit-def: $sgpr4_sgpr5
                                        ; implicit-def: $sgpr6_sgpr7
                                        ; implicit-def: $sgpr8_sgpr9
	s_and_saveexec_b64 s[50:51], s[10:11]
	s_cbranch_execz .LBB147_279
; %bb.179:                              ;   in Loop: Header=BB147_12 Depth=1
	s_cmp_eq_u64 s[22:23], 1
	s_cselect_b64 s[2:3], -1, 0
	v_cmp_eq_u64_e32 vcc, 1, v[6:7]
	s_and_b64 s[10:11], s[2:3], vcc
	s_mov_b64 s[4:5], -1
                                        ; implicit-def: $sgpr8_sgpr9
                                        ; implicit-def: $sgpr52_sgpr53
                                        ; implicit-def: $vcc
	s_and_saveexec_b64 s[54:55], s[10:11]
	s_cbranch_execz .LBB147_213
; %bb.180:                              ;   in Loop: Header=BB147_12 Depth=1
	ds_read_b64 v[2:3], v15 offset:5120
	s_waitcnt lgkmcnt(0)
	s_barrier
	v_readfirstlane_b32 s2, v2
	v_readfirstlane_b32 s3, v3
	s_mov_b64 s[4:5], exec
	v_readlane_b32 s6, v46, 30
	v_readlane_b32 s7, v46, 31
	s_and_b64 s[6:7], s[4:5], s[6:7]
	s_mov_b64 exec, s[6:7]
	s_cbranch_execz .LBB147_182
; %bb.181:                              ;   in Loop: Header=BB147_12 Depth=1
	ds_write_b32 v32, v15
.LBB147_182:                            ;   in Loop: Header=BB147_12 Depth=1
	s_or_b64 exec, exec, s[4:5]
	v_and_b32_e32 v2, s48, v20
	v_lshl_or_b32 v20, 2, s49, v2
	v_or_b32_e32 v24, s84, v24
	s_cmp_eq_u64 s[2:3], 0
	s_waitcnt lgkmcnt(0)
	s_barrier
	s_cbranch_scc1 .LBB147_196
; %bb.183:                              ;   in Loop: Header=BB147_12 Depth=1
	v_readlane_b32 s4, v46, 34
	s_add_u32 s8, s4, s2
	v_readlane_b32 s4, v46, 36
	s_addc_u32 s5, s4, s3
	s_mov_b32 s4, s85
	s_cmp_lg_u64 s[4:5], 0
	s_cbranch_scc0 .LBB147_231
; %bb.184:                              ;   in Loop: Header=BB147_12 Depth=1
	v_cvt_f32_u32_e32 v2, s87
	s_sub_u32 s4, 0, s87
	s_subb_u32 s6, 0, 0
	v_mac_f32_e32 v2, 0, v35
	v_rcp_f32_e32 v2, v2
	v_mul_f32_e32 v2, 0x5f7ffffc, v2
	v_mul_f32_e32 v3, 0x2f800000, v2
	v_trunc_f32_e32 v3, v3
	v_mac_f32_e32 v2, 0xcf800000, v3
	v_cvt_u32_f32_e32 v3, v3
	v_cvt_u32_f32_e32 v2, v2
	v_readfirstlane_b32 s7, v3
	v_readfirstlane_b32 s9, v2
	s_mul_i32 s12, s4, s7
	s_mul_hi_u32 s52, s4, s9
	s_mul_i32 s13, s6, s9
	s_add_i32 s12, s52, s12
	s_mul_i32 s53, s4, s9
	s_add_i32 s12, s12, s13
	s_mul_hi_u32 s52, s9, s53
	s_mul_hi_u32 s13, s9, s12
	s_mul_i32 s9, s9, s12
	s_add_u32 s9, s52, s9
	s_addc_u32 s13, 0, s13
	s_mul_hi_u32 s56, s7, s53
	s_mul_i32 s53, s7, s53
	s_add_u32 s9, s9, s53
	s_mul_hi_u32 s52, s7, s12
	s_addc_u32 s9, s13, s56
	s_addc_u32 s13, s52, 0
	s_mul_i32 s12, s7, s12
	s_add_u32 s9, s9, s12
	s_addc_u32 s12, 0, s13
	v_add_co_u32_e32 v2, vcc, s9, v2
	s_cmp_lg_u64 vcc, 0
	s_addc_u32 s7, s7, s12
	v_readfirstlane_b32 s12, v2
	s_mul_i32 s9, s4, s7
	s_mul_hi_u32 s13, s4, s12
	s_add_i32 s9, s13, s9
	s_mul_i32 s6, s6, s12
	s_add_i32 s9, s9, s6
	s_mul_i32 s4, s4, s12
	s_mul_hi_u32 s13, s7, s4
	s_mul_i32 s52, s7, s4
	s_mul_i32 s56, s12, s9
	s_mul_hi_u32 s4, s12, s4
	s_mul_hi_u32 s53, s12, s9
	s_add_u32 s4, s4, s56
	s_addc_u32 s12, 0, s53
	s_add_u32 s4, s4, s52
	s_mul_hi_u32 s6, s7, s9
	s_addc_u32 s4, s12, s13
	s_addc_u32 s6, s6, 0
	s_mul_i32 s9, s7, s9
	s_add_u32 s4, s4, s9
	s_addc_u32 s6, 0, s6
	v_add_co_u32_e32 v2, vcc, s4, v2
	s_cmp_lg_u64 vcc, 0
	s_addc_u32 s4, s7, s6
	v_readfirstlane_b32 s9, v2
	s_mul_i32 s7, s8, s4
	s_mul_hi_u32 s12, s8, s9
	s_mul_hi_u32 s6, s8, s4
	s_add_u32 s7, s12, s7
	s_addc_u32 s6, 0, s6
	s_mul_hi_u32 s13, s5, s9
	s_mul_i32 s9, s5, s9
	s_add_u32 s7, s7, s9
	s_mul_hi_u32 s12, s5, s4
	s_addc_u32 s6, s6, s13
	s_addc_u32 s7, s12, 0
	s_mul_i32 s4, s5, s4
	s_add_u32 s4, s6, s4
	s_addc_u32 s6, 0, s7
	s_mul_hi_u32 s7, s87, s4
	s_mul_i32 s4, s87, s4
	s_mul_i32 s6, s87, s6
	v_mov_b32_e32 v2, s4
	s_add_i32 s7, s7, s6
	v_sub_co_u32_e32 v2, vcc, s8, v2
	s_cmp_lg_u64 vcc, 0
	s_subb_u32 s4, s5, s7
	v_subrev_co_u32_e32 v3, vcc, s87, v2
	s_cmp_lg_u64 vcc, 0
	s_subb_u32 s6, s4, 0
	v_subrev_co_u32_e32 v4, vcc, s87, v3
	s_cmp_lg_u64 vcc, 0
	s_subb_u32 s7, s6, 0
	v_cmp_le_u32_e32 vcc, s87, v3
	s_cmp_eq_u32 s6, 0
	v_cndmask_b32_e64 v5, 0, -1, vcc
	s_cselect_b64 vcc, -1, 0
	v_cndmask_b32_e32 v5, -1, v5, vcc
	v_mov_b32_e32 v8, s6
	v_mov_b32_e32 v9, s7
	v_cmp_ne_u32_e32 vcc, 0, v5
	v_cndmask_b32_e32 v5, v8, v9, vcc
	v_cndmask_b32_e32 v4, v3, v4, vcc
	v_cmp_le_u32_e32 vcc, s87, v2
	s_cmp_eq_u32 s4, 0
	v_cndmask_b32_e64 v3, 0, -1, vcc
	s_cselect_b64 vcc, -1, 0
	v_cndmask_b32_e32 v3, -1, v3, vcc
	v_mov_b32_e32 v8, s4
	v_cmp_ne_u32_e32 vcc, 0, v3
	v_cndmask_b32_e32 v3, v8, v5, vcc
	v_cndmask_b32_e32 v2, v2, v4, vcc
	s_cbranch_execnz .LBB147_186
.LBB147_185:                            ;   in Loop: Header=BB147_12 Depth=1
	v_cvt_f32_u32_e32 v2, s87
	s_sub_i32 s4, 0, s87
	v_rcp_iflag_f32_e32 v2, v2
	v_mul_f32_e32 v2, 0x4f7ffffe, v2
	v_cvt_u32_f32_e32 v2, v2
	v_mul_lo_u32 v3, s4, v2
	v_mul_hi_u32 v3, v2, v3
	v_add_u32_e32 v2, v2, v3
	v_mul_hi_u32 v2, s8, v2
	v_mul_lo_u32 v2, v2, s87
	v_sub_u32_e32 v2, s8, v2
	v_subrev_u32_e32 v3, s87, v2
	v_cmp_le_u32_e32 vcc, s87, v2
	v_cndmask_b32_e32 v2, v2, v3, vcc
	v_subrev_u32_e32 v3, s87, v2
	v_cmp_le_u32_e32 vcc, s87, v2
	v_cndmask_b32_e32 v14, v2, v3, vcc
	v_pk_mov_b32 v[2:3], v[14:15], v[14:15] op_sel:[0,1]
.LBB147_186:                            ;   in Loop: Header=BB147_12 Depth=1
	v_mov_b32_e32 v5, s5
	v_sub_co_u32_e32 v4, vcc, s8, v2
	v_subb_co_u32_e32 v5, vcc, v5, v3, vcc
	v_cmp_gt_u64_e32 vcc, v[4:5], v[0:1]
	s_mov_b64 s[4:5], 0
                                        ; implicit-def: $vgpr3
	s_and_saveexec_b64 s[6:7], vcc
	s_cbranch_execz .LBB147_198
; %bb.187:                              ;   in Loop: Header=BB147_12 Depth=1
	v_mov_b32_e32 v14, v16
	v_pk_mov_b32 v[8:9], v[0:1], v[0:1] op_sel:[0,1]
                                        ; implicit-def: $sgpr8_sgpr9
	s_branch .LBB147_189
.LBB147_188:                            ;   in Loop: Header=BB147_189 Depth=2
	s_or_b64 exec, exec, s[12:13]
	s_waitcnt lgkmcnt(0)
	s_barrier
	ds_read_b64 v[2:3], v15 offset:3072
	v_add_co_u32_e32 v8, vcc, s87, v8
	v_add_u32_e32 v14, s95, v14
	s_waitcnt lgkmcnt(0)
	v_readfirstlane_b32 s12, v2
	v_mov_b32_e32 v2, s88
	s_cmp_lg_u32 s12, 0
	v_addc_co_u32_e32 v9, vcc, v9, v2, vcc
	s_cselect_b64 s[12:13], -1, 0
	v_cmp_ge_u64_e32 vcc, v[8:9], v[4:5]
	s_or_b64 s[52:53], vcc, s[12:13]
	s_and_b64 s[52:53], exec, s[52:53]
	s_or_b64 s[4:5], s[52:53], s[4:5]
	s_andn2_b64 s[8:9], s[8:9], exec
	s_and_b64 s[12:13], s[12:13], exec
	s_or_b64 s[8:9], s[8:9], s[12:13]
	s_barrier
	s_andn2_b64 exec, exec, s[4:5]
	s_cbranch_execz .LBB147_197
.LBB147_189:                            ;   Parent Loop BB147_12 Depth=1
                                        ; =>  This Inner Loop Header: Depth=2
	v_cmp_gt_u64_e32 vcc, s[2:3], v[8:9]
	s_waitcnt vmcnt(0)
	v_mov_b32_e32 v19, 0
	s_and_saveexec_b64 s[12:13], vcc
	s_cbranch_execz .LBB147_191
; %bb.190:                              ;   in Loop: Header=BB147_189 Depth=2
	ds_read_b32 v19, v14
.LBB147_191:                            ;   in Loop: Header=BB147_189 Depth=2
	s_or_b64 exec, exec, s[12:13]
	s_and_saveexec_b64 s[12:13], vcc
	s_cbranch_execz .LBB147_188
; %bb.192:                              ;   in Loop: Header=BB147_189 Depth=2
	s_waitcnt lgkmcnt(0)
	v_xor_b32_e32 v2, 0x80000000, v19
	v_and_b32_e32 v2, v2, v24
	v_cmp_eq_u32_e32 vcc, v2, v20
	s_and_b64 exec, exec, vcc
	s_cbranch_execz .LBB147_188
; %bb.193:                              ;   in Loop: Header=BB147_189 Depth=2
	ds_write_b64 v15, v[18:19] offset:3072
	s_branch .LBB147_188
.LBB147_194:                            ;   in Loop: Header=BB147_12 Depth=1
                                        ; implicit-def: $vgpr2_vgpr3
	s_branch .LBB147_139
.LBB147_195:                            ;   in Loop: Header=BB147_12 Depth=1
                                        ; implicit-def: $vgpr2_vgpr3
	s_branch .LBB147_155
.LBB147_196:                            ;   in Loop: Header=BB147_12 Depth=1
	s_mov_b64 s[8:9], -1
	s_mov_b64 s[4:5], 0
                                        ; implicit-def: $sgpr2_sgpr3
                                        ; implicit-def: $vgpr3
	s_mov_b64 s[52:53], s[8:9]
	s_cbranch_execnz .LBB147_199
	s_branch .LBB147_212
.LBB147_197:                            ;   in Loop: Header=BB147_12 Depth=1
	s_or_b64 exec, exec, s[4:5]
	s_and_b64 s[4:5], s[8:9], exec
.LBB147_198:                            ;   in Loop: Header=BB147_12 Depth=1
	s_or_b64 exec, exec, s[6:7]
	s_mov_b64 s[2:3], -1
	s_mov_b64 s[8:9], 0
	s_mov_b64 s[52:53], s[8:9]
	s_branch .LBB147_212
.LBB147_199:                            ;   in Loop: Header=BB147_12 Depth=1
	s_mov_b32 s92, s85
	s_cmp_lg_u64 s[92:93], 0
	s_cbranch_scc0 .LBB147_232
; %bb.200:                              ;   in Loop: Header=BB147_12 Depth=1
	v_cvt_f32_u32_e32 v2, s87
	s_sub_u32 s2, 0, s87
	s_subb_u32 s3, 0, 0
	v_mac_f32_e32 v2, 0, v35
	v_rcp_f32_e32 v2, v2
	v_mul_f32_e32 v2, 0x5f7ffffc, v2
	v_mul_f32_e32 v3, 0x2f800000, v2
	v_trunc_f32_e32 v3, v3
	v_mac_f32_e32 v2, 0xcf800000, v3
	v_cvt_u32_f32_e32 v3, v3
	v_cvt_u32_f32_e32 v2, v2
	v_readfirstlane_b32 s4, v3
	v_readfirstlane_b32 s5, v2
	s_mul_i32 s6, s2, s4
	s_mul_hi_u32 s8, s2, s5
	s_mul_i32 s7, s3, s5
	s_add_i32 s6, s8, s6
	s_mul_i32 s9, s2, s5
	s_add_i32 s6, s6, s7
	s_mul_hi_u32 s8, s5, s9
	s_mul_hi_u32 s7, s5, s6
	s_mul_i32 s5, s5, s6
	s_add_u32 s5, s8, s5
	s_addc_u32 s7, 0, s7
	s_mul_hi_u32 s12, s4, s9
	s_mul_i32 s9, s4, s9
	s_add_u32 s5, s5, s9
	s_mul_hi_u32 s8, s4, s6
	s_addc_u32 s5, s7, s12
	s_addc_u32 s7, s8, 0
	s_mul_i32 s6, s4, s6
	s_add_u32 s5, s5, s6
	s_addc_u32 s6, 0, s7
	v_add_co_u32_e32 v2, vcc, s5, v2
	s_cmp_lg_u64 vcc, 0
	s_addc_u32 s4, s4, s6
	v_readfirstlane_b32 s6, v2
	s_mul_i32 s5, s2, s4
	s_mul_hi_u32 s7, s2, s6
	s_add_i32 s5, s7, s5
	s_mul_i32 s3, s3, s6
	s_add_i32 s5, s5, s3
	s_mul_i32 s2, s2, s6
	s_mul_hi_u32 s7, s4, s2
	s_mul_i32 s8, s4, s2
	s_mul_i32 s12, s6, s5
	s_mul_hi_u32 s2, s6, s2
	s_mul_hi_u32 s9, s6, s5
	s_add_u32 s2, s2, s12
	s_addc_u32 s6, 0, s9
	s_add_u32 s2, s2, s8
	s_mul_hi_u32 s3, s4, s5
	s_addc_u32 s2, s6, s7
	s_addc_u32 s3, s3, 0
	s_mul_i32 s5, s4, s5
	s_add_u32 s2, s2, s5
	s_addc_u32 s3, 0, s3
	v_add_co_u32_e32 v2, vcc, s2, v2
	s_cmp_lg_u64 vcc, 0
	s_addc_u32 s2, s4, s3
	v_readlane_b32 s8, v46, 35
	v_readfirstlane_b32 s5, v2
	s_mul_i32 s4, s8, s2
	s_mul_hi_u32 s6, s8, s5
	s_mul_hi_u32 s3, s8, s2
	s_add_u32 s4, s6, s4
	s_addc_u32 s3, 0, s3
	s_mul_hi_u32 s7, s93, s5
	s_mul_i32 s5, s93, s5
	s_add_u32 s4, s4, s5
	s_mul_hi_u32 s6, s93, s2
	s_addc_u32 s3, s3, s7
	s_addc_u32 s4, s6, 0
	s_mul_i32 s2, s93, s2
	s_add_u32 s2, s3, s2
	s_addc_u32 s3, 0, s4
	s_mul_hi_u32 s4, s87, s2
	s_mul_i32 s2, s87, s2
	s_mul_i32 s3, s87, s3
	v_mov_b32_e32 v2, s2
	s_add_i32 s4, s4, s3
	v_sub_co_u32_e32 v2, vcc, s8, v2
	s_cmp_lg_u64 vcc, 0
	s_subb_u32 s2, s93, s4
	v_subrev_co_u32_e32 v3, vcc, s87, v2
	s_cmp_lg_u64 vcc, 0
	s_subb_u32 s3, s2, 0
	v_subrev_co_u32_e32 v4, vcc, s87, v3
	s_cmp_lg_u64 vcc, 0
	s_subb_u32 s4, s3, 0
	v_cmp_le_u32_e32 vcc, s87, v3
	s_cmp_eq_u32 s3, 0
	v_cndmask_b32_e64 v5, 0, -1, vcc
	s_cselect_b64 vcc, -1, 0
	v_cndmask_b32_e32 v5, -1, v5, vcc
	v_mov_b32_e32 v8, s3
	v_mov_b32_e32 v9, s4
	v_cmp_ne_u32_e32 vcc, 0, v5
	v_cndmask_b32_e32 v5, v8, v9, vcc
	v_cndmask_b32_e32 v4, v3, v4, vcc
	v_cmp_le_u32_e32 vcc, s87, v2
	s_cmp_eq_u32 s2, 0
	v_cndmask_b32_e64 v3, 0, -1, vcc
	s_cselect_b64 vcc, -1, 0
	v_cndmask_b32_e32 v3, -1, v3, vcc
	v_mov_b32_e32 v8, s2
	v_cmp_ne_u32_e32 vcc, 0, v3
	v_cndmask_b32_e32 v3, v8, v5, vcc
	v_cndmask_b32_e32 v2, v2, v4, vcc
	s_cbranch_execnz .LBB147_202
.LBB147_201:                            ;   in Loop: Header=BB147_12 Depth=1
	v_cvt_f32_u32_e32 v2, s87
	s_sub_i32 s2, 0, s87
	v_rcp_iflag_f32_e32 v2, v2
	v_mul_f32_e32 v2, 0x4f7ffffe, v2
	v_cvt_u32_f32_e32 v2, v2
	v_mul_lo_u32 v3, s2, v2
	v_mul_hi_u32 v3, v2, v3
	v_add_u32_e32 v2, v2, v3
	v_readlane_b32 s2, v46, 35
	v_mul_hi_u32 v2, s2, v2
	v_mul_lo_u32 v2, v2, s87
	v_sub_u32_e32 v2, s2, v2
	v_subrev_u32_e32 v3, s87, v2
	v_cmp_le_u32_e32 vcc, s87, v2
	v_cndmask_b32_e32 v2, v2, v3, vcc
	v_subrev_u32_e32 v3, s87, v2
	v_cmp_le_u32_e32 vcc, s87, v2
	v_cndmask_b32_e32 v14, v2, v3, vcc
	v_pk_mov_b32 v[2:3], v[14:15], v[14:15] op_sel:[0,1]
.LBB147_202:                            ;   in Loop: Header=BB147_12 Depth=1
	v_readlane_b32 s2, v46, 35
	v_mov_b32_e32 v5, s93
	v_sub_co_u32_e32 v4, vcc, s2, v2
	v_subb_co_u32_e32 v5, vcc, v5, v3, vcc
	v_cmp_gt_u64_e32 vcc, v[4:5], v[0:1]
	s_mov_b64 s[4:5], 0
                                        ; implicit-def: $vgpr3
	s_and_saveexec_b64 s[2:3], vcc
	s_cbranch_execz .LBB147_211
; %bb.203:                              ;   in Loop: Header=BB147_12 Depth=1
	v_pk_mov_b32 v[8:9], v[0:1], v[0:1] op_sel:[0,1]
                                        ; implicit-def: $sgpr8_sgpr9
	s_branch .LBB147_205
.LBB147_204:                            ;   in Loop: Header=BB147_205 Depth=2
	s_or_b64 exec, exec, s[6:7]
	s_waitcnt lgkmcnt(0)
	s_barrier
	ds_read_b64 v[2:3], v15 offset:3072
	v_add_co_u32_e32 v8, vcc, s87, v8
	s_waitcnt lgkmcnt(0)
	s_barrier
	v_readfirstlane_b32 s6, v2
	v_mov_b32_e32 v2, s88
	s_cmp_lg_u32 s6, 0
	v_addc_co_u32_e32 v9, vcc, v9, v2, vcc
	s_cselect_b64 s[6:7], -1, 0
	v_cmp_ge_u64_e32 vcc, v[8:9], v[4:5]
	s_or_b64 s[12:13], vcc, s[6:7]
	s_and_b64 s[12:13], exec, s[12:13]
	s_or_b64 s[4:5], s[12:13], s[4:5]
	s_andn2_b64 s[8:9], s[8:9], exec
	s_and_b64 s[6:7], s[6:7], exec
	s_or_b64 s[8:9], s[8:9], s[6:7]
	s_andn2_b64 exec, exec, s[4:5]
	s_cbranch_execz .LBB147_210
.LBB147_205:                            ;   Parent Loop BB147_12 Depth=1
                                        ; =>  This Inner Loop Header: Depth=2
	v_cmp_gt_u64_e32 vcc, s[60:61], v[8:9]
	s_waitcnt vmcnt(0)
	v_mov_b32_e32 v19, 0
	s_and_saveexec_b64 s[12:13], vcc
	s_cbranch_execz .LBB147_207
; %bb.206:                              ;   in Loop: Header=BB147_205 Depth=2
	v_mul_lo_u32 v14, v9, s58
	v_mul_lo_u32 v19, v8, s59
	v_mad_u64_u32 v[2:3], s[6:7], v8, s58, 0
	v_add3_u32 v3, v3, v19, v14
	v_lshlrev_b64 v[2:3], 2, v[2:3]
	v_mov_b32_e32 v14, s86
	v_add_co_u32_e64 v2, s[6:7], s33, v2
	v_addc_co_u32_e64 v3, s[6:7], v14, v3, s[6:7]
	global_load_dword v19, v[2:3], off
.LBB147_207:                            ;   in Loop: Header=BB147_205 Depth=2
	s_or_b64 exec, exec, s[12:13]
	s_and_saveexec_b64 s[6:7], vcc
	s_cbranch_execz .LBB147_204
; %bb.208:                              ;   in Loop: Header=BB147_205 Depth=2
	s_waitcnt vmcnt(0)
	v_xor_b32_e32 v2, 0x80000000, v19
	v_and_b32_e32 v2, v2, v24
	v_cmp_eq_u32_e32 vcc, v2, v20
	s_and_b64 exec, exec, vcc
	s_cbranch_execz .LBB147_204
; %bb.209:                              ;   in Loop: Header=BB147_205 Depth=2
	ds_write_b64 v15, v[18:19] offset:3072
	s_branch .LBB147_204
.LBB147_210:                            ;   in Loop: Header=BB147_12 Depth=1
	s_or_b64 exec, exec, s[4:5]
	s_and_b64 s[4:5], s[8:9], exec
.LBB147_211:                            ;   in Loop: Header=BB147_12 Depth=1
	s_or_b64 exec, exec, s[2:3]
	s_mov_b64 s[52:53], -1
	s_mov_b64 s[8:9], 0
	s_mov_b64 s[2:3], 0
.LBB147_212:                            ;   in Loop: Header=BB147_12 Depth=1
	s_orn2_b64 s[4:5], s[4:5], exec
	s_mov_b64 vcc, s[2:3]
.LBB147_213:                            ;   in Loop: Header=BB147_12 Depth=1
	s_or_b64 exec, exec, s[54:55]
	s_mov_b64 s[2:3], 0
                                        ; implicit-def: $vgpr8
	s_and_saveexec_b64 s[54:55], s[4:5]
	s_cbranch_execz .LBB147_278
; %bb.214:                              ;   in Loop: Header=BB147_12 Depth=1
	v_mov_b32_e32 v4, 1
	s_xor_b64 s[4:5], s[10:11], -1
	s_mov_b64 s[56:57], 0
	v_mov_b32_e32 v5, 0
	v_mov_b32_e32 v8, 1
	s_and_saveexec_b64 s[2:3], s[4:5]
	s_cbranch_execz .LBB147_224
; %bb.215:                              ;   in Loop: Header=BB147_12 Depth=1
	s_mov_b64 s[90:91], vcc
	v_cmp_ge_u64_e32 vcc, s[22:23], v[6:7]
                                        ; implicit-def: $sgpr10
                                        ; implicit-def: $sgpr4_sgpr5
	s_and_saveexec_b64 s[6:7], vcc
	s_xor_b64 s[6:7], exec, s[6:7]
	s_cbranch_execz .LBB147_221
; %bb.216:                              ;   in Loop: Header=BB147_12 Depth=1
	ds_read_b64 v[4:5], v15 offset:5120
	s_waitcnt lgkmcnt(0)
	v_cmp_ne_u64_e32 vcc, 0, v[4:5]
	s_cbranch_vccnz .LBB147_220
; %bb.217:                              ;   in Loop: Header=BB147_12 Depth=1
	s_mov_b64 s[4:5], exec
	v_readlane_b32 s10, v46, 12
	v_readlane_b32 s11, v46, 13
	s_and_b64 s[10:11], s[4:5], s[10:11]
	s_mov_b64 exec, s[10:11]
	s_cbranch_execz .LBB147_219
; %bb.218:                              ;   in Loop: Header=BB147_12 Depth=1
	v_pk_mov_b32 v[4:5], s[22:23], s[22:23] op_sel:[0,1]
	ds_write_b64 v15, v[4:5] offset:5128
.LBB147_219:                            ;   in Loop: Header=BB147_12 Depth=1
	s_or_b64 exec, exec, s[4:5]
	s_waitcnt lgkmcnt(0)
	s_barrier
.LBB147_220:                            ;   in Loop: Header=BB147_12 Depth=1
	v_and_b32_e32 v2, s48, v20
	v_lshl_or_b32 v20, 2, s49, v2
	v_or_b32_e32 v24, s84, v24
	s_mov_b64 s[4:5], 0
	s_mov_b32 s10, 8
.LBB147_221:                            ;   in Loop: Header=BB147_12 Depth=1
	s_or_saveexec_b64 s[6:7], s[6:7]
	v_mov_b32_e32 v8, s10
	s_xor_b64 exec, exec, s[6:7]
; %bb.222:                              ;   in Loop: Header=BB147_12 Depth=1
	v_mov_b32_e32 v2, s23
	v_subrev_co_u32_e32 v6, vcc, s22, v6
	v_subb_co_u32_e32 v7, vcc, v7, v2, vcc
	v_mov_b32_e32 v8, 0
	s_or_b64 s[4:5], s[4:5], exec
; %bb.223:                              ;   in Loop: Header=BB147_12 Depth=1
	s_or_b64 exec, exec, s[6:7]
	s_and_b64 s[56:57], s[4:5], exec
	v_pk_mov_b32 v[4:5], v[6:7], v[6:7] op_sel:[0,1]
	s_mov_b64 vcc, s[90:91]
.LBB147_224:                            ;   in Loop: Header=BB147_12 Depth=1
	s_or_b64 exec, exec, s[2:3]
	s_mov_b64 s[12:13], -1
                                        ; implicit-def: $sgpr2_sgpr3
                                        ; implicit-def: $sgpr6_sgpr7
                                        ; implicit-def: $sgpr4_sgpr5
	s_and_saveexec_b64 s[10:11], s[56:57]
	s_cbranch_execz .LBB147_277
; %bb.225:                              ;   in Loop: Header=BB147_12 Depth=1
	v_writelane_b32 v46, vcc_lo, 51
	s_cmp_eq_u64 s[24:25], 1
	v_writelane_b32 v46, vcc_hi, 52
	s_cselect_b64 s[2:3], -1, 0
	v_cmp_eq_u64_e32 vcc, 1, v[4:5]
	s_mov_b64 s[56:57], -1
	s_and_b64 s[12:13], s[2:3], vcc
                                        ; implicit-def: $sgpr2_sgpr3
                                        ; implicit-def: $sgpr6_sgpr7
                                        ; implicit-def: $sgpr4_sgpr5
	s_mov_b64 s[90:91], exec
	v_writelane_b32 v46, s12, 53
	v_writelane_b32 v46, s13, 54
	s_and_b64 s[12:13], s[90:91], s[12:13]
	s_mov_b64 exec, s[12:13]
	s_cbranch_execz .LBB147_264
; %bb.226:                              ;   in Loop: Header=BB147_12 Depth=1
	ds_read_b64 v[2:3], v15 offset:5120
	s_waitcnt lgkmcnt(0)
	s_barrier
	v_readfirstlane_b32 s2, v2
	v_readfirstlane_b32 s3, v3
	s_mov_b64 s[4:5], exec
	v_readlane_b32 s6, v46, 30
	v_readlane_b32 s7, v46, 31
	s_and_b64 s[6:7], s[4:5], s[6:7]
	s_mov_b64 exec, s[6:7]
	s_cbranch_execz .LBB147_228
; %bb.227:                              ;   in Loop: Header=BB147_12 Depth=1
	ds_write_b32 v32, v15
.LBB147_228:                            ;   in Loop: Header=BB147_12 Depth=1
	s_or_b64 exec, exec, s[4:5]
	v_or_b32_e32 v20, s84, v20
	v_or_b32_e32 v24, s84, v24
	s_cmp_eq_u64 s[2:3], 0
	v_writelane_b32 v46, s90, 55
	s_waitcnt lgkmcnt(0)
	s_barrier
	v_writelane_b32 v46, s91, 56
	s_cbranch_scc1 .LBB147_233
; %bb.229:                              ;   in Loop: Header=BB147_12 Depth=1
	v_readlane_b32 s4, v46, 34
	s_add_u32 s12, s4, s2
	v_readlane_b32 s4, v46, 36
	s_addc_u32 s5, s4, s3
	s_mov_b32 s4, s85
	s_cmp_lg_u64 s[4:5], 0
	s_cbranch_scc0 .LBB147_234
; %bb.230:                              ;   in Loop: Header=BB147_12 Depth=1
	v_cvt_f32_u32_e32 v2, s87
	s_sub_u32 s4, 0, s87
	s_subb_u32 s6, 0, 0
	v_mac_f32_e32 v2, 0, v35
	v_rcp_f32_e32 v2, v2
	v_mul_f32_e32 v2, 0x5f7ffffc, v2
	v_mul_f32_e32 v3, 0x2f800000, v2
	v_trunc_f32_e32 v3, v3
	v_mac_f32_e32 v2, 0xcf800000, v3
	v_cvt_u32_f32_e32 v3, v3
	v_cvt_u32_f32_e32 v2, v2
	v_readfirstlane_b32 s7, v3
	v_readfirstlane_b32 s13, v2
	s_mul_i32 s56, s4, s7
	s_mul_hi_u32 s90, s4, s13
	s_mul_i32 s57, s6, s13
	s_add_i32 s56, s90, s56
	s_mul_i32 s91, s4, s13
	s_add_i32 s56, s56, s57
	s_mul_hi_u32 s90, s13, s91
	s_mul_hi_u32 s57, s13, s56
	s_mul_i32 s13, s13, s56
	s_add_u32 s13, s90, s13
	s_addc_u32 s57, 0, s57
	s_mul_hi_u32 s92, s7, s91
	s_mul_i32 s91, s7, s91
	s_add_u32 s13, s13, s91
	s_mul_hi_u32 s90, s7, s56
	s_addc_u32 s13, s57, s92
	s_addc_u32 s57, s90, 0
	s_mul_i32 s56, s7, s56
	s_add_u32 s13, s13, s56
	s_addc_u32 s56, 0, s57
	v_add_co_u32_e32 v2, vcc, s13, v2
	s_cmp_lg_u64 vcc, 0
	s_addc_u32 s7, s7, s56
	v_readfirstlane_b32 s56, v2
	s_mul_i32 s13, s4, s7
	s_mul_hi_u32 s57, s4, s56
	s_add_i32 s13, s57, s13
	s_mul_i32 s6, s6, s56
	s_add_i32 s13, s13, s6
	s_mul_i32 s4, s4, s56
	s_mul_hi_u32 s57, s7, s4
	s_mul_i32 s90, s7, s4
	s_mul_i32 s92, s56, s13
	s_mul_hi_u32 s4, s56, s4
	s_mul_hi_u32 s91, s56, s13
	s_add_u32 s4, s4, s92
	s_addc_u32 s56, 0, s91
	s_add_u32 s4, s4, s90
	s_mul_hi_u32 s6, s7, s13
	s_addc_u32 s4, s56, s57
	s_addc_u32 s6, s6, 0
	s_mul_i32 s13, s7, s13
	s_add_u32 s4, s4, s13
	s_addc_u32 s6, 0, s6
	v_add_co_u32_e32 v2, vcc, s4, v2
	s_cmp_lg_u64 vcc, 0
	s_addc_u32 s4, s7, s6
	v_readfirstlane_b32 s13, v2
	s_mul_i32 s7, s12, s4
	s_mul_hi_u32 s56, s12, s13
	s_mul_hi_u32 s6, s12, s4
	s_add_u32 s7, s56, s7
	s_addc_u32 s6, 0, s6
	s_mul_hi_u32 s57, s5, s13
	s_mul_i32 s13, s5, s13
	s_add_u32 s7, s7, s13
	s_mul_hi_u32 s56, s5, s4
	s_addc_u32 s6, s6, s57
	s_addc_u32 s7, s56, 0
	s_mul_i32 s4, s5, s4
	s_add_u32 s4, s6, s4
	s_addc_u32 s6, 0, s7
	s_mul_hi_u32 s7, s87, s4
	s_mul_i32 s4, s87, s4
	s_mul_i32 s6, s87, s6
	v_mov_b32_e32 v2, s4
	s_add_i32 s7, s7, s6
	v_sub_co_u32_e32 v2, vcc, s12, v2
	s_cmp_lg_u64 vcc, 0
	s_subb_u32 s4, s5, s7
	v_subrev_co_u32_e32 v3, vcc, s87, v2
	s_cmp_lg_u64 vcc, 0
	s_subb_u32 s6, s4, 0
	v_subrev_co_u32_e32 v6, vcc, s87, v3
	s_cmp_lg_u64 vcc, 0
	s_subb_u32 s7, s6, 0
	v_cmp_le_u32_e32 vcc, s87, v3
	s_cmp_eq_u32 s6, 0
	v_cndmask_b32_e64 v7, 0, -1, vcc
	s_cselect_b64 vcc, -1, 0
	v_cndmask_b32_e32 v7, -1, v7, vcc
	v_mov_b32_e32 v8, s6
	v_mov_b32_e32 v9, s7
	v_cmp_ne_u32_e32 vcc, 0, v7
	v_cndmask_b32_e32 v7, v8, v9, vcc
	v_cndmask_b32_e32 v6, v3, v6, vcc
	v_cmp_le_u32_e32 vcc, s87, v2
	s_cmp_eq_u32 s4, 0
	v_cndmask_b32_e64 v3, 0, -1, vcc
	s_cselect_b64 vcc, -1, 0
	v_cndmask_b32_e32 v3, -1, v3, vcc
	v_mov_b32_e32 v8, s4
	v_cmp_ne_u32_e32 vcc, 0, v3
	v_cndmask_b32_e32 v3, v8, v7, vcc
	v_cndmask_b32_e32 v2, v2, v6, vcc
	s_mov_b64 s[6:7], 0
	s_branch .LBB147_235
.LBB147_231:                            ;   in Loop: Header=BB147_12 Depth=1
                                        ; implicit-def: $vgpr2_vgpr3
	s_branch .LBB147_185
.LBB147_232:                            ;   in Loop: Header=BB147_12 Depth=1
                                        ; implicit-def: $vgpr2_vgpr3
	s_branch .LBB147_201
.LBB147_233:                            ;   in Loop: Header=BB147_12 Depth=1
	s_mov_b64 s[2:3], -1
	s_mov_b64 s[12:13], 0
                                        ; implicit-def: $sgpr4_sgpr5
                                        ; implicit-def: $vgpr3
	s_branch .LBB147_247
.LBB147_234:                            ;   in Loop: Header=BB147_12 Depth=1
	s_mov_b64 s[6:7], -1
                                        ; implicit-def: $vgpr2_vgpr3
.LBB147_235:                            ;   in Loop: Header=BB147_12 Depth=1
	s_andn2_b64 vcc, exec, s[6:7]
	s_cbranch_vccnz .LBB147_237
; %bb.236:                              ;   in Loop: Header=BB147_12 Depth=1
	v_cvt_f32_u32_e32 v2, s87
	s_sub_i32 s4, 0, s87
	v_rcp_iflag_f32_e32 v2, v2
	v_mul_f32_e32 v2, 0x4f7ffffe, v2
	v_cvt_u32_f32_e32 v2, v2
	v_mul_lo_u32 v3, s4, v2
	v_mul_hi_u32 v3, v2, v3
	v_add_u32_e32 v2, v2, v3
	v_mul_hi_u32 v2, s12, v2
	v_mul_lo_u32 v2, v2, s87
	v_sub_u32_e32 v2, s12, v2
	v_subrev_u32_e32 v3, s87, v2
	v_cmp_le_u32_e32 vcc, s87, v2
	v_cndmask_b32_e32 v2, v2, v3, vcc
	v_subrev_u32_e32 v3, s87, v2
	v_cmp_le_u32_e32 vcc, s87, v2
	v_cndmask_b32_e32 v14, v2, v3, vcc
	v_pk_mov_b32 v[2:3], v[14:15], v[14:15] op_sel:[0,1]
.LBB147_237:                            ;   in Loop: Header=BB147_12 Depth=1
	v_mov_b32_e32 v7, s5
	v_sub_co_u32_e32 v6, vcc, s12, v2
	v_subb_co_u32_e32 v7, vcc, v7, v3, vcc
	v_cmp_gt_u64_e32 vcc, v[6:7], v[0:1]
	s_mov_b64 s[12:13], 0
                                        ; implicit-def: $vgpr3
	s_and_saveexec_b64 s[4:5], vcc
	s_cbranch_execz .LBB147_246
; %bb.238:                              ;   in Loop: Header=BB147_12 Depth=1
	s_mov_b64 s[6:7], 0
	v_mov_b32_e32 v14, v16
	v_pk_mov_b32 v[8:9], v[0:1], v[0:1] op_sel:[0,1]
                                        ; implicit-def: $sgpr12_sgpr13
	s_branch .LBB147_240
.LBB147_239:                            ;   in Loop: Header=BB147_240 Depth=2
	s_or_b64 exec, exec, s[56:57]
	s_waitcnt lgkmcnt(0)
	s_barrier
	ds_read_b64 v[2:3], v15 offset:3072
	v_add_co_u32_e32 v8, vcc, s87, v8
	v_add_u32_e32 v14, s95, v14
	s_waitcnt lgkmcnt(0)
	v_readfirstlane_b32 s56, v2
	v_mov_b32_e32 v2, s88
	s_cmp_lg_u32 s56, 0
	v_addc_co_u32_e32 v9, vcc, v9, v2, vcc
	s_cselect_b64 s[56:57], -1, 0
	v_cmp_ge_u64_e32 vcc, v[8:9], v[6:7]
	s_or_b64 s[90:91], vcc, s[56:57]
	s_and_b64 s[90:91], exec, s[90:91]
	s_or_b64 s[6:7], s[90:91], s[6:7]
	s_andn2_b64 s[12:13], s[12:13], exec
	s_and_b64 s[56:57], s[56:57], exec
	s_or_b64 s[12:13], s[12:13], s[56:57]
	s_barrier
	s_andn2_b64 exec, exec, s[6:7]
	s_cbranch_execz .LBB147_245
.LBB147_240:                            ;   Parent Loop BB147_12 Depth=1
                                        ; =>  This Inner Loop Header: Depth=2
	v_cmp_gt_u64_e32 vcc, s[2:3], v[8:9]
	s_waitcnt vmcnt(0)
	v_mov_b32_e32 v19, 0
	s_and_saveexec_b64 s[56:57], vcc
	s_cbranch_execz .LBB147_242
; %bb.241:                              ;   in Loop: Header=BB147_240 Depth=2
	ds_read_b32 v19, v14
.LBB147_242:                            ;   in Loop: Header=BB147_240 Depth=2
	s_or_b64 exec, exec, s[56:57]
	s_and_saveexec_b64 s[56:57], vcc
	s_cbranch_execz .LBB147_239
; %bb.243:                              ;   in Loop: Header=BB147_240 Depth=2
	s_waitcnt lgkmcnt(0)
	v_xor_b32_e32 v2, 0x80000000, v19
	v_and_b32_e32 v2, v2, v24
	v_cmp_eq_u32_e32 vcc, v2, v20
	s_and_b64 exec, exec, vcc
	s_cbranch_execz .LBB147_239
; %bb.244:                              ;   in Loop: Header=BB147_240 Depth=2
	ds_write_b64 v15, v[18:19] offset:3072
	s_branch .LBB147_239
.LBB147_245:                            ;   in Loop: Header=BB147_12 Depth=1
	s_or_b64 exec, exec, s[6:7]
	s_and_b64 s[12:13], s[12:13], exec
.LBB147_246:                            ;   in Loop: Header=BB147_12 Depth=1
	s_or_b64 exec, exec, s[4:5]
	s_mov_b64 s[4:5], -1
	s_mov_b64 s[2:3], 0
.LBB147_247:                            ;   in Loop: Header=BB147_12 Depth=1
	s_and_b64 vcc, exec, s[2:3]
	s_mov_b64 s[6:7], s[2:3]
	s_cbranch_vccz .LBB147_263
; %bb.248:                              ;   in Loop: Header=BB147_12 Depth=1
	s_mov_b32 s92, s85
	s_cmp_lg_u64 s[92:93], 0
	s_cbranch_scc0 .LBB147_250
; %bb.249:                              ;   in Loop: Header=BB147_12 Depth=1
	v_cvt_f32_u32_e32 v2, s87
	s_sub_u32 s2, 0, s87
	s_subb_u32 s3, 0, 0
	v_mac_f32_e32 v2, 0, v35
	v_rcp_f32_e32 v2, v2
	v_mul_f32_e32 v2, 0x5f7ffffc, v2
	v_mul_f32_e32 v3, 0x2f800000, v2
	v_trunc_f32_e32 v3, v3
	v_mac_f32_e32 v2, 0xcf800000, v3
	v_cvt_u32_f32_e32 v3, v3
	v_cvt_u32_f32_e32 v2, v2
	v_readfirstlane_b32 s4, v3
	v_readfirstlane_b32 s5, v2
	s_mul_i32 s6, s2, s4
	s_mul_hi_u32 s12, s2, s5
	s_mul_i32 s7, s3, s5
	s_add_i32 s6, s12, s6
	s_mul_i32 s13, s2, s5
	s_add_i32 s6, s6, s7
	s_mul_hi_u32 s12, s5, s13
	s_mul_hi_u32 s7, s5, s6
	s_mul_i32 s5, s5, s6
	s_add_u32 s5, s12, s5
	s_addc_u32 s7, 0, s7
	s_mul_hi_u32 s56, s4, s13
	s_mul_i32 s13, s4, s13
	s_add_u32 s5, s5, s13
	s_mul_hi_u32 s12, s4, s6
	s_addc_u32 s5, s7, s56
	s_addc_u32 s7, s12, 0
	s_mul_i32 s6, s4, s6
	s_add_u32 s5, s5, s6
	s_addc_u32 s6, 0, s7
	v_add_co_u32_e32 v2, vcc, s5, v2
	s_cmp_lg_u64 vcc, 0
	s_addc_u32 s4, s4, s6
	v_readfirstlane_b32 s6, v2
	s_mul_i32 s5, s2, s4
	s_mul_hi_u32 s7, s2, s6
	s_add_i32 s5, s7, s5
	s_mul_i32 s3, s3, s6
	s_add_i32 s5, s5, s3
	s_mul_i32 s2, s2, s6
	s_mul_hi_u32 s7, s4, s2
	s_mul_i32 s12, s4, s2
	s_mul_i32 s56, s6, s5
	s_mul_hi_u32 s2, s6, s2
	s_mul_hi_u32 s13, s6, s5
	s_add_u32 s2, s2, s56
	s_addc_u32 s6, 0, s13
	s_add_u32 s2, s2, s12
	s_mul_hi_u32 s3, s4, s5
	s_addc_u32 s2, s6, s7
	s_addc_u32 s3, s3, 0
	s_mul_i32 s5, s4, s5
	s_add_u32 s2, s2, s5
	s_addc_u32 s3, 0, s3
	v_add_co_u32_e32 v2, vcc, s2, v2
	s_cmp_lg_u64 vcc, 0
	s_addc_u32 s2, s4, s3
	v_readlane_b32 s12, v46, 35
	v_readfirstlane_b32 s5, v2
	s_mul_i32 s4, s12, s2
	s_mul_hi_u32 s6, s12, s5
	s_mul_hi_u32 s3, s12, s2
	s_add_u32 s4, s6, s4
	s_addc_u32 s3, 0, s3
	s_mul_hi_u32 s7, s93, s5
	s_mul_i32 s5, s93, s5
	s_add_u32 s4, s4, s5
	s_mul_hi_u32 s6, s93, s2
	s_addc_u32 s3, s3, s7
	s_addc_u32 s4, s6, 0
	s_mul_i32 s2, s93, s2
	s_add_u32 s2, s3, s2
	s_addc_u32 s3, 0, s4
	s_mul_hi_u32 s4, s87, s2
	s_mul_i32 s2, s87, s2
	s_mul_i32 s3, s87, s3
	v_mov_b32_e32 v2, s2
	s_add_i32 s4, s4, s3
	v_sub_co_u32_e32 v2, vcc, s12, v2
	s_cmp_lg_u64 vcc, 0
	s_subb_u32 s2, s93, s4
	v_subrev_co_u32_e32 v3, vcc, s87, v2
	s_cmp_lg_u64 vcc, 0
	s_subb_u32 s3, s2, 0
	v_subrev_co_u32_e32 v6, vcc, s87, v3
	s_cmp_lg_u64 vcc, 0
	s_subb_u32 s4, s3, 0
	v_cmp_le_u32_e32 vcc, s87, v3
	s_cmp_eq_u32 s3, 0
	v_cndmask_b32_e64 v7, 0, -1, vcc
	s_cselect_b64 vcc, -1, 0
	v_cndmask_b32_e32 v7, -1, v7, vcc
	v_mov_b32_e32 v8, s3
	v_mov_b32_e32 v9, s4
	v_cmp_ne_u32_e32 vcc, 0, v7
	v_cndmask_b32_e32 v7, v8, v9, vcc
	v_cndmask_b32_e32 v6, v3, v6, vcc
	v_cmp_le_u32_e32 vcc, s87, v2
	s_cmp_eq_u32 s2, 0
	v_cndmask_b32_e64 v3, 0, -1, vcc
	s_cselect_b64 vcc, -1, 0
	v_cndmask_b32_e32 v3, -1, v3, vcc
	v_mov_b32_e32 v8, s2
	v_cmp_ne_u32_e32 vcc, 0, v3
	v_cndmask_b32_e32 v3, v8, v7, vcc
	v_cndmask_b32_e32 v2, v2, v6, vcc
	s_mov_b64 s[2:3], 0
	s_branch .LBB147_251
.LBB147_250:                            ;   in Loop: Header=BB147_12 Depth=1
	s_mov_b64 s[2:3], -1
                                        ; implicit-def: $vgpr2_vgpr3
.LBB147_251:                            ;   in Loop: Header=BB147_12 Depth=1
	s_andn2_b64 vcc, exec, s[2:3]
	s_cbranch_vccnz .LBB147_253
; %bb.252:                              ;   in Loop: Header=BB147_12 Depth=1
	v_cvt_f32_u32_e32 v2, s87
	s_sub_i32 s2, 0, s87
	v_rcp_iflag_f32_e32 v2, v2
	v_mul_f32_e32 v2, 0x4f7ffffe, v2
	v_cvt_u32_f32_e32 v2, v2
	v_mul_lo_u32 v3, s2, v2
	v_mul_hi_u32 v3, v2, v3
	v_add_u32_e32 v2, v2, v3
	v_readlane_b32 s2, v46, 35
	v_mul_hi_u32 v2, s2, v2
	v_mul_lo_u32 v2, v2, s87
	v_sub_u32_e32 v2, s2, v2
	v_subrev_u32_e32 v3, s87, v2
	v_cmp_le_u32_e32 vcc, s87, v2
	v_cndmask_b32_e32 v2, v2, v3, vcc
	v_subrev_u32_e32 v3, s87, v2
	v_cmp_le_u32_e32 vcc, s87, v2
	v_cndmask_b32_e32 v14, v2, v3, vcc
	v_pk_mov_b32 v[2:3], v[14:15], v[14:15] op_sel:[0,1]
.LBB147_253:                            ;   in Loop: Header=BB147_12 Depth=1
	v_readlane_b32 s2, v46, 35
	v_mov_b32_e32 v7, s93
	v_sub_co_u32_e32 v6, vcc, s2, v2
	v_subb_co_u32_e32 v7, vcc, v7, v3, vcc
	v_cmp_gt_u64_e32 vcc, v[6:7], v[0:1]
	s_mov_b64 s[12:13], 0
                                        ; implicit-def: $vgpr3
	s_and_saveexec_b64 s[2:3], vcc
	s_cbranch_execz .LBB147_262
; %bb.254:                              ;   in Loop: Header=BB147_12 Depth=1
	s_mov_b64 s[4:5], 0
	v_pk_mov_b32 v[8:9], v[0:1], v[0:1] op_sel:[0,1]
                                        ; implicit-def: $sgpr12_sgpr13
	s_branch .LBB147_256
.LBB147_255:                            ;   in Loop: Header=BB147_256 Depth=2
	s_or_b64 exec, exec, s[6:7]
	s_waitcnt lgkmcnt(0)
	s_barrier
	ds_read_b64 v[2:3], v15 offset:3072
	v_add_co_u32_e32 v8, vcc, s87, v8
	s_waitcnt lgkmcnt(0)
	s_barrier
	v_readfirstlane_b32 s6, v2
	v_mov_b32_e32 v2, s88
	s_cmp_lg_u32 s6, 0
	v_addc_co_u32_e32 v9, vcc, v9, v2, vcc
	s_cselect_b64 s[6:7], -1, 0
	v_cmp_ge_u64_e32 vcc, v[8:9], v[6:7]
	s_or_b64 s[56:57], vcc, s[6:7]
	s_and_b64 s[56:57], exec, s[56:57]
	s_or_b64 s[4:5], s[56:57], s[4:5]
	s_andn2_b64 s[12:13], s[12:13], exec
	s_and_b64 s[6:7], s[6:7], exec
	s_or_b64 s[12:13], s[12:13], s[6:7]
	s_andn2_b64 exec, exec, s[4:5]
	s_cbranch_execz .LBB147_261
.LBB147_256:                            ;   Parent Loop BB147_12 Depth=1
                                        ; =>  This Inner Loop Header: Depth=2
	v_cmp_gt_u64_e32 vcc, s[60:61], v[8:9]
	s_waitcnt vmcnt(0)
	v_mov_b32_e32 v19, 0
	s_and_saveexec_b64 s[56:57], vcc
	s_cbranch_execz .LBB147_258
; %bb.257:                              ;   in Loop: Header=BB147_256 Depth=2
	v_mul_lo_u32 v14, v9, s58
	v_mul_lo_u32 v19, v8, s59
	v_mad_u64_u32 v[2:3], s[6:7], v8, s58, 0
	v_add3_u32 v3, v3, v19, v14
	v_lshlrev_b64 v[2:3], 2, v[2:3]
	v_mov_b32_e32 v14, s86
	v_add_co_u32_e64 v2, s[6:7], s33, v2
	v_addc_co_u32_e64 v3, s[6:7], v14, v3, s[6:7]
	global_load_dword v19, v[2:3], off
.LBB147_258:                            ;   in Loop: Header=BB147_256 Depth=2
	s_or_b64 exec, exec, s[56:57]
	s_and_saveexec_b64 s[6:7], vcc
	s_cbranch_execz .LBB147_255
; %bb.259:                              ;   in Loop: Header=BB147_256 Depth=2
	s_waitcnt vmcnt(0)
	v_xor_b32_e32 v2, 0x80000000, v19
	v_and_b32_e32 v2, v2, v24
	v_cmp_eq_u32_e32 vcc, v2, v20
	s_and_b64 exec, exec, vcc
	s_cbranch_execz .LBB147_255
; %bb.260:                              ;   in Loop: Header=BB147_256 Depth=2
	ds_write_b64 v15, v[18:19] offset:3072
	s_branch .LBB147_255
.LBB147_261:                            ;   in Loop: Header=BB147_12 Depth=1
	s_or_b64 exec, exec, s[4:5]
	s_and_b64 s[12:13], s[12:13], exec
.LBB147_262:                            ;   in Loop: Header=BB147_12 Depth=1
	s_or_b64 exec, exec, s[2:3]
	s_mov_b64 s[6:7], -1
	s_mov_b64 s[2:3], 0
	s_mov_b64 s[4:5], 0
.LBB147_263:                            ;   in Loop: Header=BB147_12 Depth=1
	v_readlane_b32 s90, v46, 55
	s_orn2_b64 s[56:57], s[12:13], exec
	v_readlane_b32 s91, v46, 56
.LBB147_264:                            ;   in Loop: Header=BB147_12 Depth=1
	s_or_b64 exec, exec, s[90:91]
	s_mov_b64 s[90:91], 0
                                        ; implicit-def: $vgpr8
                                        ; implicit-def: $vgpr6_vgpr7
	s_and_saveexec_b64 s[12:13], s[56:57]
	v_readlane_b32 vcc_lo, v46, 51
	v_readlane_b32 vcc_hi, v46, 52
	s_cbranch_execz .LBB147_276
; %bb.265:                              ;   in Loop: Header=BB147_12 Depth=1
	v_readlane_b32 s56, v46, 53
	v_readlane_b32 s57, v46, 54
	v_mov_b32_e32 v6, 1
	s_xor_b64 s[90:91], s[56:57], -1
	v_mov_b32_e32 v8, 1
	v_mov_b32_e32 v7, 0
	s_and_saveexec_b64 s[56:57], s[90:91]
	s_cbranch_execz .LBB147_275
; %bb.266:                              ;   in Loop: Header=BB147_12 Depth=1
	v_cmp_ge_u64_e32 vcc, s[24:25], v[4:5]
                                        ; implicit-def: $sgpr92
	s_and_saveexec_b64 s[90:91], vcc
	s_xor_b64 s[90:91], exec, s[90:91]
	s_cbranch_execz .LBB147_272
; %bb.267:                              ;   in Loop: Header=BB147_12 Depth=1
	ds_read_b64 v[6:7], v15 offset:5120
	s_waitcnt lgkmcnt(0)
	v_cmp_ne_u64_e32 vcc, 0, v[6:7]
	s_cbranch_vccnz .LBB147_271
; %bb.268:                              ;   in Loop: Header=BB147_12 Depth=1
	v_writelane_b32 v46, s10, 57
	v_writelane_b32 v46, s11, 58
	s_mov_b64 s[10:11], exec
	v_writelane_b32 v46, s10, 59
	v_writelane_b32 v46, s11, 60
	v_readlane_b32 vcc_lo, v46, 12
	v_readlane_b32 s10, v46, 59
	v_readlane_b32 vcc_hi, v46, 13
	v_readlane_b32 s11, v46, 60
	s_and_b64 vcc, s[10:11], vcc
	s_mov_b64 exec, vcc
	s_cbranch_execz .LBB147_270
; %bb.269:                              ;   in Loop: Header=BB147_12 Depth=1
	v_pk_mov_b32 v[6:7], s[24:25], s[24:25] op_sel:[0,1]
	ds_write_b64 v15, v[6:7] offset:5128
.LBB147_270:                            ;   in Loop: Header=BB147_12 Depth=1
	v_readlane_b32 vcc_lo, v46, 59
	v_readlane_b32 vcc_hi, v46, 60
	s_or_b64 exec, exec, vcc
	v_readlane_b32 s10, v46, 57
	v_readlane_b32 s11, v46, 58
	s_waitcnt lgkmcnt(0)
	s_barrier
.LBB147_271:                            ;   in Loop: Header=BB147_12 Depth=1
	v_or_b32_e32 v20, s84, v20
	v_or_b32_e32 v24, s84, v24
	s_mov_b32 s92, 8
.LBB147_272:                            ;   in Loop: Header=BB147_12 Depth=1
	s_or_saveexec_b64 s[90:91], s[90:91]
	v_mov_b32_e32 v8, s92
	s_xor_b64 exec, exec, s[90:91]
; %bb.273:                              ;   in Loop: Header=BB147_12 Depth=1
	v_mov_b32_e32 v2, s25
	v_subrev_co_u32_e32 v4, vcc, s24, v4
	v_subb_co_u32_e32 v5, vcc, v5, v2, vcc
	v_mov_b32_e32 v8, 8
; %bb.274:                              ;   in Loop: Header=BB147_12 Depth=1
	s_or_b64 exec, exec, s[90:91]
	v_readlane_b32 vcc_lo, v46, 51
	v_pk_mov_b32 v[6:7], v[4:5], v[4:5] op_sel:[0,1]
	v_readlane_b32 vcc_hi, v46, 52
.LBB147_275:                            ;   in Loop: Header=BB147_12 Depth=1
	s_or_b64 exec, exec, s[56:57]
	s_mov_b64 s[90:91], exec
.LBB147_276:                            ;   in Loop: Header=BB147_12 Depth=1
	s_or_b64 exec, exec, s[12:13]
	s_orn2_b64 s[12:13], s[90:91], exec
	v_pk_mov_b32 v[4:5], v[6:7], v[6:7] op_sel:[0,1]
.LBB147_277:                            ;   in Loop: Header=BB147_12 Depth=1
	s_or_b64 exec, exec, s[10:11]
	s_andn2_b64 s[8:9], s[8:9], exec
	s_and_b64 s[2:3], s[2:3], exec
	s_or_b64 s[8:9], s[8:9], s[2:3]
	s_andn2_b64 s[2:3], s[52:53], exec
	s_and_b64 s[6:7], s[6:7], exec
	s_or_b64 s[52:53], s[2:3], s[6:7]
	s_andn2_b64 s[2:3], vcc, exec
	s_and_b64 s[4:5], s[4:5], exec
	s_or_b64 vcc, s[2:3], s[4:5]
	s_and_b64 s[2:3], s[12:13], exec
	v_pk_mov_b32 v[6:7], v[4:5], v[4:5] op_sel:[0,1]
.LBB147_278:                            ;   in Loop: Header=BB147_12 Depth=1
	s_or_b64 exec, exec, s[54:55]
	s_and_b64 s[8:9], s[8:9], exec
	s_and_b64 s[6:7], s[52:53], exec
	s_and_b64 s[4:5], vcc, exec
	s_orn2_b64 s[2:3], s[2:3], exec
.LBB147_279:                            ;   in Loop: Header=BB147_12 Depth=1
	s_or_b64 exec, exec, s[50:51]
	s_andn2_b64 s[10:11], s[28:29], exec
	s_and_b64 s[8:9], s[8:9], exec
	s_or_b64 s[28:29], s[10:11], s[8:9]
	s_andn2_b64 s[8:9], s[44:45], exec
	s_and_b64 s[6:7], s[6:7], exec
	s_or_b64 s[44:45], s[8:9], s[6:7]
	;; [unrolled: 3-line block ×3, first 2 shown]
	s_and_b64 s[6:7], s[2:3], exec
	v_pk_mov_b32 v[4:5], v[6:7], v[6:7] op_sel:[0,1]
.LBB147_280:                            ;   in Loop: Header=BB147_12 Depth=1
	s_or_b64 exec, exec, s[46:47]
	s_and_b64 s[8:9], s[28:29], exec
	s_and_b64 s[4:5], s[44:45], exec
	;; [unrolled: 1-line block ×3, first 2 shown]
	s_orn2_b64 s[12:13], s[6:7], exec
.LBB147_281:                            ;   in Loop: Header=BB147_12 Depth=1
	s_or_b64 exec, exec, s[26:27]
	s_mov_b64 s[6:7], 0
	s_mov_b64 s[10:11], 0
	s_and_saveexec_b64 s[26:27], s[12:13]
	s_xor_b64 s[12:13], exec, s[26:27]
; %bb.282:                              ;   in Loop: Header=BB147_12 Depth=1
	v_cmp_eq_u32_e32 vcc, 8, v8
	v_cmp_ne_u32_e64 s[6:7], 8, v8
	s_andn2_b64 s[8:9], s[8:9], exec
	s_andn2_b64 s[4:5], s[4:5], exec
	s_andn2_b64 s[2:3], s[2:3], exec
	s_and_b64 s[10:11], s[6:7], exec
	s_and_b64 s[6:7], vcc, exec
; %bb.283:                              ;   in Loop: Header=BB147_12 Depth=1
	s_or_b64 exec, exec, s[12:13]
	s_andn2_b64 s[12:13], s[20:21], exec
	s_and_b64 s[8:9], s[8:9], exec
	s_or_b64 s[20:21], s[12:13], s[8:9]
	s_andn2_b64 s[8:9], s[36:37], exec
	s_and_b64 s[4:5], s[4:5], exec
	s_or_b64 s[36:37], s[8:9], s[4:5]
	;; [unrolled: 3-line block ×3, first 2 shown]
	s_and_b64 s[26:27], s[10:11], exec
	s_and_b64 s[28:29], s[6:7], exec
.LBB147_284:                            ;   in Loop: Header=BB147_12 Depth=1
	s_or_b64 exec, exec, s[40:41]
	s_and_b64 vcc, exec, s[38:39]
	s_cbranch_vccz .LBB147_100
.LBB147_285:                            ;   in Loop: Header=BB147_12 Depth=1
	s_cmp_eq_u64 s[24:25], 1
	s_cselect_b64 s[2:3], -1, 0
	s_and_b64 s[8:9], s[2:3], s[14:15]
	s_mov_b64 s[2:3], -1
                                        ; implicit-def: $sgpr14_sgpr15
                                        ; implicit-def: $sgpr38_sgpr39
                                        ; implicit-def: $sgpr20_sgpr21
	s_and_saveexec_b64 s[10:11], s[8:9]
	s_cbranch_execz .LBB147_317
; %bb.286:                              ;   in Loop: Header=BB147_12 Depth=1
	ds_read_b64 v[2:3], v15 offset:5120
	s_waitcnt lgkmcnt(0)
	s_barrier
	v_readfirstlane_b32 s2, v2
	v_readfirstlane_b32 s3, v3
	s_mov_b64 s[4:5], exec
	v_readlane_b32 s6, v46, 30
	v_readlane_b32 s7, v46, 31
	s_and_b64 s[6:7], s[4:5], s[6:7]
	s_mov_b64 exec, s[6:7]
	s_cbranch_execz .LBB147_288
; %bb.287:                              ;   in Loop: Header=BB147_12 Depth=1
	ds_write_b32 v32, v15
.LBB147_288:                            ;   in Loop: Header=BB147_12 Depth=1
	s_or_b64 exec, exec, s[4:5]
	v_or_b32_e32 v37, s84, v37
	v_or_b32_e32 v36, s84, v36
	s_cmp_eq_u64 s[2:3], 0
	s_waitcnt lgkmcnt(0)
	s_barrier
	s_cbranch_scc1 .LBB147_300
; %bb.289:                              ;   in Loop: Header=BB147_12 Depth=1
	v_readlane_b32 s4, v46, 34
	s_add_u32 s12, s4, s2
	v_readlane_b32 s4, v46, 36
	s_addc_u32 s5, s4, s3
	s_mov_b32 s4, s85
	s_cmp_lg_u64 s[4:5], 0
	s_cbranch_scc0 .LBB147_344
; %bb.290:                              ;   in Loop: Header=BB147_12 Depth=1
	v_cvt_f32_u32_e32 v2, s87
	s_sub_u32 s4, 0, s87
	s_subb_u32 s6, 0, 0
	v_mac_f32_e32 v2, 0, v35
	v_rcp_f32_e32 v2, v2
	v_mul_f32_e32 v2, 0x5f7ffffc, v2
	v_mul_f32_e32 v3, 0x2f800000, v2
	v_trunc_f32_e32 v3, v3
	v_mac_f32_e32 v2, 0xcf800000, v3
	v_cvt_u32_f32_e32 v3, v3
	v_cvt_u32_f32_e32 v2, v2
	v_readfirstlane_b32 s7, v3
	v_readfirstlane_b32 s13, v2
	s_mul_i32 s14, s4, s7
	s_mul_hi_u32 s20, s4, s13
	s_mul_i32 s15, s6, s13
	s_add_i32 s14, s20, s14
	s_mul_i32 s21, s4, s13
	s_add_i32 s14, s14, s15
	s_mul_hi_u32 s20, s13, s21
	s_mul_hi_u32 s15, s13, s14
	s_mul_i32 s13, s13, s14
	s_add_u32 s13, s20, s13
	s_addc_u32 s15, 0, s15
	s_mul_hi_u32 s34, s7, s21
	s_mul_i32 s21, s7, s21
	s_add_u32 s13, s13, s21
	s_mul_hi_u32 s20, s7, s14
	s_addc_u32 s13, s15, s34
	s_addc_u32 s15, s20, 0
	s_mul_i32 s14, s7, s14
	s_add_u32 s13, s13, s14
	s_addc_u32 s14, 0, s15
	v_add_co_u32_e32 v2, vcc, s13, v2
	s_cmp_lg_u64 vcc, 0
	s_addc_u32 s7, s7, s14
	v_readfirstlane_b32 s14, v2
	s_mul_i32 s13, s4, s7
	s_mul_hi_u32 s15, s4, s14
	s_add_i32 s13, s15, s13
	s_mul_i32 s6, s6, s14
	s_add_i32 s13, s13, s6
	s_mul_i32 s4, s4, s14
	s_mul_hi_u32 s15, s7, s4
	s_mul_i32 s20, s7, s4
	s_mul_i32 s34, s14, s13
	s_mul_hi_u32 s4, s14, s4
	s_mul_hi_u32 s21, s14, s13
	s_add_u32 s4, s4, s34
	s_addc_u32 s14, 0, s21
	s_add_u32 s4, s4, s20
	s_mul_hi_u32 s6, s7, s13
	s_addc_u32 s4, s14, s15
	s_addc_u32 s6, s6, 0
	s_mul_i32 s13, s7, s13
	s_add_u32 s4, s4, s13
	s_addc_u32 s6, 0, s6
	v_add_co_u32_e32 v2, vcc, s4, v2
	s_cmp_lg_u64 vcc, 0
	s_addc_u32 s4, s7, s6
	v_readfirstlane_b32 s13, v2
	s_mul_i32 s7, s12, s4
	s_mul_hi_u32 s14, s12, s13
	s_mul_hi_u32 s6, s12, s4
	s_add_u32 s7, s14, s7
	s_addc_u32 s6, 0, s6
	s_mul_hi_u32 s15, s5, s13
	s_mul_i32 s13, s5, s13
	s_add_u32 s7, s7, s13
	s_mul_hi_u32 s14, s5, s4
	s_addc_u32 s6, s6, s15
	s_addc_u32 s7, s14, 0
	s_mul_i32 s4, s5, s4
	s_add_u32 s4, s6, s4
	s_addc_u32 s6, 0, s7
	s_mul_hi_u32 s7, s87, s4
	s_mul_i32 s4, s87, s4
	s_mul_i32 s6, s87, s6
	v_mov_b32_e32 v2, s4
	s_add_i32 s7, s7, s6
	v_sub_co_u32_e32 v2, vcc, s12, v2
	s_cmp_lg_u64 vcc, 0
	s_subb_u32 s4, s5, s7
	v_subrev_co_u32_e32 v3, vcc, s87, v2
	s_cmp_lg_u64 vcc, 0
	s_subb_u32 s6, s4, 0
	v_subrev_co_u32_e32 v4, vcc, s87, v3
	s_cmp_lg_u64 vcc, 0
	s_subb_u32 s7, s6, 0
	v_cmp_le_u32_e32 vcc, s87, v3
	s_cmp_eq_u32 s6, 0
	v_cndmask_b32_e64 v5, 0, -1, vcc
	s_cselect_b64 vcc, -1, 0
	v_cndmask_b32_e32 v5, -1, v5, vcc
	v_mov_b32_e32 v6, s6
	v_mov_b32_e32 v7, s7
	v_cmp_ne_u32_e32 vcc, 0, v5
	v_cndmask_b32_e32 v5, v6, v7, vcc
	v_cndmask_b32_e32 v4, v3, v4, vcc
	v_cmp_le_u32_e32 vcc, s87, v2
	s_cmp_eq_u32 s4, 0
	v_cndmask_b32_e64 v3, 0, -1, vcc
	s_cselect_b64 vcc, -1, 0
	v_cndmask_b32_e32 v3, -1, v3, vcc
	v_mov_b32_e32 v6, s4
	v_cmp_ne_u32_e32 vcc, 0, v3
	v_cndmask_b32_e32 v3, v6, v5, vcc
	v_cndmask_b32_e32 v2, v2, v4, vcc
	s_cbranch_execnz .LBB147_292
.LBB147_291:                            ;   in Loop: Header=BB147_12 Depth=1
	v_cvt_f32_u32_e32 v2, s87
	s_sub_i32 s4, 0, s87
	v_rcp_iflag_f32_e32 v2, v2
	v_mul_f32_e32 v2, 0x4f7ffffe, v2
	v_cvt_u32_f32_e32 v2, v2
	v_mul_lo_u32 v3, s4, v2
	v_mul_hi_u32 v3, v2, v3
	v_add_u32_e32 v2, v2, v3
	v_mul_hi_u32 v2, s12, v2
	v_mul_lo_u32 v2, v2, s87
	v_sub_u32_e32 v2, s12, v2
	v_subrev_u32_e32 v3, s87, v2
	v_cmp_le_u32_e32 vcc, s87, v2
	v_cndmask_b32_e32 v2, v2, v3, vcc
	v_subrev_u32_e32 v3, s87, v2
	v_cmp_le_u32_e32 vcc, s87, v2
	v_cndmask_b32_e32 v14, v2, v3, vcc
	v_pk_mov_b32 v[2:3], v[14:15], v[14:15] op_sel:[0,1]
.LBB147_292:                            ;   in Loop: Header=BB147_12 Depth=1
	v_mov_b32_e32 v4, s5
	v_sub_co_u32_e32 v2, vcc, s12, v2
	v_subb_co_u32_e32 v3, vcc, v4, v3, vcc
	v_cmp_gt_u64_e32 vcc, v[2:3], v[0:1]
	s_mov_b64 s[4:5], 0
                                        ; implicit-def: $vgpr21
	s_and_saveexec_b64 s[6:7], vcc
	s_cbranch_execz .LBB147_302
; %bb.293:                              ;   in Loop: Header=BB147_12 Depth=1
	v_mov_b32_e32 v6, v16
	v_pk_mov_b32 v[4:5], v[0:1], v[0:1] op_sel:[0,1]
                                        ; implicit-def: $sgpr12_sgpr13
	s_branch .LBB147_295
.LBB147_294:                            ;   in Loop: Header=BB147_295 Depth=2
	s_or_b64 exec, exec, s[14:15]
	s_waitcnt lgkmcnt(0)
	s_barrier
	ds_read_b64 v[20:21], v15 offset:3072
	v_mov_b32_e32 v7, s88
	v_add_co_u32_e32 v4, vcc, s87, v4
	v_addc_co_u32_e32 v5, vcc, v5, v7, vcc
	s_waitcnt lgkmcnt(0)
	v_readfirstlane_b32 s14, v20
	s_cmp_lg_u32 s14, 0
	s_cselect_b64 s[14:15], -1, 0
	v_cmp_ge_u64_e32 vcc, v[4:5], v[2:3]
	s_or_b64 s[20:21], vcc, s[14:15]
	s_and_b64 s[20:21], exec, s[20:21]
	s_or_b64 s[4:5], s[20:21], s[4:5]
	s_andn2_b64 s[12:13], s[12:13], exec
	s_and_b64 s[14:15], s[14:15], exec
	v_add_u32_e32 v6, s95, v6
	s_or_b64 s[12:13], s[12:13], s[14:15]
	s_barrier
	s_andn2_b64 exec, exec, s[4:5]
	s_cbranch_execz .LBB147_301
.LBB147_295:                            ;   Parent Loop BB147_12 Depth=1
                                        ; =>  This Inner Loop Header: Depth=2
	v_cmp_gt_u64_e32 vcc, s[2:3], v[4:5]
	s_waitcnt vmcnt(0)
	v_mov_b32_e32 v19, 0
	s_and_saveexec_b64 s[14:15], vcc
	s_cbranch_execz .LBB147_297
; %bb.296:                              ;   in Loop: Header=BB147_295 Depth=2
	ds_read_b32 v19, v6
.LBB147_297:                            ;   in Loop: Header=BB147_295 Depth=2
	s_or_b64 exec, exec, s[14:15]
	s_and_saveexec_b64 s[14:15], vcc
	s_cbranch_execz .LBB147_294
; %bb.298:                              ;   in Loop: Header=BB147_295 Depth=2
	s_waitcnt lgkmcnt(0)
	v_xor_b32_e32 v7, 0x80000000, v19
	v_and_b32_e32 v7, v7, v36
	v_cmp_eq_u32_e32 vcc, v7, v37
	s_and_b64 exec, exec, vcc
	s_cbranch_execz .LBB147_294
; %bb.299:                              ;   in Loop: Header=BB147_295 Depth=2
	ds_write_b64 v15, v[18:19] offset:3072
	s_branch .LBB147_294
.LBB147_300:                            ;   in Loop: Header=BB147_12 Depth=1
	s_mov_b64 s[14:15], -1
	s_mov_b64 s[4:5], 0
                                        ; implicit-def: $sgpr38_sgpr39
                                        ; implicit-def: $vgpr21
	s_mov_b64 s[20:21], s[14:15]
	s_cbranch_execnz .LBB147_303
	s_branch .LBB147_316
.LBB147_301:                            ;   in Loop: Header=BB147_12 Depth=1
	s_or_b64 exec, exec, s[4:5]
	s_and_b64 s[4:5], s[12:13], exec
.LBB147_302:                            ;   in Loop: Header=BB147_12 Depth=1
	s_or_b64 exec, exec, s[6:7]
	s_mov_b64 s[14:15], 0
	s_mov_b64 s[38:39], -1
	s_mov_b64 s[20:21], s[14:15]
	s_branch .LBB147_316
.LBB147_303:                            ;   in Loop: Header=BB147_12 Depth=1
	s_mov_b32 s92, s85
	s_cmp_lg_u64 s[92:93], 0
	s_cbranch_scc0 .LBB147_345
; %bb.304:                              ;   in Loop: Header=BB147_12 Depth=1
	v_cvt_f32_u32_e32 v2, s87
	s_sub_u32 s2, 0, s87
	s_subb_u32 s3, 0, 0
	v_mac_f32_e32 v2, 0, v35
	v_rcp_f32_e32 v2, v2
	v_mul_f32_e32 v2, 0x5f7ffffc, v2
	v_mul_f32_e32 v3, 0x2f800000, v2
	v_trunc_f32_e32 v3, v3
	v_mac_f32_e32 v2, 0xcf800000, v3
	v_cvt_u32_f32_e32 v3, v3
	v_cvt_u32_f32_e32 v2, v2
	v_readfirstlane_b32 s4, v3
	v_readfirstlane_b32 s5, v2
	s_mul_i32 s6, s2, s4
	s_mul_hi_u32 s12, s2, s5
	s_mul_i32 s7, s3, s5
	s_add_i32 s6, s12, s6
	s_mul_i32 s13, s2, s5
	s_add_i32 s6, s6, s7
	s_mul_hi_u32 s12, s5, s13
	s_mul_hi_u32 s7, s5, s6
	s_mul_i32 s5, s5, s6
	s_add_u32 s5, s12, s5
	s_addc_u32 s7, 0, s7
	s_mul_hi_u32 s14, s4, s13
	s_mul_i32 s13, s4, s13
	s_add_u32 s5, s5, s13
	s_mul_hi_u32 s12, s4, s6
	s_addc_u32 s5, s7, s14
	s_addc_u32 s7, s12, 0
	s_mul_i32 s6, s4, s6
	s_add_u32 s5, s5, s6
	s_addc_u32 s6, 0, s7
	v_add_co_u32_e32 v2, vcc, s5, v2
	s_cmp_lg_u64 vcc, 0
	s_addc_u32 s4, s4, s6
	v_readfirstlane_b32 s6, v2
	s_mul_i32 s5, s2, s4
	s_mul_hi_u32 s7, s2, s6
	s_add_i32 s5, s7, s5
	s_mul_i32 s3, s3, s6
	s_add_i32 s5, s5, s3
	s_mul_i32 s2, s2, s6
	s_mul_hi_u32 s7, s4, s2
	s_mul_i32 s12, s4, s2
	s_mul_i32 s14, s6, s5
	s_mul_hi_u32 s2, s6, s2
	s_mul_hi_u32 s13, s6, s5
	s_add_u32 s2, s2, s14
	s_addc_u32 s6, 0, s13
	s_add_u32 s2, s2, s12
	s_mul_hi_u32 s3, s4, s5
	s_addc_u32 s2, s6, s7
	s_addc_u32 s3, s3, 0
	s_mul_i32 s5, s4, s5
	s_add_u32 s2, s2, s5
	s_addc_u32 s3, 0, s3
	v_add_co_u32_e32 v2, vcc, s2, v2
	s_cmp_lg_u64 vcc, 0
	s_addc_u32 s2, s4, s3
	v_readlane_b32 s12, v46, 35
	v_readfirstlane_b32 s5, v2
	s_mul_i32 s4, s12, s2
	s_mul_hi_u32 s6, s12, s5
	s_mul_hi_u32 s3, s12, s2
	s_add_u32 s4, s6, s4
	s_addc_u32 s3, 0, s3
	s_mul_hi_u32 s7, s93, s5
	s_mul_i32 s5, s93, s5
	s_add_u32 s4, s4, s5
	s_mul_hi_u32 s6, s93, s2
	s_addc_u32 s3, s3, s7
	s_addc_u32 s4, s6, 0
	s_mul_i32 s2, s93, s2
	s_add_u32 s2, s3, s2
	s_addc_u32 s3, 0, s4
	s_mul_hi_u32 s4, s87, s2
	s_mul_i32 s2, s87, s2
	s_mul_i32 s3, s87, s3
	v_mov_b32_e32 v2, s2
	s_add_i32 s4, s4, s3
	v_sub_co_u32_e32 v2, vcc, s12, v2
	s_cmp_lg_u64 vcc, 0
	s_subb_u32 s2, s93, s4
	v_subrev_co_u32_e32 v3, vcc, s87, v2
	s_cmp_lg_u64 vcc, 0
	s_subb_u32 s3, s2, 0
	v_subrev_co_u32_e32 v4, vcc, s87, v3
	s_cmp_lg_u64 vcc, 0
	s_subb_u32 s4, s3, 0
	v_cmp_le_u32_e32 vcc, s87, v3
	s_cmp_eq_u32 s3, 0
	v_cndmask_b32_e64 v5, 0, -1, vcc
	s_cselect_b64 vcc, -1, 0
	v_cndmask_b32_e32 v5, -1, v5, vcc
	v_mov_b32_e32 v6, s3
	v_mov_b32_e32 v7, s4
	v_cmp_ne_u32_e32 vcc, 0, v5
	v_cndmask_b32_e32 v5, v6, v7, vcc
	v_cndmask_b32_e32 v4, v3, v4, vcc
	v_cmp_le_u32_e32 vcc, s87, v2
	s_cmp_eq_u32 s2, 0
	v_cndmask_b32_e64 v3, 0, -1, vcc
	s_cselect_b64 vcc, -1, 0
	v_cndmask_b32_e32 v3, -1, v3, vcc
	v_mov_b32_e32 v6, s2
	v_cmp_ne_u32_e32 vcc, 0, v3
	v_cndmask_b32_e32 v3, v6, v5, vcc
	v_cndmask_b32_e32 v2, v2, v4, vcc
	s_cbranch_execnz .LBB147_306
.LBB147_305:                            ;   in Loop: Header=BB147_12 Depth=1
	v_cvt_f32_u32_e32 v2, s87
	s_sub_i32 s2, 0, s87
	v_rcp_iflag_f32_e32 v2, v2
	v_mul_f32_e32 v2, 0x4f7ffffe, v2
	v_cvt_u32_f32_e32 v2, v2
	v_mul_lo_u32 v3, s2, v2
	v_mul_hi_u32 v3, v2, v3
	v_add_u32_e32 v2, v2, v3
	v_readlane_b32 s2, v46, 35
	v_mul_hi_u32 v2, s2, v2
	v_mul_lo_u32 v2, v2, s87
	v_sub_u32_e32 v2, s2, v2
	v_subrev_u32_e32 v3, s87, v2
	v_cmp_le_u32_e32 vcc, s87, v2
	v_cndmask_b32_e32 v2, v2, v3, vcc
	v_subrev_u32_e32 v3, s87, v2
	v_cmp_le_u32_e32 vcc, s87, v2
	v_cndmask_b32_e32 v14, v2, v3, vcc
	v_pk_mov_b32 v[2:3], v[14:15], v[14:15] op_sel:[0,1]
.LBB147_306:                            ;   in Loop: Header=BB147_12 Depth=1
	v_readlane_b32 s2, v46, 35
	v_mov_b32_e32 v4, s93
	v_sub_co_u32_e32 v2, vcc, s2, v2
	v_subb_co_u32_e32 v3, vcc, v4, v3, vcc
	v_cmp_gt_u64_e32 vcc, v[2:3], v[0:1]
	s_mov_b64 s[4:5], 0
                                        ; implicit-def: $vgpr21
	s_and_saveexec_b64 s[2:3], vcc
	s_cbranch_execz .LBB147_315
; %bb.307:                              ;   in Loop: Header=BB147_12 Depth=1
	v_pk_mov_b32 v[4:5], v[0:1], v[0:1] op_sel:[0,1]
                                        ; implicit-def: $sgpr12_sgpr13
	s_branch .LBB147_309
.LBB147_308:                            ;   in Loop: Header=BB147_309 Depth=2
	s_or_b64 exec, exec, s[6:7]
	s_waitcnt lgkmcnt(0)
	s_barrier
	ds_read_b64 v[20:21], v15 offset:3072
	v_mov_b32_e32 v6, s88
	v_add_co_u32_e32 v4, vcc, s87, v4
	v_addc_co_u32_e32 v5, vcc, v5, v6, vcc
	s_waitcnt lgkmcnt(0)
	v_readfirstlane_b32 s6, v20
	s_cmp_lg_u32 s6, 0
	s_cselect_b64 s[6:7], -1, 0
	v_cmp_ge_u64_e32 vcc, v[4:5], v[2:3]
	s_or_b64 s[14:15], vcc, s[6:7]
	s_and_b64 s[14:15], exec, s[14:15]
	s_or_b64 s[4:5], s[14:15], s[4:5]
	s_andn2_b64 s[12:13], s[12:13], exec
	s_and_b64 s[6:7], s[6:7], exec
	s_or_b64 s[12:13], s[12:13], s[6:7]
	s_barrier
	s_andn2_b64 exec, exec, s[4:5]
	s_cbranch_execz .LBB147_314
.LBB147_309:                            ;   Parent Loop BB147_12 Depth=1
                                        ; =>  This Inner Loop Header: Depth=2
	v_cmp_gt_u64_e32 vcc, s[60:61], v[4:5]
	s_waitcnt vmcnt(0)
	v_mov_b32_e32 v19, 0
	s_and_saveexec_b64 s[14:15], vcc
	s_cbranch_execz .LBB147_311
; %bb.310:                              ;   in Loop: Header=BB147_309 Depth=2
	v_mul_lo_u32 v8, v5, s58
	v_mul_lo_u32 v9, v4, s59
	v_mad_u64_u32 v[6:7], s[6:7], v4, s58, 0
	v_add3_u32 v7, v7, v9, v8
	v_lshlrev_b64 v[6:7], 2, v[6:7]
	v_mov_b32_e32 v8, s86
	v_add_co_u32_e64 v6, s[6:7], s33, v6
	v_addc_co_u32_e64 v7, s[6:7], v8, v7, s[6:7]
	global_load_dword v19, v[6:7], off
.LBB147_311:                            ;   in Loop: Header=BB147_309 Depth=2
	s_or_b64 exec, exec, s[14:15]
	s_and_saveexec_b64 s[6:7], vcc
	s_cbranch_execz .LBB147_308
; %bb.312:                              ;   in Loop: Header=BB147_309 Depth=2
	s_waitcnt vmcnt(0)
	v_xor_b32_e32 v6, 0x80000000, v19
	v_and_b32_e32 v6, v6, v36
	v_cmp_eq_u32_e32 vcc, v6, v37
	s_and_b64 exec, exec, vcc
	s_cbranch_execz .LBB147_308
; %bb.313:                              ;   in Loop: Header=BB147_309 Depth=2
	ds_write_b64 v15, v[18:19] offset:3072
	s_branch .LBB147_308
.LBB147_314:                            ;   in Loop: Header=BB147_12 Depth=1
	s_or_b64 exec, exec, s[4:5]
	s_and_b64 s[4:5], s[12:13], exec
.LBB147_315:                            ;   in Loop: Header=BB147_12 Depth=1
	s_or_b64 exec, exec, s[2:3]
	s_mov_b64 s[38:39], 0
	s_mov_b64 s[14:15], -1
	s_mov_b64 s[20:21], 0
.LBB147_316:                            ;   in Loop: Header=BB147_12 Depth=1
	s_orn2_b64 s[2:3], s[4:5], exec
.LBB147_317:                            ;   in Loop: Header=BB147_12 Depth=1
	s_or_b64 exec, exec, s[10:11]
                                        ; implicit-def: $vgpr8
                                        ; implicit-def: $vgpr4_vgpr5
                                        ; implicit-def: $vgpr20
                                        ; implicit-def: $vgpr24
                                        ; implicit-def: $vgpr3
	s_and_saveexec_b64 s[34:35], s[2:3]
	s_cbranch_execz .LBB147_480
; %bb.318:                              ;   in Loop: Header=BB147_12 Depth=1
	v_mov_b32_e32 v4, 1
	s_xor_b64 s[4:5], s[8:9], -1
	s_mov_b64 s[6:7], 0
	v_mov_b32_e32 v5, 0
	v_mov_b32_e32 v8, 1
	s_and_saveexec_b64 s[2:3], s[4:5]
	s_cbranch_execz .LBB147_328
; %bb.319:                              ;   in Loop: Header=BB147_12 Depth=1
	v_cmp_ge_u64_e32 vcc, s[24:25], v[22:23]
                                        ; implicit-def: $sgpr8
                                        ; implicit-def: $sgpr4_sgpr5
	s_and_saveexec_b64 s[6:7], vcc
	s_xor_b64 s[6:7], exec, s[6:7]
	s_cbranch_execz .LBB147_325
; %bb.320:                              ;   in Loop: Header=BB147_12 Depth=1
	ds_read_b64 v[2:3], v15 offset:5120
	s_waitcnt lgkmcnt(0)
	v_cmp_ne_u64_e32 vcc, 0, v[2:3]
	s_cbranch_vccnz .LBB147_324
; %bb.321:                              ;   in Loop: Header=BB147_12 Depth=1
	s_mov_b64 s[4:5], exec
	v_readlane_b32 s8, v46, 12
	v_readlane_b32 s9, v46, 13
	s_and_b64 s[8:9], s[4:5], s[8:9]
	s_mov_b64 exec, s[8:9]
	s_cbranch_execz .LBB147_323
; %bb.322:                              ;   in Loop: Header=BB147_12 Depth=1
	v_pk_mov_b32 v[2:3], s[24:25], s[24:25] op_sel:[0,1]
	ds_write_b64 v15, v[2:3] offset:5128
.LBB147_323:                            ;   in Loop: Header=BB147_12 Depth=1
	s_or_b64 exec, exec, s[4:5]
	s_waitcnt lgkmcnt(0)
	s_barrier
.LBB147_324:                            ;   in Loop: Header=BB147_12 Depth=1
	v_or_b32_e32 v37, s84, v37
	v_or_b32_e32 v36, s84, v36
	s_mov_b64 s[4:5], 0
	s_mov_b32 s8, 5
.LBB147_325:                            ;   in Loop: Header=BB147_12 Depth=1
	s_or_saveexec_b64 s[6:7], s[6:7]
	v_mov_b32_e32 v8, s8
	s_xor_b64 exec, exec, s[6:7]
; %bb.326:                              ;   in Loop: Header=BB147_12 Depth=1
	v_mov_b32_e32 v2, s25
	v_subrev_co_u32_e32 v22, vcc, s24, v22
	v_subb_co_u32_e32 v23, vcc, v23, v2, vcc
	v_mov_b32_e32 v8, 0
	s_or_b64 s[4:5], s[4:5], exec
; %bb.327:                              ;   in Loop: Header=BB147_12 Depth=1
	s_or_b64 exec, exec, s[6:7]
	s_and_b64 s[6:7], s[4:5], exec
	v_pk_mov_b32 v[4:5], v[22:23], v[22:23] op_sel:[0,1]
.LBB147_328:                            ;   in Loop: Header=BB147_12 Depth=1
	s_or_b64 exec, exec, s[2:3]
	s_mov_b64 s[12:13], -1
                                        ; implicit-def: $sgpr2_sgpr3
                                        ; implicit-def: $sgpr4_sgpr5
                                        ; implicit-def: $sgpr8_sgpr9
	s_and_saveexec_b64 s[10:11], s[6:7]
	s_xor_b64 s[24:25], exec, s[10:11]
	s_cbranch_execz .LBB147_477
; %bb.329:                              ;   in Loop: Header=BB147_12 Depth=1
	s_cmp_eq_u64 s[22:23], 1
	s_cselect_b64 s[2:3], -1, 0
	v_cmp_eq_u64_e32 vcc, 1, v[4:5]
	s_and_b64 s[8:9], s[2:3], vcc
	s_mov_b64 s[2:3], -1
                                        ; implicit-def: $sgpr36_sgpr37
                                        ; implicit-def: $sgpr40_sgpr41
                                        ; implicit-def: $sgpr42_sgpr43
	s_and_saveexec_b64 s[10:11], s[8:9]
	s_cbranch_execz .LBB147_363
; %bb.330:                              ;   in Loop: Header=BB147_12 Depth=1
	ds_read_b64 v[2:3], v15 offset:5120
	s_waitcnt lgkmcnt(0)
	s_barrier
	v_readfirstlane_b32 s2, v2
	v_readfirstlane_b32 s3, v3
	s_mov_b64 s[4:5], exec
	v_readlane_b32 s6, v46, 30
	v_readlane_b32 s7, v46, 31
	s_and_b64 s[6:7], s[4:5], s[6:7]
	s_mov_b64 exec, s[6:7]
	s_cbranch_execz .LBB147_332
; %bb.331:                              ;   in Loop: Header=BB147_12 Depth=1
	ds_write_b32 v32, v15
.LBB147_332:                            ;   in Loop: Header=BB147_12 Depth=1
	s_or_b64 exec, exec, s[4:5]
	v_and_b32_e32 v2, s48, v37
	v_lshl_or_b32 v37, 2, s49, v2
	v_or_b32_e32 v36, s84, v36
	s_cmp_eq_u64 s[2:3], 0
	s_waitcnt lgkmcnt(0)
	s_barrier
	s_cbranch_scc1 .LBB147_346
; %bb.333:                              ;   in Loop: Header=BB147_12 Depth=1
	v_readlane_b32 s4, v46, 34
	s_add_u32 s12, s4, s2
	v_readlane_b32 s4, v46, 36
	s_addc_u32 s5, s4, s3
	s_mov_b32 s4, s85
	s_cmp_lg_u64 s[4:5], 0
	s_cbranch_scc0 .LBB147_390
; %bb.334:                              ;   in Loop: Header=BB147_12 Depth=1
	v_cvt_f32_u32_e32 v2, s87
	s_sub_u32 s4, 0, s87
	s_subb_u32 s6, 0, 0
	v_mac_f32_e32 v2, 0, v35
	v_rcp_f32_e32 v2, v2
	v_mul_f32_e32 v2, 0x5f7ffffc, v2
	v_mul_f32_e32 v3, 0x2f800000, v2
	v_trunc_f32_e32 v3, v3
	v_mac_f32_e32 v2, 0xcf800000, v3
	v_cvt_u32_f32_e32 v3, v3
	v_cvt_u32_f32_e32 v2, v2
	v_readfirstlane_b32 s7, v3
	v_readfirstlane_b32 s13, v2
	s_mul_i32 s36, s4, s7
	s_mul_hi_u32 s40, s4, s13
	s_mul_i32 s37, s6, s13
	s_add_i32 s36, s40, s36
	s_mul_i32 s41, s4, s13
	s_add_i32 s36, s36, s37
	s_mul_hi_u32 s40, s13, s41
	s_mul_hi_u32 s37, s13, s36
	s_mul_i32 s13, s13, s36
	s_add_u32 s13, s40, s13
	s_addc_u32 s37, 0, s37
	s_mul_hi_u32 s42, s7, s41
	s_mul_i32 s41, s7, s41
	s_add_u32 s13, s13, s41
	s_mul_hi_u32 s40, s7, s36
	s_addc_u32 s13, s37, s42
	s_addc_u32 s37, s40, 0
	s_mul_i32 s36, s7, s36
	s_add_u32 s13, s13, s36
	s_addc_u32 s36, 0, s37
	v_add_co_u32_e32 v2, vcc, s13, v2
	s_cmp_lg_u64 vcc, 0
	s_addc_u32 s7, s7, s36
	v_readfirstlane_b32 s36, v2
	s_mul_i32 s13, s4, s7
	s_mul_hi_u32 s37, s4, s36
	s_add_i32 s13, s37, s13
	s_mul_i32 s6, s6, s36
	s_add_i32 s13, s13, s6
	s_mul_i32 s4, s4, s36
	s_mul_hi_u32 s37, s7, s4
	s_mul_i32 s40, s7, s4
	s_mul_i32 s42, s36, s13
	s_mul_hi_u32 s4, s36, s4
	s_mul_hi_u32 s41, s36, s13
	s_add_u32 s4, s4, s42
	s_addc_u32 s36, 0, s41
	s_add_u32 s4, s4, s40
	s_mul_hi_u32 s6, s7, s13
	s_addc_u32 s4, s36, s37
	s_addc_u32 s6, s6, 0
	s_mul_i32 s13, s7, s13
	s_add_u32 s4, s4, s13
	s_addc_u32 s6, 0, s6
	v_add_co_u32_e32 v2, vcc, s4, v2
	s_cmp_lg_u64 vcc, 0
	s_addc_u32 s4, s7, s6
	v_readfirstlane_b32 s13, v2
	s_mul_i32 s7, s12, s4
	s_mul_hi_u32 s36, s12, s13
	s_mul_hi_u32 s6, s12, s4
	s_add_u32 s7, s36, s7
	s_addc_u32 s6, 0, s6
	s_mul_hi_u32 s37, s5, s13
	s_mul_i32 s13, s5, s13
	s_add_u32 s7, s7, s13
	s_mul_hi_u32 s36, s5, s4
	s_addc_u32 s6, s6, s37
	s_addc_u32 s7, s36, 0
	s_mul_i32 s4, s5, s4
	s_add_u32 s4, s6, s4
	s_addc_u32 s6, 0, s7
	s_mul_hi_u32 s7, s87, s4
	s_mul_i32 s4, s87, s4
	s_mul_i32 s6, s87, s6
	v_mov_b32_e32 v2, s4
	s_add_i32 s7, s7, s6
	v_sub_co_u32_e32 v2, vcc, s12, v2
	s_cmp_lg_u64 vcc, 0
	s_subb_u32 s4, s5, s7
	v_subrev_co_u32_e32 v3, vcc, s87, v2
	s_cmp_lg_u64 vcc, 0
	s_subb_u32 s6, s4, 0
	v_subrev_co_u32_e32 v6, vcc, s87, v3
	s_cmp_lg_u64 vcc, 0
	s_subb_u32 s7, s6, 0
	v_cmp_le_u32_e32 vcc, s87, v3
	s_cmp_eq_u32 s6, 0
	v_cndmask_b32_e64 v7, 0, -1, vcc
	s_cselect_b64 vcc, -1, 0
	v_cndmask_b32_e32 v7, -1, v7, vcc
	v_mov_b32_e32 v8, s6
	v_mov_b32_e32 v9, s7
	v_cmp_ne_u32_e32 vcc, 0, v7
	v_cndmask_b32_e32 v7, v8, v9, vcc
	v_cndmask_b32_e32 v6, v3, v6, vcc
	v_cmp_le_u32_e32 vcc, s87, v2
	s_cmp_eq_u32 s4, 0
	v_cndmask_b32_e64 v3, 0, -1, vcc
	s_cselect_b64 vcc, -1, 0
	v_cndmask_b32_e32 v3, -1, v3, vcc
	v_mov_b32_e32 v8, s4
	v_cmp_ne_u32_e32 vcc, 0, v3
	v_cndmask_b32_e32 v3, v8, v7, vcc
	v_cndmask_b32_e32 v2, v2, v6, vcc
	s_cbranch_execnz .LBB147_336
.LBB147_335:                            ;   in Loop: Header=BB147_12 Depth=1
	v_cvt_f32_u32_e32 v2, s87
	s_sub_i32 s4, 0, s87
	v_rcp_iflag_f32_e32 v2, v2
	v_mul_f32_e32 v2, 0x4f7ffffe, v2
	v_cvt_u32_f32_e32 v2, v2
	v_mul_lo_u32 v3, s4, v2
	v_mul_hi_u32 v3, v2, v3
	v_add_u32_e32 v2, v2, v3
	v_mul_hi_u32 v2, s12, v2
	v_mul_lo_u32 v2, v2, s87
	v_sub_u32_e32 v2, s12, v2
	v_subrev_u32_e32 v3, s87, v2
	v_cmp_le_u32_e32 vcc, s87, v2
	v_cndmask_b32_e32 v2, v2, v3, vcc
	v_subrev_u32_e32 v3, s87, v2
	v_cmp_le_u32_e32 vcc, s87, v2
	v_cndmask_b32_e32 v14, v2, v3, vcc
	v_pk_mov_b32 v[2:3], v[14:15], v[14:15] op_sel:[0,1]
.LBB147_336:                            ;   in Loop: Header=BB147_12 Depth=1
	v_mov_b32_e32 v6, s5
	v_sub_co_u32_e32 v2, vcc, s12, v2
	v_subb_co_u32_e32 v3, vcc, v6, v3, vcc
	v_cmp_gt_u64_e32 vcc, v[2:3], v[0:1]
	s_mov_b64 s[4:5], 0
                                        ; implicit-def: $vgpr21
	s_and_saveexec_b64 s[6:7], vcc
	s_cbranch_execz .LBB147_348
; %bb.337:                              ;   in Loop: Header=BB147_12 Depth=1
	v_mov_b32_e32 v8, v16
	v_pk_mov_b32 v[6:7], v[0:1], v[0:1] op_sel:[0,1]
                                        ; implicit-def: $sgpr12_sgpr13
	s_branch .LBB147_339
.LBB147_338:                            ;   in Loop: Header=BB147_339 Depth=2
	s_or_b64 exec, exec, s[36:37]
	s_waitcnt lgkmcnt(0)
	s_barrier
	ds_read_b64 v[20:21], v15 offset:3072
	v_mov_b32_e32 v9, s88
	v_add_co_u32_e32 v6, vcc, s87, v6
	v_addc_co_u32_e32 v7, vcc, v7, v9, vcc
	s_waitcnt lgkmcnt(0)
	v_readfirstlane_b32 s36, v20
	s_cmp_lg_u32 s36, 0
	s_cselect_b64 s[36:37], -1, 0
	v_cmp_ge_u64_e32 vcc, v[6:7], v[2:3]
	s_or_b64 s[40:41], vcc, s[36:37]
	s_and_b64 s[40:41], exec, s[40:41]
	s_or_b64 s[4:5], s[40:41], s[4:5]
	s_andn2_b64 s[12:13], s[12:13], exec
	s_and_b64 s[36:37], s[36:37], exec
	v_add_u32_e32 v8, s95, v8
	s_or_b64 s[12:13], s[12:13], s[36:37]
	s_barrier
	s_andn2_b64 exec, exec, s[4:5]
	s_cbranch_execz .LBB147_347
.LBB147_339:                            ;   Parent Loop BB147_12 Depth=1
                                        ; =>  This Inner Loop Header: Depth=2
	v_cmp_gt_u64_e32 vcc, s[2:3], v[6:7]
	s_waitcnt vmcnt(0)
	v_mov_b32_e32 v19, 0
	s_and_saveexec_b64 s[36:37], vcc
	s_cbranch_execz .LBB147_341
; %bb.340:                              ;   in Loop: Header=BB147_339 Depth=2
	ds_read_b32 v19, v8
.LBB147_341:                            ;   in Loop: Header=BB147_339 Depth=2
	s_or_b64 exec, exec, s[36:37]
	s_and_saveexec_b64 s[36:37], vcc
	s_cbranch_execz .LBB147_338
; %bb.342:                              ;   in Loop: Header=BB147_339 Depth=2
	s_waitcnt lgkmcnt(0)
	v_xor_b32_e32 v9, 0x80000000, v19
	v_and_b32_e32 v9, v9, v36
	v_cmp_eq_u32_e32 vcc, v9, v37
	s_and_b64 exec, exec, vcc
	s_cbranch_execz .LBB147_338
; %bb.343:                              ;   in Loop: Header=BB147_339 Depth=2
	ds_write_b64 v15, v[18:19] offset:3072
	s_branch .LBB147_338
.LBB147_344:                            ;   in Loop: Header=BB147_12 Depth=1
                                        ; implicit-def: $vgpr2_vgpr3
	s_branch .LBB147_291
.LBB147_345:                            ;   in Loop: Header=BB147_12 Depth=1
                                        ; implicit-def: $vgpr2_vgpr3
	s_branch .LBB147_305
.LBB147_346:                            ;   in Loop: Header=BB147_12 Depth=1
	s_mov_b64 s[36:37], -1
	s_mov_b64 s[4:5], 0
                                        ; implicit-def: $sgpr40_sgpr41
                                        ; implicit-def: $vgpr21
	s_mov_b64 s[42:43], s[36:37]
	s_cbranch_execnz .LBB147_349
	s_branch .LBB147_362
.LBB147_347:                            ;   in Loop: Header=BB147_12 Depth=1
	s_or_b64 exec, exec, s[4:5]
	s_and_b64 s[4:5], s[12:13], exec
.LBB147_348:                            ;   in Loop: Header=BB147_12 Depth=1
	s_or_b64 exec, exec, s[6:7]
	s_mov_b64 s[36:37], 0
	s_mov_b64 s[40:41], -1
	s_mov_b64 s[42:43], s[36:37]
	s_branch .LBB147_362
.LBB147_349:                            ;   in Loop: Header=BB147_12 Depth=1
	s_mov_b32 s92, s85
	s_cmp_lg_u64 s[92:93], 0
	s_cbranch_scc0 .LBB147_391
; %bb.350:                              ;   in Loop: Header=BB147_12 Depth=1
	v_cvt_f32_u32_e32 v2, s87
	s_sub_u32 s2, 0, s87
	s_subb_u32 s3, 0, 0
	v_mac_f32_e32 v2, 0, v35
	v_rcp_f32_e32 v2, v2
	v_mul_f32_e32 v2, 0x5f7ffffc, v2
	v_mul_f32_e32 v3, 0x2f800000, v2
	v_trunc_f32_e32 v3, v3
	v_mac_f32_e32 v2, 0xcf800000, v3
	v_cvt_u32_f32_e32 v3, v3
	v_cvt_u32_f32_e32 v2, v2
	v_readfirstlane_b32 s4, v3
	v_readfirstlane_b32 s5, v2
	s_mul_i32 s6, s2, s4
	s_mul_hi_u32 s12, s2, s5
	s_mul_i32 s7, s3, s5
	s_add_i32 s6, s12, s6
	s_mul_i32 s13, s2, s5
	s_add_i32 s6, s6, s7
	s_mul_hi_u32 s12, s5, s13
	s_mul_hi_u32 s7, s5, s6
	s_mul_i32 s5, s5, s6
	s_add_u32 s5, s12, s5
	s_addc_u32 s7, 0, s7
	s_mul_hi_u32 s36, s4, s13
	s_mul_i32 s13, s4, s13
	s_add_u32 s5, s5, s13
	s_mul_hi_u32 s12, s4, s6
	s_addc_u32 s5, s7, s36
	s_addc_u32 s7, s12, 0
	s_mul_i32 s6, s4, s6
	s_add_u32 s5, s5, s6
	s_addc_u32 s6, 0, s7
	v_add_co_u32_e32 v2, vcc, s5, v2
	s_cmp_lg_u64 vcc, 0
	s_addc_u32 s4, s4, s6
	v_readfirstlane_b32 s6, v2
	s_mul_i32 s5, s2, s4
	s_mul_hi_u32 s7, s2, s6
	s_add_i32 s5, s7, s5
	s_mul_i32 s3, s3, s6
	s_add_i32 s5, s5, s3
	s_mul_i32 s2, s2, s6
	s_mul_hi_u32 s7, s4, s2
	s_mul_i32 s12, s4, s2
	s_mul_i32 s36, s6, s5
	s_mul_hi_u32 s2, s6, s2
	s_mul_hi_u32 s13, s6, s5
	s_add_u32 s2, s2, s36
	s_addc_u32 s6, 0, s13
	s_add_u32 s2, s2, s12
	s_mul_hi_u32 s3, s4, s5
	s_addc_u32 s2, s6, s7
	s_addc_u32 s3, s3, 0
	s_mul_i32 s5, s4, s5
	s_add_u32 s2, s2, s5
	s_addc_u32 s3, 0, s3
	v_add_co_u32_e32 v2, vcc, s2, v2
	s_cmp_lg_u64 vcc, 0
	s_addc_u32 s2, s4, s3
	v_readlane_b32 s12, v46, 35
	v_readfirstlane_b32 s5, v2
	s_mul_i32 s4, s12, s2
	s_mul_hi_u32 s6, s12, s5
	s_mul_hi_u32 s3, s12, s2
	s_add_u32 s4, s6, s4
	s_addc_u32 s3, 0, s3
	s_mul_hi_u32 s7, s93, s5
	s_mul_i32 s5, s93, s5
	s_add_u32 s4, s4, s5
	s_mul_hi_u32 s6, s93, s2
	s_addc_u32 s3, s3, s7
	s_addc_u32 s4, s6, 0
	s_mul_i32 s2, s93, s2
	s_add_u32 s2, s3, s2
	s_addc_u32 s3, 0, s4
	s_mul_hi_u32 s4, s87, s2
	s_mul_i32 s2, s87, s2
	s_mul_i32 s3, s87, s3
	v_mov_b32_e32 v2, s2
	s_add_i32 s4, s4, s3
	v_sub_co_u32_e32 v2, vcc, s12, v2
	s_cmp_lg_u64 vcc, 0
	s_subb_u32 s2, s93, s4
	v_subrev_co_u32_e32 v3, vcc, s87, v2
	s_cmp_lg_u64 vcc, 0
	s_subb_u32 s3, s2, 0
	v_subrev_co_u32_e32 v6, vcc, s87, v3
	s_cmp_lg_u64 vcc, 0
	s_subb_u32 s4, s3, 0
	v_cmp_le_u32_e32 vcc, s87, v3
	s_cmp_eq_u32 s3, 0
	v_cndmask_b32_e64 v7, 0, -1, vcc
	s_cselect_b64 vcc, -1, 0
	v_cndmask_b32_e32 v7, -1, v7, vcc
	v_mov_b32_e32 v8, s3
	v_mov_b32_e32 v9, s4
	v_cmp_ne_u32_e32 vcc, 0, v7
	v_cndmask_b32_e32 v7, v8, v9, vcc
	v_cndmask_b32_e32 v6, v3, v6, vcc
	v_cmp_le_u32_e32 vcc, s87, v2
	s_cmp_eq_u32 s2, 0
	v_cndmask_b32_e64 v3, 0, -1, vcc
	s_cselect_b64 vcc, -1, 0
	v_cndmask_b32_e32 v3, -1, v3, vcc
	v_mov_b32_e32 v8, s2
	v_cmp_ne_u32_e32 vcc, 0, v3
	v_cndmask_b32_e32 v3, v8, v7, vcc
	v_cndmask_b32_e32 v2, v2, v6, vcc
	s_cbranch_execnz .LBB147_352
.LBB147_351:                            ;   in Loop: Header=BB147_12 Depth=1
	v_cvt_f32_u32_e32 v2, s87
	s_sub_i32 s2, 0, s87
	v_rcp_iflag_f32_e32 v2, v2
	v_mul_f32_e32 v2, 0x4f7ffffe, v2
	v_cvt_u32_f32_e32 v2, v2
	v_mul_lo_u32 v3, s2, v2
	v_mul_hi_u32 v3, v2, v3
	v_add_u32_e32 v2, v2, v3
	v_readlane_b32 s2, v46, 35
	v_mul_hi_u32 v2, s2, v2
	v_mul_lo_u32 v2, v2, s87
	v_sub_u32_e32 v2, s2, v2
	v_subrev_u32_e32 v3, s87, v2
	v_cmp_le_u32_e32 vcc, s87, v2
	v_cndmask_b32_e32 v2, v2, v3, vcc
	v_subrev_u32_e32 v3, s87, v2
	v_cmp_le_u32_e32 vcc, s87, v2
	v_cndmask_b32_e32 v14, v2, v3, vcc
	v_pk_mov_b32 v[2:3], v[14:15], v[14:15] op_sel:[0,1]
.LBB147_352:                            ;   in Loop: Header=BB147_12 Depth=1
	v_readlane_b32 s2, v46, 35
	v_mov_b32_e32 v6, s93
	v_sub_co_u32_e32 v2, vcc, s2, v2
	v_subb_co_u32_e32 v3, vcc, v6, v3, vcc
	v_cmp_gt_u64_e32 vcc, v[2:3], v[0:1]
	s_mov_b64 s[4:5], 0
                                        ; implicit-def: $vgpr21
	s_and_saveexec_b64 s[2:3], vcc
	s_cbranch_execz .LBB147_361
; %bb.353:                              ;   in Loop: Header=BB147_12 Depth=1
	v_pk_mov_b32 v[6:7], v[0:1], v[0:1] op_sel:[0,1]
                                        ; implicit-def: $sgpr12_sgpr13
	s_branch .LBB147_355
.LBB147_354:                            ;   in Loop: Header=BB147_355 Depth=2
	s_or_b64 exec, exec, s[6:7]
	s_waitcnt lgkmcnt(0)
	s_barrier
	ds_read_b64 v[20:21], v15 offset:3072
	v_mov_b32_e32 v8, s88
	v_add_co_u32_e32 v6, vcc, s87, v6
	v_addc_co_u32_e32 v7, vcc, v7, v8, vcc
	s_waitcnt lgkmcnt(0)
	v_readfirstlane_b32 s6, v20
	s_cmp_lg_u32 s6, 0
	s_cselect_b64 s[6:7], -1, 0
	v_cmp_ge_u64_e32 vcc, v[6:7], v[2:3]
	s_or_b64 s[36:37], vcc, s[6:7]
	s_and_b64 s[36:37], exec, s[36:37]
	s_or_b64 s[4:5], s[36:37], s[4:5]
	s_andn2_b64 s[12:13], s[12:13], exec
	s_and_b64 s[6:7], s[6:7], exec
	s_or_b64 s[12:13], s[12:13], s[6:7]
	s_barrier
	s_andn2_b64 exec, exec, s[4:5]
	s_cbranch_execz .LBB147_360
.LBB147_355:                            ;   Parent Loop BB147_12 Depth=1
                                        ; =>  This Inner Loop Header: Depth=2
	v_cmp_gt_u64_e32 vcc, s[60:61], v[6:7]
	s_waitcnt vmcnt(0)
	v_mov_b32_e32 v19, 0
	s_and_saveexec_b64 s[36:37], vcc
	s_cbranch_execz .LBB147_357
; %bb.356:                              ;   in Loop: Header=BB147_355 Depth=2
	v_mul_lo_u32 v14, v7, s58
	v_mul_lo_u32 v19, v6, s59
	v_mad_u64_u32 v[8:9], s[6:7], v6, s58, 0
	v_add3_u32 v9, v9, v19, v14
	v_lshlrev_b64 v[8:9], 2, v[8:9]
	v_mov_b32_e32 v14, s86
	v_add_co_u32_e64 v8, s[6:7], s33, v8
	v_addc_co_u32_e64 v9, s[6:7], v14, v9, s[6:7]
	global_load_dword v19, v[8:9], off
.LBB147_357:                            ;   in Loop: Header=BB147_355 Depth=2
	s_or_b64 exec, exec, s[36:37]
	s_and_saveexec_b64 s[6:7], vcc
	s_cbranch_execz .LBB147_354
; %bb.358:                              ;   in Loop: Header=BB147_355 Depth=2
	s_waitcnt vmcnt(0)
	v_xor_b32_e32 v8, 0x80000000, v19
	v_and_b32_e32 v8, v8, v36
	v_cmp_eq_u32_e32 vcc, v8, v37
	s_and_b64 exec, exec, vcc
	s_cbranch_execz .LBB147_354
; %bb.359:                              ;   in Loop: Header=BB147_355 Depth=2
	ds_write_b64 v15, v[18:19] offset:3072
	s_branch .LBB147_354
.LBB147_360:                            ;   in Loop: Header=BB147_12 Depth=1
	s_or_b64 exec, exec, s[4:5]
	s_and_b64 s[4:5], s[12:13], exec
.LBB147_361:                            ;   in Loop: Header=BB147_12 Depth=1
	s_or_b64 exec, exec, s[2:3]
	s_mov_b64 s[40:41], 0
	s_mov_b64 s[36:37], -1
	s_mov_b64 s[42:43], 0
.LBB147_362:                            ;   in Loop: Header=BB147_12 Depth=1
	s_orn2_b64 s[2:3], s[4:5], exec
.LBB147_363:                            ;   in Loop: Header=BB147_12 Depth=1
	s_or_b64 exec, exec, s[10:11]
	s_mov_b64 s[6:7], 0
                                        ; implicit-def: $vgpr8
	s_and_saveexec_b64 s[44:45], s[2:3]
	s_cbranch_execz .LBB147_476
; %bb.364:                              ;   in Loop: Header=BB147_12 Depth=1
	v_mov_b32_e32 v2, 1
	s_xor_b64 s[4:5], s[8:9], -1
	s_mov_b64 s[10:11], 0
	v_mov_b32_e32 v3, 0
	v_mov_b32_e32 v8, 1
	s_and_saveexec_b64 s[2:3], s[4:5]
	s_cbranch_execz .LBB147_374
; %bb.365:                              ;   in Loop: Header=BB147_12 Depth=1
	v_cmp_ge_u64_e32 vcc, s[22:23], v[4:5]
                                        ; implicit-def: $sgpr8
                                        ; implicit-def: $sgpr4_sgpr5
	s_and_saveexec_b64 s[6:7], vcc
	s_xor_b64 s[6:7], exec, s[6:7]
	s_cbranch_execz .LBB147_371
; %bb.366:                              ;   in Loop: Header=BB147_12 Depth=1
	ds_read_b64 v[2:3], v15 offset:5120
	s_waitcnt lgkmcnt(0)
	v_cmp_ne_u64_e32 vcc, 0, v[2:3]
	s_cbranch_vccnz .LBB147_370
; %bb.367:                              ;   in Loop: Header=BB147_12 Depth=1
	s_mov_b64 s[4:5], exec
	v_readlane_b32 s8, v46, 12
	v_readlane_b32 s9, v46, 13
	s_and_b64 s[8:9], s[4:5], s[8:9]
	s_mov_b64 exec, s[8:9]
	s_cbranch_execz .LBB147_369
; %bb.368:                              ;   in Loop: Header=BB147_12 Depth=1
	v_pk_mov_b32 v[2:3], s[22:23], s[22:23] op_sel:[0,1]
	ds_write_b64 v15, v[2:3] offset:5128
.LBB147_369:                            ;   in Loop: Header=BB147_12 Depth=1
	s_or_b64 exec, exec, s[4:5]
	s_waitcnt lgkmcnt(0)
	s_barrier
.LBB147_370:                            ;   in Loop: Header=BB147_12 Depth=1
	v_and_b32_e32 v2, s48, v37
	v_lshl_or_b32 v37, 2, s49, v2
	v_or_b32_e32 v36, s84, v36
	s_mov_b64 s[4:5], 0
	s_mov_b32 s8, 5
.LBB147_371:                            ;   in Loop: Header=BB147_12 Depth=1
	s_or_saveexec_b64 s[6:7], s[6:7]
	v_mov_b32_e32 v8, s8
	s_xor_b64 exec, exec, s[6:7]
; %bb.372:                              ;   in Loop: Header=BB147_12 Depth=1
	v_mov_b32_e32 v2, s23
	v_subrev_co_u32_e32 v4, vcc, s22, v4
	v_subb_co_u32_e32 v5, vcc, v5, v2, vcc
	v_mov_b32_e32 v8, 0
	s_or_b64 s[4:5], s[4:5], exec
; %bb.373:                              ;   in Loop: Header=BB147_12 Depth=1
	s_or_b64 exec, exec, s[6:7]
	s_and_b64 s[10:11], s[4:5], exec
	v_pk_mov_b32 v[2:3], v[4:5], v[4:5] op_sel:[0,1]
.LBB147_374:                            ;   in Loop: Header=BB147_12 Depth=1
	s_or_b64 exec, exec, s[2:3]
	s_mov_b64 s[2:3], -1
                                        ; implicit-def: $sgpr4_sgpr5
                                        ; implicit-def: $sgpr6_sgpr7
                                        ; implicit-def: $sgpr8_sgpr9
	s_and_saveexec_b64 s[22:23], s[10:11]
	s_cbranch_execz .LBB147_475
; %bb.375:                              ;   in Loop: Header=BB147_12 Depth=1
	s_cmp_eq_u64 s[18:19], 1
	s_cselect_b64 s[2:3], -1, 0
	v_cmp_eq_u64_e32 vcc, 1, v[2:3]
	s_and_b64 s[10:11], s[2:3], vcc
	s_mov_b64 s[4:5], -1
                                        ; implicit-def: $sgpr8_sgpr9
                                        ; implicit-def: $sgpr46_sgpr47
                                        ; implicit-def: $sgpr56_sgpr57
	s_and_saveexec_b64 s[50:51], s[10:11]
	s_cbranch_execz .LBB147_409
; %bb.376:                              ;   in Loop: Header=BB147_12 Depth=1
	ds_read_b64 v[4:5], v15 offset:5120
	s_waitcnt lgkmcnt(0)
	s_barrier
	v_readfirstlane_b32 s2, v4
	v_readfirstlane_b32 s3, v5
	s_mov_b64 s[4:5], exec
	v_readlane_b32 s6, v46, 30
	v_readlane_b32 s7, v46, 31
	s_and_b64 s[6:7], s[4:5], s[6:7]
	s_mov_b64 exec, s[6:7]
	s_cbranch_execz .LBB147_378
; %bb.377:                              ;   in Loop: Header=BB147_12 Depth=1
	ds_write_b32 v32, v15
.LBB147_378:                            ;   in Loop: Header=BB147_12 Depth=1
	s_or_b64 exec, exec, s[4:5]
	v_and_b32_e32 v4, s48, v37
	v_lshl_or_b32 v37, 1, s49, v4
	v_or_b32_e32 v36, s84, v36
	s_cmp_eq_u64 s[2:3], 0
	s_waitcnt lgkmcnt(0)
	s_barrier
	s_cbranch_scc1 .LBB147_392
; %bb.379:                              ;   in Loop: Header=BB147_12 Depth=1
	v_readlane_b32 s4, v46, 34
	s_add_u32 s8, s4, s2
	v_readlane_b32 s4, v46, 36
	s_addc_u32 s5, s4, s3
	s_mov_b32 s4, s85
	s_cmp_lg_u64 s[4:5], 0
	s_cbranch_scc0 .LBB147_427
; %bb.380:                              ;   in Loop: Header=BB147_12 Depth=1
	v_cvt_f32_u32_e32 v4, s87
	s_sub_u32 s4, 0, s87
	s_subb_u32 s6, 0, 0
	v_mac_f32_e32 v4, 0, v35
	v_rcp_f32_e32 v4, v4
	v_mul_f32_e32 v4, 0x5f7ffffc, v4
	v_mul_f32_e32 v5, 0x2f800000, v4
	v_trunc_f32_e32 v5, v5
	v_mac_f32_e32 v4, 0xcf800000, v5
	v_cvt_u32_f32_e32 v5, v5
	v_cvt_u32_f32_e32 v4, v4
	v_readfirstlane_b32 s7, v5
	v_readfirstlane_b32 s9, v4
	s_mul_i32 s12, s4, s7
	s_mul_hi_u32 s46, s4, s9
	s_mul_i32 s13, s6, s9
	s_add_i32 s12, s46, s12
	s_mul_i32 s47, s4, s9
	s_add_i32 s12, s12, s13
	s_mul_hi_u32 s46, s9, s47
	s_mul_hi_u32 s13, s9, s12
	s_mul_i32 s9, s9, s12
	s_add_u32 s9, s46, s9
	s_addc_u32 s13, 0, s13
	s_mul_hi_u32 s52, s7, s47
	s_mul_i32 s47, s7, s47
	s_add_u32 s9, s9, s47
	s_mul_hi_u32 s46, s7, s12
	s_addc_u32 s9, s13, s52
	s_addc_u32 s13, s46, 0
	s_mul_i32 s12, s7, s12
	s_add_u32 s9, s9, s12
	s_addc_u32 s12, 0, s13
	v_add_co_u32_e32 v4, vcc, s9, v4
	s_cmp_lg_u64 vcc, 0
	s_addc_u32 s7, s7, s12
	v_readfirstlane_b32 s12, v4
	s_mul_i32 s9, s4, s7
	s_mul_hi_u32 s13, s4, s12
	s_add_i32 s9, s13, s9
	s_mul_i32 s6, s6, s12
	s_add_i32 s9, s9, s6
	s_mul_i32 s4, s4, s12
	s_mul_hi_u32 s13, s7, s4
	s_mul_i32 s46, s7, s4
	s_mul_i32 s52, s12, s9
	s_mul_hi_u32 s4, s12, s4
	s_mul_hi_u32 s47, s12, s9
	s_add_u32 s4, s4, s52
	s_addc_u32 s12, 0, s47
	s_add_u32 s4, s4, s46
	s_mul_hi_u32 s6, s7, s9
	s_addc_u32 s4, s12, s13
	s_addc_u32 s6, s6, 0
	s_mul_i32 s9, s7, s9
	s_add_u32 s4, s4, s9
	s_addc_u32 s6, 0, s6
	v_add_co_u32_e32 v4, vcc, s4, v4
	s_cmp_lg_u64 vcc, 0
	s_addc_u32 s4, s7, s6
	v_readfirstlane_b32 s9, v4
	s_mul_i32 s7, s8, s4
	s_mul_hi_u32 s12, s8, s9
	s_mul_hi_u32 s6, s8, s4
	s_add_u32 s7, s12, s7
	s_addc_u32 s6, 0, s6
	s_mul_hi_u32 s13, s5, s9
	s_mul_i32 s9, s5, s9
	s_add_u32 s7, s7, s9
	s_mul_hi_u32 s12, s5, s4
	s_addc_u32 s6, s6, s13
	s_addc_u32 s7, s12, 0
	s_mul_i32 s4, s5, s4
	s_add_u32 s4, s6, s4
	s_addc_u32 s6, 0, s7
	s_mul_hi_u32 s7, s87, s4
	s_mul_i32 s4, s87, s4
	s_mul_i32 s6, s87, s6
	v_mov_b32_e32 v4, s4
	s_add_i32 s7, s7, s6
	v_sub_co_u32_e32 v4, vcc, s8, v4
	s_cmp_lg_u64 vcc, 0
	s_subb_u32 s4, s5, s7
	v_subrev_co_u32_e32 v5, vcc, s87, v4
	s_cmp_lg_u64 vcc, 0
	s_subb_u32 s6, s4, 0
	v_subrev_co_u32_e32 v6, vcc, s87, v5
	s_cmp_lg_u64 vcc, 0
	s_subb_u32 s7, s6, 0
	v_cmp_le_u32_e32 vcc, s87, v5
	s_cmp_eq_u32 s6, 0
	v_cndmask_b32_e64 v7, 0, -1, vcc
	s_cselect_b64 vcc, -1, 0
	v_cndmask_b32_e32 v7, -1, v7, vcc
	v_mov_b32_e32 v8, s6
	v_mov_b32_e32 v9, s7
	v_cmp_ne_u32_e32 vcc, 0, v7
	v_cndmask_b32_e32 v7, v8, v9, vcc
	v_cndmask_b32_e32 v6, v5, v6, vcc
	v_cmp_le_u32_e32 vcc, s87, v4
	s_cmp_eq_u32 s4, 0
	v_cndmask_b32_e64 v5, 0, -1, vcc
	s_cselect_b64 vcc, -1, 0
	v_cndmask_b32_e32 v5, -1, v5, vcc
	v_mov_b32_e32 v8, s4
	v_cmp_ne_u32_e32 vcc, 0, v5
	v_cndmask_b32_e32 v5, v8, v7, vcc
	v_cndmask_b32_e32 v4, v4, v6, vcc
	s_cbranch_execnz .LBB147_382
.LBB147_381:                            ;   in Loop: Header=BB147_12 Depth=1
	v_cvt_f32_u32_e32 v4, s87
	s_sub_i32 s4, 0, s87
	v_rcp_iflag_f32_e32 v4, v4
	v_mul_f32_e32 v4, 0x4f7ffffe, v4
	v_cvt_u32_f32_e32 v4, v4
	v_mul_lo_u32 v5, s4, v4
	v_mul_hi_u32 v5, v4, v5
	v_add_u32_e32 v4, v4, v5
	v_mul_hi_u32 v4, s8, v4
	v_mul_lo_u32 v4, v4, s87
	v_sub_u32_e32 v4, s8, v4
	v_subrev_u32_e32 v5, s87, v4
	v_cmp_le_u32_e32 vcc, s87, v4
	v_cndmask_b32_e32 v4, v4, v5, vcc
	v_subrev_u32_e32 v5, s87, v4
	v_cmp_le_u32_e32 vcc, s87, v4
	v_cndmask_b32_e32 v14, v4, v5, vcc
	v_pk_mov_b32 v[4:5], v[14:15], v[14:15] op_sel:[0,1]
.LBB147_382:                            ;   in Loop: Header=BB147_12 Depth=1
	v_mov_b32_e32 v6, s5
	v_sub_co_u32_e32 v4, vcc, s8, v4
	v_subb_co_u32_e32 v5, vcc, v6, v5, vcc
	v_cmp_gt_u64_e32 vcc, v[4:5], v[0:1]
	s_mov_b64 s[4:5], 0
                                        ; implicit-def: $vgpr21
	s_and_saveexec_b64 s[6:7], vcc
	s_cbranch_execz .LBB147_394
; %bb.383:                              ;   in Loop: Header=BB147_12 Depth=1
	v_mov_b32_e32 v8, v16
	v_pk_mov_b32 v[6:7], v[0:1], v[0:1] op_sel:[0,1]
                                        ; implicit-def: $sgpr8_sgpr9
	s_branch .LBB147_385
.LBB147_384:                            ;   in Loop: Header=BB147_385 Depth=2
	s_or_b64 exec, exec, s[12:13]
	s_waitcnt lgkmcnt(0)
	s_barrier
	ds_read_b64 v[20:21], v15 offset:3072
	v_mov_b32_e32 v9, s88
	v_add_co_u32_e32 v6, vcc, s87, v6
	v_addc_co_u32_e32 v7, vcc, v7, v9, vcc
	s_waitcnt lgkmcnt(0)
	v_readfirstlane_b32 s12, v20
	s_cmp_lg_u32 s12, 0
	s_cselect_b64 s[12:13], -1, 0
	v_cmp_ge_u64_e32 vcc, v[6:7], v[4:5]
	s_or_b64 s[46:47], vcc, s[12:13]
	s_and_b64 s[46:47], exec, s[46:47]
	s_or_b64 s[4:5], s[46:47], s[4:5]
	s_andn2_b64 s[8:9], s[8:9], exec
	s_and_b64 s[12:13], s[12:13], exec
	v_add_u32_e32 v8, s95, v8
	s_or_b64 s[8:9], s[8:9], s[12:13]
	s_barrier
	s_andn2_b64 exec, exec, s[4:5]
	s_cbranch_execz .LBB147_393
.LBB147_385:                            ;   Parent Loop BB147_12 Depth=1
                                        ; =>  This Inner Loop Header: Depth=2
	v_cmp_gt_u64_e32 vcc, s[2:3], v[6:7]
	s_waitcnt vmcnt(0)
	v_mov_b32_e32 v19, 0
	s_and_saveexec_b64 s[12:13], vcc
	s_cbranch_execz .LBB147_387
; %bb.386:                              ;   in Loop: Header=BB147_385 Depth=2
	ds_read_b32 v19, v8
.LBB147_387:                            ;   in Loop: Header=BB147_385 Depth=2
	s_or_b64 exec, exec, s[12:13]
	s_and_saveexec_b64 s[12:13], vcc
	s_cbranch_execz .LBB147_384
; %bb.388:                              ;   in Loop: Header=BB147_385 Depth=2
	s_waitcnt lgkmcnt(0)
	v_xor_b32_e32 v9, 0x80000000, v19
	v_and_b32_e32 v9, v9, v36
	v_cmp_eq_u32_e32 vcc, v9, v37
	s_and_b64 exec, exec, vcc
	s_cbranch_execz .LBB147_384
; %bb.389:                              ;   in Loop: Header=BB147_385 Depth=2
	ds_write_b64 v15, v[18:19] offset:3072
	s_branch .LBB147_384
.LBB147_390:                            ;   in Loop: Header=BB147_12 Depth=1
                                        ; implicit-def: $vgpr2_vgpr3
	s_branch .LBB147_335
.LBB147_391:                            ;   in Loop: Header=BB147_12 Depth=1
                                        ; implicit-def: $vgpr2_vgpr3
	s_branch .LBB147_351
.LBB147_392:                            ;   in Loop: Header=BB147_12 Depth=1
	s_mov_b64 s[8:9], -1
	s_mov_b64 s[4:5], 0
                                        ; implicit-def: $sgpr46_sgpr47
                                        ; implicit-def: $vgpr21
	s_mov_b64 s[56:57], s[8:9]
	s_cbranch_execnz .LBB147_395
	s_branch .LBB147_408
.LBB147_393:                            ;   in Loop: Header=BB147_12 Depth=1
	s_or_b64 exec, exec, s[4:5]
	s_and_b64 s[4:5], s[8:9], exec
.LBB147_394:                            ;   in Loop: Header=BB147_12 Depth=1
	s_or_b64 exec, exec, s[6:7]
	s_mov_b64 s[8:9], 0
	s_mov_b64 s[46:47], -1
	s_mov_b64 s[56:57], s[8:9]
	s_branch .LBB147_408
.LBB147_395:                            ;   in Loop: Header=BB147_12 Depth=1
	s_mov_b32 s92, s85
	s_cmp_lg_u64 s[92:93], 0
	s_cbranch_scc0 .LBB147_428
; %bb.396:                              ;   in Loop: Header=BB147_12 Depth=1
	v_cvt_f32_u32_e32 v4, s87
	s_sub_u32 s2, 0, s87
	s_subb_u32 s3, 0, 0
	v_mac_f32_e32 v4, 0, v35
	v_rcp_f32_e32 v4, v4
	v_mul_f32_e32 v4, 0x5f7ffffc, v4
	v_mul_f32_e32 v5, 0x2f800000, v4
	v_trunc_f32_e32 v5, v5
	v_mac_f32_e32 v4, 0xcf800000, v5
	v_cvt_u32_f32_e32 v5, v5
	v_cvt_u32_f32_e32 v4, v4
	v_readfirstlane_b32 s4, v5
	v_readfirstlane_b32 s5, v4
	s_mul_i32 s6, s2, s4
	s_mul_hi_u32 s8, s2, s5
	s_mul_i32 s7, s3, s5
	s_add_i32 s6, s8, s6
	s_mul_i32 s9, s2, s5
	s_add_i32 s6, s6, s7
	s_mul_hi_u32 s8, s5, s9
	s_mul_hi_u32 s7, s5, s6
	s_mul_i32 s5, s5, s6
	s_add_u32 s5, s8, s5
	s_addc_u32 s7, 0, s7
	s_mul_hi_u32 s12, s4, s9
	s_mul_i32 s9, s4, s9
	s_add_u32 s5, s5, s9
	s_mul_hi_u32 s8, s4, s6
	s_addc_u32 s5, s7, s12
	s_addc_u32 s7, s8, 0
	s_mul_i32 s6, s4, s6
	s_add_u32 s5, s5, s6
	s_addc_u32 s6, 0, s7
	v_add_co_u32_e32 v4, vcc, s5, v4
	s_cmp_lg_u64 vcc, 0
	s_addc_u32 s4, s4, s6
	v_readfirstlane_b32 s6, v4
	s_mul_i32 s5, s2, s4
	s_mul_hi_u32 s7, s2, s6
	s_add_i32 s5, s7, s5
	s_mul_i32 s3, s3, s6
	s_add_i32 s5, s5, s3
	s_mul_i32 s2, s2, s6
	s_mul_hi_u32 s7, s4, s2
	s_mul_i32 s8, s4, s2
	s_mul_i32 s12, s6, s5
	s_mul_hi_u32 s2, s6, s2
	s_mul_hi_u32 s9, s6, s5
	s_add_u32 s2, s2, s12
	s_addc_u32 s6, 0, s9
	s_add_u32 s2, s2, s8
	s_mul_hi_u32 s3, s4, s5
	s_addc_u32 s2, s6, s7
	s_addc_u32 s3, s3, 0
	s_mul_i32 s5, s4, s5
	s_add_u32 s2, s2, s5
	s_addc_u32 s3, 0, s3
	v_add_co_u32_e32 v4, vcc, s2, v4
	s_cmp_lg_u64 vcc, 0
	s_addc_u32 s2, s4, s3
	v_readlane_b32 s8, v46, 35
	v_readfirstlane_b32 s5, v4
	s_mul_i32 s4, s8, s2
	s_mul_hi_u32 s6, s8, s5
	s_mul_hi_u32 s3, s8, s2
	s_add_u32 s4, s6, s4
	s_addc_u32 s3, 0, s3
	s_mul_hi_u32 s7, s93, s5
	s_mul_i32 s5, s93, s5
	s_add_u32 s4, s4, s5
	s_mul_hi_u32 s6, s93, s2
	s_addc_u32 s3, s3, s7
	s_addc_u32 s4, s6, 0
	s_mul_i32 s2, s93, s2
	s_add_u32 s2, s3, s2
	s_addc_u32 s3, 0, s4
	s_mul_hi_u32 s4, s87, s2
	s_mul_i32 s2, s87, s2
	s_mul_i32 s3, s87, s3
	v_mov_b32_e32 v4, s2
	s_add_i32 s4, s4, s3
	v_sub_co_u32_e32 v4, vcc, s8, v4
	s_cmp_lg_u64 vcc, 0
	s_subb_u32 s2, s93, s4
	v_subrev_co_u32_e32 v5, vcc, s87, v4
	s_cmp_lg_u64 vcc, 0
	s_subb_u32 s3, s2, 0
	v_subrev_co_u32_e32 v6, vcc, s87, v5
	s_cmp_lg_u64 vcc, 0
	s_subb_u32 s4, s3, 0
	v_cmp_le_u32_e32 vcc, s87, v5
	s_cmp_eq_u32 s3, 0
	v_cndmask_b32_e64 v7, 0, -1, vcc
	s_cselect_b64 vcc, -1, 0
	v_cndmask_b32_e32 v7, -1, v7, vcc
	v_mov_b32_e32 v8, s3
	v_mov_b32_e32 v9, s4
	v_cmp_ne_u32_e32 vcc, 0, v7
	v_cndmask_b32_e32 v7, v8, v9, vcc
	v_cndmask_b32_e32 v6, v5, v6, vcc
	v_cmp_le_u32_e32 vcc, s87, v4
	s_cmp_eq_u32 s2, 0
	v_cndmask_b32_e64 v5, 0, -1, vcc
	s_cselect_b64 vcc, -1, 0
	v_cndmask_b32_e32 v5, -1, v5, vcc
	v_mov_b32_e32 v8, s2
	v_cmp_ne_u32_e32 vcc, 0, v5
	v_cndmask_b32_e32 v5, v8, v7, vcc
	v_cndmask_b32_e32 v4, v4, v6, vcc
	s_cbranch_execnz .LBB147_398
.LBB147_397:                            ;   in Loop: Header=BB147_12 Depth=1
	v_cvt_f32_u32_e32 v4, s87
	s_sub_i32 s2, 0, s87
	v_rcp_iflag_f32_e32 v4, v4
	v_mul_f32_e32 v4, 0x4f7ffffe, v4
	v_cvt_u32_f32_e32 v4, v4
	v_mul_lo_u32 v5, s2, v4
	v_mul_hi_u32 v5, v4, v5
	v_add_u32_e32 v4, v4, v5
	v_readlane_b32 s2, v46, 35
	v_mul_hi_u32 v4, s2, v4
	v_mul_lo_u32 v4, v4, s87
	v_sub_u32_e32 v4, s2, v4
	v_subrev_u32_e32 v5, s87, v4
	v_cmp_le_u32_e32 vcc, s87, v4
	v_cndmask_b32_e32 v4, v4, v5, vcc
	v_subrev_u32_e32 v5, s87, v4
	v_cmp_le_u32_e32 vcc, s87, v4
	v_cndmask_b32_e32 v14, v4, v5, vcc
	v_pk_mov_b32 v[4:5], v[14:15], v[14:15] op_sel:[0,1]
.LBB147_398:                            ;   in Loop: Header=BB147_12 Depth=1
	v_readlane_b32 s2, v46, 35
	v_mov_b32_e32 v6, s93
	v_sub_co_u32_e32 v4, vcc, s2, v4
	v_subb_co_u32_e32 v5, vcc, v6, v5, vcc
	v_cmp_gt_u64_e32 vcc, v[4:5], v[0:1]
	s_mov_b64 s[4:5], 0
                                        ; implicit-def: $vgpr21
	s_and_saveexec_b64 s[2:3], vcc
	s_cbranch_execz .LBB147_407
; %bb.399:                              ;   in Loop: Header=BB147_12 Depth=1
	v_pk_mov_b32 v[6:7], v[0:1], v[0:1] op_sel:[0,1]
                                        ; implicit-def: $sgpr8_sgpr9
	s_branch .LBB147_401
.LBB147_400:                            ;   in Loop: Header=BB147_401 Depth=2
	s_or_b64 exec, exec, s[6:7]
	s_waitcnt lgkmcnt(0)
	s_barrier
	ds_read_b64 v[20:21], v15 offset:3072
	v_mov_b32_e32 v8, s88
	v_add_co_u32_e32 v6, vcc, s87, v6
	v_addc_co_u32_e32 v7, vcc, v7, v8, vcc
	s_waitcnt lgkmcnt(0)
	v_readfirstlane_b32 s6, v20
	s_cmp_lg_u32 s6, 0
	s_cselect_b64 s[6:7], -1, 0
	v_cmp_ge_u64_e32 vcc, v[6:7], v[4:5]
	s_or_b64 s[12:13], vcc, s[6:7]
	s_and_b64 s[12:13], exec, s[12:13]
	s_or_b64 s[4:5], s[12:13], s[4:5]
	s_andn2_b64 s[8:9], s[8:9], exec
	s_and_b64 s[6:7], s[6:7], exec
	s_or_b64 s[8:9], s[8:9], s[6:7]
	s_barrier
	s_andn2_b64 exec, exec, s[4:5]
	s_cbranch_execz .LBB147_406
.LBB147_401:                            ;   Parent Loop BB147_12 Depth=1
                                        ; =>  This Inner Loop Header: Depth=2
	v_cmp_gt_u64_e32 vcc, s[60:61], v[6:7]
	s_waitcnt vmcnt(0)
	v_mov_b32_e32 v19, 0
	s_and_saveexec_b64 s[12:13], vcc
	s_cbranch_execz .LBB147_403
; %bb.402:                              ;   in Loop: Header=BB147_401 Depth=2
	v_mul_lo_u32 v14, v7, s58
	v_mul_lo_u32 v19, v6, s59
	v_mad_u64_u32 v[8:9], s[6:7], v6, s58, 0
	v_add3_u32 v9, v9, v19, v14
	v_lshlrev_b64 v[8:9], 2, v[8:9]
	v_mov_b32_e32 v14, s86
	v_add_co_u32_e64 v8, s[6:7], s33, v8
	v_addc_co_u32_e64 v9, s[6:7], v14, v9, s[6:7]
	global_load_dword v19, v[8:9], off
.LBB147_403:                            ;   in Loop: Header=BB147_401 Depth=2
	s_or_b64 exec, exec, s[12:13]
	s_and_saveexec_b64 s[6:7], vcc
	s_cbranch_execz .LBB147_400
; %bb.404:                              ;   in Loop: Header=BB147_401 Depth=2
	s_waitcnt vmcnt(0)
	v_xor_b32_e32 v8, 0x80000000, v19
	v_and_b32_e32 v8, v8, v36
	v_cmp_eq_u32_e32 vcc, v8, v37
	s_and_b64 exec, exec, vcc
	s_cbranch_execz .LBB147_400
; %bb.405:                              ;   in Loop: Header=BB147_401 Depth=2
	ds_write_b64 v15, v[18:19] offset:3072
	s_branch .LBB147_400
.LBB147_406:                            ;   in Loop: Header=BB147_12 Depth=1
	s_or_b64 exec, exec, s[4:5]
	s_and_b64 s[4:5], s[8:9], exec
.LBB147_407:                            ;   in Loop: Header=BB147_12 Depth=1
	s_or_b64 exec, exec, s[2:3]
	s_mov_b64 s[46:47], 0
	s_mov_b64 s[8:9], -1
	s_mov_b64 s[56:57], 0
.LBB147_408:                            ;   in Loop: Header=BB147_12 Depth=1
	s_orn2_b64 s[4:5], s[4:5], exec
.LBB147_409:                            ;   in Loop: Header=BB147_12 Depth=1
	s_or_b64 exec, exec, s[50:51]
	s_mov_b64 s[2:3], 0
                                        ; implicit-def: $vgpr8
	s_and_saveexec_b64 s[50:51], s[4:5]
	s_cbranch_execz .LBB147_474
; %bb.410:                              ;   in Loop: Header=BB147_12 Depth=1
	v_mov_b32_e32 v4, 1
	s_xor_b64 s[4:5], s[10:11], -1
	s_mov_b64 s[12:13], 0
	v_mov_b32_e32 v5, 0
	v_mov_b32_e32 v8, 1
	s_and_saveexec_b64 s[2:3], s[4:5]
	s_cbranch_execz .LBB147_420
; %bb.411:                              ;   in Loop: Header=BB147_12 Depth=1
	v_cmp_ge_u64_e32 vcc, s[18:19], v[2:3]
                                        ; implicit-def: $sgpr10
                                        ; implicit-def: $sgpr4_sgpr5
	s_and_saveexec_b64 s[6:7], vcc
	s_xor_b64 s[6:7], exec, s[6:7]
	s_cbranch_execz .LBB147_417
; %bb.412:                              ;   in Loop: Header=BB147_12 Depth=1
	ds_read_b64 v[4:5], v15 offset:5120
	s_waitcnt lgkmcnt(0)
	v_cmp_ne_u64_e32 vcc, 0, v[4:5]
	s_cbranch_vccnz .LBB147_416
; %bb.413:                              ;   in Loop: Header=BB147_12 Depth=1
	s_mov_b64 s[4:5], exec
	v_readlane_b32 s10, v46, 12
	v_readlane_b32 s11, v46, 13
	s_and_b64 s[10:11], s[4:5], s[10:11]
	s_mov_b64 exec, s[10:11]
	s_cbranch_execz .LBB147_415
; %bb.414:                              ;   in Loop: Header=BB147_12 Depth=1
	v_pk_mov_b32 v[4:5], s[18:19], s[18:19] op_sel:[0,1]
	ds_write_b64 v15, v[4:5] offset:5128
.LBB147_415:                            ;   in Loop: Header=BB147_12 Depth=1
	s_or_b64 exec, exec, s[4:5]
	s_waitcnt lgkmcnt(0)
	s_barrier
.LBB147_416:                            ;   in Loop: Header=BB147_12 Depth=1
	v_and_b32_e32 v4, s48, v37
	v_lshl_or_b32 v37, 1, s49, v4
	v_or_b32_e32 v36, s84, v36
	s_mov_b64 s[4:5], 0
	s_mov_b32 s10, 5
.LBB147_417:                            ;   in Loop: Header=BB147_12 Depth=1
	s_or_saveexec_b64 s[6:7], s[6:7]
	v_mov_b32_e32 v8, s10
	s_xor_b64 exec, exec, s[6:7]
; %bb.418:                              ;   in Loop: Header=BB147_12 Depth=1
	v_mov_b32_e32 v4, s19
	v_subrev_co_u32_e32 v2, vcc, s18, v2
	v_subb_co_u32_e32 v3, vcc, v3, v4, vcc
	v_mov_b32_e32 v8, 0
	s_or_b64 s[4:5], s[4:5], exec
; %bb.419:                              ;   in Loop: Header=BB147_12 Depth=1
	s_or_b64 exec, exec, s[6:7]
	s_and_b64 s[12:13], s[4:5], exec
	v_pk_mov_b32 v[4:5], v[2:3], v[2:3] op_sel:[0,1]
.LBB147_420:                            ;   in Loop: Header=BB147_12 Depth=1
	s_or_b64 exec, exec, s[2:3]
	s_mov_b64 s[10:11], -1
                                        ; implicit-def: $sgpr2_sgpr3
                                        ; implicit-def: $sgpr4_sgpr5
                                        ; implicit-def: $sgpr6_sgpr7
	s_and_saveexec_b64 s[18:19], s[12:13]
	s_cbranch_execz .LBB147_473
; %bb.421:                              ;   in Loop: Header=BB147_12 Depth=1
	s_cmp_eq_u64 s[16:17], 1
	s_cselect_b64 s[2:3], -1, 0
	v_cmp_eq_u64_e32 vcc, 1, v[4:5]
	s_and_b64 s[10:11], s[2:3], vcc
	s_mov_b64 s[54:55], -1
                                        ; implicit-def: $sgpr2_sgpr3
                                        ; implicit-def: $sgpr4_sgpr5
                                        ; implicit-def: $sgpr6_sgpr7
	s_and_saveexec_b64 s[52:53], s[10:11]
	s_cbranch_execz .LBB147_460
; %bb.422:                              ;   in Loop: Header=BB147_12 Depth=1
	ds_read_b64 v[2:3], v15 offset:5120
	s_waitcnt lgkmcnt(0)
	s_barrier
	v_readfirstlane_b32 s2, v2
	v_readfirstlane_b32 s3, v3
	s_mov_b64 s[4:5], exec
	v_readlane_b32 s6, v46, 30
	v_readlane_b32 s7, v46, 31
	s_and_b64 s[6:7], s[4:5], s[6:7]
	s_mov_b64 exec, s[6:7]
	s_cbranch_execz .LBB147_424
; %bb.423:                              ;   in Loop: Header=BB147_12 Depth=1
	ds_write_b32 v32, v15
.LBB147_424:                            ;   in Loop: Header=BB147_12 Depth=1
	s_or_b64 exec, exec, s[4:5]
	v_and_b32_e32 v37, s48, v37
	v_or_b32_e32 v36, s84, v36
	s_cmp_eq_u64 s[2:3], 0
	s_waitcnt lgkmcnt(0)
	s_barrier
	s_cbranch_scc1 .LBB147_429
; %bb.425:                              ;   in Loop: Header=BB147_12 Depth=1
	v_readlane_b32 s4, v46, 34
	s_add_u32 s12, s4, s2
	v_readlane_b32 s4, v46, 36
	s_addc_u32 s5, s4, s3
	s_mov_b32 s4, s85
	s_cmp_lg_u64 s[4:5], 0
	s_cbranch_scc0 .LBB147_430
; %bb.426:                              ;   in Loop: Header=BB147_12 Depth=1
	v_cvt_f32_u32_e32 v2, s87
	s_sub_u32 s4, 0, s87
	s_subb_u32 s6, 0, 0
	v_mac_f32_e32 v2, 0, v35
	v_rcp_f32_e32 v2, v2
	v_mul_f32_e32 v2, 0x5f7ffffc, v2
	v_mul_f32_e32 v3, 0x2f800000, v2
	v_trunc_f32_e32 v3, v3
	v_mac_f32_e32 v2, 0xcf800000, v3
	v_cvt_u32_f32_e32 v3, v3
	v_cvt_u32_f32_e32 v2, v2
	v_readfirstlane_b32 s7, v3
	v_readfirstlane_b32 s13, v2
	s_mul_i32 s49, s4, s7
	s_mul_hi_u32 s55, s4, s13
	s_mul_i32 s54, s6, s13
	s_add_i32 s49, s55, s49
	s_mul_i32 s90, s4, s13
	s_add_i32 s49, s49, s54
	s_mul_hi_u32 s55, s13, s90
	s_mul_hi_u32 s54, s13, s49
	s_mul_i32 s13, s13, s49
	s_add_u32 s13, s55, s13
	s_addc_u32 s54, 0, s54
	s_mul_hi_u32 s91, s7, s90
	s_mul_i32 s90, s7, s90
	s_add_u32 s13, s13, s90
	s_mul_hi_u32 s55, s7, s49
	s_addc_u32 s13, s54, s91
	s_addc_u32 s54, s55, 0
	s_mul_i32 s49, s7, s49
	s_add_u32 s13, s13, s49
	s_addc_u32 s49, 0, s54
	v_add_co_u32_e32 v2, vcc, s13, v2
	s_cmp_lg_u64 vcc, 0
	s_addc_u32 s7, s7, s49
	v_readfirstlane_b32 s49, v2
	s_mul_i32 s13, s4, s7
	s_mul_hi_u32 s54, s4, s49
	s_add_i32 s13, s54, s13
	s_mul_i32 s6, s6, s49
	s_add_i32 s13, s13, s6
	s_mul_i32 s4, s4, s49
	s_mul_hi_u32 s54, s7, s4
	s_mul_i32 s55, s7, s4
	s_mul_i32 s91, s49, s13
	s_mul_hi_u32 s4, s49, s4
	s_mul_hi_u32 s90, s49, s13
	s_add_u32 s4, s4, s91
	s_addc_u32 s49, 0, s90
	s_add_u32 s4, s4, s55
	s_mul_hi_u32 s6, s7, s13
	s_addc_u32 s4, s49, s54
	s_addc_u32 s6, s6, 0
	s_mul_i32 s13, s7, s13
	s_add_u32 s4, s4, s13
	s_addc_u32 s6, 0, s6
	v_add_co_u32_e32 v2, vcc, s4, v2
	s_cmp_lg_u64 vcc, 0
	s_addc_u32 s4, s7, s6
	v_readfirstlane_b32 s13, v2
	s_mul_i32 s7, s12, s4
	s_mul_hi_u32 s49, s12, s13
	s_mul_hi_u32 s6, s12, s4
	s_add_u32 s7, s49, s7
	s_addc_u32 s6, 0, s6
	s_mul_hi_u32 s54, s5, s13
	s_mul_i32 s13, s5, s13
	s_add_u32 s7, s7, s13
	s_mul_hi_u32 s49, s5, s4
	s_addc_u32 s6, s6, s54
	s_addc_u32 s7, s49, 0
	s_mul_i32 s4, s5, s4
	s_add_u32 s4, s6, s4
	s_addc_u32 s6, 0, s7
	s_mul_hi_u32 s7, s87, s4
	s_mul_i32 s4, s87, s4
	s_mul_i32 s6, s87, s6
	v_mov_b32_e32 v2, s4
	s_add_i32 s7, s7, s6
	v_sub_co_u32_e32 v2, vcc, s12, v2
	s_cmp_lg_u64 vcc, 0
	s_subb_u32 s4, s5, s7
	v_subrev_co_u32_e32 v3, vcc, s87, v2
	s_cmp_lg_u64 vcc, 0
	s_subb_u32 s6, s4, 0
	v_subrev_co_u32_e32 v6, vcc, s87, v3
	s_cmp_lg_u64 vcc, 0
	s_subb_u32 s7, s6, 0
	v_cmp_le_u32_e32 vcc, s87, v3
	s_cmp_eq_u32 s6, 0
	v_cndmask_b32_e64 v7, 0, -1, vcc
	s_cselect_b64 vcc, -1, 0
	v_cndmask_b32_e32 v7, -1, v7, vcc
	v_mov_b32_e32 v8, s6
	v_mov_b32_e32 v9, s7
	v_cmp_ne_u32_e32 vcc, 0, v7
	v_cndmask_b32_e32 v7, v8, v9, vcc
	v_cndmask_b32_e32 v6, v3, v6, vcc
	v_cmp_le_u32_e32 vcc, s87, v2
	s_cmp_eq_u32 s4, 0
	v_cndmask_b32_e64 v3, 0, -1, vcc
	s_cselect_b64 vcc, -1, 0
	v_cndmask_b32_e32 v3, -1, v3, vcc
	v_mov_b32_e32 v8, s4
	v_cmp_ne_u32_e32 vcc, 0, v3
	v_cndmask_b32_e32 v3, v8, v7, vcc
	v_cndmask_b32_e32 v2, v2, v6, vcc
	s_mov_b64 s[6:7], 0
	s_branch .LBB147_431
.LBB147_427:                            ;   in Loop: Header=BB147_12 Depth=1
                                        ; implicit-def: $vgpr4_vgpr5
	s_branch .LBB147_381
.LBB147_428:                            ;   in Loop: Header=BB147_12 Depth=1
                                        ; implicit-def: $vgpr4_vgpr5
	s_branch .LBB147_397
.LBB147_429:                            ;   in Loop: Header=BB147_12 Depth=1
	s_mov_b64 s[2:3], -1
	s_mov_b64 s[12:13], 0
                                        ; implicit-def: $sgpr4_sgpr5
                                        ; implicit-def: $vgpr21
	s_branch .LBB147_443
.LBB147_430:                            ;   in Loop: Header=BB147_12 Depth=1
	s_mov_b64 s[6:7], -1
                                        ; implicit-def: $vgpr2_vgpr3
.LBB147_431:                            ;   in Loop: Header=BB147_12 Depth=1
	s_andn2_b64 vcc, exec, s[6:7]
	s_cbranch_vccnz .LBB147_433
; %bb.432:                              ;   in Loop: Header=BB147_12 Depth=1
	v_cvt_f32_u32_e32 v2, s87
	s_sub_i32 s4, 0, s87
	v_rcp_iflag_f32_e32 v2, v2
	v_mul_f32_e32 v2, 0x4f7ffffe, v2
	v_cvt_u32_f32_e32 v2, v2
	v_mul_lo_u32 v3, s4, v2
	v_mul_hi_u32 v3, v2, v3
	v_add_u32_e32 v2, v2, v3
	v_mul_hi_u32 v2, s12, v2
	v_mul_lo_u32 v2, v2, s87
	v_sub_u32_e32 v2, s12, v2
	v_subrev_u32_e32 v3, s87, v2
	v_cmp_le_u32_e32 vcc, s87, v2
	v_cndmask_b32_e32 v2, v2, v3, vcc
	v_subrev_u32_e32 v3, s87, v2
	v_cmp_le_u32_e32 vcc, s87, v2
	v_cndmask_b32_e32 v14, v2, v3, vcc
	v_pk_mov_b32 v[2:3], v[14:15], v[14:15] op_sel:[0,1]
.LBB147_433:                            ;   in Loop: Header=BB147_12 Depth=1
	v_mov_b32_e32 v6, s5
	v_sub_co_u32_e32 v2, vcc, s12, v2
	v_subb_co_u32_e32 v3, vcc, v6, v3, vcc
	v_cmp_gt_u64_e32 vcc, v[2:3], v[0:1]
	s_mov_b64 s[12:13], 0
                                        ; implicit-def: $vgpr21
	s_and_saveexec_b64 s[4:5], vcc
	s_cbranch_execz .LBB147_442
; %bb.434:                              ;   in Loop: Header=BB147_12 Depth=1
	s_mov_b64 s[6:7], 0
	v_mov_b32_e32 v8, v16
	v_pk_mov_b32 v[6:7], v[0:1], v[0:1] op_sel:[0,1]
                                        ; implicit-def: $sgpr12_sgpr13
	s_branch .LBB147_436
.LBB147_435:                            ;   in Loop: Header=BB147_436 Depth=2
	s_or_b64 exec, exec, s[54:55]
	s_waitcnt lgkmcnt(0)
	s_barrier
	ds_read_b64 v[20:21], v15 offset:3072
	v_mov_b32_e32 v9, s88
	v_add_co_u32_e32 v6, vcc, s87, v6
	v_addc_co_u32_e32 v7, vcc, v7, v9, vcc
	s_waitcnt lgkmcnt(0)
	v_readfirstlane_b32 s49, v20
	s_cmp_lg_u32 s49, 0
	s_cselect_b64 s[54:55], -1, 0
	v_cmp_ge_u64_e32 vcc, v[6:7], v[2:3]
	s_or_b64 s[90:91], vcc, s[54:55]
	s_and_b64 s[90:91], exec, s[90:91]
	s_or_b64 s[6:7], s[90:91], s[6:7]
	s_andn2_b64 s[12:13], s[12:13], exec
	s_and_b64 s[54:55], s[54:55], exec
	v_add_u32_e32 v8, s95, v8
	s_or_b64 s[12:13], s[12:13], s[54:55]
	s_barrier
	s_andn2_b64 exec, exec, s[6:7]
	s_cbranch_execz .LBB147_441
.LBB147_436:                            ;   Parent Loop BB147_12 Depth=1
                                        ; =>  This Inner Loop Header: Depth=2
	v_cmp_gt_u64_e32 vcc, s[2:3], v[6:7]
	s_waitcnt vmcnt(0)
	v_mov_b32_e32 v19, 0
	s_and_saveexec_b64 s[54:55], vcc
	s_cbranch_execz .LBB147_438
; %bb.437:                              ;   in Loop: Header=BB147_436 Depth=2
	ds_read_b32 v19, v8
.LBB147_438:                            ;   in Loop: Header=BB147_436 Depth=2
	s_or_b64 exec, exec, s[54:55]
	s_and_saveexec_b64 s[54:55], vcc
	s_cbranch_execz .LBB147_435
; %bb.439:                              ;   in Loop: Header=BB147_436 Depth=2
	s_waitcnt lgkmcnt(0)
	v_xor_b32_e32 v9, 0x80000000, v19
	v_and_b32_e32 v9, v9, v36
	v_cmp_eq_u32_e32 vcc, v9, v37
	s_and_b64 exec, exec, vcc
	s_cbranch_execz .LBB147_435
; %bb.440:                              ;   in Loop: Header=BB147_436 Depth=2
	ds_write_b64 v15, v[18:19] offset:3072
	s_branch .LBB147_435
.LBB147_441:                            ;   in Loop: Header=BB147_12 Depth=1
	s_or_b64 exec, exec, s[6:7]
	s_and_b64 s[12:13], s[12:13], exec
.LBB147_442:                            ;   in Loop: Header=BB147_12 Depth=1
	s_or_b64 exec, exec, s[4:5]
	s_mov_b64 s[2:3], 0
	s_mov_b64 s[4:5], -1
.LBB147_443:                            ;   in Loop: Header=BB147_12 Depth=1
	s_and_b64 vcc, exec, s[2:3]
	s_mov_b64 s[6:7], s[2:3]
	s_cbranch_vccz .LBB147_459
; %bb.444:                              ;   in Loop: Header=BB147_12 Depth=1
	s_mov_b32 s92, s85
	s_cmp_lg_u64 s[92:93], 0
	s_cbranch_scc0 .LBB147_446
; %bb.445:                              ;   in Loop: Header=BB147_12 Depth=1
	v_cvt_f32_u32_e32 v2, s87
	s_sub_u32 s2, 0, s87
	s_subb_u32 s3, 0, 0
	v_mac_f32_e32 v2, 0, v35
	v_rcp_f32_e32 v2, v2
	v_mul_f32_e32 v2, 0x5f7ffffc, v2
	v_mul_f32_e32 v3, 0x2f800000, v2
	v_trunc_f32_e32 v3, v3
	v_mac_f32_e32 v2, 0xcf800000, v3
	v_cvt_u32_f32_e32 v3, v3
	v_cvt_u32_f32_e32 v2, v2
	v_readfirstlane_b32 s4, v3
	v_readfirstlane_b32 s5, v2
	s_mul_i32 s6, s2, s4
	s_mul_hi_u32 s12, s2, s5
	s_mul_i32 s7, s3, s5
	s_add_i32 s6, s12, s6
	s_mul_i32 s13, s2, s5
	s_add_i32 s6, s6, s7
	s_mul_hi_u32 s12, s5, s13
	s_mul_hi_u32 s7, s5, s6
	s_mul_i32 s5, s5, s6
	s_add_u32 s5, s12, s5
	s_addc_u32 s7, 0, s7
	s_mul_hi_u32 s49, s4, s13
	s_mul_i32 s13, s4, s13
	s_add_u32 s5, s5, s13
	s_mul_hi_u32 s12, s4, s6
	s_addc_u32 s5, s7, s49
	s_addc_u32 s7, s12, 0
	s_mul_i32 s6, s4, s6
	s_add_u32 s5, s5, s6
	s_addc_u32 s6, 0, s7
	v_add_co_u32_e32 v2, vcc, s5, v2
	s_cmp_lg_u64 vcc, 0
	s_addc_u32 s4, s4, s6
	v_readfirstlane_b32 s6, v2
	s_mul_i32 s5, s2, s4
	s_mul_hi_u32 s7, s2, s6
	s_add_i32 s5, s7, s5
	s_mul_i32 s3, s3, s6
	s_add_i32 s5, s5, s3
	s_mul_i32 s2, s2, s6
	s_mul_hi_u32 s7, s4, s2
	s_mul_i32 s12, s4, s2
	s_mul_i32 s49, s6, s5
	s_mul_hi_u32 s2, s6, s2
	s_mul_hi_u32 s13, s6, s5
	s_add_u32 s2, s2, s49
	s_addc_u32 s6, 0, s13
	s_add_u32 s2, s2, s12
	s_mul_hi_u32 s3, s4, s5
	s_addc_u32 s2, s6, s7
	s_addc_u32 s3, s3, 0
	s_mul_i32 s5, s4, s5
	s_add_u32 s2, s2, s5
	s_addc_u32 s3, 0, s3
	v_add_co_u32_e32 v2, vcc, s2, v2
	s_cmp_lg_u64 vcc, 0
	s_addc_u32 s2, s4, s3
	v_readlane_b32 s12, v46, 35
	v_readfirstlane_b32 s5, v2
	s_mul_i32 s4, s12, s2
	s_mul_hi_u32 s6, s12, s5
	s_mul_hi_u32 s3, s12, s2
	s_add_u32 s4, s6, s4
	s_addc_u32 s3, 0, s3
	s_mul_hi_u32 s7, s93, s5
	s_mul_i32 s5, s93, s5
	s_add_u32 s4, s4, s5
	s_mul_hi_u32 s6, s93, s2
	s_addc_u32 s3, s3, s7
	s_addc_u32 s4, s6, 0
	s_mul_i32 s2, s93, s2
	s_add_u32 s2, s3, s2
	s_addc_u32 s3, 0, s4
	s_mul_hi_u32 s4, s87, s2
	s_mul_i32 s2, s87, s2
	s_mul_i32 s3, s87, s3
	v_mov_b32_e32 v2, s2
	s_add_i32 s4, s4, s3
	v_sub_co_u32_e32 v2, vcc, s12, v2
	s_cmp_lg_u64 vcc, 0
	s_subb_u32 s2, s93, s4
	v_subrev_co_u32_e32 v3, vcc, s87, v2
	s_cmp_lg_u64 vcc, 0
	s_subb_u32 s3, s2, 0
	v_subrev_co_u32_e32 v6, vcc, s87, v3
	s_cmp_lg_u64 vcc, 0
	s_subb_u32 s4, s3, 0
	v_cmp_le_u32_e32 vcc, s87, v3
	s_cmp_eq_u32 s3, 0
	v_cndmask_b32_e64 v7, 0, -1, vcc
	s_cselect_b64 vcc, -1, 0
	v_cndmask_b32_e32 v7, -1, v7, vcc
	v_mov_b32_e32 v8, s3
	v_mov_b32_e32 v9, s4
	v_cmp_ne_u32_e32 vcc, 0, v7
	v_cndmask_b32_e32 v7, v8, v9, vcc
	v_cndmask_b32_e32 v6, v3, v6, vcc
	v_cmp_le_u32_e32 vcc, s87, v2
	s_cmp_eq_u32 s2, 0
	v_cndmask_b32_e64 v3, 0, -1, vcc
	s_cselect_b64 vcc, -1, 0
	v_cndmask_b32_e32 v3, -1, v3, vcc
	v_mov_b32_e32 v8, s2
	v_cmp_ne_u32_e32 vcc, 0, v3
	v_cndmask_b32_e32 v3, v8, v7, vcc
	v_cndmask_b32_e32 v2, v2, v6, vcc
	s_mov_b64 s[2:3], 0
	s_branch .LBB147_447
.LBB147_446:                            ;   in Loop: Header=BB147_12 Depth=1
	s_mov_b64 s[2:3], -1
                                        ; implicit-def: $vgpr2_vgpr3
.LBB147_447:                            ;   in Loop: Header=BB147_12 Depth=1
	s_andn2_b64 vcc, exec, s[2:3]
	s_cbranch_vccnz .LBB147_449
; %bb.448:                              ;   in Loop: Header=BB147_12 Depth=1
	v_cvt_f32_u32_e32 v2, s87
	s_sub_i32 s2, 0, s87
	v_rcp_iflag_f32_e32 v2, v2
	v_mul_f32_e32 v2, 0x4f7ffffe, v2
	v_cvt_u32_f32_e32 v2, v2
	v_mul_lo_u32 v3, s2, v2
	v_mul_hi_u32 v3, v2, v3
	v_add_u32_e32 v2, v2, v3
	v_readlane_b32 s2, v46, 35
	v_mul_hi_u32 v2, s2, v2
	v_mul_lo_u32 v2, v2, s87
	v_sub_u32_e32 v2, s2, v2
	v_subrev_u32_e32 v3, s87, v2
	v_cmp_le_u32_e32 vcc, s87, v2
	v_cndmask_b32_e32 v2, v2, v3, vcc
	v_subrev_u32_e32 v3, s87, v2
	v_cmp_le_u32_e32 vcc, s87, v2
	v_cndmask_b32_e32 v14, v2, v3, vcc
	v_pk_mov_b32 v[2:3], v[14:15], v[14:15] op_sel:[0,1]
.LBB147_449:                            ;   in Loop: Header=BB147_12 Depth=1
	v_readlane_b32 s2, v46, 35
	v_mov_b32_e32 v6, s93
	v_sub_co_u32_e32 v2, vcc, s2, v2
	v_subb_co_u32_e32 v3, vcc, v6, v3, vcc
	v_cmp_gt_u64_e32 vcc, v[2:3], v[0:1]
	s_mov_b64 s[12:13], 0
                                        ; implicit-def: $vgpr21
	s_and_saveexec_b64 s[2:3], vcc
	s_cbranch_execz .LBB147_458
; %bb.450:                              ;   in Loop: Header=BB147_12 Depth=1
	s_mov_b64 s[4:5], 0
	v_pk_mov_b32 v[6:7], v[0:1], v[0:1] op_sel:[0,1]
                                        ; implicit-def: $sgpr12_sgpr13
	s_branch .LBB147_452
.LBB147_451:                            ;   in Loop: Header=BB147_452 Depth=2
	s_or_b64 exec, exec, s[6:7]
	s_waitcnt lgkmcnt(0)
	s_barrier
	ds_read_b64 v[20:21], v15 offset:3072
	v_mov_b32_e32 v8, s88
	v_add_co_u32_e32 v6, vcc, s87, v6
	v_addc_co_u32_e32 v7, vcc, v7, v8, vcc
	s_waitcnt lgkmcnt(0)
	v_readfirstlane_b32 s6, v20
	s_cmp_lg_u32 s6, 0
	s_cselect_b64 s[6:7], -1, 0
	v_cmp_ge_u64_e32 vcc, v[6:7], v[2:3]
	s_or_b64 s[54:55], vcc, s[6:7]
	s_and_b64 s[54:55], exec, s[54:55]
	s_or_b64 s[4:5], s[54:55], s[4:5]
	s_andn2_b64 s[12:13], s[12:13], exec
	s_and_b64 s[6:7], s[6:7], exec
	s_or_b64 s[12:13], s[12:13], s[6:7]
	s_barrier
	s_andn2_b64 exec, exec, s[4:5]
	s_cbranch_execz .LBB147_457
.LBB147_452:                            ;   Parent Loop BB147_12 Depth=1
                                        ; =>  This Inner Loop Header: Depth=2
	v_cmp_gt_u64_e32 vcc, s[60:61], v[6:7]
	s_waitcnt vmcnt(0)
	v_mov_b32_e32 v19, 0
	s_and_saveexec_b64 s[54:55], vcc
	s_cbranch_execz .LBB147_454
; %bb.453:                              ;   in Loop: Header=BB147_452 Depth=2
	v_mul_lo_u32 v14, v7, s58
	v_mul_lo_u32 v19, v6, s59
	v_mad_u64_u32 v[8:9], s[6:7], v6, s58, 0
	v_add3_u32 v9, v9, v19, v14
	v_lshlrev_b64 v[8:9], 2, v[8:9]
	v_mov_b32_e32 v14, s86
	v_add_co_u32_e64 v8, s[6:7], s33, v8
	v_addc_co_u32_e64 v9, s[6:7], v14, v9, s[6:7]
	global_load_dword v19, v[8:9], off
.LBB147_454:                            ;   in Loop: Header=BB147_452 Depth=2
	s_or_b64 exec, exec, s[54:55]
	s_and_saveexec_b64 s[6:7], vcc
	s_cbranch_execz .LBB147_451
; %bb.455:                              ;   in Loop: Header=BB147_452 Depth=2
	s_waitcnt vmcnt(0)
	v_xor_b32_e32 v8, 0x80000000, v19
	v_and_b32_e32 v8, v8, v36
	v_cmp_eq_u32_e32 vcc, v8, v37
	s_and_b64 exec, exec, vcc
	s_cbranch_execz .LBB147_451
; %bb.456:                              ;   in Loop: Header=BB147_452 Depth=2
	ds_write_b64 v15, v[18:19] offset:3072
	s_branch .LBB147_451
.LBB147_457:                            ;   in Loop: Header=BB147_12 Depth=1
	s_or_b64 exec, exec, s[4:5]
	s_and_b64 s[12:13], s[12:13], exec
.LBB147_458:                            ;   in Loop: Header=BB147_12 Depth=1
	s_or_b64 exec, exec, s[2:3]
	s_mov_b64 s[4:5], 0
	s_mov_b64 s[2:3], -1
	s_mov_b64 s[6:7], 0
.LBB147_459:                            ;   in Loop: Header=BB147_12 Depth=1
	s_orn2_b64 s[54:55], s[12:13], exec
.LBB147_460:                            ;   in Loop: Header=BB147_12 Depth=1
	s_or_b64 exec, exec, s[52:53]
	s_mov_b64 s[52:53], 0
                                        ; implicit-def: $vgpr8
                                        ; implicit-def: $vgpr2_vgpr3
	s_and_saveexec_b64 s[12:13], s[54:55]
	s_cbranch_execz .LBB147_472
; %bb.461:                              ;   in Loop: Header=BB147_12 Depth=1
	v_mov_b32_e32 v2, 1
	s_xor_b64 s[52:53], s[10:11], -1
	v_mov_b32_e32 v8, 1
	v_mov_b32_e32 v3, 0
	s_and_saveexec_b64 s[10:11], s[52:53]
	s_cbranch_execz .LBB147_471
; %bb.462:                              ;   in Loop: Header=BB147_12 Depth=1
	v_cmp_ge_u64_e32 vcc, s[16:17], v[4:5]
                                        ; implicit-def: $sgpr49
	s_and_saveexec_b64 s[52:53], vcc
	s_xor_b64 s[52:53], exec, s[52:53]
	s_cbranch_execz .LBB147_468
; %bb.463:                              ;   in Loop: Header=BB147_12 Depth=1
	ds_read_b64 v[2:3], v15 offset:5120
	s_waitcnt lgkmcnt(0)
	v_cmp_ne_u64_e32 vcc, 0, v[2:3]
	s_cbranch_vccnz .LBB147_467
; %bb.464:                              ;   in Loop: Header=BB147_12 Depth=1
	s_mov_b64 s[54:55], exec
	v_readlane_b32 s90, v46, 12
	v_readlane_b32 s91, v46, 13
	s_and_b64 s[90:91], s[54:55], s[90:91]
	s_mov_b64 exec, s[90:91]
	s_cbranch_execz .LBB147_466
; %bb.465:                              ;   in Loop: Header=BB147_12 Depth=1
	v_pk_mov_b32 v[2:3], s[16:17], s[16:17] op_sel:[0,1]
	ds_write_b64 v15, v[2:3] offset:5128
.LBB147_466:                            ;   in Loop: Header=BB147_12 Depth=1
	s_or_b64 exec, exec, s[54:55]
	s_waitcnt lgkmcnt(0)
	s_barrier
.LBB147_467:                            ;   in Loop: Header=BB147_12 Depth=1
	v_and_b32_e32 v37, s48, v37
	v_or_b32_e32 v36, s84, v36
	s_mov_b32 s49, 5
.LBB147_468:                            ;   in Loop: Header=BB147_12 Depth=1
	s_or_saveexec_b64 s[52:53], s[52:53]
	v_mov_b32_e32 v8, s49
	s_xor_b64 exec, exec, s[52:53]
; %bb.469:                              ;   in Loop: Header=BB147_12 Depth=1
	v_mov_b32_e32 v2, s17
	v_subrev_co_u32_e32 v4, vcc, s16, v4
	v_subb_co_u32_e32 v5, vcc, v5, v2, vcc
	v_mov_b32_e32 v8, 5
; %bb.470:                              ;   in Loop: Header=BB147_12 Depth=1
	s_or_b64 exec, exec, s[52:53]
	v_pk_mov_b32 v[2:3], v[4:5], v[4:5] op_sel:[0,1]
.LBB147_471:                            ;   in Loop: Header=BB147_12 Depth=1
	s_or_b64 exec, exec, s[10:11]
	s_mov_b64 s[52:53], exec
.LBB147_472:                            ;   in Loop: Header=BB147_12 Depth=1
	s_or_b64 exec, exec, s[12:13]
	s_orn2_b64 s[10:11], s[52:53], exec
	v_pk_mov_b32 v[4:5], v[2:3], v[2:3] op_sel:[0,1]
.LBB147_473:                            ;   in Loop: Header=BB147_12 Depth=1
	s_or_b64 exec, exec, s[18:19]
	s_andn2_b64 s[8:9], s[8:9], exec
	s_and_b64 s[2:3], s[2:3], exec
	s_or_b64 s[8:9], s[8:9], s[2:3]
	s_andn2_b64 s[2:3], s[46:47], exec
	s_and_b64 s[4:5], s[4:5], exec
	s_or_b64 s[46:47], s[2:3], s[4:5]
	;; [unrolled: 3-line block ×3, first 2 shown]
	s_and_b64 s[2:3], s[10:11], exec
	v_pk_mov_b32 v[2:3], v[4:5], v[4:5] op_sel:[0,1]
.LBB147_474:                            ;   in Loop: Header=BB147_12 Depth=1
	s_or_b64 exec, exec, s[50:51]
	s_and_b64 s[8:9], s[8:9], exec
	s_and_b64 s[6:7], s[46:47], exec
	;; [unrolled: 1-line block ×3, first 2 shown]
	s_orn2_b64 s[2:3], s[2:3], exec
.LBB147_475:                            ;   in Loop: Header=BB147_12 Depth=1
	s_or_b64 exec, exec, s[22:23]
	s_andn2_b64 s[10:11], s[36:37], exec
	s_and_b64 s[8:9], s[8:9], exec
	s_or_b64 s[36:37], s[10:11], s[8:9]
	s_andn2_b64 s[8:9], s[40:41], exec
	s_and_b64 s[6:7], s[6:7], exec
	s_or_b64 s[40:41], s[8:9], s[6:7]
	;; [unrolled: 3-line block ×3, first 2 shown]
	s_and_b64 s[6:7], s[2:3], exec
	v_pk_mov_b32 v[4:5], v[2:3], v[2:3] op_sel:[0,1]
.LBB147_476:                            ;   in Loop: Header=BB147_12 Depth=1
	s_or_b64 exec, exec, s[44:45]
	s_and_b64 s[8:9], s[36:37], exec
	s_and_b64 s[4:5], s[40:41], exec
	s_and_b64 s[2:3], s[42:43], exec
	s_orn2_b64 s[12:13], s[6:7], exec
.LBB147_477:                            ;   in Loop: Header=BB147_12 Depth=1
	s_or_b64 exec, exec, s[24:25]
	s_mov_b64 s[6:7], s[28:29]
	s_mov_b64 s[10:11], s[26:27]
	s_and_saveexec_b64 s[16:17], s[12:13]
; %bb.478:                              ;   in Loop: Header=BB147_12 Depth=1
	v_cmp_ne_u32_e64 s[6:7], 5, v8
	v_cmp_eq_u32_e32 vcc, 5, v8
	s_andn2_b64 s[10:11], s[26:27], exec
	s_and_b64 s[6:7], s[6:7], exec
	s_or_b64 s[10:11], s[10:11], s[6:7]
	s_andn2_b64 s[6:7], s[28:29], exec
	s_and_b64 s[12:13], vcc, exec
	s_andn2_b64 s[8:9], s[8:9], exec
	s_andn2_b64 s[4:5], s[4:5], exec
	;; [unrolled: 1-line block ×3, first 2 shown]
	s_or_b64 s[6:7], s[6:7], s[12:13]
; %bb.479:                              ;   in Loop: Header=BB147_12 Depth=1
	s_or_b64 exec, exec, s[16:17]
	s_andn2_b64 s[12:13], s[14:15], exec
	s_and_b64 s[8:9], s[8:9], exec
	s_or_b64 s[14:15], s[12:13], s[8:9]
	s_andn2_b64 s[8:9], s[38:39], exec
	s_and_b64 s[4:5], s[4:5], exec
	s_or_b64 s[38:39], s[8:9], s[4:5]
	;; [unrolled: 3-line block ×5, first 2 shown]
	v_mov_b32_e32 v20, v37
	v_mov_b32_e32 v24, v36
	;; [unrolled: 1-line block ×3, first 2 shown]
.LBB147_480:                            ;   in Loop: Header=BB147_12 Depth=1
	s_or_b64 exec, exec, s[34:35]
	s_mov_b64 s[36:37], s[20:21]
	s_mov_b64 s[34:35], s[20:21]
	s_and_saveexec_b64 s[2:3], s[28:29]
.LBB147_481:                            ;   in Loop: Header=BB147_12 Depth=1
	v_mov_b32_e32 v8, 0
	s_andn2_b64 s[20:21], s[20:21], exec
	s_andn2_b64 s[14:15], s[14:15], exec
	;; [unrolled: 1-line block ×5, first 2 shown]
	s_or_b64 s[26:27], s[26:27], exec
.LBB147_482:                            ;   in Loop: Header=BB147_12 Depth=1
	s_or_b64 exec, exec, s[2:3]
	s_andn2_b64 s[2:3], s[82:83], exec
	s_and_b64 s[6:7], s[20:21], exec
	s_or_b64 s[82:83], s[2:3], s[6:7]
	s_andn2_b64 s[2:3], s[80:81], exec
	s_and_b64 s[6:7], s[14:15], exec
	s_or_b64 s[80:81], s[2:3], s[6:7]
	;; [unrolled: 3-line block ×4, first 2 shown]
	s_andn2_b64 s[2:3], s[74:75], exec
	s_and_b64 s[6:7], s[34:35], exec
	s_mov_b64 s[4:5], -1
	s_or_b64 s[74:75], s[2:3], s[6:7]
                                        ; implicit-def: $vgpr36
                                        ; implicit-def: $vgpr37
                                        ; implicit-def: $vgpr22_vgpr23
                                        ; implicit-def: $vgpr21
	s_and_saveexec_b64 s[2:3], s[26:27]
	s_xor_b64 s[2:3], exec, s[2:3]
	s_cbranch_execz .LBB147_11
; %bb.483:                              ;   in Loop: Header=BB147_12 Depth=1
	v_cmp_eq_u32_e32 vcc, 0, v8
	s_mov_b64 s[6:7], -1
	s_and_saveexec_b64 s[8:9], vcc
	s_cbranch_execz .LBB147_10
; %bb.484:                              ;   in Loop: Header=BB147_12 Depth=1
	v_readlane_b32 s4, v46, 50
	s_xor_b32 s4, s4, 1
	s_add_i32 s10, s89, -2
	s_cmp_eq_u32 s89, 0
	v_writelane_b32 v46, s4, 50
	s_cselect_b64 s[4:5], -1, 0
	s_xor_b64 s[6:7], exec, -1
	s_orn2_b64 s[4:5], s[4:5], exec
	s_mov_b32 s89, s10
	s_branch .LBB147_10
.LBB147_485:
	s_or_b64 exec, exec, s[64:65]
	s_xor_b64 s[4:5], s[72:73], -1
	s_xor_b64 s[14:15], s[78:79], -1
	;; [unrolled: 1-line block ×5, first 2 shown]
	s_mov_b64 s[8:9], 0
	s_and_saveexec_b64 s[10:11], s[6:7]
	s_xor_b64 s[6:7], exec, s[10:11]
	s_cbranch_execnz .LBB147_490
; %bb.486:
	s_andn2_saveexec_b64 s[0:1], s[6:7]
	s_cbranch_execnz .LBB147_509
.LBB147_487:
	s_or_b64 exec, exec, s[0:1]
	s_and_saveexec_b64 s[0:1], s[8:9]
.LBB147_488:
	; divergent unreachable
.LBB147_489:
	s_endpgm
.LBB147_490:
	s_mov_b64 s[10:11], 0
	s_and_saveexec_b64 s[8:9], s[12:13]
	s_xor_b64 s[8:9], exec, s[8:9]
	s_cbranch_execz .LBB147_507
; %bb.491:
	s_mov_b64 s[12:13], 0
	s_and_saveexec_b64 s[10:11], s[14:15]
	s_xor_b64 s[10:11], exec, s[10:11]
	s_cbranch_execz .LBB147_505
; %bb.492:
	;; [unrolled: 5-line block ×3, first 2 shown]
	s_and_saveexec_b64 s[4:5], s[2:3]
	s_xor_b64 s[2:3], exec, s[4:5]
; %bb.494:
	v_xor_b32_e32 v3, 0x80000000, v20
; %bb.495:
	s_or_b64 exec, exec, s[2:3]
	s_mov_b64 s[2:3], exec
	v_readlane_b32 s4, v46, 12
	v_readlane_b32 s5, v46, 13
	;; [unrolled: 1-line block ×4, first 2 shown]
	s_and_b64 s[4:5], s[2:3], s[4:5]
	v_readlane_b32 s39, v46, 21
	v_readlane_b32 s21, v46, 45
	;; [unrolled: 1-line block ×4, first 2 shown]
	s_mov_b64 exec, s[4:5]
	s_cbranch_execz .LBB147_497
; %bb.496:
	v_mov_b32_e32 v4, 0
	v_mov_b32_e32 v5, v4
	ds_write_b64 v4, v[4:5] offset:5136
.LBB147_497:
	s_or_b64 exec, exec, s[2:3]
	v_mov_b32_e32 v2, 0
	s_waitcnt lgkmcnt(0)
	s_barrier
	s_mov_b64 s[2:3], exec
	v_readlane_b32 s4, v46, 28
	v_readlane_b32 s5, v46, 29
	s_and_b64 s[4:5], s[2:3], s[4:5]
	s_mov_b64 exec, s[4:5]
	s_cbranch_execz .LBB147_499
; %bb.498:
	global_load_dword v2, v[12:13], off
.LBB147_499:
	s_or_b64 exec, exec, s[2:3]
	s_add_u32 s2, s60, 63
	s_addc_u32 s15, s61, 0
	s_and_b32 s14, s2, 0xffffffc0
	v_readlane_b32 s4, v46, 2
	v_readlane_b32 s2, v46, 0
	;; [unrolled: 1-line block ×4, first 2 shown]
	s_mov_b32 s16, s2
	s_mul_i32 s2, s2, s5
	s_mul_hi_u32 s3, s16, s4
	s_add_i32 s3, s3, s2
	s_mul_i32 s2, s16, s4
	v_readlane_b32 s24, v46, 16
	s_sub_u32 s2, s18, s2
	v_readlane_b32 s26, v46, 18
	v_readlane_b32 s27, v46, 19
	s_subb_u32 s3, 0, s3
	s_mul_i32 s4, s2, s27
	s_mul_hi_u32 s5, s2, s26
	v_readlane_b32 s25, v46, 17
	s_add_i32 s4, s5, s4
	s_mul_i32 s3, s3, s26
	s_add_i32 s3, s4, s3
	s_mul_i32 s4, s16, s25
	s_mul_hi_u32 s5, s16, s24
	s_add_i32 s5, s5, s4
	s_mul_i32 s4, s16, s24
	v_readlane_b32 s22, v46, 6
	v_readlane_b32 s16, v46, 4
	;; [unrolled: 1-line block ×4, first 2 shown]
	s_mov_b32 s24, s16
	s_mul_i32 s16, s16, s23
	s_mul_hi_u32 s17, s24, s22
	s_add_i32 s17, s17, s16
	s_mul_i32 s16, s24, s22
	v_readlane_b32 s28, v46, 46
	s_sub_u32 s16, s18, s16
	v_readlane_b32 s30, v46, 48
	v_readlane_b32 s31, v46, 49
	s_subb_u32 s17, 0, s17
	s_mul_i32 s18, s16, s31
	s_mul_hi_u32 s19, s16, s30
	v_readlane_b32 s29, v46, 47
	s_add_i32 s18, s19, s18
	s_mul_i32 s17, s17, s30
	s_add_i32 s17, s18, s17
	s_mul_i32 s18, s24, s29
	s_mul_hi_u32 s19, s24, s28
	s_add_i32 s19, s19, s18
	s_lshl_b64 s[4:5], s[4:5], 2
	v_readlane_b32 s22, v46, 10
	s_mul_i32 s2, s2, s26
	v_readlane_b32 s23, v46, 11
	s_add_u32 s4, s22, s4
	s_addc_u32 s5, s23, s5
	s_lshl_b64 s[2:3], s[2:3], 2
	s_mul_i32 s18, s24, s28
	s_add_u32 s46, s4, s2
	s_addc_u32 s47, s5, s3
	s_lshl_b64 s[2:3], s[18:19], 3
	v_readlane_b32 s4, v46, 8
	s_mul_i32 s16, s16, s30
	v_readlane_b32 s5, v46, 9
	s_add_u32 s4, s4, s2
	s_addc_u32 s5, s5, s3
	s_lshl_b64 s[2:3], s[16:17], 3
	s_load_dwordx2 s[16:17], s[20:21], 0x368
	s_load_dwordx2 s[18:19], s[20:21], 0x510
	s_add_u32 s48, s4, s2
	s_addc_u32 s49, s5, s3
	v_cmp_gt_u64_e32 vcc, s[14:15], v[0:1]
	s_mov_b64 s[22:23], -1
	s_mov_b64 s[2:3], 0
	s_mov_b64 s[4:5], 0
	s_and_saveexec_b64 s[20:21], vcc
	s_cbranch_execnz .LBB147_510
; %bb.500:
	s_or_b64 exec, exec, s[20:21]
	s_and_saveexec_b64 s[20:21], s[22:23]
	s_cbranch_execnz .LBB147_525
.LBB147_501:
	s_or_b64 exec, exec, s[20:21]
	s_and_saveexec_b64 s[0:1], s[4:5]
	s_xor_b64 s[0:1], exec, s[0:1]
	s_cbranch_execnz .LBB147_547
.LBB147_502:
	s_or_b64 exec, exec, s[0:1]
	s_and_b64 s[14:15], s[2:3], exec
.LBB147_503:
	s_andn2_saveexec_b64 s[0:1], s[12:13]
	s_cbranch_execnz .LBB147_550
.LBB147_504:
	s_or_b64 exec, exec, s[0:1]
	s_and_b64 s[12:13], s[14:15], exec
.LBB147_505:
	s_andn2_saveexec_b64 s[0:1], s[10:11]
	s_cbranch_execnz .LBB147_549
.LBB147_506:
	s_or_b64 exec, exec, s[0:1]
	s_and_b64 s[10:11], s[12:13], exec
.LBB147_507:
	s_andn2_saveexec_b64 s[0:1], s[8:9]
	s_cbranch_execnz .LBB147_548
.LBB147_508:
	s_or_b64 exec, exec, s[0:1]
	s_and_b64 s[8:9], s[10:11], exec
	s_andn2_saveexec_b64 s[0:1], s[6:7]
	s_cbranch_execz .LBB147_487
.LBB147_509:
	s_or_b64 s[8:9], s[8:9], exec
	s_trap 2
	s_or_b64 exec, exec, s[0:1]
	s_and_saveexec_b64 s[0:1], s[8:9]
	s_cbranch_execnz .LBB147_488
	s_branch .LBB147_489
.LBB147_510:
	v_xor_b32_e32 v18, 0x80000000, v3
	s_mov_b64 s[22:23], 0
	s_waitcnt vmcnt(0)
	v_mov_b32_e32 v19, s88
	v_mov_b32_e32 v5, 0
	v_pk_mov_b32 v[14:15], v[0:1], v[0:1] op_sel:[0,1]
                                        ; implicit-def: $sgpr24_sgpr25
                                        ; implicit-def: $vgpr8_vgpr9
	s_branch .LBB147_512
.LBB147_511:                            ;   in Loop: Header=BB147_512 Depth=1
	s_or_b64 exec, exec, s[26:27]
	s_xor_b64 s[26:27], s[30:31], -1
	s_and_b64 s[4:5], exec, s[4:5]
	s_or_b64 s[22:23], s[4:5], s[22:23]
	s_andn2_b64 s[4:5], s[24:25], exec
	s_and_b64 s[24:25], s[26:27], exec
	s_or_b64 s[24:25], s[4:5], s[24:25]
	s_waitcnt vmcnt(0)
	v_mov_b32_e32 v2, v20
	v_pk_mov_b32 v[14:15], v[6:7], v[6:7] op_sel:[0,1]
	s_andn2_b64 exec, exec, s[22:23]
	s_cbranch_execz .LBB147_524
.LBB147_512:                            ; =>This Inner Loop Header: Depth=1
	v_add_co_u32_e32 v6, vcc, s87, v14
	v_addc_co_u32_e32 v7, vcc, v15, v19, vcc
	v_cmp_gt_u64_e32 vcc, s[60:61], v[6:7]
	v_mov_b32_e32 v20, 0
	s_and_saveexec_b64 s[4:5], vcc
	s_cbranch_execz .LBB147_514
; %bb.513:                              ;   in Loop: Header=BB147_512 Depth=1
	v_mul_lo_u32 v4, v7, s58
	v_mul_lo_u32 v20, v6, s59
	v_mad_u64_u32 v[16:17], s[26:27], v6, s58, 0
	v_add3_u32 v17, v17, v20, v4
	v_lshlrev_b64 v[16:17], 2, v[16:17]
	v_mov_b32_e32 v4, s86
	v_add_co_u32_e32 v16, vcc, s33, v16
	v_addc_co_u32_e32 v17, vcc, v4, v17, vcc
	global_load_dword v20, v[16:17], off
.LBB147_514:                            ;   in Loop: Header=BB147_512 Depth=1
	s_or_b64 exec, exec, s[4:5]
	v_xor_b32_e32 v4, 0x80000000, v2
	v_cmp_gt_u32_e64 s[4:5], v4, v18
	v_cndmask_b32_e64 v16, 0, 1, s[4:5]
	v_cmp_lt_u32_e64 s[4:5], v4, v18
	v_cndmask_b32_e64 v4, 0, 1, s[4:5]
	v_cndmask_b32_e64 v4, v4, v16, s[38:39]
	v_and_b32_e32 v4, 1, v4
	v_cmp_gt_u64_e32 vcc, s[60:61], v[14:15]
	v_cmp_eq_u32_e64 s[4:5], 1, v4
	s_and_b64 s[28:29], vcc, s[4:5]
	v_cndmask_b32_e64 v4, 0, 1, s[28:29]
	v_cmp_ne_u32_e32 vcc, 0, v4
	s_cmp_lg_u64 vcc, 0
	s_cselect_b64 s[4:5], -1, 0
	s_and_b64 s[4:5], s[0:1], s[4:5]
	s_and_saveexec_b64 s[26:27], s[4:5]
	s_cbranch_execz .LBB147_518
; %bb.515:                              ;   in Loop: Header=BB147_512 Depth=1
	s_mov_b64 s[34:35], exec
	v_mbcnt_lo_u32_b32 v4, s34, 0
	v_mbcnt_hi_u32_b32 v16, s35, v4
	s_bcnt1_i32_b64 s36, vcc
	v_cmp_eq_u32_e64 s[4:5], 0, v16
                                        ; implicit-def: $vgpr8_vgpr9
	s_and_saveexec_b64 s[30:31], s[4:5]
	s_cbranch_execz .LBB147_517
; %bb.516:                              ;   in Loop: Header=BB147_512 Depth=1
	s_bcnt1_i32_b64 s4, s[34:35]
	s_mul_i32 s4, s36, s4
	v_mov_b32_e32 v4, s4
	s_waitcnt lgkmcnt(0)
	ds_add_rtn_u64 v[8:9], v5, v[4:5] offset:5136
.LBB147_517:                            ;   in Loop: Header=BB147_512 Depth=1
	s_or_b64 exec, exec, s[30:31]
	s_waitcnt lgkmcnt(0)
	v_readfirstlane_b32 s4, v9
	v_readfirstlane_b32 s5, v8
	v_mov_b32_e32 v8, s5
	v_mov_b32_e32 v9, s4
	v_mad_u64_u32 v[8:9], s[4:5], s36, v16, v[8:9]
.LBB147_518:                            ;   in Loop: Header=BB147_512 Depth=1
	s_or_b64 exec, exec, s[26:27]
	s_waitcnt lgkmcnt(0)
	ds_bpermute_b32 v8, v28, v8
	ds_bpermute_b32 v9, v28, v9
	s_mov_b64 s[4:5], -1
	s_mov_b64 s[34:35], -1
                                        ; implicit-def: $sgpr30_sgpr31
	s_and_saveexec_b64 s[26:27], s[28:29]
	s_cbranch_execz .LBB147_522
; %bb.519:                              ;   in Loop: Header=BB147_512 Depth=1
	v_and_b32_e32 v16, vcc_lo, v10
	v_and_b32_e32 v4, vcc_hi, v11
	v_bcnt_u32_b32 v16, v16, 0
	v_bcnt_u32_b32 v4, v4, v16
	s_waitcnt lgkmcnt(0)
	v_add_co_u32_e32 v16, vcc, v8, v4
	v_addc_co_u32_e32 v17, vcc, 0, v9, vcc
	v_cmp_gt_u64_e32 vcc, s[62:63], v[16:17]
	s_mov_b64 s[28:29], 0
	s_and_saveexec_b64 s[30:31], vcc
	s_cbranch_execz .LBB147_521
; %bb.520:                              ;   in Loop: Header=BB147_512 Depth=1
	v_mul_lo_u32 v4, v17, s16
	v_mul_lo_u32 v21, v16, s17
	v_mad_u64_u32 v[22:23], s[34:35], v16, s16, 0
	v_add3_u32 v23, v23, v21, v4
	v_mul_lo_u32 v4, v17, s18
	v_mul_lo_u32 v21, v16, s19
	v_mad_u64_u32 v[16:17], s[34:35], v16, s18, 0
	v_lshlrev_b64 v[22:23], 2, v[22:23]
	v_add3_u32 v17, v17, v21, v4
	v_mov_b32_e32 v4, s47
	v_add_co_u32_e32 v22, vcc, s46, v22
	v_addc_co_u32_e32 v23, vcc, v4, v23, vcc
	v_lshlrev_b64 v[16:17], 3, v[16:17]
	global_store_dword v[22:23], v2, off
	v_mov_b32_e32 v2, s49
	v_add_co_u32_e32 v16, vcc, s48, v16
	s_mov_b64 s[28:29], exec
	v_addc_co_u32_e32 v17, vcc, v2, v17, vcc
	global_store_dwordx2 v[16:17], v[14:15], off
.LBB147_521:                            ;   in Loop: Header=BB147_512 Depth=1
	s_or_b64 exec, exec, s[30:31]
	s_mov_b64 s[30:31], -1
	s_orn2_b64 s[34:35], s[28:29], exec
.LBB147_522:                            ;   in Loop: Header=BB147_512 Depth=1
	s_or_b64 exec, exec, s[26:27]
	s_and_saveexec_b64 s[26:27], s[34:35]
	s_cbranch_execz .LBB147_511
; %bb.523:                              ;   in Loop: Header=BB147_512 Depth=1
	v_cmp_le_u64_e32 vcc, s[14:15], v[6:7]
	s_andn2_b64 s[30:31], s[30:31], exec
	s_orn2_b64 s[4:5], vcc, exec
	s_branch .LBB147_511
.LBB147_524:
	s_or_b64 exec, exec, s[22:23]
	s_mov_b64 s[4:5], exec
	s_orn2_b64 s[22:23], s[24:25], exec
	s_or_b64 exec, exec, s[20:21]
	s_and_saveexec_b64 s[20:21], s[22:23]
	s_cbranch_execz .LBB147_501
.LBB147_525:
	v_mov_b32_e32 v5, 0
	s_waitcnt vmcnt(0)
	v_mov_b32_e32 v2, 0
	s_waitcnt lgkmcnt(0)
	s_barrier
	s_mov_b64 s[2:3], exec
	v_readlane_b32 s22, v46, 28
	v_readlane_b32 s23, v46, 29
	s_and_b64 s[22:23], s[2:3], s[22:23]
	s_mov_b64 exec, s[22:23]
	s_cbranch_execz .LBB147_527
; %bb.526:
	global_load_dword v2, v[12:13], off
.LBB147_527:
	s_or_b64 exec, exec, s[2:3]
	s_mov_b64 s[24:25], 0
                                        ; implicit-def: $sgpr22_sgpr23
                                        ; implicit-def: $sgpr26_sgpr27
                                        ; implicit-def: $sgpr28_sgpr29
                                        ; implicit-def: $vgpr6_vgpr7
	s_branch .LBB147_530
.LBB147_528:                            ;   in Loop: Header=BB147_530 Depth=1
	s_or_b64 exec, exec, s[36:37]
	s_andn2_b64 s[28:29], s[28:29], exec
	s_and_b64 s[34:35], s[40:41], exec
	s_andn2_b64 s[26:27], s[26:27], exec
	s_and_b64 s[2:3], s[2:3], exec
	s_or_b64 s[28:29], s[28:29], s[34:35]
	s_or_b64 s[26:27], s[26:27], s[2:3]
	v_pk_mov_b32 v[0:1], v[8:9], v[8:9] op_sel:[0,1]
.LBB147_529:                            ;   in Loop: Header=BB147_530 Depth=1
	s_or_b64 exec, exec, s[30:31]
	s_xor_b64 s[2:3], s[28:29], -1
	s_and_b64 s[30:31], exec, s[26:27]
	s_or_b64 s[24:25], s[30:31], s[24:25]
	s_andn2_b64 s[22:23], s[22:23], exec
	s_and_b64 s[2:3], s[2:3], exec
	s_or_b64 s[22:23], s[22:23], s[2:3]
	s_andn2_b64 exec, exec, s[24:25]
	s_cbranch_execz .LBB147_545
.LBB147_530:                            ; =>This Inner Loop Header: Depth=1
	v_cmp_gt_u64_e32 vcc, s[14:15], v[0:1]
	s_or_b64 s[28:29], s[28:29], exec
	s_or_b64 s[26:27], s[26:27], exec
	s_and_saveexec_b64 s[30:31], vcc
	s_cbranch_execz .LBB147_529
; %bb.531:                              ;   in Loop: Header=BB147_530 Depth=1
	v_mov_b32_e32 v4, s88
	v_add_co_u32_e32 v8, vcc, s87, v0
	v_addc_co_u32_e32 v9, vcc, v1, v4, vcc
	v_cmp_gt_u64_e32 vcc, s[60:61], v[8:9]
	v_mov_b32_e32 v14, 0
	s_and_saveexec_b64 s[2:3], vcc
	s_cbranch_execz .LBB147_533
; %bb.532:                              ;   in Loop: Header=BB147_530 Depth=1
	v_mul_lo_u32 v4, v9, s58
	v_mul_lo_u32 v14, v8, s59
	v_mad_u64_u32 v[12:13], s[34:35], v8, s58, 0
	v_add3_u32 v13, v13, v14, v4
	v_lshlrev_b64 v[12:13], 2, v[12:13]
	v_mov_b32_e32 v4, s86
	v_add_co_u32_e32 v12, vcc, s33, v12
	v_addc_co_u32_e32 v13, vcc, v4, v13, vcc
	global_load_dword v14, v[12:13], off
.LBB147_533:                            ;   in Loop: Header=BB147_530 Depth=1
	s_or_b64 exec, exec, s[2:3]
	v_cmp_gt_u64_e32 vcc, s[60:61], v[0:1]
	s_waitcnt vmcnt(0)
	v_cmp_eq_u32_e64 s[2:3], v2, v3
	s_and_b64 s[36:37], vcc, s[2:3]
	v_cndmask_b32_e64 v4, 0, 1, s[36:37]
	v_cmp_ne_u32_e32 vcc, 0, v4
	s_cmp_lg_u64 vcc, 0
	s_cselect_b64 s[2:3], -1, 0
	s_and_b64 s[2:3], s[0:1], s[2:3]
	s_and_saveexec_b64 s[34:35], s[2:3]
	s_cbranch_execz .LBB147_537
; %bb.534:                              ;   in Loop: Header=BB147_530 Depth=1
	s_mov_b64 s[40:41], exec
	v_mbcnt_lo_u32_b32 v4, s40, 0
	v_mbcnt_hi_u32_b32 v12, s41, v4
	s_bcnt1_i32_b64 s42, vcc
	v_cmp_eq_u32_e64 s[2:3], 0, v12
                                        ; implicit-def: $vgpr6_vgpr7
	s_and_saveexec_b64 s[38:39], s[2:3]
	s_cbranch_execz .LBB147_536
; %bb.535:                              ;   in Loop: Header=BB147_530 Depth=1
	s_bcnt1_i32_b64 s2, s[40:41]
	s_mul_i32 s2, s42, s2
	v_mov_b32_e32 v4, s2
	ds_add_rtn_u64 v[6:7], v5, v[4:5] offset:5136
.LBB147_536:                            ;   in Loop: Header=BB147_530 Depth=1
	s_or_b64 exec, exec, s[38:39]
	s_waitcnt lgkmcnt(0)
	v_readfirstlane_b32 s2, v7
	v_readfirstlane_b32 s3, v6
	v_mov_b32_e32 v6, s3
	v_mov_b32_e32 v7, s2
	v_mad_u64_u32 v[6:7], s[2:3], s42, v12, v[6:7]
.LBB147_537:                            ;   in Loop: Header=BB147_530 Depth=1
	s_or_b64 exec, exec, s[34:35]
	ds_bpermute_b32 v6, v28, v6
	ds_bpermute_b32 v7, v28, v7
	s_cmp_eq_u64 vcc, 0
	s_cselect_b64 s[34:35], -1, 0
	s_mov_b64 s[38:39], -1
	s_mov_b64 s[40:41], -1
	s_waitcnt lgkmcnt(0)
	v_cmp_gt_u64_e64 s[2:3], s[62:63], v[6:7]
	s_or_b64 s[34:35], s[34:35], s[2:3]
	v_cndmask_b32_e64 v2, v2, v14, s[34:35]
	s_and_b64 s[42:43], s[36:37], s[34:35]
	s_mov_b64 s[2:3], -1
	s_and_saveexec_b64 s[36:37], s[42:43]
	s_cbranch_execz .LBB147_543
; %bb.538:                              ;   in Loop: Header=BB147_530 Depth=1
	v_and_b32_e32 v4, vcc_lo, v10
	v_and_b32_e32 v2, vcc_hi, v11
	v_bcnt_u32_b32 v4, v4, 0
	v_bcnt_u32_b32 v4, v2, v4
	v_mov_b32_e32 v2, s63
	v_sub_co_u32_e32 v12, vcc, s62, v6
	v_subb_co_u32_e32 v13, vcc, v2, v7, vcc
	v_cmp_le_u64_e64 s[38:39], v[12:13], v[4:5]
	v_cmp_gt_u64_e32 vcc, v[12:13], v[4:5]
	s_mov_b64 s[42:43], -1
	s_and_saveexec_b64 s[40:41], vcc
	s_cbranch_execz .LBB147_542
; %bb.539:                              ;   in Loop: Header=BB147_530 Depth=1
	v_add_co_u32_e32 v12, vcc, v6, v4
	v_addc_co_u32_e32 v13, vcc, 0, v7, vcc
	v_cmp_gt_u64_e32 vcc, s[62:63], v[12:13]
	s_mov_b64 s[44:45], s[38:39]
	s_and_saveexec_b64 s[42:43], vcc
	s_cbranch_execz .LBB147_541
; %bb.540:                              ;   in Loop: Header=BB147_530 Depth=1
	v_mul_lo_u32 v2, v13, s16
	v_mul_lo_u32 v4, v12, s17
	v_mad_u64_u32 v[16:17], s[44:45], v12, s16, 0
	v_add3_u32 v17, v17, v4, v2
	v_mul_lo_u32 v2, v13, s18
	v_mul_lo_u32 v4, v12, s19
	v_mad_u64_u32 v[12:13], s[44:45], v12, s18, 0
	v_lshlrev_b64 v[16:17], 2, v[16:17]
	v_add3_u32 v13, v13, v4, v2
	v_mov_b32_e32 v2, s47
	v_add_co_u32_e32 v16, vcc, s46, v16
	v_addc_co_u32_e32 v17, vcc, v2, v17, vcc
	v_lshlrev_b64 v[12:13], 3, v[12:13]
	v_mov_b32_e32 v2, s49
	v_add_co_u32_e32 v12, vcc, s48, v12
	v_addc_co_u32_e32 v13, vcc, v2, v13, vcc
	s_or_b64 s[44:45], s[38:39], exec
	global_store_dword v[16:17], v3, off
	global_store_dwordx2 v[12:13], v[0:1], off
.LBB147_541:                            ;   in Loop: Header=BB147_530 Depth=1
	s_or_b64 exec, exec, s[42:43]
	s_andn2_b64 s[38:39], s[38:39], exec
	s_and_b64 s[44:45], s[44:45], exec
	s_xor_b64 s[42:43], exec, -1
	s_or_b64 s[38:39], s[38:39], s[44:45]
.LBB147_542:                            ;   in Loop: Header=BB147_530 Depth=1
	s_or_b64 exec, exec, s[40:41]
	s_orn2_b64 s[40:41], s[42:43], exec
	s_or_b64 s[34:35], s[34:35], exec
	s_orn2_b64 s[38:39], s[38:39], exec
	v_mov_b32_e32 v2, v14
.LBB147_543:                            ;   in Loop: Header=BB147_530 Depth=1
	s_or_b64 exec, exec, s[36:37]
	s_and_saveexec_b64 s[36:37], s[38:39]
	s_cbranch_execz .LBB147_528
; %bb.544:                              ;   in Loop: Header=BB147_530 Depth=1
	s_xor_b64 s[2:3], s[34:35], -1
	s_or_b64 s[40:41], s[40:41], exec
	s_orn2_b64 s[2:3], s[2:3], exec
	s_branch .LBB147_528
.LBB147_545:
	s_or_b64 exec, exec, s[24:25]
	s_mov_b64 s[0:1], 0
	s_and_saveexec_b64 s[2:3], s[22:23]
	s_xor_b64 s[2:3], exec, s[2:3]
	s_cbranch_execnz .LBB147_551
.LBB147_546:
	s_or_b64 exec, exec, s[2:3]
	s_and_b64 s[2:3], s[0:1], exec
	s_andn2_b64 s[4:5], s[4:5], exec
	s_or_b64 exec, exec, s[20:21]
	s_and_saveexec_b64 s[0:1], s[4:5]
	s_xor_b64 s[0:1], exec, s[0:1]
	s_cbranch_execz .LBB147_502
.LBB147_547:
	s_or_b64 s[2:3], s[2:3], exec
	s_trap 2
	s_branch .LBB147_502
.LBB147_548:
	s_or_b64 s[10:11], s[10:11], exec
	s_trap 2
	s_branch .LBB147_508
.LBB147_549:
	s_or_b64 s[12:13], s[12:13], exec
	s_trap 2
	s_branch .LBB147_506
.LBB147_550:
	s_trap 2
	s_or_b64 s[14:15], s[14:15], exec
	s_branch .LBB147_504
.LBB147_551:
	s_mov_b64 s[0:1], exec
	s_trap 2
	s_branch .LBB147_546
	.section	.rodata,"a",@progbits
	.p2align	6, 0x0
	.amdhsa_kernel _ZN2at6native6sbtopk10gatherTopKIimLi2ELb0EEEvNS_4cuda6detail10TensorInfoIKT_T0_EES8_S8_bS8_S8_NS5_IS6_S8_EES8_NS5_IlS8_EES8_PS6_
		.amdhsa_group_segment_fixed_size 5152
		.amdhsa_private_segment_fixed_size 0
		.amdhsa_kernarg_size 1568
		.amdhsa_user_sgpr_count 6
		.amdhsa_user_sgpr_private_segment_buffer 1
		.amdhsa_user_sgpr_dispatch_ptr 0
		.amdhsa_user_sgpr_queue_ptr 0
		.amdhsa_user_sgpr_kernarg_segment_ptr 1
		.amdhsa_user_sgpr_dispatch_id 0
		.amdhsa_user_sgpr_flat_scratch_init 0
		.amdhsa_user_sgpr_kernarg_preload_length 0
		.amdhsa_user_sgpr_kernarg_preload_offset 0
		.amdhsa_user_sgpr_private_segment_size 0
		.amdhsa_uses_dynamic_stack 0
		.amdhsa_system_sgpr_private_segment_wavefront_offset 0
		.amdhsa_system_sgpr_workgroup_id_x 1
		.amdhsa_system_sgpr_workgroup_id_y 1
		.amdhsa_system_sgpr_workgroup_id_z 1
		.amdhsa_system_sgpr_workgroup_info 0
		.amdhsa_system_vgpr_workitem_id 0
		.amdhsa_next_free_vgpr 47
		.amdhsa_next_free_sgpr 96
		.amdhsa_accum_offset 48
		.amdhsa_reserve_vcc 1
		.amdhsa_reserve_flat_scratch 0
		.amdhsa_float_round_mode_32 0
		.amdhsa_float_round_mode_16_64 0
		.amdhsa_float_denorm_mode_32 3
		.amdhsa_float_denorm_mode_16_64 3
		.amdhsa_dx10_clamp 1
		.amdhsa_ieee_mode 1
		.amdhsa_fp16_overflow 0
		.amdhsa_tg_split 0
		.amdhsa_exception_fp_ieee_invalid_op 0
		.amdhsa_exception_fp_denorm_src 0
		.amdhsa_exception_fp_ieee_div_zero 0
		.amdhsa_exception_fp_ieee_overflow 0
		.amdhsa_exception_fp_ieee_underflow 0
		.amdhsa_exception_fp_ieee_inexact 0
		.amdhsa_exception_int_div_zero 0
	.end_amdhsa_kernel
	.section	.text._ZN2at6native6sbtopk10gatherTopKIimLi2ELb0EEEvNS_4cuda6detail10TensorInfoIKT_T0_EES8_S8_bS8_S8_NS5_IS6_S8_EES8_NS5_IlS8_EES8_PS6_,"axG",@progbits,_ZN2at6native6sbtopk10gatherTopKIimLi2ELb0EEEvNS_4cuda6detail10TensorInfoIKT_T0_EES8_S8_bS8_S8_NS5_IS6_S8_EES8_NS5_IlS8_EES8_PS6_,comdat
.Lfunc_end147:
	.size	_ZN2at6native6sbtopk10gatherTopKIimLi2ELb0EEEvNS_4cuda6detail10TensorInfoIKT_T0_EES8_S8_bS8_S8_NS5_IS6_S8_EES8_NS5_IlS8_EES8_PS6_, .Lfunc_end147-_ZN2at6native6sbtopk10gatherTopKIimLi2ELb0EEEvNS_4cuda6detail10TensorInfoIKT_T0_EES8_S8_bS8_S8_NS5_IS6_S8_EES8_NS5_IlS8_EES8_PS6_
                                        ; -- End function
	.section	.AMDGPU.csdata,"",@progbits
; Kernel info:
; codeLenInByte = 26816
; NumSgprs: 100
; NumVgprs: 47
; NumAgprs: 0
; TotalNumVgprs: 47
; ScratchSize: 0
; MemoryBound: 0
; FloatMode: 240
; IeeeMode: 1
; LDSByteSize: 5152 bytes/workgroup (compile time only)
; SGPRBlocks: 12
; VGPRBlocks: 5
; NumSGPRsForWavesPerEU: 100
; NumVGPRsForWavesPerEU: 47
; AccumOffset: 48
; Occupancy: 8
; WaveLimiterHint : 1
; COMPUTE_PGM_RSRC2:SCRATCH_EN: 0
; COMPUTE_PGM_RSRC2:USER_SGPR: 6
; COMPUTE_PGM_RSRC2:TRAP_HANDLER: 0
; COMPUTE_PGM_RSRC2:TGID_X_EN: 1
; COMPUTE_PGM_RSRC2:TGID_Y_EN: 1
; COMPUTE_PGM_RSRC2:TGID_Z_EN: 1
; COMPUTE_PGM_RSRC2:TIDIG_COMP_CNT: 0
; COMPUTE_PGM_RSRC3_GFX90A:ACCUM_OFFSET: 11
; COMPUTE_PGM_RSRC3_GFX90A:TG_SPLIT: 0
	.section	.text._ZN2at6native6mbtopk23computeBlockDigitCountsIimjLi3EEEvNS_4cuda6detail10TensorInfoIKT_T0_EEjPjjS8_iijT1_PSB_Ps,"axG",@progbits,_ZN2at6native6mbtopk23computeBlockDigitCountsIimjLi3EEEvNS_4cuda6detail10TensorInfoIKT_T0_EEjPjjS8_iijT1_PSB_Ps,comdat
	.protected	_ZN2at6native6mbtopk23computeBlockDigitCountsIimjLi3EEEvNS_4cuda6detail10TensorInfoIKT_T0_EEjPjjS8_iijT1_PSB_Ps ; -- Begin function _ZN2at6native6mbtopk23computeBlockDigitCountsIimjLi3EEEvNS_4cuda6detail10TensorInfoIKT_T0_EEjPjjS8_iijT1_PSB_Ps
	.globl	_ZN2at6native6mbtopk23computeBlockDigitCountsIimjLi3EEEvNS_4cuda6detail10TensorInfoIKT_T0_EEjPjjS8_iijT1_PSB_Ps
	.p2align	8
	.type	_ZN2at6native6mbtopk23computeBlockDigitCountsIimjLi3EEEvNS_4cuda6detail10TensorInfoIKT_T0_EEjPjjS8_iijT1_PSB_Ps,@function
_ZN2at6native6mbtopk23computeBlockDigitCountsIimjLi3EEEvNS_4cuda6detail10TensorInfoIKT_T0_EEjPjjS8_iijT1_PSB_Ps: ; @_ZN2at6native6mbtopk23computeBlockDigitCountsIimjLi3EEEvNS_4cuda6detail10TensorInfoIKT_T0_EEjPjjS8_iijT1_PSB_Ps
; %bb.0:
	s_load_dwordx4 s[12:15], s[4:5], 0x1c0
	s_load_dword s2, s[4:5], 0x1b0
	s_load_dwordx2 s[0:1], s[4:5], 0x1e0
	s_mov_b32 s21, 0
	s_waitcnt lgkmcnt(0)
	v_cvt_f32_u32_e32 v1, s14
	s_sub_i32 s3, 0, s14
	s_mul_i32 s1, s1, s8
	s_add_i32 s1, s1, s7
	v_rcp_iflag_f32_e32 v1, v1
	s_mul_i32 s24, s1, s0
	s_add_i32 s24, s24, s6
	v_mul_f32_e32 v1, 0x4f7ffffe, v1
	v_cvt_u32_f32_e32 v1, v1
	v_readfirstlane_b32 s0, v1
	s_mul_i32 s3, s3, s0
	s_mul_hi_u32 s1, s0, s3
	s_add_i32 s0, s0, s1
	s_mul_hi_u32 s0, s24, s0
	s_mul_i32 s1, s0, s14
	s_sub_i32 s1, s24, s1
	s_add_i32 s3, s0, 1
	s_sub_i32 s6, s1, s14
	s_cmp_ge_u32 s1, s14
	s_cselect_b32 s0, s3, s0
	s_cselect_b32 s1, s6, s1
	s_add_i32 s3, s0, 1
	s_cmp_ge_u32 s1, s14
	s_cselect_b32 s20, s3, s0
	s_cmp_ge_u32 s20, s2
	s_cbranch_scc1 .LBB148_27
; %bb.1:
	s_load_dwordx4 s[0:3], s[4:5], 0x1d0
	s_load_dwordx4 s[8:11], s[4:5], 0x10
	s_lshl_b64 s[6:7], s[20:21], 2
	s_waitcnt lgkmcnt(0)
	s_add_u32 s22, s0, s6
	v_pk_mov_b32 v[2:3], s[10:11], s[10:11] op_sel:[0,1]
	v_cmp_lt_u64_e32 vcc, s[20:21], v[2:3]
	s_addc_u32 s23, s1, s7
	s_mov_b64 s[6:7], 0
	s_mov_b64 s[0:1], 0
	s_cbranch_vccnz .LBB148_3
; %bb.2:
	v_cvt_f32_u32_e32 v1, s10
	s_sub_i32 s0, 0, s10
	s_mov_b32 s1, 0
	v_rcp_iflag_f32_e32 v1, v1
	v_mul_f32_e32 v1, 0x4f7ffffe, v1
	v_cvt_u32_f32_e32 v1, v1
	v_readfirstlane_b32 s7, v1
	s_mul_i32 s0, s0, s7
	s_mul_hi_u32 s0, s7, s0
	s_add_i32 s7, s7, s0
	s_mul_hi_u32 s0, s20, s7
	s_mul_i32 s16, s0, s10
	s_sub_i32 s16, s20, s16
	s_add_i32 s7, s0, 1
	s_sub_i32 s17, s16, s10
	s_cmp_ge_u32 s16, s10
	s_cselect_b32 s0, s7, s0
	s_cselect_b32 s16, s17, s16
	s_add_i32 s7, s0, 1
	s_cmp_ge_u32 s16, s10
	s_cselect_b32 s0, s7, s0
.LBB148_3:
	v_pk_mov_b32 v[2:3], s[8:9], s[8:9] op_sel:[0,1]
	v_cmp_lt_u64_e32 vcc, s[0:1], v[2:3]
	s_cbranch_vccnz .LBB148_5
; %bb.4:
	v_cvt_f32_u32_e32 v1, s8
	s_sub_i32 s6, 0, s8
	v_rcp_iflag_f32_e32 v1, v1
	v_mul_f32_e32 v1, 0x4f7ffffe, v1
	v_cvt_u32_f32_e32 v1, v1
	v_readfirstlane_b32 s7, v1
	s_mul_i32 s6, s6, s7
	s_mul_hi_u32 s6, s7, s6
	s_add_i32 s7, s7, s6
	s_mul_hi_u32 s6, s0, s7
	s_mul_i32 s16, s6, s8
	s_sub_i32 s16, s0, s16
	s_add_i32 s7, s6, 1
	s_sub_i32 s17, s16, s8
	s_cmp_ge_u32 s16, s8
	s_cselect_b32 s6, s7, s6
	s_cselect_b32 s16, s17, s16
	s_add_i32 s7, s6, 1
	s_cmp_ge_u32 s16, s8
	s_cselect_b32 s6, s7, s6
.LBB148_5:
	s_movk_i32 s7, 0x100
	v_cmp_gt_u32_e32 vcc, s7, v0
	v_lshlrev_b32_e32 v1, 2, v0
	s_and_saveexec_b64 s[16:17], vcc
	s_cbranch_execz .LBB148_7
; %bb.6:
	v_mov_b32_e32 v2, 0
	ds_write_b32 v1, v2
.LBB148_7:
	s_or_b64 exec, exec, s[16:17]
	s_load_dword s21, s[4:5], 0x1a0
	s_mul_i32 s7, s20, s14
	s_sub_i32 s7, s24, s7
	s_add_i32 s16, s7, 1
	s_mul_i32 s7, s13, s7
	s_lshl_b32 s25, s7, 8
	s_waitcnt lgkmcnt(0)
	s_sub_i32 s7, s21, s25
	s_add_u32 s7, s7, 0xff
	s_addc_u32 s17, 0, 0
	v_mov_b32_e32 v2, s7
	v_alignbit_b32 v2, s17, v2, 8
	s_cmp_lt_u32 s16, s14
	v_readfirstlane_b32 s7, v2
	s_cselect_b32 s14, s13, s7
	s_cmp_lt_i32 s14, 1
	s_mov_b32 s7, 0
	s_barrier
	s_cbranch_scc1 .LBB148_23
; %bb.8:
	s_load_dwordx4 s[16:19], s[4:5], 0xd0
	s_load_dwordx2 s[26:27], s[4:5], 0x0
	s_load_dword s13, s[22:23], 0x0
	s_mul_i32 s11, s0, s11
	s_mul_hi_u32 s22, s0, s10
	s_add_i32 s11, s22, s11
	s_load_dwordx2 s[22:23], s[4:5], 0xe0
	s_mul_i32 s10, s0, s10
	s_sub_u32 s10, s20, s10
	s_subb_u32 s11, 0, s11
	s_mul_i32 s9, s6, s9
	s_waitcnt lgkmcnt(0)
	s_mul_i32 s20, s10, s23
	s_mul_hi_u32 s23, s10, s22
	s_add_i32 s20, s23, s20
	s_mul_i32 s11, s11, s22
	s_add_i32 s11, s20, s11
	s_mul_hi_u32 s20, s6, s8
	s_add_i32 s20, s20, s9
	s_mul_i32 s8, s6, s8
	s_sub_u32 s0, s0, s8
	s_subb_u32 s1, s1, s20
	s_mul_i32 s8, s0, s19
	s_mul_hi_u32 s9, s0, s18
	s_add_i32 s8, s9, s8
	s_mul_i32 s1, s1, s18
	s_add_i32 s1, s8, s1
	s_mul_i32 s8, s6, s17
	s_mul_hi_u32 s9, s6, s16
	s_add_i32 s9, s9, s8
	s_mul_i32 s8, s6, s16
	s_lshl_b64 s[8:9], s[8:9], 2
	s_mul_i32 s0, s0, s18
	s_add_u32 s6, s26, s8
	s_addc_u32 s8, s27, s9
	s_lshl_b64 s[0:1], s[0:1], 2
	s_load_dwordx2 s[4:5], s[4:5], 0x1b8
	s_mul_i32 s10, s10, s22
	s_add_u32 s6, s6, s0
	s_addc_u32 s8, s8, s1
	s_lshl_b64 s[0:1], s[10:11], 2
	s_add_u32 s9, s6, s0
	s_addc_u32 s10, s8, s1
	s_and_b32 s8, s12, 0xff
	s_cmp_eq_u32 s14, 1
	v_add_u32_e32 v2, s25, v0
	s_cbranch_scc1 .LBB148_18
; %bb.9:
	s_and_b32 s11, s14, 0x7ffffffe
	s_mov_b32 s12, 0
	v_mov_b32_e32 v3, 1
	v_mov_b32_e32 v4, v2
	s_branch .LBB148_11
.LBB148_10:                             ;   in Loop: Header=BB148_11 Depth=1
	s_or_b64 exec, exec, s[6:7]
	s_add_i32 s12, s12, 2
	s_cmp_eq_u32 s11, s12
	v_add_u32_e32 v4, 0x200, v4
	s_cbranch_scc1 .LBB148_17
.LBB148_11:                             ; =>This Inner Loop Header: Depth=1
	v_cmp_gt_u32_e64 s[0:1], s21, v4
	s_and_saveexec_b64 s[6:7], s[0:1]
	s_cbranch_execz .LBB148_14
; %bb.12:                               ;   in Loop: Header=BB148_11 Depth=1
	s_waitcnt lgkmcnt(0)
	v_mad_u64_u32 v[6:7], s[0:1], v4, s4, 0
	v_mov_b32_e32 v8, v7
	v_mad_u64_u32 v[8:9], s[0:1], v4, s5, v[8:9]
	v_mov_b32_e32 v7, v8
	v_lshlrev_b64 v[6:7], 2, v[6:7]
	v_mov_b32_e32 v5, s10
	v_add_co_u32_e64 v6, s[0:1], s9, v6
	v_addc_co_u32_e64 v7, s[0:1], v5, v7, s[0:1]
	global_load_dword v5, v[6:7], off
	s_waitcnt vmcnt(0)
	v_xor_b32_e32 v5, 0x80000000, v5
	v_xor_b32_e32 v6, s13, v5
	v_and_b32_e32 v6, s15, v6
	v_cmp_eq_u32_e64 s[0:1], 0, v6
	s_and_b64 exec, exec, s[0:1]
	s_cbranch_execz .LBB148_14
; %bb.13:                               ;   in Loop: Header=BB148_11 Depth=1
	v_bfe_u32 v5, v5, s8, 8
	v_lshlrev_b32_e32 v5, 2, v5
	ds_add_u32 v5, v3
.LBB148_14:                             ;   in Loop: Header=BB148_11 Depth=1
	s_or_b64 exec, exec, s[6:7]
	v_add_u32_e32 v5, 0x100, v4
	v_cmp_gt_u32_e64 s[0:1], s21, v5
	s_and_saveexec_b64 s[6:7], s[0:1]
	s_cbranch_execz .LBB148_10
; %bb.15:                               ;   in Loop: Header=BB148_11 Depth=1
	s_waitcnt lgkmcnt(0)
	v_mad_u64_u32 v[6:7], s[0:1], v5, s4, 0
	v_mov_b32_e32 v8, v7
	v_mad_u64_u32 v[8:9], s[0:1], v5, s5, v[8:9]
	v_mov_b32_e32 v7, v8
	v_lshlrev_b64 v[6:7], 2, v[6:7]
	v_mov_b32_e32 v5, s10
	v_add_co_u32_e64 v6, s[0:1], s9, v6
	v_addc_co_u32_e64 v7, s[0:1], v5, v7, s[0:1]
	global_load_dword v5, v[6:7], off
	s_waitcnt vmcnt(0)
	v_xor_b32_e32 v5, 0x80000000, v5
	v_xor_b32_e32 v6, s13, v5
	v_and_b32_e32 v6, s15, v6
	v_cmp_eq_u32_e64 s[0:1], 0, v6
	s_and_b64 exec, exec, s[0:1]
	s_cbranch_execz .LBB148_10
; %bb.16:                               ;   in Loop: Header=BB148_11 Depth=1
	v_bfe_u32 v5, v5, s8, 8
	v_lshlrev_b32_e32 v5, 2, v5
	ds_add_u32 v5, v3
	s_branch .LBB148_10
.LBB148_17:
	s_lshl_b32 s7, s11, 8
.LBB148_18:
	s_bitcmp0_b32 s14, 0
	s_cbranch_scc1 .LBB148_23
; %bb.19:
	v_add_u32_e32 v2, s7, v2
	v_cmp_gt_u32_e64 s[0:1], s21, v2
	s_and_saveexec_b64 s[6:7], s[0:1]
	s_cbranch_execz .LBB148_22
; %bb.20:
	s_waitcnt lgkmcnt(0)
	v_mad_u64_u32 v[4:5], s[0:1], v2, s4, 0
	v_mov_b32_e32 v6, v5
	v_mad_u64_u32 v[2:3], s[0:1], v2, s5, v[6:7]
	v_mov_b32_e32 v5, v2
	v_lshlrev_b64 v[2:3], 2, v[4:5]
	v_mov_b32_e32 v4, s10
	v_add_co_u32_e64 v2, s[0:1], s9, v2
	v_addc_co_u32_e64 v3, s[0:1], v4, v3, s[0:1]
	global_load_dword v2, v[2:3], off
	s_waitcnt vmcnt(0)
	v_xor_b32_e32 v2, 0x80000000, v2
	v_xor_b32_e32 v3, s13, v2
	v_and_b32_e32 v3, s15, v3
	v_cmp_eq_u32_e64 s[0:1], 0, v3
	s_and_b64 exec, exec, s[0:1]
	s_cbranch_execz .LBB148_22
; %bb.21:
	v_bfe_u32 v2, v2, s8, 8
	v_lshlrev_b32_e32 v2, 2, v2
	v_mov_b32_e32 v3, 1
	ds_add_u32 v2, v3
.LBB148_22:
	s_or_b64 exec, exec, s[6:7]
.LBB148_23:
	v_mov_b32_e32 v2, 0
	s_waitcnt lgkmcnt(0)
	s_barrier
	s_and_saveexec_b64 s[0:1], vcc
	s_cbranch_execz .LBB148_25
; %bb.24:
	ds_read_b32 v2, v1
.LBB148_25:
	s_or_b64 exec, exec, s[0:1]
	s_and_saveexec_b64 s[0:1], vcc
	s_cbranch_execz .LBB148_27
; %bb.26:
	v_lshl_or_b32 v0, s24, 8, v0
	v_mov_b32_e32 v1, 0
	v_lshlrev_b64 v[0:1], 1, v[0:1]
	v_mov_b32_e32 v3, s3
	v_add_co_u32_e32 v0, vcc, s2, v0
	v_addc_co_u32_e32 v1, vcc, v3, v1, vcc
	s_waitcnt lgkmcnt(0)
	global_store_short v[0:1], v2, off
.LBB148_27:
	s_endpgm
	.section	.rodata,"a",@progbits
	.p2align	6, 0x0
	.amdhsa_kernel _ZN2at6native6mbtopk23computeBlockDigitCountsIimjLi3EEEvNS_4cuda6detail10TensorInfoIKT_T0_EEjPjjS8_iijT1_PSB_Ps
		.amdhsa_group_segment_fixed_size 1024
		.amdhsa_private_segment_fixed_size 0
		.amdhsa_kernarg_size 736
		.amdhsa_user_sgpr_count 6
		.amdhsa_user_sgpr_private_segment_buffer 1
		.amdhsa_user_sgpr_dispatch_ptr 0
		.amdhsa_user_sgpr_queue_ptr 0
		.amdhsa_user_sgpr_kernarg_segment_ptr 1
		.amdhsa_user_sgpr_dispatch_id 0
		.amdhsa_user_sgpr_flat_scratch_init 0
		.amdhsa_user_sgpr_kernarg_preload_length 0
		.amdhsa_user_sgpr_kernarg_preload_offset 0
		.amdhsa_user_sgpr_private_segment_size 0
		.amdhsa_uses_dynamic_stack 0
		.amdhsa_system_sgpr_private_segment_wavefront_offset 0
		.amdhsa_system_sgpr_workgroup_id_x 1
		.amdhsa_system_sgpr_workgroup_id_y 1
		.amdhsa_system_sgpr_workgroup_id_z 1
		.amdhsa_system_sgpr_workgroup_info 0
		.amdhsa_system_vgpr_workitem_id 0
		.amdhsa_next_free_vgpr 10
		.amdhsa_next_free_sgpr 28
		.amdhsa_accum_offset 12
		.amdhsa_reserve_vcc 1
		.amdhsa_reserve_flat_scratch 0
		.amdhsa_float_round_mode_32 0
		.amdhsa_float_round_mode_16_64 0
		.amdhsa_float_denorm_mode_32 3
		.amdhsa_float_denorm_mode_16_64 3
		.amdhsa_dx10_clamp 1
		.amdhsa_ieee_mode 1
		.amdhsa_fp16_overflow 0
		.amdhsa_tg_split 0
		.amdhsa_exception_fp_ieee_invalid_op 0
		.amdhsa_exception_fp_denorm_src 0
		.amdhsa_exception_fp_ieee_div_zero 0
		.amdhsa_exception_fp_ieee_overflow 0
		.amdhsa_exception_fp_ieee_underflow 0
		.amdhsa_exception_fp_ieee_inexact 0
		.amdhsa_exception_int_div_zero 0
	.end_amdhsa_kernel
	.section	.text._ZN2at6native6mbtopk23computeBlockDigitCountsIimjLi3EEEvNS_4cuda6detail10TensorInfoIKT_T0_EEjPjjS8_iijT1_PSB_Ps,"axG",@progbits,_ZN2at6native6mbtopk23computeBlockDigitCountsIimjLi3EEEvNS_4cuda6detail10TensorInfoIKT_T0_EEjPjjS8_iijT1_PSB_Ps,comdat
.Lfunc_end148:
	.size	_ZN2at6native6mbtopk23computeBlockDigitCountsIimjLi3EEEvNS_4cuda6detail10TensorInfoIKT_T0_EEjPjjS8_iijT1_PSB_Ps, .Lfunc_end148-_ZN2at6native6mbtopk23computeBlockDigitCountsIimjLi3EEEvNS_4cuda6detail10TensorInfoIKT_T0_EEjPjjS8_iijT1_PSB_Ps
                                        ; -- End function
	.section	.AMDGPU.csdata,"",@progbits
; Kernel info:
; codeLenInByte = 1304
; NumSgprs: 32
; NumVgprs: 10
; NumAgprs: 0
; TotalNumVgprs: 10
; ScratchSize: 0
; MemoryBound: 0
; FloatMode: 240
; IeeeMode: 1
; LDSByteSize: 1024 bytes/workgroup (compile time only)
; SGPRBlocks: 3
; VGPRBlocks: 1
; NumSGPRsForWavesPerEU: 32
; NumVGPRsForWavesPerEU: 10
; AccumOffset: 12
; Occupancy: 8
; WaveLimiterHint : 1
; COMPUTE_PGM_RSRC2:SCRATCH_EN: 0
; COMPUTE_PGM_RSRC2:USER_SGPR: 6
; COMPUTE_PGM_RSRC2:TRAP_HANDLER: 0
; COMPUTE_PGM_RSRC2:TGID_X_EN: 1
; COMPUTE_PGM_RSRC2:TGID_Y_EN: 1
; COMPUTE_PGM_RSRC2:TGID_Z_EN: 1
; COMPUTE_PGM_RSRC2:TIDIG_COMP_CNT: 0
; COMPUTE_PGM_RSRC3_GFX90A:ACCUM_OFFSET: 2
; COMPUTE_PGM_RSRC3_GFX90A:TG_SPLIT: 0
	.section	.text._ZN2at6native6mbtopk10gatherTopKIimLi3EEEvNS_4cuda6detail10TensorInfoIKT_T0_EES8_S8_bjS8_NS5_IS6_S8_EES8_NS5_IlS8_EES8_jjPS6_PjSD_j,"axG",@progbits,_ZN2at6native6mbtopk10gatherTopKIimLi3EEEvNS_4cuda6detail10TensorInfoIKT_T0_EES8_S8_bjS8_NS5_IS6_S8_EES8_NS5_IlS8_EES8_jjPS6_PjSD_j,comdat
	.protected	_ZN2at6native6mbtopk10gatherTopKIimLi3EEEvNS_4cuda6detail10TensorInfoIKT_T0_EES8_S8_bjS8_NS5_IS6_S8_EES8_NS5_IlS8_EES8_jjPS6_PjSD_j ; -- Begin function _ZN2at6native6mbtopk10gatherTopKIimLi3EEEvNS_4cuda6detail10TensorInfoIKT_T0_EES8_S8_bjS8_NS5_IS6_S8_EES8_NS5_IlS8_EES8_jjPS6_PjSD_j
	.globl	_ZN2at6native6mbtopk10gatherTopKIimLi3EEEvNS_4cuda6detail10TensorInfoIKT_T0_EES8_S8_bjS8_NS5_IS6_S8_EES8_NS5_IlS8_EES8_jjPS6_PjSD_j
	.p2align	8
	.type	_ZN2at6native6mbtopk10gatherTopKIimLi3EEEvNS_4cuda6detail10TensorInfoIKT_T0_EES8_S8_bjS8_NS5_IS6_S8_EES8_NS5_IlS8_EES8_jjPS6_PjSD_j,@function
_ZN2at6native6mbtopk10gatherTopKIimLi3EEEvNS_4cuda6detail10TensorInfoIKT_T0_EES8_S8_bjS8_NS5_IS6_S8_EES8_NS5_IlS8_EES8_jjPS6_PjSD_j: ; @_ZN2at6native6mbtopk10gatherTopKIimLi3EEEvNS_4cuda6detail10TensorInfoIKT_T0_EES8_S8_bjS8_NS5_IS6_S8_EES8_NS5_IlS8_EES8_jjPS6_PjSD_j
; %bb.0:
	s_load_dwordx2 s[0:1], s[4:5], 0x538
	s_load_dword s2, s[4:5], 0x530
	s_waitcnt lgkmcnt(0)
	s_mul_i32 s1, s1, s8
	s_add_i32 s1, s1, s7
	s_mul_i32 s0, s1, s0
	s_add_i32 s0, s0, s6
	s_cmp_ge_u32 s0, s2
	s_cbranch_scc1 .LBB149_54
; %bb.1:
	s_load_dwordx2 s[34:35], s[4:5], 0x510
	s_load_dwordx4 s[8:11], s[4:5], 0x1a0
	s_load_dwordx4 s[12:15], s[4:5], 0x10
	s_mov_b32 s7, 0
	s_waitcnt lgkmcnt(0)
	v_cvt_f32_u32_e32 v1, s35
	s_sub_i32 s2, 0, s35
	s_lshl_b32 s1, s34, 8
	v_rcp_iflag_f32_e32 v1, v1
	v_mul_f32_e32 v1, 0x4f7ffffe, v1
	v_cvt_u32_f32_e32 v1, v1
	v_readfirstlane_b32 s3, v1
	s_mul_i32 s2, s2, s3
	s_mul_hi_u32 s2, s3, s2
	s_add_i32 s3, s3, s2
	s_mul_hi_u32 s2, s0, s3
	s_mul_i32 s3, s2, s35
	s_sub_i32 s3, s0, s3
	s_add_i32 s6, s2, 1
	s_sub_i32 s16, s3, s35
	s_cmp_ge_u32 s3, s35
	s_cselect_b32 s2, s6, s2
	s_cselect_b32 s3, s16, s3
	s_add_i32 s6, s2, 1
	s_cmp_ge_u32 s3, s35
	s_cselect_b32 s6, s6, s2
	s_mul_i32 s52, s6, s35
	s_sub_i32 s77, s0, s52
	s_add_i32 s0, s77, 1
	s_cmp_lt_u32 s0, s35
	s_mul_i32 s76, s77, s1
	s_cbranch_scc1 .LBB149_3
; %bb.2:
	s_sub_u32 s0, s8, s76
	s_subb_u32 s1, s9, 0
	s_add_u32 s0, s0, 0xff
	s_addc_u32 s1, s1, 0
	s_ashr_i32 s2, s1, 31
	s_lshr_b32 s2, s2, 24
	s_add_u32 s0, s0, s2
	s_addc_u32 s1, s1, 0
	v_mov_b32_e32 v1, s0
	v_alignbit_b32 v1, s1, v1, 8
	v_readfirstlane_b32 s34, v1
.LBB149_3:
	v_pk_mov_b32 v[2:3], s[14:15], s[14:15] op_sel:[0,1]
	v_cmp_lt_u64_e32 vcc, s[6:7], v[2:3]
	s_mov_b64 s[50:51], 0
	s_mov_b64 s[48:49], 0
	s_cbranch_vccnz .LBB149_5
; %bb.4:
	v_cvt_f32_u32_e32 v1, s14
	s_sub_i32 s0, 0, s14
	s_mov_b32 s49, 0
	v_rcp_iflag_f32_e32 v1, v1
	v_mul_f32_e32 v1, 0x4f7ffffe, v1
	v_cvt_u32_f32_e32 v1, v1
	v_readfirstlane_b32 s1, v1
	s_mul_i32 s0, s0, s1
	s_mul_hi_u32 s0, s1, s0
	s_add_i32 s1, s1, s0
	s_mul_hi_u32 s0, s6, s1
	s_mul_i32 s2, s0, s14
	s_sub_i32 s2, s6, s2
	s_add_i32 s1, s0, 1
	s_sub_i32 s3, s2, s14
	s_cmp_ge_u32 s2, s14
	s_cselect_b32 s0, s1, s0
	s_cselect_b32 s2, s3, s2
	s_add_i32 s1, s0, 1
	s_cmp_ge_u32 s2, s14
	s_cselect_b32 s48, s1, s0
.LBB149_5:
	s_load_dwordx4 s[16:19], s[4:5], 0x1d0
	v_pk_mov_b32 v[2:3], s[12:13], s[12:13] op_sel:[0,1]
	v_cmp_lt_u64_e32 vcc, s[48:49], v[2:3]
	s_cbranch_vccnz .LBB149_7
; %bb.6:
	v_cvt_f32_u32_e32 v1, s12
	s_sub_i32 s0, 0, s12
	v_rcp_iflag_f32_e32 v1, v1
	v_mul_f32_e32 v1, 0x4f7ffffe, v1
	v_cvt_u32_f32_e32 v1, v1
	v_readfirstlane_b32 s1, v1
	s_mul_i32 s0, s0, s1
	s_mul_hi_u32 s0, s1, s0
	s_add_i32 s1, s1, s0
	s_mul_hi_u32 s0, s48, s1
	s_mul_i32 s2, s0, s12
	s_sub_i32 s2, s48, s2
	s_add_i32 s1, s0, 1
	s_sub_i32 s3, s2, s12
	s_cmp_ge_u32 s2, s12
	s_cselect_b32 s0, s1, s0
	s_cselect_b32 s2, s3, s2
	s_add_i32 s1, s0, 1
	s_cmp_ge_u32 s2, s12
	s_cselect_b32 s50, s1, s0
.LBB149_7:
	s_waitcnt lgkmcnt(0)
	v_pk_mov_b32 v[2:3], s[18:19], s[18:19] op_sel:[0,1]
	v_cmp_lt_u64_e32 vcc, s[6:7], v[2:3]
	s_mov_b64 s[56:57], 0
	s_mov_b64 s[54:55], 0
	s_cbranch_vccnz .LBB149_9
; %bb.8:
	v_cvt_f32_u32_e32 v1, s18
	s_sub_i32 s0, 0, s18
	s_mov_b32 s55, 0
	v_rcp_iflag_f32_e32 v1, v1
	v_mul_f32_e32 v1, 0x4f7ffffe, v1
	v_cvt_u32_f32_e32 v1, v1
	v_readfirstlane_b32 s1, v1
	s_mul_i32 s0, s0, s1
	s_mul_hi_u32 s0, s1, s0
	s_add_i32 s1, s1, s0
	s_mul_hi_u32 s0, s6, s1
	s_mul_i32 s2, s0, s18
	s_sub_i32 s2, s6, s2
	s_add_i32 s1, s0, 1
	s_sub_i32 s3, s2, s18
	s_cmp_ge_u32 s2, s18
	s_cselect_b32 s0, s1, s0
	s_cselect_b32 s2, s3, s2
	s_add_i32 s1, s0, 1
	s_cmp_ge_u32 s2, s18
	s_cselect_b32 s54, s1, s0
.LBB149_9:
	s_load_dwordx4 s[28:31], s[4:5], 0x378
	v_pk_mov_b32 v[2:3], s[16:17], s[16:17] op_sel:[0,1]
	v_cmp_lt_u64_e32 vcc, s[54:55], v[2:3]
	s_cbranch_vccnz .LBB149_11
; %bb.10:
	v_cvt_f32_u32_e32 v1, s16
	s_sub_i32 s0, 0, s16
	v_rcp_iflag_f32_e32 v1, v1
	v_mul_f32_e32 v1, 0x4f7ffffe, v1
	v_cvt_u32_f32_e32 v1, v1
	v_readfirstlane_b32 s1, v1
	s_mul_i32 s0, s0, s1
	s_mul_hi_u32 s0, s1, s0
	s_add_i32 s1, s1, s0
	s_mul_hi_u32 s0, s54, s1
	s_mul_i32 s2, s0, s16
	s_sub_i32 s2, s54, s2
	s_add_i32 s1, s0, 1
	s_sub_i32 s3, s2, s16
	s_cmp_ge_u32 s2, s16
	s_cselect_b32 s0, s1, s0
	s_cselect_b32 s2, s3, s2
	s_add_i32 s1, s0, 1
	s_cmp_ge_u32 s2, s16
	s_cselect_b32 s56, s1, s0
.LBB149_11:
	s_waitcnt lgkmcnt(0)
	v_pk_mov_b32 v[2:3], s[30:31], s[30:31] op_sel:[0,1]
	v_cmp_lt_u64_e32 vcc, s[6:7], v[2:3]
	s_mov_b64 s[58:59], 0
	s_mov_b64 s[60:61], 0
	s_cbranch_vccnz .LBB149_13
; %bb.12:
	v_cvt_f32_u32_e32 v1, s30
	s_sub_i32 s0, 0, s30
	s_mov_b32 s61, 0
	v_rcp_iflag_f32_e32 v1, v1
	v_mul_f32_e32 v1, 0x4f7ffffe, v1
	v_cvt_u32_f32_e32 v1, v1
	v_readfirstlane_b32 s1, v1
	s_mul_i32 s0, s0, s1
	s_mul_hi_u32 s0, s1, s0
	s_add_i32 s1, s1, s0
	s_mul_hi_u32 s0, s6, s1
	s_mul_i32 s2, s0, s30
	s_sub_i32 s2, s6, s2
	s_add_i32 s1, s0, 1
	s_sub_i32 s3, s2, s30
	s_cmp_ge_u32 s2, s30
	s_cselect_b32 s0, s1, s0
	s_cselect_b32 s2, s3, s2
	s_add_i32 s1, s0, 1
	s_cmp_ge_u32 s2, s30
	s_cselect_b32 s60, s1, s0
.LBB149_13:
	s_load_dwordx2 s[62:63], s[4:5], 0xe0
	s_load_dwordx4 s[40:43], s[4:5], 0xd0
	s_load_dwordx2 s[66:67], s[4:5], 0x2a0
	s_load_dwordx4 s[44:47], s[4:5], 0x290
	;; [unrolled: 2-line block ×3, first 2 shown]
	v_pk_mov_b32 v[2:3], s[28:29], s[28:29] op_sel:[0,1]
	v_cmp_lt_u64_e32 vcc, s[60:61], v[2:3]
	s_cbranch_vccnz .LBB149_15
; %bb.14:
	v_cvt_f32_u32_e32 v1, s28
	s_sub_i32 s0, 0, s28
	v_rcp_iflag_f32_e32 v1, v1
	v_mul_f32_e32 v1, 0x4f7ffffe, v1
	v_cvt_u32_f32_e32 v1, v1
	v_readfirstlane_b32 s1, v1
	s_mul_i32 s0, s0, s1
	s_mul_hi_u32 s0, s1, s0
	s_add_i32 s1, s1, s0
	s_mul_hi_u32 s0, s60, s1
	s_mul_i32 s2, s0, s28
	s_sub_i32 s2, s60, s2
	s_add_i32 s1, s0, 1
	s_sub_i32 s3, s2, s28
	s_cmp_ge_u32 s2, s28
	s_cselect_b32 s0, s1, s0
	s_cselect_b32 s2, s3, s2
	s_add_i32 s1, s0, 1
	s_cmp_ge_u32 s2, s28
	s_cselect_b32 s58, s1, s0
.LBB149_15:
	s_load_dwordx4 s[20:23], s[4:5], 0x518
	s_load_dwordx2 s[64:65], s[4:5], 0x0
	s_lshl_b64 s[0:1], s[6:7], 2
	s_mov_b32 s53, 0
	v_cmp_eq_u32_e64 s[2:3], 0, v0
	s_waitcnt lgkmcnt(0)
	s_add_u32 s0, s20, s0
	s_addc_u32 s1, s21, s1
	s_load_dword s33, s[0:1], 0x0
	v_cmp_ne_u32_e64 s[0:1], 0, v0
	s_and_saveexec_b64 s[20:21], s[2:3]
	s_cbranch_execz .LBB149_31
; %bb.16:
	s_load_dwordx2 s[70:71], s[4:5], 0x528
	s_lshl_b64 s[72:73], s[52:53], 2
	s_add_u32 s24, s22, s72
	s_addc_u32 s25, s23, s73
	s_mov_b32 s51, 0
	s_waitcnt lgkmcnt(0)
	s_add_u32 s26, s70, s72
	s_addc_u32 s27, s71, s73
	s_cmp_lt_u32 s35, 4
	s_cbranch_scc1 .LBB149_28
; %bb.17:
	s_mov_b32 s52, 0
.LBB149_18:                             ; =>This Inner Loop Header: Depth=1
	s_add_u32 s24, s22, s72
	s_addc_u32 s25, s23, s73
	s_load_dwordx4 s[24:27], s[24:25], 0x0
	s_add_u32 s74, s70, s72
	s_addc_u32 s75, s71, s73
	s_cmp_ge_u32 s52, s77
	s_cbranch_scc0 .LBB149_25
; %bb.19:                               ;   in Loop: Header=BB149_18 Depth=1
	s_add_i32 s57, s52, 1
	s_cmp_ge_u32 s57, s77
	s_cbranch_scc0 .LBB149_26
.LBB149_20:                             ;   in Loop: Header=BB149_18 Depth=1
	s_add_i32 s57, s57, 1
	s_cmp_ge_u32 s57, s77
	s_cbranch_scc0 .LBB149_27
.LBB149_21:                             ;   in Loop: Header=BB149_18 Depth=1
	s_add_i32 s57, s57, 1
	s_cmp_ge_u32 s57, s77
	s_cbranch_scc1 .LBB149_23
.LBB149_22:                             ;   in Loop: Header=BB149_18 Depth=1
	s_load_dword s59, s[74:75], 0xc
	s_waitcnt lgkmcnt(0)
	s_add_i32 s53, s53, s27
	s_add_i32 s7, s59, s7
.LBB149_23:                             ;   in Loop: Header=BB149_18 Depth=1
	s_waitcnt lgkmcnt(0)
	s_add_i32 s24, s24, s51
	s_add_i32 s24, s24, s25
	;; [unrolled: 1-line block ×4, first 2 shown]
	s_add_u32 s22, s22, 16
	s_addc_u32 s23, s23, 0
	s_add_u32 s70, s70, 16
	s_addc_u32 s71, s71, 0
	s_add_i32 s59, s57, 4
	s_add_u32 s26, s70, s72
	s_addc_u32 s27, s71, s73
	s_add_u32 s24, s22, s72
	s_addc_u32 s25, s23, s73
	s_add_i32 s57, s57, 1
	s_cmp_ge_u32 s59, s35
	s_cbranch_scc1 .LBB149_29
; %bb.24:                               ;   in Loop: Header=BB149_18 Depth=1
	s_mov_b32 s52, s57
	s_branch .LBB149_18
.LBB149_25:                             ;   in Loop: Header=BB149_18 Depth=1
	s_load_dword s57, s[74:75], 0x0
	s_waitcnt lgkmcnt(0)
	s_add_i32 s53, s24, s53
	s_add_i32 s7, s57, s7
	;; [unrolled: 1-line block ×3, first 2 shown]
	s_cmp_ge_u32 s57, s77
	s_cbranch_scc1 .LBB149_20
.LBB149_26:                             ;   in Loop: Header=BB149_18 Depth=1
	s_load_dword s59, s[74:75], 0x4
	s_waitcnt lgkmcnt(0)
	s_add_i32 s53, s53, s25
	s_add_i32 s7, s59, s7
	;; [unrolled: 1-line block ×3, first 2 shown]
	s_cmp_ge_u32 s57, s77
	s_cbranch_scc1 .LBB149_21
.LBB149_27:                             ;   in Loop: Header=BB149_18 Depth=1
	s_load_dword s59, s[74:75], 0x8
	s_waitcnt lgkmcnt(0)
	s_add_i32 s53, s53, s26
	s_add_i32 s7, s59, s7
	;; [unrolled: 1-line block ×3, first 2 shown]
	s_cmp_ge_u32 s57, s77
	s_cbranch_scc0 .LBB149_22
	s_branch .LBB149_23
.LBB149_28:
	s_mov_b32 s22, 0
	s_cmp_ge_u32 s22, s35
	s_cbranch_scc0 .LBB149_52
	s_branch .LBB149_30
.LBB149_29:
	s_add_i32 s22, s52, 4
	s_cmp_ge_u32 s22, s35
	s_cbranch_scc0 .LBB149_52
.LBB149_30:
	v_mov_b32_e32 v2, s7
	v_mov_b32_e32 v3, s51
	;; [unrolled: 1-line block ×4, first 2 shown]
	ds_write_b96 v1, v[2:4] offset:1056
.LBB149_31:
	s_or_b64 exec, exec, s[20:21]
	s_load_dwordx4 s[20:23], s[4:5], 0x1b8
	s_load_dwordx4 s[24:27], s[4:5], 0x360
	s_cmp_eq_u32 s34, 0
	s_waitcnt lgkmcnt(0)
	s_barrier
	s_cbranch_scc1 .LBB149_54
; %bb.32:
	s_mul_i32 s7, s60, s31
	s_mul_hi_u32 s31, s60, s30
	s_add_i32 s31, s31, s7
	s_mul_i32 s7, s60, s30
	s_sub_u32 s7, s6, s7
	s_subb_u32 s30, 0, s31
	s_mul_i32 s31, s7, s69
	s_mul_hi_u32 s35, s7, s68
	s_add_i32 s31, s35, s31
	s_mul_i32 s30, s30, s68
	s_add_i32 s31, s31, s30
	s_mul_i32 s30, s7, s68
	s_mul_i32 s7, s56, s17
	s_mul_hi_u32 s17, s56, s16
	s_add_i32 s17, s17, s7
	s_mul_i32 s7, s56, s16
	s_sub_u32 s7, s54, s7
	s_subb_u32 s16, s55, s17
	s_mul_i32 s17, s7, s47
	s_mul_hi_u32 s35, s7, s46
	s_add_i32 s17, s35, s17
	s_mul_i32 s16, s16, s46
	s_add_i32 s47, s17, s16
	s_mul_i32 s46, s7, s46
	s_mul_i32 s7, s56, s45
	s_mul_hi_u32 s16, s56, s44
	s_add_i32 s45, s16, s7
	s_mul_i32 s7, s54, s19
	s_mul_hi_u32 s16, s54, s18
	s_add_i32 s16, s16, s7
	s_mul_i32 s7, s54, s18
	s_sub_u32 s7, s6, s7
	s_subb_u32 s16, 0, s16
	s_mul_i32 s17, s7, s67
	s_mul_hi_u32 s18, s7, s66
	s_add_i32 s17, s18, s17
	s_mul_i32 s16, s16, s66
	s_mul_i32 s18, s7, s66
	;; [unrolled: 1-line block ×3, first 2 shown]
	s_mul_hi_u32 s13, s50, s12
	s_add_i32 s19, s17, s16
	s_add_i32 s13, s13, s7
	s_mul_i32 s7, s50, s12
	s_sub_u32 s7, s48, s7
	s_subb_u32 s12, s49, s13
	s_mul_i32 s13, s7, s43
	s_mul_hi_u32 s16, s7, s42
	s_add_i32 s13, s16, s13
	s_mul_i32 s12, s12, s42
	s_add_i32 s13, s13, s12
	s_mul_i32 s12, s7, s42
	s_mul_i32 s7, s50, s41
	s_mul_hi_u32 s16, s50, s40
	s_add_i32 s17, s16, s7
	s_mul_i32 s7, s48, s15
	s_mul_hi_u32 s15, s48, s14
	s_add_i32 s15, s15, s7
	s_mul_i32 s7, s48, s14
	s_sub_u32 s6, s6, s7
	s_subb_u32 s7, 0, s15
	s_mul_i32 s14, s6, s63
	s_mul_hi_u32 s15, s6, s62
	s_add_i32 s14, s15, s14
	s_mul_i32 s7, s7, s62
	s_add_i32 s7, s14, s7
	s_mul_i32 s14, s58, s29
	s_mul_hi_u32 s15, s58, s28
	s_add_i32 s15, s15, s14
	s_mul_i32 s14, s58, s28
	s_sub_u32 s14, s60, s14
	s_subb_u32 s15, s61, s15
	s_mul_i32 s28, s14, s39
	s_mul_hi_u32 s29, s14, s38
	s_add_i32 s28, s29, s28
	s_mul_i32 s15, s15, s38
	s_mul_i32 s16, s50, s40
	s_add_i32 s15, s28, s15
	s_mul_i32 s28, s58, s37
	s_mul_hi_u32 s29, s58, s36
	s_add_i32 s29, s29, s28
	s_lshl_b64 s[16:17], s[16:17], 2
	s_add_u32 s16, s64, s16
	s_addc_u32 s17, s65, s17
	s_lshl_b64 s[12:13], s[12:13], 2
	s_mul_i32 s6, s6, s62
	s_add_u32 s12, s16, s12
	s_addc_u32 s13, s17, s13
	s_lshl_b64 s[6:7], s[6:7], 2
	s_mul_i32 s44, s56, s44
	s_add_u32 s16, s12, s6
	s_addc_u32 s17, s13, s7
	s_lshl_b64 s[6:7], s[44:45], 2
	s_add_u32 s12, s22, s6
	s_addc_u32 s13, s23, s7
	s_lshl_b64 s[6:7], s[46:47], 2
	;; [unrolled: 3-line block ×3, first 2 shown]
	s_mul_i32 s28, s58, s36
	s_add_u32 s18, s12, s6
	v_mov_b32_e32 v1, 0
	s_addc_u32 s19, s13, s7
	s_lshl_b64 s[6:7], s[28:29], 3
	ds_read_b96 v[2:4], v1 offset:1056
	s_mul_i32 s14, s14, s38
	s_add_u32 s12, s26, s6
	s_addc_u32 s13, s27, s7
	s_lshl_b64 s[6:7], s[14:15], 3
	s_add_u32 s12, s12, s6
	s_addc_u32 s13, s13, s7
	s_lshl_b64 s[6:7], s[30:31], 3
	s_add_u32 s22, s12, s6
	s_load_dword s6, s[4:5], 0x1b0
	s_waitcnt lgkmcnt(0)
	v_add_u32_e32 v2, v2, v3
	v_lshrrev_b32_e32 v3, 5, v0
	v_add_lshl_u32 v5, v3, v0, 2
	v_lshlrev_b32_e32 v3, 2, v0
	v_lshrrev_b32_e32 v6, 3, v0
	s_addc_u32 s23, s13, s7
	s_load_dwordx2 s[12:13], s[4:5], 0x508
	v_add_lshl_u32 v8, v6, v3, 2
	v_add_u32_e32 v3, -1, v0
	v_lshrrev_b32_e32 v6, 5, v3
	s_xor_b32 s26, s33, 0x80000000
	v_add_lshl_u32 v9, v6, v3, 2
	v_mbcnt_lo_u32_b32 v3, -1, 0
	s_bitcmp1_b32 s6, 0
	v_mbcnt_hi_u32_b32 v10, -1, v3
	s_cselect_b64 s[4:5], -1, 0
	v_cmp_gt_u32_e64 s[6:7], 64, v0
	v_add_u32_e32 v0, s76, v0
	v_and_b32_e32 v11, 15, v10
	v_bfe_i32 v12, v10, 4, 1
	v_add_u32_e32 v13, -1, v10
	v_and_b32_e32 v14, 64, v10
                                        ; implicit-def: $vgpr15
	s_branch .LBB149_35
.LBB149_33:                             ;   in Loop: Header=BB149_35 Depth=1
	s_or_b64 exec, exec, s[14:15]
	v_add_u32_e32 v2, v3, v2
.LBB149_34:                             ;   in Loop: Header=BB149_35 Depth=1
	s_add_i32 s34, s34, -1
	v_add_u32_e32 v4, v16, v4
	s_cmp_lg_u32 s34, 0
	v_add_u32_e32 v0, 0x100, v0
	s_cbranch_scc0 .LBB149_54
.LBB149_35:                             ; =>This Inner Loop Header: Depth=1
	v_cmp_gt_u64_e32 vcc, s[8:9], v[0:1]
	v_mov_b32_e32 v3, v1
	v_mov_b32_e32 v6, v1
	s_and_saveexec_b64 s[14:15], vcc
	s_cbranch_execz .LBB149_37
; %bb.36:                               ;   in Loop: Header=BB149_35 Depth=1
	v_mad_u64_u32 v[6:7], s[28:29], v0, s20, 0
	v_mov_b32_e32 v16, v7
	v_mad_u64_u32 v[16:17], s[28:29], v0, s21, v[16:17]
	v_mov_b32_e32 v7, v16
	v_lshlrev_b64 v[6:7], 2, v[6:7]
	v_mov_b32_e32 v3, s17
	v_add_co_u32_e32 v6, vcc, s16, v6
	v_addc_co_u32_e32 v7, vcc, v3, v7, vcc
	global_load_dword v15, v[6:7], off
	s_waitcnt vmcnt(0)
	v_xor_b32_e32 v3, 0x80000000, v15
	v_cmp_lt_u32_e32 vcc, s26, v3
	v_cndmask_b32_e64 v6, 0, 1, vcc
	v_cmp_gt_u32_e32 vcc, s26, v3
	v_cndmask_b32_e64 v3, 0, 1, vcc
	v_cndmask_b32_e64 v3, v3, v6, s[4:5]
	v_cmp_eq_u32_e32 vcc, s33, v15
	v_and_b32_e32 v3, 1, v3
	v_cndmask_b32_e64 v6, 0, 1, vcc
.LBB149_37:                             ;   in Loop: Header=BB149_35 Depth=1
	s_or_b64 exec, exec, s[14:15]
	ds_write_b32 v5, v3
	s_waitcnt lgkmcnt(0)
	s_barrier
	s_and_saveexec_b64 s[14:15], s[6:7]
	s_cbranch_execz .LBB149_39
; %bb.38:                               ;   in Loop: Header=BB149_35 Depth=1
	ds_read2_b32 v[16:17], v8 offset1:1
	ds_read2_b32 v[18:19], v8 offset0:2 offset1:3
	v_cmp_ne_u32_e32 vcc, 0, v11
	; wave barrier
	s_waitcnt lgkmcnt(1)
	v_add_u32_e32 v7, v17, v16
	s_waitcnt lgkmcnt(0)
	v_add3_u32 v7, v7, v18, v19
	s_nop 1
	v_mov_b32_dpp v17, v7 row_shr:1 row_mask:0xf bank_mask:0xf
	v_cndmask_b32_e32 v17, 0, v17, vcc
	v_add_u32_e32 v7, v17, v7
	v_cmp_lt_u32_e32 vcc, 1, v11
	s_nop 0
	v_mov_b32_dpp v17, v7 row_shr:2 row_mask:0xf bank_mask:0xf
	v_cndmask_b32_e32 v17, 0, v17, vcc
	v_add_u32_e32 v7, v7, v17
	v_cmp_lt_u32_e32 vcc, 3, v11
	;; [unrolled: 5-line block ×4, first 2 shown]
	s_nop 0
	v_mov_b32_dpp v17, v7 row_bcast:15 row_mask:0xf bank_mask:0xf
	v_and_b32_e32 v17, v12, v17
	v_add_u32_e32 v7, v7, v17
	s_nop 1
	v_mov_b32_dpp v17, v7 row_bcast:31 row_mask:0xf bank_mask:0xf
	v_cndmask_b32_e32 v17, 0, v17, vcc
	v_cmp_lt_i32_e32 vcc, v13, v14
	v_add_u32_e32 v7, v7, v17
	v_cndmask_b32_e32 v17, v13, v10, vcc
	v_lshlrev_b32_e32 v17, 2, v17
	ds_bpermute_b32 v7, v17, v7
	s_waitcnt lgkmcnt(0)
	v_add_u32_e32 v7, v7, v16
	v_cndmask_b32_e64 v7, v7, v3, s[2:3]
	ds_write_b32 v8, v7
	; wave barrier
	ds_read2_b32 v[16:17], v8 offset0:1 offset1:2
	ds_read_b32 v18, v8 offset:12
	s_waitcnt lgkmcnt(1)
	v_add_u32_e32 v7, v16, v7
	v_add_u32_e32 v16, v17, v7
	ds_write2_b32 v8, v7, v16 offset0:1 offset1:2
	s_waitcnt lgkmcnt(1)
	v_add_u32_e32 v7, v18, v16
	ds_write_b32 v8, v7 offset:12
.LBB149_39:                             ;   in Loop: Header=BB149_35 Depth=1
	s_or_b64 exec, exec, s[14:15]
	v_mov_b32_e32 v7, 0
	s_waitcnt lgkmcnt(0)
	s_barrier
	s_and_saveexec_b64 s[14:15], s[0:1]
	s_cbranch_execz .LBB149_41
; %bb.40:                               ;   in Loop: Header=BB149_35 Depth=1
	ds_read_b32 v7, v9
.LBB149_41:                             ;   in Loop: Header=BB149_35 Depth=1
	s_or_b64 exec, exec, s[14:15]
	ds_read_b32 v16, v1 offset:1048
	v_cmp_ne_u32_e32 vcc, 0, v3
	s_waitcnt lgkmcnt(0)
	s_barrier
	s_and_saveexec_b64 s[14:15], vcc
	s_cbranch_execz .LBB149_43
; %bb.42:                               ;   in Loop: Header=BB149_35 Depth=1
	v_add_u32_e32 v3, v7, v4
	v_mad_u64_u32 v[18:19], s[28:29], v3, s24, 0
	v_mov_b32_e32 v20, v19
	v_mad_u64_u32 v[20:21], s[28:29], v3, s25, v[20:21]
	v_mov_b32_e32 v19, v20
	v_lshlrev_b64 v[18:19], 2, v[18:19]
	v_mov_b32_e32 v7, s19
	v_add_co_u32_e32 v18, vcc, s18, v18
	v_addc_co_u32_e32 v19, vcc, v7, v19, vcc
	global_store_dword v[18:19], v15, off
	v_mad_u64_u32 v[18:19], s[28:29], v3, s12, 0
	v_mov_b32_e32 v20, v19
	v_mad_u64_u32 v[20:21], s[28:29], v3, s13, v[20:21]
	v_mov_b32_e32 v19, v20
	v_lshlrev_b64 v[18:19], 3, v[18:19]
	v_mov_b32_e32 v3, s23
	v_add_co_u32_e32 v18, vcc, s22, v18
	v_addc_co_u32_e32 v19, vcc, v3, v19, vcc
	global_store_dwordx2 v[18:19], v[0:1], off
.LBB149_43:                             ;   in Loop: Header=BB149_35 Depth=1
	s_or_b64 exec, exec, s[14:15]
	v_mov_b32_e32 v3, v1
	v_cmp_le_u64_e32 vcc, s[10:11], v[2:3]
	s_cbranch_vccnz .LBB149_34
; %bb.44:                               ;   in Loop: Header=BB149_35 Depth=1
	ds_write_b32 v5, v6
	s_waitcnt lgkmcnt(0)
	s_barrier
	s_and_saveexec_b64 s[14:15], s[6:7]
	s_cbranch_execz .LBB149_46
; %bb.45:                               ;   in Loop: Header=BB149_35 Depth=1
	ds_read2_b32 v[18:19], v8 offset1:1
	ds_read2_b32 v[20:21], v8 offset0:2 offset1:3
	v_cmp_ne_u32_e32 vcc, 0, v11
	; wave barrier
	s_waitcnt lgkmcnt(1)
	v_add_u32_e32 v3, v19, v18
	s_waitcnt lgkmcnt(0)
	v_add3_u32 v3, v3, v20, v21
	s_nop 1
	v_mov_b32_dpp v7, v3 row_shr:1 row_mask:0xf bank_mask:0xf
	v_cndmask_b32_e32 v7, 0, v7, vcc
	v_add_u32_e32 v3, v7, v3
	v_cmp_lt_u32_e32 vcc, 1, v11
	s_nop 0
	v_mov_b32_dpp v7, v3 row_shr:2 row_mask:0xf bank_mask:0xf
	v_cndmask_b32_e32 v7, 0, v7, vcc
	v_add_u32_e32 v3, v3, v7
	v_cmp_lt_u32_e32 vcc, 3, v11
	;; [unrolled: 5-line block ×4, first 2 shown]
	s_nop 0
	v_mov_b32_dpp v7, v3 row_bcast:15 row_mask:0xf bank_mask:0xf
	v_and_b32_e32 v7, v12, v7
	v_add_u32_e32 v3, v3, v7
	s_nop 1
	v_mov_b32_dpp v7, v3 row_bcast:31 row_mask:0xf bank_mask:0xf
	v_cndmask_b32_e32 v7, 0, v7, vcc
	v_cmp_lt_i32_e32 vcc, v13, v14
	v_add_u32_e32 v3, v3, v7
	v_cndmask_b32_e32 v7, v13, v10, vcc
	v_lshlrev_b32_e32 v7, 2, v7
	ds_bpermute_b32 v3, v7, v3
	s_waitcnt lgkmcnt(0)
	v_add_u32_e32 v3, v3, v18
	v_cndmask_b32_e64 v3, v3, v6, s[2:3]
	ds_write_b32 v8, v3
	; wave barrier
	ds_read2_b32 v[18:19], v8 offset0:1 offset1:2
	ds_read_b32 v7, v8 offset:12
	s_waitcnt lgkmcnt(1)
	v_add_u32_e32 v3, v18, v3
	v_add_u32_e32 v17, v19, v3
	ds_write2_b32 v8, v3, v17 offset0:1 offset1:2
	s_waitcnt lgkmcnt(1)
	v_add_u32_e32 v3, v7, v17
	ds_write_b32 v8, v3 offset:12
.LBB149_46:                             ;   in Loop: Header=BB149_35 Depth=1
	s_or_b64 exec, exec, s[14:15]
	v_mov_b32_e32 v7, 0
	s_waitcnt lgkmcnt(0)
	s_barrier
	s_and_saveexec_b64 s[14:15], s[0:1]
	s_cbranch_execz .LBB149_48
; %bb.47:                               ;   in Loop: Header=BB149_35 Depth=1
	ds_read_b32 v7, v9
.LBB149_48:                             ;   in Loop: Header=BB149_35 Depth=1
	s_or_b64 exec, exec, s[14:15]
	ds_read_b32 v3, v1 offset:1048
	v_cmp_ne_u32_e32 vcc, 0, v6
	s_waitcnt lgkmcnt(0)
	s_barrier
	s_and_saveexec_b64 s[14:15], vcc
	s_cbranch_execz .LBB149_33
; %bb.49:                               ;   in Loop: Header=BB149_35 Depth=1
	v_add_u32_e32 v6, v7, v2
	v_mov_b32_e32 v7, v1
	v_cmp_gt_u64_e32 vcc, s[10:11], v[6:7]
	s_and_b64 exec, exec, vcc
	s_cbranch_execz .LBB149_33
; %bb.50:                               ;   in Loop: Header=BB149_35 Depth=1
	v_mad_u64_u32 v[18:19], s[28:29], v6, s24, 0
	v_mov_b32_e32 v20, v19
	v_mad_u64_u32 v[20:21], s[28:29], v6, s25, v[20:21]
	v_mov_b32_e32 v19, v20
	v_lshlrev_b64 v[18:19], 2, v[18:19]
	v_mov_b32_e32 v7, s19
	v_add_co_u32_e32 v18, vcc, s18, v18
	v_addc_co_u32_e32 v19, vcc, v7, v19, vcc
	global_store_dword v[18:19], v15, off
	v_mad_u64_u32 v[18:19], s[28:29], v6, s12, 0
	v_mov_b32_e32 v20, v19
	v_mad_u64_u32 v[6:7], s[28:29], v6, s13, v[20:21]
	v_mov_b32_e32 v19, v6
	v_lshlrev_b64 v[6:7], 3, v[18:19]
	v_mov_b32_e32 v17, s23
	v_add_co_u32_e32 v6, vcc, s22, v6
	v_addc_co_u32_e32 v7, vcc, v17, v7, vcc
	global_store_dwordx2 v[6:7], v[0:1], off
	s_branch .LBB149_33
.LBB149_51:                             ;   in Loop: Header=BB149_52 Depth=1
	s_add_u32 s24, s24, 4
	s_addc_u32 s25, s25, 0
	s_waitcnt lgkmcnt(0)
	s_add_i32 s51, s23, s51
	s_add_u32 s26, s26, 4
	s_addc_u32 s27, s27, 0
	s_add_i32 s22, s22, 1
	s_cmp_lt_u32 s22, s35
	s_cbranch_scc0 .LBB149_30
.LBB149_52:                             ; =>This Inner Loop Header: Depth=1
	s_load_dword s23, s[24:25], 0x0
	s_cmp_ge_u32 s22, s77
	s_cbranch_scc1 .LBB149_51
; %bb.53:                               ;   in Loop: Header=BB149_52 Depth=1
	s_load_dword s52, s[26:27], 0x0
	s_waitcnt lgkmcnt(0)
	s_add_i32 s53, s23, s53
	s_add_i32 s7, s52, s7
	s_branch .LBB149_51
.LBB149_54:
	s_endpgm
	.section	.rodata,"a",@progbits
	.p2align	6, 0x0
	.amdhsa_kernel _ZN2at6native6mbtopk10gatherTopKIimLi3EEEvNS_4cuda6detail10TensorInfoIKT_T0_EES8_S8_bjS8_NS5_IS6_S8_EES8_NS5_IlS8_EES8_jjPS6_PjSD_j
		.amdhsa_group_segment_fixed_size 1068
		.amdhsa_private_segment_fixed_size 0
		.amdhsa_kernarg_size 1592
		.amdhsa_user_sgpr_count 6
		.amdhsa_user_sgpr_private_segment_buffer 1
		.amdhsa_user_sgpr_dispatch_ptr 0
		.amdhsa_user_sgpr_queue_ptr 0
		.amdhsa_user_sgpr_kernarg_segment_ptr 1
		.amdhsa_user_sgpr_dispatch_id 0
		.amdhsa_user_sgpr_flat_scratch_init 0
		.amdhsa_user_sgpr_kernarg_preload_length 0
		.amdhsa_user_sgpr_kernarg_preload_offset 0
		.amdhsa_user_sgpr_private_segment_size 0
		.amdhsa_uses_dynamic_stack 0
		.amdhsa_system_sgpr_private_segment_wavefront_offset 0
		.amdhsa_system_sgpr_workgroup_id_x 1
		.amdhsa_system_sgpr_workgroup_id_y 1
		.amdhsa_system_sgpr_workgroup_id_z 1
		.amdhsa_system_sgpr_workgroup_info 0
		.amdhsa_system_vgpr_workitem_id 0
		.amdhsa_next_free_vgpr 22
		.amdhsa_next_free_sgpr 78
		.amdhsa_accum_offset 24
		.amdhsa_reserve_vcc 1
		.amdhsa_reserve_flat_scratch 0
		.amdhsa_float_round_mode_32 0
		.amdhsa_float_round_mode_16_64 0
		.amdhsa_float_denorm_mode_32 3
		.amdhsa_float_denorm_mode_16_64 3
		.amdhsa_dx10_clamp 1
		.amdhsa_ieee_mode 1
		.amdhsa_fp16_overflow 0
		.amdhsa_tg_split 0
		.amdhsa_exception_fp_ieee_invalid_op 0
		.amdhsa_exception_fp_denorm_src 0
		.amdhsa_exception_fp_ieee_div_zero 0
		.amdhsa_exception_fp_ieee_overflow 0
		.amdhsa_exception_fp_ieee_underflow 0
		.amdhsa_exception_fp_ieee_inexact 0
		.amdhsa_exception_int_div_zero 0
	.end_amdhsa_kernel
	.section	.text._ZN2at6native6mbtopk10gatherTopKIimLi3EEEvNS_4cuda6detail10TensorInfoIKT_T0_EES8_S8_bjS8_NS5_IS6_S8_EES8_NS5_IlS8_EES8_jjPS6_PjSD_j,"axG",@progbits,_ZN2at6native6mbtopk10gatherTopKIimLi3EEEvNS_4cuda6detail10TensorInfoIKT_T0_EES8_S8_bjS8_NS5_IS6_S8_EES8_NS5_IlS8_EES8_jjPS6_PjSD_j,comdat
.Lfunc_end149:
	.size	_ZN2at6native6mbtopk10gatherTopKIimLi3EEEvNS_4cuda6detail10TensorInfoIKT_T0_EES8_S8_bjS8_NS5_IS6_S8_EES8_NS5_IlS8_EES8_jjPS6_PjSD_j, .Lfunc_end149-_ZN2at6native6mbtopk10gatherTopKIimLi3EEEvNS_4cuda6detail10TensorInfoIKT_T0_EES8_S8_bjS8_NS5_IS6_S8_EES8_NS5_IlS8_EES8_jjPS6_PjSD_j
                                        ; -- End function
	.section	.AMDGPU.csdata,"",@progbits
; Kernel info:
; codeLenInByte = 3228
; NumSgprs: 82
; NumVgprs: 22
; NumAgprs: 0
; TotalNumVgprs: 22
; ScratchSize: 0
; MemoryBound: 0
; FloatMode: 240
; IeeeMode: 1
; LDSByteSize: 1068 bytes/workgroup (compile time only)
; SGPRBlocks: 10
; VGPRBlocks: 2
; NumSGPRsForWavesPerEU: 82
; NumVGPRsForWavesPerEU: 22
; AccumOffset: 24
; Occupancy: 8
; WaveLimiterHint : 1
; COMPUTE_PGM_RSRC2:SCRATCH_EN: 0
; COMPUTE_PGM_RSRC2:USER_SGPR: 6
; COMPUTE_PGM_RSRC2:TRAP_HANDLER: 0
; COMPUTE_PGM_RSRC2:TGID_X_EN: 1
; COMPUTE_PGM_RSRC2:TGID_Y_EN: 1
; COMPUTE_PGM_RSRC2:TGID_Z_EN: 1
; COMPUTE_PGM_RSRC2:TIDIG_COMP_CNT: 0
; COMPUTE_PGM_RSRC3_GFX90A:ACCUM_OFFSET: 5
; COMPUTE_PGM_RSRC3_GFX90A:TG_SPLIT: 0
	.section	.text._ZN2at6native6sbtopk10gatherTopKIimLi3ELb0EEEvNS_4cuda6detail10TensorInfoIKT_T0_EES8_S8_bS8_S8_NS5_IS6_S8_EES8_NS5_IlS8_EES8_PS6_,"axG",@progbits,_ZN2at6native6sbtopk10gatherTopKIimLi3ELb0EEEvNS_4cuda6detail10TensorInfoIKT_T0_EES8_S8_bS8_S8_NS5_IS6_S8_EES8_NS5_IlS8_EES8_PS6_,comdat
	.protected	_ZN2at6native6sbtopk10gatherTopKIimLi3ELb0EEEvNS_4cuda6detail10TensorInfoIKT_T0_EES8_S8_bS8_S8_NS5_IS6_S8_EES8_NS5_IlS8_EES8_PS6_ ; -- Begin function _ZN2at6native6sbtopk10gatherTopKIimLi3ELb0EEEvNS_4cuda6detail10TensorInfoIKT_T0_EES8_S8_bS8_S8_NS5_IS6_S8_EES8_NS5_IlS8_EES8_PS6_
	.globl	_ZN2at6native6sbtopk10gatherTopKIimLi3ELb0EEEvNS_4cuda6detail10TensorInfoIKT_T0_EES8_S8_bS8_S8_NS5_IS6_S8_EES8_NS5_IlS8_EES8_PS6_
	.p2align	8
	.type	_ZN2at6native6sbtopk10gatherTopKIimLi3ELb0EEEvNS_4cuda6detail10TensorInfoIKT_T0_EES8_S8_bS8_S8_NS5_IS6_S8_EES8_NS5_IlS8_EES8_PS6_,@function
_ZN2at6native6sbtopk10gatherTopKIimLi3ELb0EEEvNS_4cuda6detail10TensorInfoIKT_T0_EES8_S8_bS8_S8_NS5_IS6_S8_EES8_NS5_IlS8_EES8_PS6_: ; @_ZN2at6native6sbtopk10gatherTopKIimLi3ELb0EEEvNS_4cuda6detail10TensorInfoIKT_T0_EES8_S8_bS8_S8_NS5_IS6_S8_EES8_NS5_IlS8_EES8_PS6_
; %bb.0:
	s_load_dwordx4 s[56:59], s[4:5], 0x1b8
	s_load_dwordx2 s[16:17], s[4:5], 0x520
	s_mov_b64 s[26:27], s[4:5]
	s_add_u32 s10, s26, 0x520
	s_addc_u32 s11, s27, 0
	s_waitcnt lgkmcnt(0)
	v_mov_b32_e32 v2, s56
	s_mul_i32 s0, s17, s8
	s_add_i32 s0, s0, s7
	s_mul_i32 s0, s0, s16
	v_mov_b32_e32 v3, s57
	s_add_i32 s28, s0, s6
	s_mov_b32 s29, 0
	v_cmp_ge_u64_e32 vcc, s[28:29], v[2:3]
	s_cbranch_vccnz .LBB150_495
; %bb.1:
	s_load_dwordx4 s[0:3], s[26:27], 0x10
	s_mov_b64 s[8:9], 0
	s_mov_b64 s[4:5], 0
	s_waitcnt lgkmcnt(0)
	v_pk_mov_b32 v[2:3], s[2:3], s[2:3] op_sel:[0,1]
	v_cmp_lt_u64_e32 vcc, s[28:29], v[2:3]
	s_cbranch_vccnz .LBB150_3
; %bb.2:
	v_cvt_f32_u32_e32 v1, s2
	s_sub_i32 s4, 0, s2
	s_mov_b32 s5, 0
	v_rcp_iflag_f32_e32 v1, v1
	v_mul_f32_e32 v1, 0x4f7ffffe, v1
	v_cvt_u32_f32_e32 v1, v1
	v_readfirstlane_b32 s7, v1
	s_mul_i32 s4, s4, s7
	s_mul_hi_u32 s4, s7, s4
	s_add_i32 s7, s7, s4
	s_mul_hi_u32 s4, s28, s7
	s_mul_i32 s9, s4, s2
	s_sub_i32 s9, s28, s9
	s_add_i32 s7, s4, 1
	s_sub_i32 s12, s9, s2
	s_cmp_ge_u32 s9, s2
	s_cselect_b32 s4, s7, s4
	s_cselect_b32 s9, s12, s9
	s_add_i32 s7, s4, 1
	s_cmp_ge_u32 s9, s2
	s_cselect_b32 s4, s7, s4
.LBB150_3:
	s_load_dwordx4 s[20:23], s[26:27], 0x1d8
	v_pk_mov_b32 v[2:3], s[0:1], s[0:1] op_sel:[0,1]
	v_cmp_lt_u64_e32 vcc, s[4:5], v[2:3]
	s_cbranch_vccnz .LBB150_5
; %bb.4:
	v_cvt_f32_u32_e32 v1, s0
	s_sub_i32 s7, 0, s0
	v_rcp_iflag_f32_e32 v1, v1
	v_mul_f32_e32 v1, 0x4f7ffffe, v1
	v_cvt_u32_f32_e32 v1, v1
	v_readfirstlane_b32 s8, v1
	s_mul_i32 s7, s7, s8
	s_mul_hi_u32 s7, s8, s7
	s_add_i32 s8, s8, s7
	s_mul_hi_u32 s7, s4, s8
	s_mul_i32 s9, s7, s0
	s_sub_i32 s9, s4, s9
	s_add_i32 s8, s7, 1
	s_sub_i32 s12, s9, s0
	s_cmp_ge_u32 s9, s0
	s_cselect_b32 s7, s8, s7
	s_cselect_b32 s9, s12, s9
	s_add_i32 s8, s7, 1
	s_cmp_ge_u32 s9, s0
	s_cselect_b32 s8, s8, s7
.LBB150_5:
	s_waitcnt lgkmcnt(0)
	v_pk_mov_b32 v[2:3], s[22:23], s[22:23] op_sel:[0,1]
	v_cmp_lt_u64_e32 vcc, s[28:29], v[2:3]
	s_mov_b64 s[12:13], 0
                                        ; implicit-def: $vgpr47 : SGPR spill to VGPR lane
	v_writelane_b32 v47, s12, 0
	s_mov_b64 s[24:25], 0
	v_writelane_b32 v47, s13, 1
	s_cbranch_vccnz .LBB150_7
; %bb.6:
	v_cvt_f32_u32_e32 v1, s22
	s_sub_i32 s7, 0, s22
	s_mov_b32 s25, 0
	v_rcp_iflag_f32_e32 v1, v1
	v_mul_f32_e32 v1, 0x4f7ffffe, v1
	v_cvt_u32_f32_e32 v1, v1
	v_readfirstlane_b32 s9, v1
	s_mul_i32 s7, s7, s9
	s_mul_hi_u32 s7, s9, s7
	s_add_i32 s9, s9, s7
	s_mul_hi_u32 s7, s28, s9
	s_mul_i32 s12, s7, s22
	s_sub_i32 s12, s28, s12
	s_add_i32 s9, s7, 1
	s_sub_i32 s13, s12, s22
	s_cmp_ge_u32 s12, s22
	s_cselect_b32 s7, s9, s7
	s_cselect_b32 s12, s13, s12
	s_add_i32 s9, s7, 1
	s_cmp_ge_u32 s12, s22
	s_cselect_b32 s24, s9, s7
.LBB150_7:
	s_load_dwordx4 s[36:39], s[26:27], 0x380
	v_pk_mov_b32 v[2:3], s[20:21], s[20:21] op_sel:[0,1]
	v_cmp_lt_u64_e32 vcc, s[24:25], v[2:3]
	s_cbranch_vccnz .LBB150_9
; %bb.8:
	v_cvt_f32_u32_e32 v1, s20
	s_sub_i32 s7, 0, s20
	v_rcp_iflag_f32_e32 v1, v1
	v_mul_f32_e32 v1, 0x4f7ffffe, v1
	v_cvt_u32_f32_e32 v1, v1
	v_readfirstlane_b32 s9, v1
	s_mul_i32 s7, s7, s9
	s_mul_hi_u32 s7, s9, s7
	s_add_i32 s9, s9, s7
	s_mul_hi_u32 s7, s24, s9
	s_mul_i32 s12, s7, s20
	s_sub_i32 s12, s24, s12
	s_add_i32 s9, s7, 1
	s_sub_i32 s13, s12, s20
	s_cmp_ge_u32 s12, s20
	s_cselect_b32 s7, s9, s7
	s_cselect_b32 s12, s13, s12
	s_add_i32 s9, s7, 1
	s_cmp_ge_u32 s12, s20
	s_cselect_b32 s12, s9, s7
	v_writelane_b32 v47, s12, 0
	v_writelane_b32 v47, s13, 1
.LBB150_9:
	v_writelane_b32 v47, s20, 2
	v_writelane_b32 v47, s21, 3
	s_load_dwordx2 s[18:19], s[26:27], 0xe0
	s_load_dwordx4 s[12:15], s[26:27], 0xd0
	v_writelane_b32 v47, s22, 4
	v_writelane_b32 v47, s23, 5
	s_waitcnt lgkmcnt(0)
	v_pk_mov_b32 v[2:3], s[38:39], s[38:39] op_sel:[0,1]
	s_mov_b64 s[20:21], 0
	v_cmp_lt_u64_e32 vcc, s[28:29], v[2:3]
	v_writelane_b32 v47, s20, 6
	v_writelane_b32 v47, s21, 7
	s_mov_b64 s[20:21], 0
	s_cbranch_vccnz .LBB150_11
; %bb.10:
	v_cvt_f32_u32_e32 v1, s38
	s_sub_i32 s7, 0, s38
	s_mov_b32 s21, 0
	v_rcp_iflag_f32_e32 v1, v1
	v_mul_f32_e32 v1, 0x4f7ffffe, v1
	v_cvt_u32_f32_e32 v1, v1
	v_readfirstlane_b32 s9, v1
	s_mul_i32 s7, s7, s9
	s_mul_hi_u32 s7, s9, s7
	s_add_i32 s9, s9, s7
	s_mul_hi_u32 s7, s28, s9
	s_mul_i32 s17, s7, s38
	s_sub_i32 s17, s28, s17
	s_add_i32 s9, s7, 1
	s_sub_i32 s20, s17, s38
	s_cmp_ge_u32 s17, s38
	s_cselect_b32 s7, s9, s7
	s_cselect_b32 s17, s20, s17
	s_add_i32 s9, s7, 1
	s_cmp_ge_u32 s17, s38
	s_cselect_b32 s20, s9, s7
.LBB150_11:
	s_load_dwordx2 s[22:23], s[26:27], 0x450
	s_load_dwordx4 s[40:43], s[26:27], 0x440
	v_writelane_b32 v47, s24, 8
	v_writelane_b32 v47, s25, 9
	v_pk_mov_b32 v[2:3], s[36:37], s[36:37] op_sel:[0,1]
	s_waitcnt lgkmcnt(0)
	v_writelane_b32 v47, s22, 10
	v_writelane_b32 v47, s23, 11
	s_load_dwordx2 s[22:23], s[26:27], 0x2a8
	v_writelane_b32 v47, s40, 12
	v_writelane_b32 v47, s41, 13
	;; [unrolled: 1-line block ×4, first 2 shown]
	s_load_dwordx4 s[40:43], s[26:27], 0x298
	s_waitcnt lgkmcnt(0)
	v_writelane_b32 v47, s22, 16
	v_writelane_b32 v47, s23, 17
	s_mov_b64 s[22:23], s[20:21]
	s_load_dwordx2 s[20:21], s[26:27], 0x0
	v_writelane_b32 v47, s40, 18
	v_writelane_b32 v47, s41, 19
	;; [unrolled: 1-line block ×5, first 2 shown]
	v_cmp_lt_u64_e32 vcc, s[22:23], v[2:3]
	v_writelane_b32 v47, s23, 23
	s_cbranch_vccnz .LBB150_13
; %bb.12:
	v_cvt_f32_u32_e32 v1, s36
	s_sub_i32 s7, 0, s36
	v_readlane_b32 s22, v47, 22
	v_readlane_b32 s23, v47, 23
	v_rcp_iflag_f32_e32 v1, v1
	v_mul_f32_e32 v1, 0x4f7ffffe, v1
	v_cvt_u32_f32_e32 v1, v1
	v_readfirstlane_b32 s9, v1
	s_mul_i32 s7, s7, s9
	s_mul_hi_u32 s7, s9, s7
	s_add_i32 s9, s9, s7
	s_mul_hi_u32 s7, s22, s9
	s_mul_i32 s17, s7, s36
	s_sub_i32 s17, s22, s17
	s_add_i32 s9, s7, 1
	s_sub_i32 s22, s17, s36
	s_cmp_ge_u32 s17, s36
	s_cselect_b32 s7, s9, s7
	s_cselect_b32 s17, s22, s17
	s_add_i32 s9, s7, 1
	s_cmp_ge_u32 s17, s36
	s_cselect_b32 s22, s9, s7
	v_writelane_b32 v47, s22, 6
	v_writelane_b32 v47, s23, 7
.LBB150_13:
	s_load_dwordx2 s[22:23], s[26:27], 0x370
	v_writelane_b32 v47, s36, 24
	v_writelane_b32 v47, s37, 25
	v_writelane_b32 v47, s38, 26
	v_writelane_b32 v47, s39, 27
	s_waitcnt lgkmcnt(0)
	v_writelane_b32 v47, s22, 28
	v_writelane_b32 v47, s23, 29
	s_load_dwordx2 s[22:23], s[26:27], 0x1c8
	s_load_dwordx4 s[60:63], s[26:27], 0x1a0
	s_mov_b32 s91, 0
	v_cmp_eq_u32_e64 s[24:25], 0, v0
	s_waitcnt lgkmcnt(0)
	v_writelane_b32 v47, s22, 30
	v_writelane_b32 v47, s23, 31
	s_mov_b64 s[22:23], exec
	v_writelane_b32 v47, s24, 32
	v_writelane_b32 v47, s25, 33
	s_and_b64 s[24:25], s[22:23], s[24:25]
	s_mov_b64 exec, s[24:25]
	s_cbranch_execz .LBB150_15
; %bb.14:
	v_mov_b32_e32 v2, 0
	v_mov_b32_e32 v4, s60
	;; [unrolled: 1-line block ×4, first 2 shown]
	ds_write_b32 v2, v2 offset:5144
	ds_write_b128 v2, v[2:5] offset:5120
.LBB150_15:
	s_or_b64 exec, exec, s[22:23]
	s_mul_i32 s1, s8, s1
	s_mul_hi_u32 s7, s8, s0
	s_add_i32 s7, s7, s1
	s_mul_i32 s0, s8, s0
	s_sub_u32 s0, s4, s0
	s_subb_u32 s1, s5, s7
	s_mul_i32 s5, s0, s15
	s_mul_hi_u32 s7, s0, s14
	s_add_i32 s5, s7, s5
	s_mul_i32 s1, s1, s14
	s_add_i32 s1, s5, s1
	s_mul_i32 s5, s8, s13
	s_mul_hi_u32 s7, s8, s12
	s_add_i32 s9, s7, s5
	s_mul_i32 s3, s4, s3
	s_mul_hi_u32 s5, s4, s2
	s_add_i32 s5, s5, s3
	s_mul_i32 s2, s4, s2
	s_mov_b32 s4, s28
	v_writelane_b32 v47, s4, 34
	s_sub_u32 s2, s28, s2
	v_writelane_b32 v47, s5, 35
	s_subb_u32 s3, 0, s5
	s_mul_i32 s4, s2, s19
	s_mul_hi_u32 s5, s2, s18
	s_mul_i32 s8, s8, s12
	s_add_i32 s4, s5, s4
	s_mul_i32 s3, s3, s18
	s_add_i32 s3, s4, s3
	s_lshl_b64 s[4:5], s[8:9], 2
	s_mul_i32 s0, s0, s14
	s_add_u32 s4, s20, s4
	s_addc_u32 s5, s21, s5
	s_lshl_b64 s[0:1], s[0:1], 2
	v_writelane_b32 v47, s26, 36
	s_load_dword s7, s[26:27], 0x1b0
	s_mul_i32 s2, s2, s18
	s_add_u32 s4, s4, s0
	s_addc_u32 s5, s5, s1
	s_lshl_b64 s[0:1], s[2:3], 2
	s_add_u32 s33, s4, s0
	s_addc_u32 s88, s5, s1
	s_waitcnt lgkmcnt(0)
	s_bitcmp1_b32 s7, 0
	v_writelane_b32 v47, s27, 37
	s_cselect_b64 s[0:1], -1, 0
	v_writelane_b32 v47, s0, 38
	v_mbcnt_lo_u32_b32 v1, -1, 0
	v_writelane_b32 v47, s1, 39
	s_xor_b64 s[0:1], s[0:1], -1
	v_mbcnt_hi_u32_b32 v29, -1, v1
	v_writelane_b32 v47, s0, 40
	v_cmp_gt_u32_e32 vcc, 64, v0
	v_cmp_gt_i32_e64 s[2:3], 4, v29
	v_writelane_b32 v47, s1, 41
	s_and_b64 s[2:3], vcc, s[2:3]
	v_mov_b32_e32 v2, 0x300
	v_writelane_b32 v47, s2, 42
	v_mov_b32_e32 v3, 0
	v_mov_b32_e32 v15, 0
	v_writelane_b32 v47, s3, 43
	v_cmp_gt_u64_e64 s[2:3], s[60:61], v[2:3]
	v_writelane_b32 v47, s2, 44
	v_mov_b32_e32 v1, v15
	v_writelane_b32 v47, s3, 45
	v_cmp_gt_u64_e64 s[2:3], s[60:61], v[0:1]
	v_writelane_b32 v47, s2, 46
	v_writelane_b32 v47, s3, 47
	v_mad_u64_u32 v[2:3], s[2:3], v0, s58, 0
	v_mov_b32_e32 v4, v3
	v_mad_u64_u32 v[4:5], s[2:3], v0, s59, v[4:5]
	v_cmp_gt_u32_e64 s[2:3], 2, v0
	v_writelane_b32 v47, s2, 48
	s_barrier
	v_writelane_b32 v47, s3, 49
	s_load_dword s2, s[10:11], 0xc
	v_mov_b32_e32 v3, v4
	v_lshlrev_b64 v[2:3], 2, v[2:3]
	v_add_co_u32_e32 v12, vcc, s33, v2
	s_waitcnt lgkmcnt(0)
	s_and_b32 s89, s2, 0xffff
	s_bfe_u32 s3, s2, 0xa0006
	v_cmp_gt_u16_e64 s[4:5], s2, 63
	v_writelane_b32 v47, s4, 50
	s_add_u32 s2, s89, -1
	v_writelane_b32 v47, s5, 51
	s_addc_u32 s4, 0, -1
	v_writelane_b32 v47, s2, 52
	s_add_u32 s2, s2, s60
	s_addc_u32 s73, s4, s61
	s_cmp_lt_u32 s6, s16
	v_writelane_b32 v47, s2, 53
	s_cselect_b32 s2, 12, 18
	v_writelane_b32 v47, s4, 54
	s_add_u32 s4, s10, s2
	s_addc_u32 s5, s11, 0
	v_writelane_b32 v47, s4, 55
	v_writelane_b32 v47, s5, 56
	s_add_i32 s2, s3, -1
	s_bfe_u32 s5, s89, 0x30006
	s_cmp_gt_u32 s2, 6
	s_cselect_b64 s[6:7], -1, 0
	v_lshrrev_b32_e32 v2, 4, v0
	v_writelane_b32 v47, s6, 57
	s_and_b32 s4, s3, 0x3f8
	v_mov_b32_e32 v30, s88
	v_and_b32_e32 v31, 60, v2
	v_lshlrev_b32_e32 v2, 2, v29
	v_writelane_b32 v47, s7, 58
	s_cmp_lg_u32 s5, 0
	v_addc_co_u32_e32 v13, vcc, v30, v3, vcc
	v_and_b32_e32 v28, 0x100, v2
	v_lshlrev_b64 v[2:3], v29, -1
	v_writelane_b32 v47, s5, 59
	s_cselect_b64 s[2:3], -1, 0
	v_lshlrev_b32_e32 v16, 2, v0
	v_not_b32_e32 v10, v2
	v_writelane_b32 v47, s2, 60
	v_mov_b32_e32 v2, 0xc00
	v_cmp_eq_u32_e64 s[0:1], 0, v29
	v_mov_b32_e32 v17, v15
	v_add_u32_e32 v32, 0xc00, v16
	v_not_b32_e32 v11, v3
	s_mov_b32 s74, s91
	v_writelane_b32 v47, s3, 61
	v_lshlrev_b32_e32 v33, 4, v0
	v_lshl_or_b32 v34, v29, 3, v2
	s_lshl_b32 s5, s89, 2
	s_mov_b32 s75, 30
	s_mov_b64 s[82:83], 0
	v_pk_mov_b32 v[22:23], s[62:63], s[62:63] op_sel:[0,1]
	v_mov_b32_e32 v18, 1
	v_mov_b32_e32 v35, 0x4f800000
	;; [unrolled: 1-line block ×5, first 2 shown]
	s_mov_b32 s2, 0
                                        ; implicit-def: $sgpr84_sgpr85
                                        ; implicit-def: $sgpr30_sgpr31
                                        ; implicit-def: $sgpr66_sgpr67
                                        ; implicit-def: $sgpr68_sgpr69
                                        ; implicit-def: $sgpr64_sgpr65
                                        ; implicit-def: $sgpr70_sgpr71
                                        ; implicit-def: $sgpr80_sgpr81
                                        ; implicit-def: $sgpr86_sgpr87
	v_writelane_b32 v47, s2, 62
                                        ; implicit-def: $sgpr76_sgpr77
                                        ; implicit-def: $sgpr78_sgpr79
	s_branch .LBB150_18
.LBB150_16:                             ;   in Loop: Header=BB150_18 Depth=1
	s_or_b64 exec, exec, s[10:11]
	s_andn2_b64 s[10:11], s[78:79], exec
	s_and_b64 s[8:9], s[8:9], exec
	s_or_b64 s[78:79], s[10:11], s[8:9]
	s_andn2_b64 s[76:77], s[76:77], exec
	s_andn2_b64 s[86:87], s[86:87], exec
	;; [unrolled: 1-line block ×4, first 2 shown]
	s_orn2_b64 s[6:7], s[6:7], exec
	v_mov_b32_e32 v36, v24
	v_mov_b32_e32 v37, v20
	v_pk_mov_b32 v[22:23], v[4:5], v[4:5] op_sel:[0,1]
	v_mov_b32_e32 v21, v3
.LBB150_17:                             ;   in Loop: Header=BB150_18 Depth=1
	s_or_b64 exec, exec, s[2:3]
	s_and_b64 s[2:3], exec, s[6:7]
	s_or_b64 s[82:83], s[2:3], s[82:83]
	s_andn2_b64 s[2:3], s[64:65], exec
	s_and_b64 s[6:7], s[78:79], exec
	s_or_b64 s[64:65], s[2:3], s[6:7]
	s_andn2_b64 s[2:3], s[68:69], exec
	s_and_b64 s[6:7], s[76:77], exec
	;; [unrolled: 3-line block ×5, first 2 shown]
	s_or_b64 s[84:85], s[2:3], s[6:7]
	s_andn2_b64 exec, exec, s[82:83]
	s_cbranch_execz .LBB150_491
.LBB150_18:                             ; =>This Loop Header: Depth=1
                                        ;     Child Loop BB150_26 Depth 2
                                        ;     Child Loop BB150_41 Depth 2
	;; [unrolled: 1-line block ×24, first 2 shown]
	ds_read_b128 v[2:5], v15 offset:5120
	s_waitcnt lgkmcnt(0)
	v_readfirstlane_b32 s9, v3
	v_readfirstlane_b32 s8, v2
	s_cmp_lg_u64 s[8:9], 0
	s_cbranch_scc1 .LBB150_48
; %bb.19:                               ;   in Loop: Header=BB150_18 Depth=1
	v_readlane_b32 s2, v47, 44
	v_readlane_b32 s3, v47, 45
	s_and_b64 vcc, exec, s[2:3]
	s_cbranch_vccz .LBB150_34
; %bb.20:                               ;   in Loop: Header=BB150_18 Depth=1
	s_mov_b64 s[2:3], 0x301
	v_cmp_gt_u64_e32 vcc, s[2:3], v[4:5]
	s_mov_b64 s[8:9], 0
	s_mov_b64 s[2:3], 0
	s_cbranch_vccz .LBB150_35
; %bb.21:                               ;   in Loop: Header=BB150_18 Depth=1
	v_mov_b32_e32 v4, 0
	s_mov_b64 s[2:3], exec
	v_readlane_b32 s6, v47, 46
	v_readlane_b32 s7, v47, 47
	s_and_b64 s[6:7], s[2:3], s[6:7]
	s_mov_b64 exec, s[6:7]
	s_cbranch_execz .LBB150_23
; %bb.22:                               ;   in Loop: Header=BB150_18 Depth=1
	global_load_dword v4, v[12:13], off
.LBB150_23:                             ;   in Loop: Header=BB150_18 Depth=1
	s_or_b64 exec, exec, s[2:3]
	s_mov_b64 s[2:3], exec
	v_readlane_b32 s6, v47, 46
	v_readlane_b32 s7, v47, 47
	s_and_b64 s[6:7], s[2:3], s[6:7]
	s_mov_b64 exec, s[6:7]
	s_cbranch_execz .LBB150_107
; %bb.24:                               ;   in Loop: Header=BB150_18 Depth=1
	v_readlane_b32 s6, v47, 55
	v_readlane_b32 s7, v47, 56
	s_mov_b64 s[10:11], 0
	v_pk_mov_b32 v[2:3], v[0:1], v[0:1] op_sel:[0,1]
	s_nop 2
	global_load_ushort v5, v15, s[6:7]
	s_branch .LBB150_26
.LBB150_25:                             ;   in Loop: Header=BB150_26 Depth=2
	s_or_b64 exec, exec, s[6:7]
	s_waitcnt vmcnt(0)
	v_mov_b32_e32 v4, v6
	s_andn2_b64 exec, exec, s[10:11]
	s_cbranch_execz .LBB150_107
.LBB150_26:                             ;   Parent Loop BB150_18 Depth=1
                                        ; =>  This Inner Loop Header: Depth=2
	s_waitcnt vmcnt(0)
	v_add_co_u32_sdwa v2, vcc, v2, v5 dst_sel:DWORD dst_unused:UNUSED_PAD src0_sel:DWORD src1_sel:WORD_0
	v_addc_co_u32_e32 v3, vcc, 0, v3, vcc
	v_cmp_gt_u64_e64 s[6:7], s[60:61], v[2:3]
	v_cmp_le_u64_e32 vcc, s[60:61], v[2:3]
	s_waitcnt lgkmcnt(0)
	v_mov_b32_e32 v7, 0
	v_mov_b32_e32 v6, 0
	s_and_saveexec_b64 s[12:13], s[6:7]
	s_cbranch_execz .LBB150_28
; %bb.27:                               ;   in Loop: Header=BB150_26 Depth=2
	v_mul_lo_u32 v6, v3, s58
	v_mul_lo_u32 v14, v2, s59
	v_mad_u64_u32 v[8:9], s[6:7], v2, s58, 0
	v_add3_u32 v9, v9, v14, v6
	v_lshlrev_b64 v[8:9], 2, v[8:9]
	v_add_co_u32_e64 v8, s[6:7], s33, v8
	v_addc_co_u32_e64 v9, s[6:7], v30, v9, s[6:7]
	global_load_dword v6, v[8:9], off
.LBB150_28:                             ;   in Loop: Header=BB150_26 Depth=2
	s_or_b64 exec, exec, s[12:13]
	v_xor_b32_e32 v8, 0x80000000, v4
	v_and_b32_e32 v8, v8, v36
	v_cmp_eq_u32_e64 s[14:15], v8, v37
	s_cmp_lg_u64 s[14:15], 0
	s_cselect_b64 s[6:7], -1, 0
	s_and_b64 s[6:7], s[0:1], s[6:7]
	s_and_saveexec_b64 s[12:13], s[6:7]
	s_cbranch_execz .LBB150_32
; %bb.29:                               ;   in Loop: Header=BB150_26 Depth=2
	s_mov_b64 s[18:19], exec
	v_mbcnt_lo_u32_b32 v7, s18, 0
	v_mbcnt_hi_u32_b32 v7, s19, v7
	s_bcnt1_i32_b64 s20, s[14:15]
	v_cmp_eq_u32_e64 s[6:7], 0, v7
                                        ; implicit-def: $vgpr8
	s_and_saveexec_b64 s[16:17], s[6:7]
	s_cbranch_execz .LBB150_31
; %bb.30:                               ;   in Loop: Header=BB150_26 Depth=2
	s_bcnt1_i32_b64 s6, s[18:19]
	s_mul_i32 s6, s20, s6
	v_mov_b32_e32 v8, s6
	ds_add_rtn_u32 v8, v15, v8 offset:5144
.LBB150_31:                             ;   in Loop: Header=BB150_26 Depth=2
	s_or_b64 exec, exec, s[16:17]
	s_waitcnt lgkmcnt(0)
	v_readfirstlane_b32 s6, v8
	v_mov_b32_e32 v8, s6
	v_mad_u32_u24 v7, s20, v7, v8
.LBB150_32:                             ;   in Loop: Header=BB150_26 Depth=2
	s_or_b64 exec, exec, s[12:13]
	ds_bpermute_b32 v7, v28, v7
	s_and_b64 s[6:7], exec, vcc
	s_or_b64 s[10:11], s[6:7], s[10:11]
	s_and_saveexec_b64 s[6:7], s[14:15]
	s_cbranch_execz .LBB150_25
; %bb.33:                               ;   in Loop: Header=BB150_26 Depth=2
	v_and_b32_e32 v9, s14, v10
	v_and_b32_e32 v8, s15, v11
	v_bcnt_u32_b32 v9, v9, 0
	v_bcnt_u32_b32 v8, v8, v9
	v_lshlrev_b32_e32 v8, 2, v8
	s_waitcnt lgkmcnt(0)
	v_lshl_add_u32 v7, v7, 2, v8
	ds_write_b32 v7, v4
	s_branch .LBB150_25
.LBB150_34:                             ;   in Loop: Header=BB150_18 Depth=1
	s_mov_b64 s[8:9], -1
	s_mov_b64 s[2:3], 0
.LBB150_35:                             ;   in Loop: Header=BB150_18 Depth=1
	s_and_b64 vcc, exec, s[8:9]
	s_cbranch_vccz .LBB150_46
.LBB150_36:                             ;   in Loop: Header=BB150_18 Depth=1
	s_waitcnt vmcnt(0)
	v_mov_b32_e32 v4, 0
	s_mov_b64 s[2:3], exec
	v_readlane_b32 s6, v47, 46
	v_readlane_b32 s7, v47, 47
	s_and_b64 s[6:7], s[2:3], s[6:7]
	s_mov_b64 exec, s[6:7]
	s_cbranch_execz .LBB150_38
; %bb.37:                               ;   in Loop: Header=BB150_18 Depth=1
	global_load_dword v4, v[12:13], off
.LBB150_38:                             ;   in Loop: Header=BB150_18 Depth=1
	s_or_b64 exec, exec, s[2:3]
	s_mov_b64 s[2:3], exec
	v_readlane_b32 s6, v47, 46
	v_readlane_b32 s7, v47, 47
	s_and_b64 s[6:7], s[2:3], s[6:7]
	s_mov_b64 exec, s[6:7]
	s_cbranch_execz .LBB150_43
; %bb.39:                               ;   in Loop: Header=BB150_18 Depth=1
	v_readlane_b32 s6, v47, 55
	v_readlane_b32 s7, v47, 56
	s_mov_b64 s[8:9], 0
	v_mov_b32_e32 v5, v16
	s_nop 2
	global_load_ushort v2, v15, s[6:7]
	s_waitcnt vmcnt(0)
	v_and_b32_e32 v6, 0xffff, v2
	v_lshlrev_b32_e32 v7, 2, v6
	v_pk_mov_b32 v[2:3], v[0:1], v[0:1] op_sel:[0,1]
	s_branch .LBB150_41
.LBB150_40:                             ;   in Loop: Header=BB150_41 Depth=2
	s_or_b64 exec, exec, s[10:11]
	s_and_b64 s[6:7], exec, vcc
	s_or_b64 s[8:9], s[6:7], s[8:9]
	ds_write_b32 v5, v4
	v_add_u32_e32 v5, v5, v7
	s_waitcnt vmcnt(0)
	v_mov_b32_e32 v4, v8
	s_andn2_b64 exec, exec, s[8:9]
	s_cbranch_execz .LBB150_43
.LBB150_41:                             ;   Parent Loop BB150_18 Depth=1
                                        ; =>  This Inner Loop Header: Depth=2
	v_add_co_u32_e32 v2, vcc, v2, v6
	v_addc_co_u32_e32 v3, vcc, 0, v3, vcc
	v_cmp_gt_u64_e64 s[6:7], s[60:61], v[2:3]
	v_cmp_le_u64_e32 vcc, s[60:61], v[2:3]
	v_mov_b32_e32 v8, 0
	s_and_saveexec_b64 s[10:11], s[6:7]
	s_cbranch_execz .LBB150_40
; %bb.42:                               ;   in Loop: Header=BB150_41 Depth=2
	v_mul_lo_u32 v14, v3, s58
	v_mul_lo_u32 v19, v2, s59
	v_mad_u64_u32 v[8:9], s[6:7], v2, s58, 0
	v_add3_u32 v9, v9, v19, v14
	v_lshlrev_b64 v[8:9], 2, v[8:9]
	v_mov_b32_e32 v14, s88
	v_add_co_u32_e64 v8, s[6:7], s33, v8
	v_addc_co_u32_e64 v9, s[6:7], v14, v9, s[6:7]
	global_load_dword v8, v[8:9], off
	s_branch .LBB150_40
.LBB150_43:                             ;   in Loop: Header=BB150_18 Depth=1
	s_or_b64 exec, exec, s[2:3]
	s_waitcnt lgkmcnt(0)
	s_barrier
	s_mov_b64 s[2:3], exec
	v_readlane_b32 s6, v47, 32
	v_readlane_b32 s7, v47, 33
	s_and_b64 s[6:7], s[2:3], s[6:7]
	s_mov_b64 exec, s[6:7]
	s_cbranch_execz .LBB150_45
; %bb.44:                               ;   in Loop: Header=BB150_18 Depth=1
	v_pk_mov_b32 v[2:3], s[60:61], s[60:61] op_sel:[0,1]
	ds_write_b64 v15, v[2:3] offset:5120
.LBB150_45:                             ;   in Loop: Header=BB150_18 Depth=1
	s_or_b64 exec, exec, s[2:3]
	s_mov_b64 s[2:3], -1
	s_waitcnt lgkmcnt(0)
	s_barrier
                                        ; implicit-def: $sgpr8_sgpr9
.LBB150_46:                             ;   in Loop: Header=BB150_18 Depth=1
	s_and_b64 vcc, exec, s[2:3]
	s_cbranch_vccz .LBB150_48
; %bb.47:                               ;   in Loop: Header=BB150_18 Depth=1
	ds_read_b64 v[2:3], v15 offset:5120
	s_waitcnt lgkmcnt(0)
	v_readfirstlane_b32 s8, v2
.LBB150_48:                             ;   in Loop: Header=BB150_18 Depth=1
	s_cmp_lt_i32 s8, 1
	s_cbranch_scc0 .LBB150_63
; %bb.49:                               ;   in Loop: Header=BB150_18 Depth=1
	v_readlane_b32 s2, v47, 55
	v_readlane_b32 s3, v47, 56
	s_nop 4
	global_load_ushort v19, v15, s[2:3]
	s_mov_b32 s2, s91
	s_waitcnt vmcnt(0)
	v_readfirstlane_b32 s3, v19
	s_and_b32 s3, 0xffff, s3
	s_lshl_b32 s9, s3, 2
	s_mov_b32 s3, s61
	s_cmp_lg_u64 s[2:3], 0
	s_cbranch_scc0 .LBB150_83
; %bb.50:                               ;   in Loop: Header=BB150_18 Depth=1
	v_cvt_f32_u32_e32 v2, s9
	s_sub_u32 s2, 0, s9
	s_subb_u32 s3, 0, 0
	v_mac_f32_e32 v2, 0, v35
	v_rcp_f32_e32 v2, v2
	v_mul_f32_e32 v2, 0x5f7ffffc, v2
	v_mul_f32_e32 v3, 0x2f800000, v2
	v_trunc_f32_e32 v3, v3
	v_mac_f32_e32 v2, 0xcf800000, v3
	v_cvt_u32_f32_e32 v3, v3
	v_cvt_u32_f32_e32 v2, v2
	v_readfirstlane_b32 s6, v3
	v_readfirstlane_b32 s7, v2
	s_mul_i32 s10, s2, s6
	s_mul_hi_u32 s12, s2, s7
	s_mul_i32 s11, s3, s7
	s_add_i32 s10, s12, s10
	s_mul_i32 s13, s2, s7
	s_add_i32 s10, s10, s11
	s_mul_hi_u32 s12, s7, s13
	s_mul_hi_u32 s11, s7, s10
	s_mul_i32 s7, s7, s10
	s_add_u32 s7, s12, s7
	s_addc_u32 s11, 0, s11
	s_mul_hi_u32 s14, s6, s13
	s_mul_i32 s13, s6, s13
	s_add_u32 s7, s7, s13
	s_mul_hi_u32 s12, s6, s10
	s_addc_u32 s7, s11, s14
	s_addc_u32 s11, s12, 0
	s_mul_i32 s10, s6, s10
	s_add_u32 s7, s7, s10
	s_addc_u32 s10, 0, s11
	v_add_co_u32_e32 v2, vcc, s7, v2
	s_cmp_lg_u64 vcc, 0
	s_addc_u32 s6, s6, s10
	v_readfirstlane_b32 s10, v2
	s_mul_i32 s7, s2, s6
	s_mul_hi_u32 s11, s2, s10
	s_add_i32 s7, s11, s7
	s_mul_i32 s3, s3, s10
	s_add_i32 s7, s7, s3
	s_mul_i32 s2, s2, s10
	s_mul_hi_u32 s11, s6, s2
	s_mul_i32 s12, s6, s2
	s_mul_i32 s14, s10, s7
	s_mul_hi_u32 s2, s10, s2
	s_mul_hi_u32 s13, s10, s7
	s_add_u32 s2, s2, s14
	s_addc_u32 s10, 0, s13
	s_add_u32 s2, s2, s12
	s_mul_hi_u32 s3, s6, s7
	s_addc_u32 s2, s10, s11
	s_addc_u32 s3, s3, 0
	s_mul_i32 s7, s6, s7
	s_add_u32 s2, s2, s7
	s_addc_u32 s3, 0, s3
	v_add_co_u32_e32 v2, vcc, s2, v2
	s_cmp_lg_u64 vcc, 0
	s_addc_u32 s2, s6, s3
	v_readfirstlane_b32 s7, v2
	s_mul_i32 s6, s60, s2
	s_mul_hi_u32 s10, s60, s7
	s_mul_hi_u32 s3, s60, s2
	s_add_u32 s6, s10, s6
	s_addc_u32 s3, 0, s3
	s_mul_hi_u32 s11, s61, s7
	s_mul_i32 s7, s61, s7
	s_add_u32 s6, s6, s7
	s_mul_hi_u32 s10, s61, s2
	s_addc_u32 s3, s3, s11
	s_addc_u32 s6, s10, 0
	s_mul_i32 s2, s61, s2
	s_add_u32 s2, s3, s2
	s_addc_u32 s3, 0, s6
	s_mul_hi_u32 s6, s9, s2
	s_mul_i32 s2, s9, s2
	s_mul_i32 s3, s9, s3
	v_mov_b32_e32 v2, s2
	s_add_i32 s6, s6, s3
	v_sub_co_u32_e32 v2, vcc, s60, v2
	s_cmp_lg_u64 vcc, 0
	s_subb_u32 s2, s61, s6
	v_subrev_co_u32_e32 v3, vcc, s9, v2
	s_cmp_lg_u64 vcc, 0
	s_subb_u32 s3, s2, 0
	v_subrev_co_u32_e32 v4, vcc, s9, v3
	s_cmp_lg_u64 vcc, 0
	s_subb_u32 s6, s3, 0
	v_cmp_le_u32_e32 vcc, s9, v3
	s_cmp_eq_u32 s3, 0
	v_cndmask_b32_e64 v5, 0, -1, vcc
	s_cselect_b64 vcc, -1, 0
	v_cndmask_b32_e32 v5, -1, v5, vcc
	v_mov_b32_e32 v6, s3
	v_mov_b32_e32 v7, s6
	v_cmp_ne_u32_e32 vcc, 0, v5
	v_cndmask_b32_e32 v5, v6, v7, vcc
	v_cndmask_b32_e32 v4, v3, v4, vcc
	v_cmp_le_u32_e32 vcc, s9, v2
	s_cmp_eq_u32 s2, 0
	v_cndmask_b32_e64 v3, 0, -1, vcc
	s_cselect_b64 vcc, -1, 0
	v_cndmask_b32_e32 v3, -1, v3, vcc
	v_mov_b32_e32 v6, s2
	v_cmp_ne_u32_e32 vcc, 0, v3
	v_cndmask_b32_e32 v3, v6, v5, vcc
	v_cndmask_b32_e32 v2, v2, v4, vcc
	s_cbranch_execnz .LBB150_52
.LBB150_51:                             ;   in Loop: Header=BB150_18 Depth=1
	v_cvt_f32_u32_e32 v2, s9
	s_sub_i32 s2, 0, s9
	v_rcp_iflag_f32_e32 v2, v2
	v_mul_f32_e32 v2, 0x4f7ffffe, v2
	v_cvt_u32_f32_e32 v2, v2
	v_mul_lo_u32 v3, s2, v2
	v_mul_hi_u32 v3, v2, v3
	v_add_u32_e32 v2, v2, v3
	v_mul_hi_u32 v2, s60, v2
	v_mul_lo_u32 v2, v2, s9
	v_sub_u32_e32 v2, s60, v2
	v_subrev_u32_e32 v3, s9, v2
	v_cmp_le_u32_e32 vcc, s9, v2
	v_cndmask_b32_e32 v2, v2, v3, vcc
	v_subrev_u32_e32 v3, s9, v2
	v_cmp_le_u32_e32 vcc, s9, v2
	v_cndmask_b32_e32 v14, v2, v3, vcc
	v_pk_mov_b32 v[2:3], v[14:15], v[14:15] op_sel:[0,1]
.LBB150_52:                             ;   in Loop: Header=BB150_18 Depth=1
	v_mov_b32_e32 v4, s61
	v_sub_co_u32_e32 v24, vcc, s60, v2
	v_subb_co_u32_e32 v25, vcc, v4, v3, vcc
	v_pk_mov_b32 v[2:3], 0, 0
	v_cmp_gt_u64_e32 vcc, v[24:25], v[16:17]
	s_mov_b64 s[54:55], 0
	v_pk_mov_b32 v[4:5], v[2:3], v[2:3] op_sel:[0,1]
	v_pk_mov_b32 v[6:7], v[2:3], v[2:3] op_sel:[0,1]
	v_pk_mov_b32 v[8:9], v[2:3], v[2:3] op_sel:[0,1]
	s_and_saveexec_b64 s[10:11], vcc
	s_cbranch_execz .LBB150_56
; %bb.53:                               ;   in Loop: Header=BB150_18 Depth=1
	s_and_b32 s72, s75, 0xfe
	s_mov_b64 s[56:57], 0
	s_mov_b64 s[94:95], 0
	s_mov_b64 s[2:3], 0
	s_mov_b64 s[12:13], 0
	v_pk_mov_b32 v[26:27], v[16:17], v[16:17] op_sel:[0,1]
.LBB150_54:                             ;   Parent Loop BB150_18 Depth=1
                                        ; =>  This Inner Loop Header: Depth=2
	v_mul_lo_u32 v4, v27, s58
	v_mul_lo_u32 v5, v26, s59
	v_mad_u64_u32 v[2:3], s[6:7], v26, s58, 0
	v_add3_u32 v3, v3, v5, v4
	v_lshlrev_b64 v[2:3], 2, v[2:3]
	v_mov_b32_e32 v6, s88
	v_add_co_u32_e64 v2, s[6:7], s33, v2
	s_lshl_b64 s[14:15], s[58:59], 2
	v_addc_co_u32_e64 v3, s[6:7], v6, v3, s[6:7]
	v_mov_b32_e32 v7, s15
	v_add_co_u32_e64 v4, s[6:7], s14, v2
	v_addc_co_u32_e64 v5, s[6:7], v3, v7, s[6:7]
	global_load_dword v6, v[2:3], off
	global_load_dword v8, v[4:5], off
	v_add_co_u32_e64 v2, s[6:7], s14, v4
	v_addc_co_u32_e64 v3, s[6:7], v5, v7, s[6:7]
	global_load_dword v4, v[2:3], off
	v_add_co_u32_e64 v2, s[6:7], s14, v2
	v_addc_co_u32_e64 v3, s[6:7], v3, v7, s[6:7]
	global_load_dword v2, v[2:3], off
	v_add_co_u32_e32 v26, vcc, s9, v26
	v_addc_co_u32_e32 v27, vcc, 0, v27, vcc
	v_cmp_ge_u64_e32 vcc, v[26:27], v[24:25]
	s_waitcnt vmcnt(3)
	v_xor_b32_e32 v3, 0x80000000, v6
	s_waitcnt vmcnt(2)
	v_xor_b32_e32 v5, 0x80000000, v8
	v_and_b32_e32 v6, v3, v36
	v_bfe_u32 v3, v3, s72, 2
	v_cmp_eq_u32_e64 s[14:15], v6, v37
	v_and_b32_e32 v6, v5, v36
	v_bfe_u32 v5, v5, s72, 2
	v_cmp_eq_u32_e64 s[6:7], 0, v3
	s_waitcnt vmcnt(1)
	v_xor_b32_e32 v4, 0x80000000, v4
	v_cmp_eq_u32_e64 s[16:17], v6, v37
	v_cmp_eq_u32_e64 s[26:27], 0, v5
	s_and_b64 s[6:7], s[14:15], s[6:7]
	v_cmp_eq_u32_e64 s[34:35], 1, v3
	v_cmp_eq_u32_e64 s[36:37], 2, v3
	;; [unrolled: 1-line block ×3, first 2 shown]
	s_waitcnt vmcnt(0)
	v_xor_b32_e32 v2, 0x80000000, v2
	v_and_b32_e32 v3, v4, v36
	v_bfe_u32 v4, v4, s72, 2
	v_cmp_eq_u32_e64 s[38:39], 1, v5
	v_cmp_eq_u32_e64 s[40:41], 2, v5
	;; [unrolled: 1-line block ×3, first 2 shown]
	v_cndmask_b32_e64 v5, 0, 1, s[6:7]
	s_and_b64 s[26:27], s[16:17], s[26:27]
	v_cmp_eq_u32_e64 s[22:23], v3, v37
	v_and_b32_e32 v3, v2, v36
	v_bfe_u32 v2, v2, s72, 2
	v_cmp_eq_u32_e64 s[6:7], 0, v4
	v_cmp_eq_u32_e64 s[42:43], 1, v4
	;; [unrolled: 1-line block ×4, first 2 shown]
	v_cmp_ne_u32_e64 s[46:47], 0, v5
	v_cndmask_b32_e64 v4, 0, 1, s[26:27]
	v_cmp_eq_u32_e64 s[26:27], v3, v37
	v_cmp_eq_u32_e64 s[48:49], 0, v2
	s_bcnt1_i32_b64 s90, s[46:47]
	v_cmp_ne_u32_e64 s[46:47], 0, v4
	s_and_b64 s[6:7], s[22:23], s[6:7]
	v_cmp_eq_u32_e64 s[50:51], 1, v2
	v_cmp_eq_u32_e64 s[52:53], 2, v2
	;; [unrolled: 1-line block ×3, first 2 shown]
	v_cndmask_b32_e64 v2, 0, 1, s[6:7]
	s_bcnt1_i32_b64 s92, s[46:47]
	s_and_b64 s[46:47], s[26:27], s[48:49]
	v_cmp_ne_u32_e64 s[6:7], 0, v2
	v_cndmask_b32_e64 v2, 0, 1, s[46:47]
	s_bcnt1_i32_b64 s46, s[6:7]
	v_cmp_ne_u32_e64 s[6:7], 0, v2
	s_bcnt1_i32_b64 s6, s[6:7]
	s_add_u32 s7, s90, s12
	s_addc_u32 s12, 0, s13
	s_add_u32 s7, s7, s92
	s_addc_u32 s12, s12, 0
	s_add_u32 s7, s7, s46
	s_addc_u32 s13, s12, 0
	s_add_u32 s12, s7, s6
	s_addc_u32 s13, s13, 0
	s_and_b64 s[6:7], s[14:15], s[34:35]
	v_cndmask_b32_e64 v4, 0, 1, s[6:7]
	s_and_b64 s[6:7], s[16:17], s[38:39]
	v_cndmask_b32_e64 v5, 0, 1, s[6:7]
	s_and_b64 s[6:7], s[22:23], s[42:43]
	v_cndmask_b32_e64 v6, 0, 1, s[6:7]
	s_and_b64 s[6:7], s[26:27], s[50:51]
	v_cndmask_b32_e64 v7, 0, 1, s[6:7]
	v_cmp_ne_u32_e64 s[6:7], 0, v4
	v_cmp_ne_u32_e64 s[34:35], 0, v5
	v_cmp_ne_u32_e64 s[38:39], 0, v6
	v_cmp_ne_u32_e64 s[42:43], 0, v7
	s_bcnt1_i32_b64 s6, s[6:7]
	s_bcnt1_i32_b64 s7, s[34:35]
	s_bcnt1_i32_b64 s34, s[38:39]
	s_bcnt1_i32_b64 s35, s[42:43]
	s_add_u32 s2, s6, s2
	s_addc_u32 s3, 0, s3
	s_add_u32 s2, s2, s7
	s_addc_u32 s3, s3, 0
	s_add_u32 s2, s2, s34
	s_addc_u32 s3, s3, 0
	s_add_u32 s2, s2, s35
	s_addc_u32 s3, s3, 0
	s_and_b64 s[6:7], s[14:15], s[36:37]
	v_cndmask_b32_e64 v6, 0, 1, s[6:7]
	s_and_b64 s[6:7], s[16:17], s[40:41]
	v_cndmask_b32_e64 v7, 0, 1, s[6:7]
	s_and_b64 s[6:7], s[22:23], s[44:45]
	v_cndmask_b32_e64 v8, 0, 1, s[6:7]
	s_and_b64 s[6:7], s[26:27], s[52:53]
	v_cndmask_b32_e64 v9, 0, 1, s[6:7]
	v_cmp_ne_u32_e64 s[6:7], 0, v6
	v_cmp_ne_u32_e64 s[34:35], 0, v7
	v_cmp_ne_u32_e64 s[36:37], 0, v8
	v_cmp_ne_u32_e64 s[38:39], 0, v9
	s_bcnt1_i32_b64 s6, s[6:7]
	s_bcnt1_i32_b64 s7, s[34:35]
	s_bcnt1_i32_b64 s34, s[36:37]
	;; [unrolled: 24-line block ×3, first 2 shown]
	s_bcnt1_i32_b64 s15, s[18:19]
	s_add_u32 s6, s6, s56
	s_addc_u32 s16, 0, s57
	s_add_u32 s6, s6, s7
	s_addc_u32 s7, s16, 0
	s_add_u32 s6, s6, s14
	s_addc_u32 s7, s7, 0
	s_add_u32 s56, s6, s15
	s_addc_u32 s57, s7, 0
	v_pk_mov_b32 v[2:3], s[12:13], s[12:13] op_sel:[0,1]
	v_pk_mov_b32 v[4:5], s[2:3], s[2:3] op_sel:[0,1]
	;; [unrolled: 1-line block ×3, first 2 shown]
	s_or_b64 s[54:55], vcc, s[54:55]
	v_pk_mov_b32 v[8:9], s[56:57], s[56:57] op_sel:[0,1]
	s_andn2_b64 exec, exec, s[54:55]
	s_cbranch_execnz .LBB150_54
; %bb.55:                               ;   in Loop: Header=BB150_18 Depth=1
	s_or_b64 exec, exec, s[54:55]
.LBB150_56:                             ;   in Loop: Header=BB150_18 Depth=1
	s_or_b64 exec, exec, s[10:11]
	v_add_co_u32_e32 v24, vcc, v24, v0
	v_addc_co_u32_e32 v25, vcc, 0, v25, vcc
	v_cmp_gt_u64_e32 vcc, s[60:61], v[24:25]
	v_mov_b32_e32 v14, 0
	s_and_saveexec_b64 s[2:3], vcc
	s_cbranch_execz .LBB150_58
; %bb.57:                               ;   in Loop: Header=BB150_18 Depth=1
	v_mul_lo_u32 v14, v25, s58
	v_mul_lo_u32 v20, v24, s59
	v_mad_u64_u32 v[26:27], s[6:7], v24, s58, 0
	v_add3_u32 v27, v27, v20, v14
	v_lshlrev_b64 v[26:27], 2, v[26:27]
	v_mov_b32_e32 v14, s88
	v_add_co_u32_e64 v26, s[6:7], s33, v26
	v_addc_co_u32_e64 v27, s[6:7], v14, v27, s[6:7]
	global_load_dword v14, v[26:27], off
.LBB150_58:                             ;   in Loop: Header=BB150_18 Depth=1
	s_or_b64 exec, exec, s[2:3]
	s_and_saveexec_b64 s[2:3], vcc
	s_cbranch_execz .LBB150_65
; %bb.59:                               ;   in Loop: Header=BB150_18 Depth=1
	s_and_b32 s9, s75, 0xfe
	s_mov_b64 s[10:11], 0
	s_branch .LBB150_61
.LBB150_60:                             ;   in Loop: Header=BB150_61 Depth=2
	s_or_b64 exec, exec, s[12:13]
	s_waitcnt vmcnt(0)
	v_xor_b32_e32 v14, 0x80000000, v14
	s_and_b64 s[6:7], exec, vcc
	v_and_b32_e32 v26, v14, v36
	v_bfe_u32 v14, v14, s9, 2
	s_or_b64 s[10:11], s[6:7], s[10:11]
	v_cmp_eq_u32_e32 vcc, v26, v37
	v_cmp_eq_u32_e64 s[6:7], 0, v14
	s_and_b64 s[6:7], vcc, s[6:7]
	v_cndmask_b32_e64 v26, 0, 1, s[6:7]
	v_cmp_ne_u32_e64 s[6:7], 0, v26
	s_bcnt1_i32_b64 s6, s[6:7]
	v_add_co_u32_e64 v2, s[6:7], s6, v2
	v_addc_co_u32_e64 v3, s[6:7], 0, v3, s[6:7]
	v_cmp_eq_u32_e64 s[6:7], 1, v14
	s_and_b64 s[6:7], vcc, s[6:7]
	v_cndmask_b32_e64 v26, 0, 1, s[6:7]
	v_cmp_ne_u32_e64 s[6:7], 0, v26
	s_bcnt1_i32_b64 s6, s[6:7]
	v_add_co_u32_e64 v4, s[6:7], s6, v4
	v_addc_co_u32_e64 v5, s[6:7], 0, v5, s[6:7]
	;; [unrolled: 7-line block ×3, first 2 shown]
	v_cmp_eq_u32_e64 s[6:7], 3, v14
	s_and_b64 s[6:7], vcc, s[6:7]
	v_cndmask_b32_e64 v14, 0, 1, s[6:7]
	v_cmp_ne_u32_e32 vcc, 0, v14
	s_bcnt1_i32_b64 s6, vcc
	v_add_co_u32_e32 v8, vcc, s6, v8
	v_addc_co_u32_e32 v9, vcc, 0, v9, vcc
	v_mov_b32_e32 v14, v20
	s_andn2_b64 exec, exec, s[10:11]
	s_cbranch_execz .LBB150_64
.LBB150_61:                             ;   Parent Loop BB150_18 Depth=1
                                        ; =>  This Inner Loop Header: Depth=2
	v_add_co_u32_sdwa v24, vcc, v24, v19 dst_sel:DWORD dst_unused:UNUSED_PAD src0_sel:DWORD src1_sel:WORD_0
	v_addc_co_u32_e32 v25, vcc, 0, v25, vcc
	v_cmp_gt_u64_e64 s[6:7], s[60:61], v[24:25]
	v_cmp_le_u64_e32 vcc, s[60:61], v[24:25]
	v_mov_b32_e32 v20, 0
	s_and_saveexec_b64 s[12:13], s[6:7]
	s_cbranch_execz .LBB150_60
; %bb.62:                               ;   in Loop: Header=BB150_61 Depth=2
	v_mul_lo_u32 v20, v25, s58
	v_mul_lo_u32 v38, v24, s59
	v_mad_u64_u32 v[26:27], s[6:7], v24, s58, 0
	v_add3_u32 v27, v27, v38, v20
	v_lshlrev_b64 v[26:27], 2, v[26:27]
	v_mov_b32_e32 v20, s88
	v_add_co_u32_e64 v26, s[6:7], s33, v26
	v_addc_co_u32_e64 v27, s[6:7], v20, v27, s[6:7]
	global_load_dword v20, v[26:27], off
	s_branch .LBB150_60
.LBB150_63:                             ;   in Loop: Header=BB150_18 Depth=1
                                        ; implicit-def: $vgpr8_vgpr9
                                        ; implicit-def: $vgpr4_vgpr5
	s_cbranch_execnz .LBB150_66
	s_branch .LBB150_75
.LBB150_64:                             ;   in Loop: Header=BB150_18 Depth=1
	s_or_b64 exec, exec, s[10:11]
.LBB150_65:                             ;   in Loop: Header=BB150_18 Depth=1
	s_or_b64 exec, exec, s[2:3]
	s_branch .LBB150_75
.LBB150_66:                             ;   in Loop: Header=BB150_18 Depth=1
	v_readlane_b32 s2, v47, 55
	v_readlane_b32 s3, v47, 56
	s_nop 4
	global_load_ushort v8, v15, s[2:3]
	s_waitcnt vmcnt(0)
	v_readfirstlane_b32 s2, v8
	s_and_b32 s2, 0xffff, s2
	s_lshl_b32 s72, s2, 2
	v_cvt_f32_u32_e32 v2, s72
	s_sub_i32 s6, 0, s72
	s_mov_b64 s[2:3], 0
	v_and_b32_e32 v19, 0xffff, v8
	v_rcp_iflag_f32_e32 v6, v2
	v_pk_mov_b32 v[2:3], 0, 0
	v_pk_mov_b32 v[4:5], v[2:3], v[2:3] op_sel:[0,1]
	v_mul_f32_e32 v6, 0x4f7ffffe, v6
	v_cvt_u32_f32_e32 v9, v6
	v_pk_mov_b32 v[6:7], v[2:3], v[2:3] op_sel:[0,1]
	v_readfirstlane_b32 s7, v9
	s_mul_i32 s6, s6, s7
	s_mul_hi_u32 s6, s7, s6
	s_add_i32 s7, s7, s6
	s_mul_hi_u32 s6, s8, s7
	s_mul_i32 s6, s6, s72
	s_sub_i32 s6, s8, s6
	s_sub_i32 s7, s6, s72
	s_cmp_ge_u32 s6, s72
	s_cselect_b32 s6, s7, s6
	s_sub_i32 s7, s6, s72
	s_cmp_ge_u32 s6, s72
	s_cselect_b32 s6, s7, s6
	s_sub_i32 s90, s8, s6
	v_cmp_gt_u32_e32 vcc, s90, v16
	v_pk_mov_b32 v[8:9], v[2:3], v[2:3] op_sel:[0,1]
	s_and_saveexec_b64 s[10:11], vcc
	s_cbranch_execz .LBB150_70
; %bb.67:                               ;   in Loop: Header=BB150_18 Depth=1
	s_and_b32 s9, s75, 0xfe
	v_lshlrev_b32_e32 v14, 4, v19
	v_mov_b32_e32 v20, v33
	s_mov_b64 s[12:13], 0
	s_mov_b64 s[56:57], 0
	;; [unrolled: 1-line block ×4, first 2 shown]
	v_pk_mov_b32 v[24:25], v[16:17], v[16:17] op_sel:[0,1]
.LBB150_68:                             ;   Parent Loop BB150_18 Depth=1
                                        ; =>  This Inner Loop Header: Depth=2
	ds_read_b128 v[2:5], v20
	v_add_co_u32_e32 v24, vcc, s72, v24
	v_addc_co_u32_e32 v25, vcc, 0, v25, vcc
	s_waitcnt lgkmcnt(0)
	v_xor_b32_e32 v2, 0x80000000, v2
	v_xor_b32_e32 v3, 0x80000000, v3
	v_and_b32_e32 v6, v2, v36
	v_bfe_u32 v2, v2, s9, 2
	v_xor_b32_e32 v4, 0x80000000, v4
	v_and_b32_e32 v7, v3, v36
	v_bfe_u32 v3, v3, s9, 2
	v_cmp_eq_u32_e64 s[20:21], v6, v37
	v_cmp_eq_u32_e64 s[6:7], 0, v2
	v_xor_b32_e32 v5, 0x80000000, v5
	v_and_b32_e32 v8, v4, v36
	v_bfe_u32 v4, v4, s9, 2
	v_cmp_eq_u32_e64 s[18:19], v7, v37
	v_cmp_eq_u32_e64 s[34:35], 0, v3
	s_and_b64 s[6:7], s[20:21], s[6:7]
	v_and_b32_e32 v9, v5, v36
	v_bfe_u32 v5, v5, s9, 2
	v_cmp_eq_u32_e64 s[16:17], v8, v37
	v_cmp_eq_u32_e64 s[36:37], 0, v4
	;; [unrolled: 1-line block ×5, first 2 shown]
	v_cndmask_b32_e64 v2, 0, 1, s[6:7]
	s_and_b64 s[6:7], s[18:19], s[34:35]
	v_cmp_eq_u32_e64 s[14:15], v9, v37
	v_cmp_eq_u32_e64 s[38:39], 0, v5
	;; [unrolled: 1-line block ×5, first 2 shown]
	v_cndmask_b32_e64 v3, 0, 1, s[6:7]
	s_and_b64 s[6:7], s[16:17], s[36:37]
	v_cmp_eq_u32_e64 s[44:45], 1, v4
	v_cmp_eq_u32_e64 s[52:53], 2, v4
	;; [unrolled: 1-line block ×3, first 2 shown]
	v_cndmask_b32_e64 v4, 0, 1, s[6:7]
	s_and_b64 s[6:7], s[14:15], s[38:39]
	v_cmp_eq_u32_e64 s[46:47], 1, v5
	v_cmp_eq_u32_e64 s[54:55], 2, v5
	;; [unrolled: 1-line block ×3, first 2 shown]
	v_cndmask_b32_e64 v5, 0, 1, s[6:7]
	v_cmp_ne_u32_e64 s[6:7], 0, v2
	v_cmp_ne_u32_e64 s[34:35], 0, v3
	v_cmp_ne_u32_e64 s[36:37], 0, v4
	v_cmp_ne_u32_e64 s[38:39], 0, v5
	s_bcnt1_i32_b64 s6, s[6:7]
	s_bcnt1_i32_b64 s7, s[34:35]
	s_bcnt1_i32_b64 s34, s[36:37]
	s_bcnt1_i32_b64 s35, s[38:39]
	s_add_u32 s6, s6, s92
	s_addc_u32 s36, 0, s93
	s_add_u32 s6, s6, s7
	s_addc_u32 s7, s36, 0
	s_add_u32 s6, s6, s34
	s_addc_u32 s7, s7, 0
	s_add_u32 s92, s6, s35
	s_addc_u32 s93, s7, 0
	s_and_b64 s[6:7], s[20:21], s[40:41]
	v_cndmask_b32_e64 v4, 0, 1, s[6:7]
	s_and_b64 s[6:7], s[18:19], s[42:43]
	v_cndmask_b32_e64 v5, 0, 1, s[6:7]
	s_and_b64 s[6:7], s[16:17], s[44:45]
	v_cndmask_b32_e64 v6, 0, 1, s[6:7]
	s_and_b64 s[6:7], s[14:15], s[46:47]
	v_cndmask_b32_e64 v7, 0, 1, s[6:7]
	v_cmp_ne_u32_e64 s[6:7], 0, v4
	v_cmp_ne_u32_e64 s[34:35], 0, v5
	v_cmp_ne_u32_e64 s[36:37], 0, v6
	v_cmp_ne_u32_e64 s[38:39], 0, v7
	s_bcnt1_i32_b64 s6, s[6:7]
	s_bcnt1_i32_b64 s7, s[34:35]
	s_bcnt1_i32_b64 s34, s[36:37]
	s_bcnt1_i32_b64 s35, s[38:39]
	s_add_u32 s6, s6, s94
	s_addc_u32 s36, 0, s95
	s_add_u32 s6, s6, s7
	s_addc_u32 s7, s36, 0
	s_add_u32 s6, s6, s34
	s_addc_u32 s7, s7, 0
	s_add_u32 s94, s6, s35
	s_addc_u32 s95, s7, 0
	s_and_b64 s[6:7], s[20:21], s[48:49]
	v_cndmask_b32_e64 v6, 0, 1, s[6:7]
	s_and_b64 s[6:7], s[18:19], s[50:51]
	v_cndmask_b32_e64 v7, 0, 1, s[6:7]
	s_and_b64 s[6:7], s[16:17], s[52:53]
	v_cndmask_b32_e64 v8, 0, 1, s[6:7]
	s_and_b64 s[6:7], s[14:15], s[54:55]
	v_cndmask_b32_e64 v9, 0, 1, s[6:7]
	v_cmp_ne_u32_e64 s[6:7], 0, v6
	v_cmp_ne_u32_e64 s[34:35], 0, v7
	v_cmp_ne_u32_e64 s[36:37], 0, v8
	v_cmp_ne_u32_e64 s[38:39], 0, v9
	s_bcnt1_i32_b64 s6, s[6:7]
	s_bcnt1_i32_b64 s7, s[34:35]
	s_bcnt1_i32_b64 s34, s[36:37]
	s_bcnt1_i32_b64 s35, s[38:39]
	s_add_u32 s6, s6, s56
	s_addc_u32 s36, 0, s57
	s_add_u32 s6, s6, s7
	s_addc_u32 s7, s36, 0
	s_add_u32 s6, s6, s34
	s_addc_u32 s7, s7, 0
	s_add_u32 s56, s6, s35
	s_addc_u32 s57, s7, 0
	s_and_b64 s[6:7], s[20:21], s[28:29]
	v_cndmask_b32_e64 v8, 0, 1, s[6:7]
	s_and_b64 s[6:7], s[18:19], s[26:27]
	v_cndmask_b32_e64 v9, 0, 1, s[6:7]
	s_and_b64 s[6:7], s[16:17], s[24:25]
	v_cndmask_b32_e64 v26, 0, 1, s[6:7]
	s_and_b64 s[6:7], s[14:15], s[22:23]
	v_cndmask_b32_e64 v27, 0, 1, s[6:7]
	v_cmp_ne_u32_e64 s[6:7], 0, v8
	v_cmp_ne_u32_e64 s[14:15], 0, v9
	;; [unrolled: 1-line block ×4, first 2 shown]
	s_bcnt1_i32_b64 s6, s[6:7]
	s_bcnt1_i32_b64 s7, s[14:15]
	;; [unrolled: 1-line block ×4, first 2 shown]
	s_add_u32 s6, s6, s12
	s_addc_u32 s12, 0, s13
	s_add_u32 s6, s6, s7
	s_addc_u32 s7, s12, 0
	;; [unrolled: 2-line block ×3, first 2 shown]
	s_add_u32 s12, s6, s15
	v_cmp_le_u64_e32 vcc, s[90:91], v[24:25]
	s_addc_u32 s13, s7, 0
	v_add_u32_e32 v20, v20, v14
	v_pk_mov_b32 v[2:3], s[92:93], s[92:93] op_sel:[0,1]
	v_pk_mov_b32 v[4:5], s[94:95], s[94:95] op_sel:[0,1]
	;; [unrolled: 1-line block ×3, first 2 shown]
	s_or_b64 s[2:3], vcc, s[2:3]
	v_pk_mov_b32 v[8:9], s[12:13], s[12:13] op_sel:[0,1]
	s_andn2_b64 exec, exec, s[2:3]
	s_cbranch_execnz .LBB150_68
; %bb.69:                               ;   in Loop: Header=BB150_18 Depth=1
	s_or_b64 exec, exec, s[2:3]
.LBB150_70:                             ;   in Loop: Header=BB150_18 Depth=1
	s_or_b64 exec, exec, s[10:11]
	v_add_u32_e32 v14, s90, v0
	v_cmp_gt_u32_e32 vcc, s8, v14
	s_and_saveexec_b64 s[2:3], vcc
	s_cbranch_execz .LBB150_74
; %bb.71:                               ;   in Loop: Header=BB150_18 Depth=1
	s_and_b32 s90, s8, 0x7fffffff
	s_and_b32 s10, s75, 0xfe
	v_lshlrev_b32_e32 v20, 2, v14
	s_mov_b64 s[8:9], 0
	v_pk_mov_b32 v[24:25], v[14:15], v[14:15] op_sel:[0,1]
.LBB150_72:                             ;   Parent Loop BB150_18 Depth=1
                                        ; =>  This Inner Loop Header: Depth=2
	ds_read_b32 v14, v20
	v_add_co_u32_e32 v24, vcc, v24, v19
	v_addc_co_u32_e32 v25, vcc, 0, v25, vcc
	s_waitcnt lgkmcnt(0)
	v_xor_b32_e32 v14, 0x80000000, v14
	v_and_b32_e32 v26, v14, v36
	v_bfe_u32 v14, v14, s10, 2
	v_cmp_eq_u32_e64 s[6:7], v26, v37
	v_cmp_eq_u32_e64 s[14:15], 0, v14
	;; [unrolled: 1-line block ×3, first 2 shown]
	s_and_b64 s[12:13], s[6:7], s[14:15]
	v_cmp_eq_u32_e64 s[18:19], 2, v14
	v_cmp_eq_u32_e64 s[20:21], 3, v14
	v_cndmask_b32_e64 v14, 0, 1, s[12:13]
	s_and_b64 s[12:13], s[6:7], s[16:17]
	v_cndmask_b32_e64 v26, 0, 1, s[12:13]
	s_and_b64 s[12:13], s[6:7], s[18:19]
	s_and_b64 s[6:7], s[6:7], s[20:21]
	v_cndmask_b32_e64 v27, 0, 1, s[12:13]
	v_cndmask_b32_e64 v38, 0, 1, s[6:7]
	v_cmp_ne_u32_e64 s[6:7], 0, v14
	v_cmp_ne_u32_e64 s[14:15], 0, v26
	;; [unrolled: 1-line block ×4, first 2 shown]
	v_cmp_le_u64_e32 vcc, s[90:91], v[24:25]
	s_bcnt1_i32_b64 s6, s[6:7]
	s_bcnt1_i32_b64 s7, s[14:15]
	s_bcnt1_i32_b64 s11, s[16:17]
	s_bcnt1_i32_b64 s12, s[18:19]
	s_or_b64 s[8:9], vcc, s[8:9]
	v_add_co_u32_e32 v2, vcc, s6, v2
	v_addc_co_u32_e32 v3, vcc, 0, v3, vcc
	v_add_co_u32_e32 v4, vcc, s7, v4
	v_addc_co_u32_e32 v5, vcc, 0, v5, vcc
	;; [unrolled: 2-line block ×3, first 2 shown]
	v_add_co_u32_e32 v8, vcc, s12, v8
	v_add_u32_e32 v20, s72, v20
	v_addc_co_u32_e32 v9, vcc, 0, v9, vcc
	s_andn2_b64 exec, exec, s[8:9]
	s_cbranch_execnz .LBB150_72
; %bb.73:                               ;   in Loop: Header=BB150_18 Depth=1
	s_or_b64 exec, exec, s[8:9]
.LBB150_74:                             ;   in Loop: Header=BB150_18 Depth=1
	s_or_b64 exec, exec, s[2:3]
.LBB150_75:                             ;   in Loop: Header=BB150_18 Depth=1
	v_readlane_b32 s2, v47, 62
	s_lshl_b32 s6, s2, 6
	s_and_saveexec_b64 s[2:3], s[0:1]
	s_cbranch_execz .LBB150_77
; %bb.76:                               ;   in Loop: Header=BB150_18 Depth=1
	s_waitcnt vmcnt(0)
	v_or_b32_e32 v14, s6, v31
	v_lshlrev_b32_e32 v14, 3, v14
	ds_write_b128 v14, v[2:5] offset:3072
	ds_write_b128 v14, v[6:9] offset:3088
.LBB150_77:                             ;   in Loop: Header=BB150_18 Depth=1
	s_or_b64 exec, exec, s[2:3]
	s_waitcnt lgkmcnt(0)
	s_barrier
	s_mov_b64 s[2:3], exec
	v_readlane_b32 s8, v47, 42
	v_readlane_b32 s9, v47, 43
	s_and_b64 s[8:9], s[2:3], s[8:9]
	s_mov_b64 exec, s[8:9]
	s_cbranch_execz .LBB150_89
; %bb.78:                               ;   in Loop: Header=BB150_18 Depth=1
	v_readlane_b32 s8, v47, 50
	v_readlane_b32 s9, v47, 51
	s_andn2_b64 vcc, exec, s[8:9]
	v_pk_mov_b32 v[2:3], 0, 0
	s_cbranch_vccnz .LBB150_88
; %bb.79:                               ;   in Loop: Header=BB150_18 Depth=1
	v_readlane_b32 s8, v47, 57
	v_readlane_b32 s9, v47, 58
	s_andn2_b64 vcc, exec, s[8:9]
	s_cbranch_vccnz .LBB150_84
; %bb.80:                               ;   in Loop: Header=BB150_18 Depth=1
	v_readlane_b32 s7, v47, 62
	s_waitcnt vmcnt(0)
	v_lshl_add_u32 v4, s7, 9, v34
	s_mov_b32 s7, 0
	v_pk_mov_b32 v[2:3], 0, 0
.LBB150_81:                             ;   Parent Loop BB150_18 Depth=1
                                        ; =>  This Inner Loop Header: Depth=2
	ds_read2_b64 v[6:9], v4 offset1:4
	ds_read2_b64 v[24:27], v4 offset0:8 offset1:12
	ds_read2_b64 v[38:41], v4 offset0:16 offset1:20
	;; [unrolled: 1-line block ×3, first 2 shown]
	s_add_i32 s7, s7, 8
	s_waitcnt lgkmcnt(3)
	v_add_co_u32_e32 v2, vcc, v6, v2
	v_addc_co_u32_e32 v3, vcc, v7, v3, vcc
	v_add_co_u32_e32 v2, vcc, v8, v2
	v_addc_co_u32_e32 v3, vcc, v9, v3, vcc
	s_waitcnt lgkmcnt(2)
	v_add_co_u32_e32 v2, vcc, v24, v2
	v_addc_co_u32_e32 v3, vcc, v25, v3, vcc
	v_add_co_u32_e32 v2, vcc, v26, v2
	v_addc_co_u32_e32 v3, vcc, v27, v3, vcc
	;; [unrolled: 5-line block ×3, first 2 shown]
	s_waitcnt lgkmcnt(0)
	v_add_co_u32_e32 v2, vcc, v42, v2
	v_addc_co_u32_e32 v3, vcc, v43, v3, vcc
	v_add_co_u32_e32 v2, vcc, v44, v2
	v_add_u32_e32 v4, 0x100, v4
	s_cmp_eq_u32 s4, s7
	v_addc_co_u32_e32 v3, vcc, v45, v3, vcc
	s_cbranch_scc0 .LBB150_81
; %bb.82:                               ;   in Loop: Header=BB150_18 Depth=1
	s_mov_b32 s7, s4
	s_branch .LBB150_85
.LBB150_83:                             ;   in Loop: Header=BB150_18 Depth=1
                                        ; implicit-def: $vgpr2_vgpr3
	s_branch .LBB150_51
.LBB150_84:                             ;   in Loop: Header=BB150_18 Depth=1
	s_mov_b32 s7, 0
	v_pk_mov_b32 v[2:3], 0, 0
.LBB150_85:                             ;   in Loop: Header=BB150_18 Depth=1
	v_readlane_b32 s8, v47, 60
	v_readlane_b32 s9, v47, 61
	s_andn2_b64 vcc, exec, s[8:9]
	s_cbranch_vccnz .LBB150_88
; %bb.86:                               ;   in Loop: Header=BB150_18 Depth=1
	v_readlane_b32 s8, v47, 62
	s_lshl_b32 s8, s8, 9
	s_lshl_b32 s7, s7, 5
	s_add_i32 s8, s8, s7
	s_waitcnt vmcnt(0)
	v_add_u32_e32 v4, s8, v34
	v_readlane_b32 s7, v47, 59
.LBB150_87:                             ;   Parent Loop BB150_18 Depth=1
                                        ; =>  This Inner Loop Header: Depth=2
	ds_read_b64 v[6:7], v4
	s_add_i32 s7, s7, -1
	v_add_u32_e32 v4, 32, v4
	s_cmp_lg_u32 s7, 0
	s_waitcnt lgkmcnt(0)
	v_add_co_u32_e32 v2, vcc, v6, v2
	v_addc_co_u32_e32 v3, vcc, v7, v3, vcc
	s_cbranch_scc1 .LBB150_87
.LBB150_88:                             ;   in Loop: Header=BB150_18 Depth=1
	s_waitcnt vmcnt(0)
	v_add_lshl_u32 v4, s6, v29, 3
	ds_write_b64 v4, v[2:3] offset:3072
.LBB150_89:                             ;   in Loop: Header=BB150_18 Depth=1
	s_or_b64 exec, exec, s[2:3]
	s_lshl_b32 s2, s6, 3
	v_mov_b32_e32 v6, s2
	s_waitcnt lgkmcnt(0)
	s_barrier
	s_waitcnt vmcnt(0)
	ds_read_b128 v[2:5], v6 offset:3072
	ds_read_b128 v[6:9], v6 offset:3088
	s_and_b32 s49, s75, 0xfe
	v_readlane_b32 s2, v47, 40
	s_lshl_b32 s90, 3, s49
	v_readlane_b32 s3, v47, 41
	s_waitcnt lgkmcnt(1)
	v_readfirstlane_b32 s17, v3
	v_readfirstlane_b32 s16, v2
	;; [unrolled: 1-line block ×4, first 2 shown]
	s_waitcnt lgkmcnt(0)
	v_readfirstlane_b32 s23, v7
	v_readfirstlane_b32 s22, v6
	v_readfirstlane_b32 s25, v9
	v_readfirstlane_b32 s24, v8
	s_not_b32 s48, s90
	s_andn2_b64 vcc, exec, s[2:3]
	v_cmp_eq_u64_e64 s[14:15], 1, v[22:23]
	s_cbranch_vccnz .LBB150_105
; %bb.90:                               ;   in Loop: Header=BB150_18 Depth=1
	s_cmp_eq_u64 s[16:17], 1
	s_cselect_b64 s[2:3], -1, 0
	s_and_b64 s[8:9], s[2:3], s[14:15]
	s_mov_b64 s[2:3], -1
	v_mov_b32_e32 v20, v37
	v_mov_b32_e32 v24, v36
	;; [unrolled: 1-line block ×3, first 2 shown]
                                        ; implicit-def: $sgpr20_sgpr21
                                        ; implicit-def: $sgpr36_sgpr37
                                        ; implicit-def: $sgpr34_sgpr35
	s_and_saveexec_b64 s[10:11], s[8:9]
	s_cbranch_execz .LBB150_127
; %bb.91:                               ;   in Loop: Header=BB150_18 Depth=1
	ds_read_b64 v[2:3], v15 offset:5120
	s_waitcnt lgkmcnt(0)
	s_barrier
	v_readfirstlane_b32 s2, v2
	v_readfirstlane_b32 s3, v3
	s_mov_b64 s[6:7], exec
	v_readlane_b32 s12, v47, 48
	v_readlane_b32 s13, v47, 49
	s_and_b64 s[12:13], s[6:7], s[12:13]
	s_mov_b64 exec, s[12:13]
	s_cbranch_execz .LBB150_93
; %bb.92:                               ;   in Loop: Header=BB150_18 Depth=1
	ds_write_b32 v32, v15
.LBB150_93:                             ;   in Loop: Header=BB150_18 Depth=1
	s_or_b64 exec, exec, s[6:7]
	v_and_b32_e32 v20, s48, v37
	v_or_b32_e32 v24, s90, v36
	s_cmp_eq_u64 s[2:3], 0
	s_waitcnt lgkmcnt(0)
	s_barrier
	s_cbranch_scc1 .LBB150_110
; %bb.94:                               ;   in Loop: Header=BB150_18 Depth=1
	v_readlane_b32 s6, v47, 52
	s_add_u32 s20, s6, s2
	v_readlane_b32 s6, v47, 54
	s_addc_u32 s7, s6, s3
	s_mov_b32 s6, s91
	s_cmp_lg_u64 s[6:7], 0
	s_cbranch_scc0 .LBB150_154
; %bb.95:                               ;   in Loop: Header=BB150_18 Depth=1
	v_cvt_f32_u32_e32 v2, s89
	s_sub_u32 s6, 0, s89
	s_subb_u32 s12, 0, 0
	v_mac_f32_e32 v2, 0, v35
	v_rcp_f32_e32 v2, v2
	v_mul_f32_e32 v2, 0x5f7ffffc, v2
	v_mul_f32_e32 v3, 0x2f800000, v2
	v_trunc_f32_e32 v3, v3
	v_mac_f32_e32 v2, 0xcf800000, v3
	v_cvt_u32_f32_e32 v3, v3
	v_cvt_u32_f32_e32 v2, v2
	v_readfirstlane_b32 s13, v3
	v_readfirstlane_b32 s21, v2
	s_mul_i32 s26, s6, s13
	s_mul_hi_u32 s28, s6, s21
	s_mul_i32 s27, s12, s21
	s_add_i32 s26, s28, s26
	s_mul_i32 s29, s6, s21
	s_add_i32 s26, s26, s27
	s_mul_hi_u32 s28, s21, s29
	s_mul_hi_u32 s27, s21, s26
	s_mul_i32 s21, s21, s26
	s_add_u32 s21, s28, s21
	s_addc_u32 s27, 0, s27
	s_mul_hi_u32 s34, s13, s29
	s_mul_i32 s29, s13, s29
	s_add_u32 s21, s21, s29
	s_mul_hi_u32 s28, s13, s26
	s_addc_u32 s21, s27, s34
	s_addc_u32 s27, s28, 0
	s_mul_i32 s26, s13, s26
	s_add_u32 s21, s21, s26
	s_addc_u32 s26, 0, s27
	v_add_co_u32_e32 v2, vcc, s21, v2
	s_cmp_lg_u64 vcc, 0
	s_addc_u32 s13, s13, s26
	v_readfirstlane_b32 s26, v2
	s_mul_i32 s21, s6, s13
	s_mul_hi_u32 s27, s6, s26
	s_add_i32 s21, s27, s21
	s_mul_i32 s12, s12, s26
	s_add_i32 s21, s21, s12
	s_mul_i32 s6, s6, s26
	s_mul_hi_u32 s27, s13, s6
	s_mul_i32 s28, s13, s6
	s_mul_i32 s34, s26, s21
	s_mul_hi_u32 s6, s26, s6
	s_mul_hi_u32 s29, s26, s21
	s_add_u32 s6, s6, s34
	s_addc_u32 s26, 0, s29
	s_add_u32 s6, s6, s28
	s_mul_hi_u32 s12, s13, s21
	s_addc_u32 s6, s26, s27
	s_addc_u32 s12, s12, 0
	s_mul_i32 s21, s13, s21
	s_add_u32 s6, s6, s21
	s_addc_u32 s12, 0, s12
	v_add_co_u32_e32 v2, vcc, s6, v2
	s_cmp_lg_u64 vcc, 0
	s_addc_u32 s6, s13, s12
	v_readfirstlane_b32 s21, v2
	s_mul_i32 s13, s20, s6
	s_mul_hi_u32 s26, s20, s21
	s_mul_hi_u32 s12, s20, s6
	s_add_u32 s13, s26, s13
	s_addc_u32 s12, 0, s12
	s_mul_hi_u32 s27, s7, s21
	s_mul_i32 s21, s7, s21
	s_add_u32 s13, s13, s21
	s_mul_hi_u32 s26, s7, s6
	s_addc_u32 s12, s12, s27
	s_addc_u32 s13, s26, 0
	s_mul_i32 s6, s7, s6
	s_add_u32 s6, s12, s6
	s_addc_u32 s12, 0, s13
	s_mul_hi_u32 s13, s89, s6
	s_mul_i32 s6, s89, s6
	s_mul_i32 s12, s89, s12
	v_mov_b32_e32 v2, s6
	s_add_i32 s13, s13, s12
	v_sub_co_u32_e32 v2, vcc, s20, v2
	s_cmp_lg_u64 vcc, 0
	s_subb_u32 s6, s7, s13
	v_subrev_co_u32_e32 v3, vcc, s89, v2
	s_cmp_lg_u64 vcc, 0
	s_subb_u32 s12, s6, 0
	v_subrev_co_u32_e32 v4, vcc, s89, v3
	s_cmp_lg_u64 vcc, 0
	s_subb_u32 s13, s12, 0
	v_cmp_le_u32_e32 vcc, s89, v3
	s_cmp_eq_u32 s12, 0
	v_cndmask_b32_e64 v5, 0, -1, vcc
	s_cselect_b64 vcc, -1, 0
	v_cndmask_b32_e32 v5, -1, v5, vcc
	v_mov_b32_e32 v6, s12
	v_mov_b32_e32 v7, s13
	v_cmp_ne_u32_e32 vcc, 0, v5
	v_cndmask_b32_e32 v5, v6, v7, vcc
	v_cndmask_b32_e32 v4, v3, v4, vcc
	v_cmp_le_u32_e32 vcc, s89, v2
	s_cmp_eq_u32 s6, 0
	v_cndmask_b32_e64 v3, 0, -1, vcc
	s_cselect_b64 vcc, -1, 0
	v_cndmask_b32_e32 v3, -1, v3, vcc
	v_mov_b32_e32 v6, s6
	v_cmp_ne_u32_e32 vcc, 0, v3
	v_cndmask_b32_e32 v3, v6, v5, vcc
	v_cndmask_b32_e32 v2, v2, v4, vcc
	s_cbranch_execnz .LBB150_97
.LBB150_96:                             ;   in Loop: Header=BB150_18 Depth=1
	v_cvt_f32_u32_e32 v2, s89
	s_sub_i32 s6, 0, s89
	v_rcp_iflag_f32_e32 v2, v2
	v_mul_f32_e32 v2, 0x4f7ffffe, v2
	v_cvt_u32_f32_e32 v2, v2
	v_mul_lo_u32 v3, s6, v2
	v_mul_hi_u32 v3, v2, v3
	v_add_u32_e32 v2, v2, v3
	v_mul_hi_u32 v2, s20, v2
	v_mul_lo_u32 v2, v2, s89
	v_sub_u32_e32 v2, s20, v2
	v_subrev_u32_e32 v3, s89, v2
	v_cmp_le_u32_e32 vcc, s89, v2
	v_cndmask_b32_e32 v2, v2, v3, vcc
	v_subrev_u32_e32 v3, s89, v2
	v_cmp_le_u32_e32 vcc, s89, v2
	v_cndmask_b32_e32 v14, v2, v3, vcc
	v_pk_mov_b32 v[2:3], v[14:15], v[14:15] op_sel:[0,1]
.LBB150_97:                             ;   in Loop: Header=BB150_18 Depth=1
	v_mov_b32_e32 v5, s7
	v_sub_co_u32_e32 v4, vcc, s20, v2
	v_subb_co_u32_e32 v5, vcc, v5, v3, vcc
	v_cmp_gt_u64_e32 vcc, v[4:5], v[0:1]
	s_mov_b64 s[6:7], 0
                                        ; implicit-def: $vgpr3
	s_and_saveexec_b64 s[12:13], vcc
	s_cbranch_execz .LBB150_112
; %bb.98:                               ;   in Loop: Header=BB150_18 Depth=1
	v_mov_b32_e32 v8, v16
	v_pk_mov_b32 v[6:7], v[0:1], v[0:1] op_sel:[0,1]
                                        ; implicit-def: $sgpr20_sgpr21
	s_branch .LBB150_100
.LBB150_99:                             ;   in Loop: Header=BB150_100 Depth=2
	s_or_b64 exec, exec, s[26:27]
	s_waitcnt lgkmcnt(0)
	s_barrier
	ds_read_b64 v[2:3], v15 offset:3072
	v_add_co_u32_e32 v6, vcc, s89, v6
	v_add_u32_e32 v8, s5, v8
	s_waitcnt lgkmcnt(0)
	v_readfirstlane_b32 s26, v2
	v_mov_b32_e32 v2, s74
	s_cmp_lg_u32 s26, 0
	v_addc_co_u32_e32 v7, vcc, v7, v2, vcc
	s_cselect_b64 s[26:27], -1, 0
	v_cmp_ge_u64_e32 vcc, v[6:7], v[4:5]
	s_or_b64 s[28:29], vcc, s[26:27]
	s_and_b64 s[28:29], exec, s[28:29]
	s_or_b64 s[6:7], s[28:29], s[6:7]
	s_andn2_b64 s[20:21], s[20:21], exec
	s_and_b64 s[26:27], s[26:27], exec
	s_or_b64 s[20:21], s[20:21], s[26:27]
	s_barrier
	s_andn2_b64 exec, exec, s[6:7]
	s_cbranch_execz .LBB150_111
.LBB150_100:                            ;   Parent Loop BB150_18 Depth=1
                                        ; =>  This Inner Loop Header: Depth=2
	v_cmp_gt_u64_e32 vcc, s[2:3], v[6:7]
	v_mov_b32_e32 v19, 0
	s_and_saveexec_b64 s[26:27], vcc
	s_cbranch_execz .LBB150_102
; %bb.101:                              ;   in Loop: Header=BB150_100 Depth=2
	ds_read_b32 v19, v8
.LBB150_102:                            ;   in Loop: Header=BB150_100 Depth=2
	s_or_b64 exec, exec, s[26:27]
	s_and_saveexec_b64 s[26:27], vcc
	s_cbranch_execz .LBB150_99
; %bb.103:                              ;   in Loop: Header=BB150_100 Depth=2
	s_waitcnt lgkmcnt(0)
	v_xor_b32_e32 v2, 0x80000000, v19
	v_and_b32_e32 v2, v2, v24
	v_cmp_eq_u32_e32 vcc, v2, v20
	s_and_b64 exec, exec, vcc
	s_cbranch_execz .LBB150_99
; %bb.104:                              ;   in Loop: Header=BB150_100 Depth=2
	ds_write_b64 v15, v[18:19] offset:3072
	s_branch .LBB150_99
.LBB150_105:                            ;   in Loop: Header=BB150_18 Depth=1
	s_mov_b64 s[28:29], 0
	s_mov_b64 s[26:27], 0
                                        ; implicit-def: $sgpr34_sgpr35
                                        ; implicit-def: $sgpr36_sgpr37
                                        ; implicit-def: $sgpr20_sgpr21
                                        ; implicit-def: $vgpr8
                                        ; implicit-def: $vgpr4_vgpr5
                                        ; implicit-def: $vgpr20
                                        ; implicit-def: $vgpr24
                                        ; implicit-def: $vgpr3
	s_cbranch_execnz .LBB150_291
.LBB150_106:                            ;   in Loop: Header=BB150_18 Depth=1
	s_mov_b64 s[14:15], s[20:21]
	s_mov_b64 s[38:39], s[20:21]
	s_and_saveexec_b64 s[2:3], s[28:29]
	s_cbranch_execnz .LBB150_487
	s_branch .LBB150_488
.LBB150_107:                            ;   in Loop: Header=BB150_18 Depth=1
	s_or_b64 exec, exec, s[2:3]
	s_waitcnt lgkmcnt(0)
	s_barrier
	s_mov_b64 s[2:3], exec
	v_readlane_b32 s6, v47, 32
	v_readlane_b32 s7, v47, 33
	s_and_b64 s[6:7], s[2:3], s[6:7]
	s_mov_b64 exec, s[6:7]
	s_cbranch_execz .LBB150_109
; %bb.108:                              ;   in Loop: Header=BB150_18 Depth=1
	ds_read_b32 v2, v15 offset:5144
	s_waitcnt lgkmcnt(0)
	v_ashrrev_i32_e32 v3, 31, v2
	ds_write_b64 v15, v[2:3] offset:5120
.LBB150_109:                            ;   in Loop: Header=BB150_18 Depth=1
	s_or_b64 exec, exec, s[2:3]
	s_waitcnt lgkmcnt(0)
	s_barrier
	s_mov_b64 s[2:3], -1
	s_and_b64 vcc, exec, s[8:9]
	s_cbranch_vccnz .LBB150_36
	s_branch .LBB150_46
.LBB150_110:                            ;   in Loop: Header=BB150_18 Depth=1
	s_mov_b64 s[20:21], -1
	s_mov_b64 s[6:7], 0
                                        ; implicit-def: $sgpr34_sgpr35
                                        ; implicit-def: $vgpr3
	s_mov_b64 s[36:37], s[20:21]
	s_cbranch_execnz .LBB150_113
	s_branch .LBB150_126
.LBB150_111:                            ;   in Loop: Header=BB150_18 Depth=1
	s_or_b64 exec, exec, s[6:7]
	s_and_b64 s[6:7], s[20:21], exec
.LBB150_112:                            ;   in Loop: Header=BB150_18 Depth=1
	s_or_b64 exec, exec, s[12:13]
	s_mov_b64 s[34:35], -1
	s_mov_b64 s[20:21], 0
	s_mov_b64 s[36:37], s[20:21]
	s_branch .LBB150_126
.LBB150_113:                            ;   in Loop: Header=BB150_18 Depth=1
	s_mov_b32 s72, s91
	s_cmp_lg_u64 s[72:73], 0
	s_cbranch_scc0 .LBB150_155
; %bb.114:                              ;   in Loop: Header=BB150_18 Depth=1
	v_cvt_f32_u32_e32 v2, s89
	s_sub_u32 s2, 0, s89
	s_subb_u32 s3, 0, 0
	v_mac_f32_e32 v2, 0, v35
	v_rcp_f32_e32 v2, v2
	v_mul_f32_e32 v2, 0x5f7ffffc, v2
	v_mul_f32_e32 v3, 0x2f800000, v2
	v_trunc_f32_e32 v3, v3
	v_mac_f32_e32 v2, 0xcf800000, v3
	v_cvt_u32_f32_e32 v3, v3
	v_cvt_u32_f32_e32 v2, v2
	v_readfirstlane_b32 s6, v3
	v_readfirstlane_b32 s7, v2
	s_mul_i32 s12, s2, s6
	s_mul_hi_u32 s20, s2, s7
	s_mul_i32 s13, s3, s7
	s_add_i32 s12, s20, s12
	s_mul_i32 s21, s2, s7
	s_add_i32 s12, s12, s13
	s_mul_hi_u32 s20, s7, s21
	s_mul_hi_u32 s13, s7, s12
	s_mul_i32 s7, s7, s12
	s_add_u32 s7, s20, s7
	s_addc_u32 s13, 0, s13
	s_mul_hi_u32 s26, s6, s21
	s_mul_i32 s21, s6, s21
	s_add_u32 s7, s7, s21
	s_mul_hi_u32 s20, s6, s12
	s_addc_u32 s7, s13, s26
	s_addc_u32 s13, s20, 0
	s_mul_i32 s12, s6, s12
	s_add_u32 s7, s7, s12
	s_addc_u32 s12, 0, s13
	v_add_co_u32_e32 v2, vcc, s7, v2
	s_cmp_lg_u64 vcc, 0
	s_addc_u32 s6, s6, s12
	v_readfirstlane_b32 s12, v2
	s_mul_i32 s7, s2, s6
	s_mul_hi_u32 s13, s2, s12
	s_add_i32 s7, s13, s7
	s_mul_i32 s3, s3, s12
	s_add_i32 s7, s7, s3
	s_mul_i32 s2, s2, s12
	s_mul_hi_u32 s13, s6, s2
	s_mul_i32 s20, s6, s2
	s_mul_i32 s26, s12, s7
	s_mul_hi_u32 s2, s12, s2
	s_mul_hi_u32 s21, s12, s7
	s_add_u32 s2, s2, s26
	s_addc_u32 s12, 0, s21
	s_add_u32 s2, s2, s20
	s_mul_hi_u32 s3, s6, s7
	s_addc_u32 s2, s12, s13
	s_addc_u32 s3, s3, 0
	s_mul_i32 s7, s6, s7
	s_add_u32 s2, s2, s7
	s_addc_u32 s3, 0, s3
	v_add_co_u32_e32 v2, vcc, s2, v2
	s_cmp_lg_u64 vcc, 0
	s_addc_u32 s2, s6, s3
	v_readlane_b32 s20, v47, 53
	v_readfirstlane_b32 s7, v2
	s_mul_i32 s6, s20, s2
	s_mul_hi_u32 s12, s20, s7
	s_mul_hi_u32 s3, s20, s2
	s_add_u32 s6, s12, s6
	s_addc_u32 s3, 0, s3
	s_mul_hi_u32 s13, s73, s7
	s_mul_i32 s7, s73, s7
	s_add_u32 s6, s6, s7
	s_mul_hi_u32 s12, s73, s2
	s_addc_u32 s3, s3, s13
	s_addc_u32 s6, s12, 0
	s_mul_i32 s2, s73, s2
	s_add_u32 s2, s3, s2
	s_addc_u32 s3, 0, s6
	s_mul_hi_u32 s6, s89, s2
	s_mul_i32 s2, s89, s2
	s_mul_i32 s3, s89, s3
	v_mov_b32_e32 v2, s2
	s_add_i32 s6, s6, s3
	v_sub_co_u32_e32 v2, vcc, s20, v2
	s_cmp_lg_u64 vcc, 0
	s_subb_u32 s2, s73, s6
	v_subrev_co_u32_e32 v3, vcc, s89, v2
	s_cmp_lg_u64 vcc, 0
	s_subb_u32 s3, s2, 0
	v_subrev_co_u32_e32 v4, vcc, s89, v3
	s_cmp_lg_u64 vcc, 0
	s_subb_u32 s6, s3, 0
	v_cmp_le_u32_e32 vcc, s89, v3
	s_cmp_eq_u32 s3, 0
	v_cndmask_b32_e64 v5, 0, -1, vcc
	s_cselect_b64 vcc, -1, 0
	v_cndmask_b32_e32 v5, -1, v5, vcc
	v_mov_b32_e32 v6, s3
	v_mov_b32_e32 v7, s6
	v_cmp_ne_u32_e32 vcc, 0, v5
	v_cndmask_b32_e32 v5, v6, v7, vcc
	v_cndmask_b32_e32 v4, v3, v4, vcc
	v_cmp_le_u32_e32 vcc, s89, v2
	s_cmp_eq_u32 s2, 0
	v_cndmask_b32_e64 v3, 0, -1, vcc
	s_cselect_b64 vcc, -1, 0
	v_cndmask_b32_e32 v3, -1, v3, vcc
	v_mov_b32_e32 v6, s2
	v_cmp_ne_u32_e32 vcc, 0, v3
	v_cndmask_b32_e32 v3, v6, v5, vcc
	v_cndmask_b32_e32 v2, v2, v4, vcc
	s_cbranch_execnz .LBB150_116
.LBB150_115:                            ;   in Loop: Header=BB150_18 Depth=1
	v_cvt_f32_u32_e32 v2, s89
	s_sub_i32 s2, 0, s89
	v_rcp_iflag_f32_e32 v2, v2
	v_mul_f32_e32 v2, 0x4f7ffffe, v2
	v_cvt_u32_f32_e32 v2, v2
	v_mul_lo_u32 v3, s2, v2
	v_mul_hi_u32 v3, v2, v3
	v_add_u32_e32 v2, v2, v3
	v_readlane_b32 s2, v47, 53
	v_mul_hi_u32 v2, s2, v2
	v_mul_lo_u32 v2, v2, s89
	v_sub_u32_e32 v2, s2, v2
	v_subrev_u32_e32 v3, s89, v2
	v_cmp_le_u32_e32 vcc, s89, v2
	v_cndmask_b32_e32 v2, v2, v3, vcc
	v_subrev_u32_e32 v3, s89, v2
	v_cmp_le_u32_e32 vcc, s89, v2
	v_cndmask_b32_e32 v14, v2, v3, vcc
	v_pk_mov_b32 v[2:3], v[14:15], v[14:15] op_sel:[0,1]
.LBB150_116:                            ;   in Loop: Header=BB150_18 Depth=1
	v_readlane_b32 s2, v47, 53
	v_mov_b32_e32 v5, s73
	v_sub_co_u32_e32 v4, vcc, s2, v2
	v_subb_co_u32_e32 v5, vcc, v5, v3, vcc
	v_cmp_gt_u64_e32 vcc, v[4:5], v[0:1]
	s_mov_b64 s[6:7], 0
                                        ; implicit-def: $vgpr3
	s_and_saveexec_b64 s[2:3], vcc
	s_cbranch_execz .LBB150_125
; %bb.117:                              ;   in Loop: Header=BB150_18 Depth=1
	s_mov_b64 s[12:13], 0
	v_pk_mov_b32 v[6:7], v[0:1], v[0:1] op_sel:[0,1]
                                        ; implicit-def: $sgpr20_sgpr21
	s_branch .LBB150_119
.LBB150_118:                            ;   in Loop: Header=BB150_119 Depth=2
	s_or_b64 exec, exec, s[6:7]
	s_waitcnt lgkmcnt(0)
	s_barrier
	ds_read_b64 v[2:3], v15 offset:3072
	v_add_co_u32_e32 v6, vcc, s89, v6
	s_waitcnt lgkmcnt(0)
	s_barrier
	v_readfirstlane_b32 s6, v2
	v_mov_b32_e32 v2, s74
	s_cmp_lg_u32 s6, 0
	v_addc_co_u32_e32 v7, vcc, v7, v2, vcc
	s_cselect_b64 s[6:7], -1, 0
	v_cmp_ge_u64_e32 vcc, v[6:7], v[4:5]
	s_or_b64 s[26:27], vcc, s[6:7]
	s_and_b64 s[26:27], exec, s[26:27]
	s_or_b64 s[12:13], s[26:27], s[12:13]
	s_andn2_b64 s[20:21], s[20:21], exec
	s_and_b64 s[6:7], s[6:7], exec
	s_or_b64 s[20:21], s[20:21], s[6:7]
	s_andn2_b64 exec, exec, s[12:13]
	s_cbranch_execz .LBB150_124
.LBB150_119:                            ;   Parent Loop BB150_18 Depth=1
                                        ; =>  This Inner Loop Header: Depth=2
	v_cmp_gt_u64_e32 vcc, s[60:61], v[6:7]
	s_waitcnt vmcnt(0)
	v_mov_b32_e32 v19, 0
	s_and_saveexec_b64 s[26:27], vcc
	s_cbranch_execz .LBB150_121
; %bb.120:                              ;   in Loop: Header=BB150_119 Depth=2
	v_mul_lo_u32 v8, v7, s58
	v_mul_lo_u32 v9, v6, s59
	v_mad_u64_u32 v[2:3], s[6:7], v6, s58, 0
	v_add3_u32 v3, v3, v9, v8
	v_lshlrev_b64 v[2:3], 2, v[2:3]
	v_mov_b32_e32 v8, s88
	v_add_co_u32_e64 v2, s[6:7], s33, v2
	v_addc_co_u32_e64 v3, s[6:7], v8, v3, s[6:7]
	global_load_dword v19, v[2:3], off
.LBB150_121:                            ;   in Loop: Header=BB150_119 Depth=2
	s_or_b64 exec, exec, s[26:27]
	s_and_saveexec_b64 s[6:7], vcc
	s_cbranch_execz .LBB150_118
; %bb.122:                              ;   in Loop: Header=BB150_119 Depth=2
	s_waitcnt vmcnt(0)
	v_xor_b32_e32 v2, 0x80000000, v19
	v_and_b32_e32 v2, v2, v24
	v_cmp_eq_u32_e32 vcc, v2, v20
	s_and_b64 exec, exec, vcc
	s_cbranch_execz .LBB150_118
; %bb.123:                              ;   in Loop: Header=BB150_119 Depth=2
	ds_write_b64 v15, v[18:19] offset:3072
	s_branch .LBB150_118
.LBB150_124:                            ;   in Loop: Header=BB150_18 Depth=1
	s_or_b64 exec, exec, s[12:13]
	s_and_b64 s[6:7], s[20:21], exec
.LBB150_125:                            ;   in Loop: Header=BB150_18 Depth=1
	s_or_b64 exec, exec, s[2:3]
	s_mov_b64 s[36:37], -1
	s_mov_b64 s[20:21], 0
	s_mov_b64 s[34:35], 0
.LBB150_126:                            ;   in Loop: Header=BB150_18 Depth=1
	s_orn2_b64 s[2:3], s[6:7], exec
.LBB150_127:                            ;   in Loop: Header=BB150_18 Depth=1
	s_or_b64 exec, exec, s[10:11]
	s_mov_b64 s[38:39], 0
	s_mov_b64 s[28:29], 0
	s_mov_b64 s[26:27], 0
                                        ; implicit-def: $vgpr8
                                        ; implicit-def: $vgpr4_vgpr5
	s_and_saveexec_b64 s[40:41], s[2:3]
	s_cbranch_execz .LBB150_290
; %bb.128:                              ;   in Loop: Header=BB150_18 Depth=1
	v_mov_b32_e32 v4, 1
	s_xor_b64 s[8:9], s[8:9], -1
	s_mov_b64 s[6:7], 0
	v_mov_b32_e32 v5, 0
	v_mov_b32_e32 v8, 1
	s_and_saveexec_b64 s[2:3], s[8:9]
	s_cbranch_execz .LBB150_138
; %bb.129:                              ;   in Loop: Header=BB150_18 Depth=1
	v_cmp_ge_u64_e32 vcc, s[16:17], v[22:23]
                                        ; implicit-def: $sgpr10
                                        ; implicit-def: $sgpr6_sgpr7
	s_and_saveexec_b64 s[8:9], vcc
	s_xor_b64 s[8:9], exec, s[8:9]
	s_cbranch_execz .LBB150_135
; %bb.130:                              ;   in Loop: Header=BB150_18 Depth=1
	ds_read_b64 v[4:5], v15 offset:5120
	s_waitcnt lgkmcnt(0)
	v_cmp_ne_u64_e32 vcc, 0, v[4:5]
	s_cbranch_vccnz .LBB150_134
; %bb.131:                              ;   in Loop: Header=BB150_18 Depth=1
	s_mov_b64 s[6:7], exec
	v_readlane_b32 s10, v47, 32
	v_readlane_b32 s11, v47, 33
	s_and_b64 s[10:11], s[6:7], s[10:11]
	s_mov_b64 exec, s[10:11]
	s_cbranch_execz .LBB150_133
; %bb.132:                              ;   in Loop: Header=BB150_18 Depth=1
	v_pk_mov_b32 v[4:5], s[16:17], s[16:17] op_sel:[0,1]
	ds_write_b64 v15, v[4:5] offset:5128
.LBB150_133:                            ;   in Loop: Header=BB150_18 Depth=1
	s_or_b64 exec, exec, s[6:7]
	s_waitcnt lgkmcnt(0)
	s_barrier
.LBB150_134:                            ;   in Loop: Header=BB150_18 Depth=1
	v_and_b32_e32 v20, s48, v20
	v_or_b32_e32 v24, s90, v24
	s_mov_b64 s[6:7], 0
	s_mov_b32 s10, 8
.LBB150_135:                            ;   in Loop: Header=BB150_18 Depth=1
	s_or_saveexec_b64 s[8:9], s[8:9]
	v_mov_b32_e32 v8, s10
	v_pk_mov_b32 v[4:5], v[22:23], v[22:23] op_sel:[0,1]
	s_xor_b64 exec, exec, s[8:9]
; %bb.136:                              ;   in Loop: Header=BB150_18 Depth=1
	v_mov_b32_e32 v2, s17
	v_subrev_co_u32_e32 v4, vcc, s16, v22
	v_subb_co_u32_e32 v5, vcc, v23, v2, vcc
	v_mov_b32_e32 v8, 0
	s_or_b64 s[6:7], s[6:7], exec
; %bb.137:                              ;   in Loop: Header=BB150_18 Depth=1
	s_or_b64 exec, exec, s[8:9]
	s_and_b64 s[6:7], s[6:7], exec
.LBB150_138:                            ;   in Loop: Header=BB150_18 Depth=1
	s_or_b64 exec, exec, s[2:3]
	s_mov_b64 s[28:29], -1
                                        ; implicit-def: $sgpr2_sgpr3
                                        ; implicit-def: $sgpr8_sgpr9
                                        ; implicit-def: $sgpr10_sgpr11
	s_and_saveexec_b64 s[12:13], s[6:7]
	s_xor_b64 s[26:27], exec, s[12:13]
	s_cbranch_execz .LBB150_287
; %bb.139:                              ;   in Loop: Header=BB150_18 Depth=1
	s_cmp_eq_u64 s[18:19], 1
	s_cselect_b64 s[2:3], -1, 0
	v_cmp_eq_u64_e32 vcc, 1, v[4:5]
	s_and_b64 s[8:9], s[2:3], vcc
	s_mov_b64 s[2:3], -1
                                        ; implicit-def: $sgpr28_sgpr29
                                        ; implicit-def: $sgpr44_sgpr45
                                        ; implicit-def: $sgpr42_sgpr43
	s_and_saveexec_b64 s[10:11], s[8:9]
	s_cbranch_execz .LBB150_173
; %bb.140:                              ;   in Loop: Header=BB150_18 Depth=1
	ds_read_b64 v[2:3], v15 offset:5120
	s_waitcnt lgkmcnt(0)
	s_barrier
	v_readfirstlane_b32 s2, v2
	v_readfirstlane_b32 s3, v3
	s_mov_b64 s[6:7], exec
	v_readlane_b32 s12, v47, 48
	v_readlane_b32 s13, v47, 49
	s_and_b64 s[12:13], s[6:7], s[12:13]
	s_mov_b64 exec, s[12:13]
	s_cbranch_execz .LBB150_142
; %bb.141:                              ;   in Loop: Header=BB150_18 Depth=1
	ds_write_b32 v32, v15
.LBB150_142:                            ;   in Loop: Header=BB150_18 Depth=1
	s_or_b64 exec, exec, s[6:7]
	v_and_b32_e32 v2, s48, v20
	v_lshl_or_b32 v20, 1, s49, v2
	v_or_b32_e32 v24, s90, v24
	s_cmp_eq_u64 s[2:3], 0
	s_waitcnt lgkmcnt(0)
	s_barrier
	s_cbranch_scc1 .LBB150_156
; %bb.143:                              ;   in Loop: Header=BB150_18 Depth=1
	v_readlane_b32 s6, v47, 52
	s_add_u32 s28, s6, s2
	v_readlane_b32 s6, v47, 54
	s_addc_u32 s7, s6, s3
	s_mov_b32 s6, s91
	s_cmp_lg_u64 s[6:7], 0
	s_cbranch_scc0 .LBB150_200
; %bb.144:                              ;   in Loop: Header=BB150_18 Depth=1
	v_cvt_f32_u32_e32 v2, s89
	s_sub_u32 s6, 0, s89
	s_subb_u32 s12, 0, 0
	v_mac_f32_e32 v2, 0, v35
	v_rcp_f32_e32 v2, v2
	v_mul_f32_e32 v2, 0x5f7ffffc, v2
	v_mul_f32_e32 v3, 0x2f800000, v2
	v_trunc_f32_e32 v3, v3
	v_mac_f32_e32 v2, 0xcf800000, v3
	v_cvt_u32_f32_e32 v3, v3
	v_cvt_u32_f32_e32 v2, v2
	v_readfirstlane_b32 s13, v3
	v_readfirstlane_b32 s29, v2
	s_mul_i32 s42, s6, s13
	s_mul_hi_u32 s44, s6, s29
	s_mul_i32 s43, s12, s29
	s_add_i32 s42, s44, s42
	s_mul_i32 s45, s6, s29
	s_add_i32 s42, s42, s43
	s_mul_hi_u32 s44, s29, s45
	s_mul_hi_u32 s43, s29, s42
	s_mul_i32 s29, s29, s42
	s_add_u32 s29, s44, s29
	s_addc_u32 s43, 0, s43
	s_mul_hi_u32 s46, s13, s45
	s_mul_i32 s45, s13, s45
	s_add_u32 s29, s29, s45
	s_mul_hi_u32 s44, s13, s42
	s_addc_u32 s29, s43, s46
	s_addc_u32 s43, s44, 0
	s_mul_i32 s42, s13, s42
	s_add_u32 s29, s29, s42
	s_addc_u32 s42, 0, s43
	v_add_co_u32_e32 v2, vcc, s29, v2
	s_cmp_lg_u64 vcc, 0
	s_addc_u32 s13, s13, s42
	v_readfirstlane_b32 s42, v2
	s_mul_i32 s29, s6, s13
	s_mul_hi_u32 s43, s6, s42
	s_add_i32 s29, s43, s29
	s_mul_i32 s12, s12, s42
	s_add_i32 s29, s29, s12
	s_mul_i32 s6, s6, s42
	s_mul_hi_u32 s43, s13, s6
	s_mul_i32 s44, s13, s6
	s_mul_i32 s46, s42, s29
	s_mul_hi_u32 s6, s42, s6
	s_mul_hi_u32 s45, s42, s29
	s_add_u32 s6, s6, s46
	s_addc_u32 s42, 0, s45
	s_add_u32 s6, s6, s44
	s_mul_hi_u32 s12, s13, s29
	s_addc_u32 s6, s42, s43
	s_addc_u32 s12, s12, 0
	s_mul_i32 s29, s13, s29
	s_add_u32 s6, s6, s29
	s_addc_u32 s12, 0, s12
	v_add_co_u32_e32 v2, vcc, s6, v2
	s_cmp_lg_u64 vcc, 0
	s_addc_u32 s6, s13, s12
	v_readfirstlane_b32 s29, v2
	s_mul_i32 s13, s28, s6
	s_mul_hi_u32 s42, s28, s29
	s_mul_hi_u32 s12, s28, s6
	s_add_u32 s13, s42, s13
	s_addc_u32 s12, 0, s12
	s_mul_hi_u32 s43, s7, s29
	s_mul_i32 s29, s7, s29
	s_add_u32 s13, s13, s29
	s_mul_hi_u32 s42, s7, s6
	s_addc_u32 s12, s12, s43
	s_addc_u32 s13, s42, 0
	s_mul_i32 s6, s7, s6
	s_add_u32 s6, s12, s6
	s_addc_u32 s12, 0, s13
	s_mul_hi_u32 s13, s89, s6
	s_mul_i32 s6, s89, s6
	s_mul_i32 s12, s89, s12
	v_mov_b32_e32 v2, s6
	s_add_i32 s13, s13, s12
	v_sub_co_u32_e32 v2, vcc, s28, v2
	s_cmp_lg_u64 vcc, 0
	s_subb_u32 s6, s7, s13
	v_subrev_co_u32_e32 v3, vcc, s89, v2
	s_cmp_lg_u64 vcc, 0
	s_subb_u32 s12, s6, 0
	v_subrev_co_u32_e32 v6, vcc, s89, v3
	s_cmp_lg_u64 vcc, 0
	s_subb_u32 s13, s12, 0
	v_cmp_le_u32_e32 vcc, s89, v3
	s_cmp_eq_u32 s12, 0
	v_cndmask_b32_e64 v7, 0, -1, vcc
	s_cselect_b64 vcc, -1, 0
	v_cndmask_b32_e32 v7, -1, v7, vcc
	v_mov_b32_e32 v8, s12
	v_mov_b32_e32 v9, s13
	v_cmp_ne_u32_e32 vcc, 0, v7
	v_cndmask_b32_e32 v7, v8, v9, vcc
	v_cndmask_b32_e32 v6, v3, v6, vcc
	v_cmp_le_u32_e32 vcc, s89, v2
	s_cmp_eq_u32 s6, 0
	v_cndmask_b32_e64 v3, 0, -1, vcc
	s_cselect_b64 vcc, -1, 0
	v_cndmask_b32_e32 v3, -1, v3, vcc
	v_mov_b32_e32 v8, s6
	v_cmp_ne_u32_e32 vcc, 0, v3
	v_cndmask_b32_e32 v3, v8, v7, vcc
	v_cndmask_b32_e32 v2, v2, v6, vcc
	s_cbranch_execnz .LBB150_146
.LBB150_145:                            ;   in Loop: Header=BB150_18 Depth=1
	v_cvt_f32_u32_e32 v2, s89
	s_sub_i32 s6, 0, s89
	v_rcp_iflag_f32_e32 v2, v2
	v_mul_f32_e32 v2, 0x4f7ffffe, v2
	v_cvt_u32_f32_e32 v2, v2
	v_mul_lo_u32 v3, s6, v2
	v_mul_hi_u32 v3, v2, v3
	v_add_u32_e32 v2, v2, v3
	v_mul_hi_u32 v2, s28, v2
	v_mul_lo_u32 v2, v2, s89
	v_sub_u32_e32 v2, s28, v2
	v_subrev_u32_e32 v3, s89, v2
	v_cmp_le_u32_e32 vcc, s89, v2
	v_cndmask_b32_e32 v2, v2, v3, vcc
	v_subrev_u32_e32 v3, s89, v2
	v_cmp_le_u32_e32 vcc, s89, v2
	v_cndmask_b32_e32 v14, v2, v3, vcc
	v_pk_mov_b32 v[2:3], v[14:15], v[14:15] op_sel:[0,1]
.LBB150_146:                            ;   in Loop: Header=BB150_18 Depth=1
	v_mov_b32_e32 v7, s7
	v_sub_co_u32_e32 v6, vcc, s28, v2
	v_subb_co_u32_e32 v7, vcc, v7, v3, vcc
	v_cmp_gt_u64_e32 vcc, v[6:7], v[0:1]
	s_mov_b64 s[6:7], 0
                                        ; implicit-def: $vgpr3
	s_and_saveexec_b64 s[12:13], vcc
	s_cbranch_execz .LBB150_158
; %bb.147:                              ;   in Loop: Header=BB150_18 Depth=1
	v_mov_b32_e32 v14, v16
	v_pk_mov_b32 v[8:9], v[0:1], v[0:1] op_sel:[0,1]
                                        ; implicit-def: $sgpr28_sgpr29
	s_branch .LBB150_149
.LBB150_148:                            ;   in Loop: Header=BB150_149 Depth=2
	s_or_b64 exec, exec, s[42:43]
	s_waitcnt lgkmcnt(0)
	s_barrier
	ds_read_b64 v[2:3], v15 offset:3072
	v_add_co_u32_e32 v8, vcc, s89, v8
	v_add_u32_e32 v14, s5, v14
	s_waitcnt lgkmcnt(0)
	v_readfirstlane_b32 s42, v2
	v_mov_b32_e32 v2, s74
	s_cmp_lg_u32 s42, 0
	v_addc_co_u32_e32 v9, vcc, v9, v2, vcc
	s_cselect_b64 s[42:43], -1, 0
	v_cmp_ge_u64_e32 vcc, v[8:9], v[6:7]
	s_or_b64 s[44:45], vcc, s[42:43]
	s_and_b64 s[44:45], exec, s[44:45]
	s_or_b64 s[6:7], s[44:45], s[6:7]
	s_andn2_b64 s[28:29], s[28:29], exec
	s_and_b64 s[42:43], s[42:43], exec
	s_or_b64 s[28:29], s[28:29], s[42:43]
	s_barrier
	s_andn2_b64 exec, exec, s[6:7]
	s_cbranch_execz .LBB150_157
.LBB150_149:                            ;   Parent Loop BB150_18 Depth=1
                                        ; =>  This Inner Loop Header: Depth=2
	v_cmp_gt_u64_e32 vcc, s[2:3], v[8:9]
	s_waitcnt vmcnt(0)
	v_mov_b32_e32 v19, 0
	s_and_saveexec_b64 s[42:43], vcc
	s_cbranch_execz .LBB150_151
; %bb.150:                              ;   in Loop: Header=BB150_149 Depth=2
	ds_read_b32 v19, v14
.LBB150_151:                            ;   in Loop: Header=BB150_149 Depth=2
	s_or_b64 exec, exec, s[42:43]
	s_and_saveexec_b64 s[42:43], vcc
	s_cbranch_execz .LBB150_148
; %bb.152:                              ;   in Loop: Header=BB150_149 Depth=2
	s_waitcnt lgkmcnt(0)
	v_xor_b32_e32 v2, 0x80000000, v19
	v_and_b32_e32 v2, v2, v24
	v_cmp_eq_u32_e32 vcc, v2, v20
	s_and_b64 exec, exec, vcc
	s_cbranch_execz .LBB150_148
; %bb.153:                              ;   in Loop: Header=BB150_149 Depth=2
	ds_write_b64 v15, v[18:19] offset:3072
	s_branch .LBB150_148
.LBB150_154:                            ;   in Loop: Header=BB150_18 Depth=1
                                        ; implicit-def: $vgpr2_vgpr3
	s_branch .LBB150_96
.LBB150_155:                            ;   in Loop: Header=BB150_18 Depth=1
                                        ; implicit-def: $vgpr2_vgpr3
	s_branch .LBB150_115
.LBB150_156:                            ;   in Loop: Header=BB150_18 Depth=1
	s_mov_b64 s[28:29], -1
	s_mov_b64 s[6:7], 0
                                        ; implicit-def: $sgpr42_sgpr43
                                        ; implicit-def: $vgpr3
	s_mov_b64 s[44:45], s[28:29]
	s_cbranch_execnz .LBB150_159
	s_branch .LBB150_172
.LBB150_157:                            ;   in Loop: Header=BB150_18 Depth=1
	s_or_b64 exec, exec, s[6:7]
	s_and_b64 s[6:7], s[28:29], exec
.LBB150_158:                            ;   in Loop: Header=BB150_18 Depth=1
	s_or_b64 exec, exec, s[12:13]
	s_mov_b64 s[42:43], -1
	s_mov_b64 s[28:29], 0
	s_mov_b64 s[44:45], s[28:29]
	s_branch .LBB150_172
.LBB150_159:                            ;   in Loop: Header=BB150_18 Depth=1
	s_mov_b32 s72, s91
	s_cmp_lg_u64 s[72:73], 0
	s_cbranch_scc0 .LBB150_201
; %bb.160:                              ;   in Loop: Header=BB150_18 Depth=1
	v_cvt_f32_u32_e32 v2, s89
	s_sub_u32 s2, 0, s89
	s_subb_u32 s3, 0, 0
	v_mac_f32_e32 v2, 0, v35
	v_rcp_f32_e32 v2, v2
	v_mul_f32_e32 v2, 0x5f7ffffc, v2
	v_mul_f32_e32 v3, 0x2f800000, v2
	v_trunc_f32_e32 v3, v3
	v_mac_f32_e32 v2, 0xcf800000, v3
	v_cvt_u32_f32_e32 v3, v3
	v_cvt_u32_f32_e32 v2, v2
	v_readfirstlane_b32 s6, v3
	v_readfirstlane_b32 s7, v2
	s_mul_i32 s12, s2, s6
	s_mul_hi_u32 s28, s2, s7
	s_mul_i32 s13, s3, s7
	s_add_i32 s12, s28, s12
	s_mul_i32 s29, s2, s7
	s_add_i32 s12, s12, s13
	s_mul_hi_u32 s28, s7, s29
	s_mul_hi_u32 s13, s7, s12
	s_mul_i32 s7, s7, s12
	s_add_u32 s7, s28, s7
	s_addc_u32 s13, 0, s13
	s_mul_hi_u32 s42, s6, s29
	s_mul_i32 s29, s6, s29
	s_add_u32 s7, s7, s29
	s_mul_hi_u32 s28, s6, s12
	s_addc_u32 s7, s13, s42
	s_addc_u32 s13, s28, 0
	s_mul_i32 s12, s6, s12
	s_add_u32 s7, s7, s12
	s_addc_u32 s12, 0, s13
	v_add_co_u32_e32 v2, vcc, s7, v2
	s_cmp_lg_u64 vcc, 0
	s_addc_u32 s6, s6, s12
	v_readfirstlane_b32 s12, v2
	s_mul_i32 s7, s2, s6
	s_mul_hi_u32 s13, s2, s12
	s_add_i32 s7, s13, s7
	s_mul_i32 s3, s3, s12
	s_add_i32 s7, s7, s3
	s_mul_i32 s2, s2, s12
	s_mul_hi_u32 s13, s6, s2
	s_mul_i32 s28, s6, s2
	s_mul_i32 s42, s12, s7
	s_mul_hi_u32 s2, s12, s2
	s_mul_hi_u32 s29, s12, s7
	s_add_u32 s2, s2, s42
	s_addc_u32 s12, 0, s29
	s_add_u32 s2, s2, s28
	s_mul_hi_u32 s3, s6, s7
	s_addc_u32 s2, s12, s13
	s_addc_u32 s3, s3, 0
	s_mul_i32 s7, s6, s7
	s_add_u32 s2, s2, s7
	s_addc_u32 s3, 0, s3
	v_add_co_u32_e32 v2, vcc, s2, v2
	s_cmp_lg_u64 vcc, 0
	s_addc_u32 s2, s6, s3
	v_readlane_b32 s28, v47, 53
	v_readfirstlane_b32 s7, v2
	s_mul_i32 s6, s28, s2
	s_mul_hi_u32 s12, s28, s7
	s_mul_hi_u32 s3, s28, s2
	s_add_u32 s6, s12, s6
	s_addc_u32 s3, 0, s3
	s_mul_hi_u32 s13, s73, s7
	s_mul_i32 s7, s73, s7
	s_add_u32 s6, s6, s7
	s_mul_hi_u32 s12, s73, s2
	s_addc_u32 s3, s3, s13
	s_addc_u32 s6, s12, 0
	s_mul_i32 s2, s73, s2
	s_add_u32 s2, s3, s2
	s_addc_u32 s3, 0, s6
	s_mul_hi_u32 s6, s89, s2
	s_mul_i32 s2, s89, s2
	s_mul_i32 s3, s89, s3
	v_mov_b32_e32 v2, s2
	s_add_i32 s6, s6, s3
	v_sub_co_u32_e32 v2, vcc, s28, v2
	s_cmp_lg_u64 vcc, 0
	s_subb_u32 s2, s73, s6
	v_subrev_co_u32_e32 v3, vcc, s89, v2
	s_cmp_lg_u64 vcc, 0
	s_subb_u32 s3, s2, 0
	v_subrev_co_u32_e32 v6, vcc, s89, v3
	s_cmp_lg_u64 vcc, 0
	s_subb_u32 s6, s3, 0
	v_cmp_le_u32_e32 vcc, s89, v3
	s_cmp_eq_u32 s3, 0
	v_cndmask_b32_e64 v7, 0, -1, vcc
	s_cselect_b64 vcc, -1, 0
	v_cndmask_b32_e32 v7, -1, v7, vcc
	v_mov_b32_e32 v8, s3
	v_mov_b32_e32 v9, s6
	v_cmp_ne_u32_e32 vcc, 0, v7
	v_cndmask_b32_e32 v7, v8, v9, vcc
	v_cndmask_b32_e32 v6, v3, v6, vcc
	v_cmp_le_u32_e32 vcc, s89, v2
	s_cmp_eq_u32 s2, 0
	v_cndmask_b32_e64 v3, 0, -1, vcc
	s_cselect_b64 vcc, -1, 0
	v_cndmask_b32_e32 v3, -1, v3, vcc
	v_mov_b32_e32 v8, s2
	v_cmp_ne_u32_e32 vcc, 0, v3
	v_cndmask_b32_e32 v3, v8, v7, vcc
	v_cndmask_b32_e32 v2, v2, v6, vcc
	s_cbranch_execnz .LBB150_162
.LBB150_161:                            ;   in Loop: Header=BB150_18 Depth=1
	v_cvt_f32_u32_e32 v2, s89
	s_sub_i32 s2, 0, s89
	v_rcp_iflag_f32_e32 v2, v2
	v_mul_f32_e32 v2, 0x4f7ffffe, v2
	v_cvt_u32_f32_e32 v2, v2
	v_mul_lo_u32 v3, s2, v2
	v_mul_hi_u32 v3, v2, v3
	v_add_u32_e32 v2, v2, v3
	v_readlane_b32 s2, v47, 53
	v_mul_hi_u32 v2, s2, v2
	v_mul_lo_u32 v2, v2, s89
	v_sub_u32_e32 v2, s2, v2
	v_subrev_u32_e32 v3, s89, v2
	v_cmp_le_u32_e32 vcc, s89, v2
	v_cndmask_b32_e32 v2, v2, v3, vcc
	v_subrev_u32_e32 v3, s89, v2
	v_cmp_le_u32_e32 vcc, s89, v2
	v_cndmask_b32_e32 v14, v2, v3, vcc
	v_pk_mov_b32 v[2:3], v[14:15], v[14:15] op_sel:[0,1]
.LBB150_162:                            ;   in Loop: Header=BB150_18 Depth=1
	v_readlane_b32 s2, v47, 53
	v_mov_b32_e32 v7, s73
	v_sub_co_u32_e32 v6, vcc, s2, v2
	v_subb_co_u32_e32 v7, vcc, v7, v3, vcc
	v_cmp_gt_u64_e32 vcc, v[6:7], v[0:1]
	s_mov_b64 s[6:7], 0
                                        ; implicit-def: $vgpr3
	s_and_saveexec_b64 s[2:3], vcc
	s_cbranch_execz .LBB150_171
; %bb.163:                              ;   in Loop: Header=BB150_18 Depth=1
	s_mov_b64 s[12:13], 0
	v_pk_mov_b32 v[8:9], v[0:1], v[0:1] op_sel:[0,1]
                                        ; implicit-def: $sgpr28_sgpr29
	s_branch .LBB150_165
.LBB150_164:                            ;   in Loop: Header=BB150_165 Depth=2
	s_or_b64 exec, exec, s[6:7]
	s_waitcnt lgkmcnt(0)
	s_barrier
	ds_read_b64 v[2:3], v15 offset:3072
	v_add_co_u32_e32 v8, vcc, s89, v8
	s_waitcnt lgkmcnt(0)
	s_barrier
	v_readfirstlane_b32 s6, v2
	v_mov_b32_e32 v2, s74
	s_cmp_lg_u32 s6, 0
	v_addc_co_u32_e32 v9, vcc, v9, v2, vcc
	s_cselect_b64 s[6:7], -1, 0
	v_cmp_ge_u64_e32 vcc, v[8:9], v[6:7]
	s_or_b64 s[42:43], vcc, s[6:7]
	s_and_b64 s[42:43], exec, s[42:43]
	s_or_b64 s[12:13], s[42:43], s[12:13]
	s_andn2_b64 s[28:29], s[28:29], exec
	s_and_b64 s[6:7], s[6:7], exec
	s_or_b64 s[28:29], s[28:29], s[6:7]
	s_andn2_b64 exec, exec, s[12:13]
	s_cbranch_execz .LBB150_170
.LBB150_165:                            ;   Parent Loop BB150_18 Depth=1
                                        ; =>  This Inner Loop Header: Depth=2
	v_cmp_gt_u64_e32 vcc, s[60:61], v[8:9]
	s_waitcnt vmcnt(0)
	v_mov_b32_e32 v19, 0
	s_and_saveexec_b64 s[42:43], vcc
	s_cbranch_execz .LBB150_167
; %bb.166:                              ;   in Loop: Header=BB150_165 Depth=2
	v_mul_lo_u32 v14, v9, s58
	v_mul_lo_u32 v19, v8, s59
	v_mad_u64_u32 v[2:3], s[6:7], v8, s58, 0
	v_add3_u32 v3, v3, v19, v14
	v_lshlrev_b64 v[2:3], 2, v[2:3]
	v_mov_b32_e32 v14, s88
	v_add_co_u32_e64 v2, s[6:7], s33, v2
	v_addc_co_u32_e64 v3, s[6:7], v14, v3, s[6:7]
	global_load_dword v19, v[2:3], off
.LBB150_167:                            ;   in Loop: Header=BB150_165 Depth=2
	s_or_b64 exec, exec, s[42:43]
	s_and_saveexec_b64 s[6:7], vcc
	s_cbranch_execz .LBB150_164
; %bb.168:                              ;   in Loop: Header=BB150_165 Depth=2
	s_waitcnt vmcnt(0)
	v_xor_b32_e32 v2, 0x80000000, v19
	v_and_b32_e32 v2, v2, v24
	v_cmp_eq_u32_e32 vcc, v2, v20
	s_and_b64 exec, exec, vcc
	s_cbranch_execz .LBB150_164
; %bb.169:                              ;   in Loop: Header=BB150_165 Depth=2
	ds_write_b64 v15, v[18:19] offset:3072
	s_branch .LBB150_164
.LBB150_170:                            ;   in Loop: Header=BB150_18 Depth=1
	s_or_b64 exec, exec, s[12:13]
	s_and_b64 s[6:7], s[28:29], exec
.LBB150_171:                            ;   in Loop: Header=BB150_18 Depth=1
	s_or_b64 exec, exec, s[2:3]
	s_mov_b64 s[44:45], -1
	s_mov_b64 s[28:29], 0
	s_mov_b64 s[42:43], 0
.LBB150_172:                            ;   in Loop: Header=BB150_18 Depth=1
	s_orn2_b64 s[2:3], s[6:7], exec
.LBB150_173:                            ;   in Loop: Header=BB150_18 Depth=1
	s_or_b64 exec, exec, s[10:11]
	s_mov_b64 s[6:7], 0
                                        ; implicit-def: $vgpr8
	s_and_saveexec_b64 s[46:47], s[2:3]
	s_cbranch_execz .LBB150_286
; %bb.174:                              ;   in Loop: Header=BB150_18 Depth=1
	v_mov_b32_e32 v6, 1
	s_xor_b64 s[6:7], s[8:9], -1
	s_mov_b64 s[12:13], 0
	v_mov_b32_e32 v7, 0
	v_mov_b32_e32 v8, 1
	s_and_saveexec_b64 s[2:3], s[6:7]
	s_cbranch_execz .LBB150_184
; %bb.175:                              ;   in Loop: Header=BB150_18 Depth=1
	v_cmp_ge_u64_e32 vcc, s[18:19], v[4:5]
                                        ; implicit-def: $sgpr10
                                        ; implicit-def: $sgpr6_sgpr7
	s_and_saveexec_b64 s[8:9], vcc
	s_xor_b64 s[8:9], exec, s[8:9]
	s_cbranch_execz .LBB150_181
; %bb.176:                              ;   in Loop: Header=BB150_18 Depth=1
	ds_read_b64 v[6:7], v15 offset:5120
	s_waitcnt lgkmcnt(0)
	v_cmp_ne_u64_e32 vcc, 0, v[6:7]
	s_cbranch_vccnz .LBB150_180
; %bb.177:                              ;   in Loop: Header=BB150_18 Depth=1
	s_mov_b64 s[6:7], exec
	v_readlane_b32 s10, v47, 32
	v_readlane_b32 s11, v47, 33
	s_and_b64 s[10:11], s[6:7], s[10:11]
	s_mov_b64 exec, s[10:11]
	s_cbranch_execz .LBB150_179
; %bb.178:                              ;   in Loop: Header=BB150_18 Depth=1
	v_pk_mov_b32 v[6:7], s[18:19], s[18:19] op_sel:[0,1]
	ds_write_b64 v15, v[6:7] offset:5128
.LBB150_179:                            ;   in Loop: Header=BB150_18 Depth=1
	s_or_b64 exec, exec, s[6:7]
	s_waitcnt lgkmcnt(0)
	s_barrier
.LBB150_180:                            ;   in Loop: Header=BB150_18 Depth=1
	v_and_b32_e32 v2, s48, v20
	v_lshl_or_b32 v20, 1, s49, v2
	v_or_b32_e32 v24, s90, v24
	s_mov_b64 s[6:7], 0
	s_mov_b32 s10, 8
.LBB150_181:                            ;   in Loop: Header=BB150_18 Depth=1
	s_or_saveexec_b64 s[8:9], s[8:9]
	v_mov_b32_e32 v8, s10
	s_xor_b64 exec, exec, s[8:9]
; %bb.182:                              ;   in Loop: Header=BB150_18 Depth=1
	v_mov_b32_e32 v2, s19
	v_subrev_co_u32_e32 v4, vcc, s18, v4
	v_subb_co_u32_e32 v5, vcc, v5, v2, vcc
	v_mov_b32_e32 v8, 0
	s_or_b64 s[6:7], s[6:7], exec
; %bb.183:                              ;   in Loop: Header=BB150_18 Depth=1
	s_or_b64 exec, exec, s[8:9]
	s_and_b64 s[12:13], s[6:7], exec
	v_pk_mov_b32 v[6:7], v[4:5], v[4:5] op_sel:[0,1]
.LBB150_184:                            ;   in Loop: Header=BB150_18 Depth=1
	s_or_b64 exec, exec, s[2:3]
	s_mov_b64 s[2:3], -1
                                        ; implicit-def: $sgpr6_sgpr7
                                        ; implicit-def: $sgpr8_sgpr9
                                        ; implicit-def: $sgpr10_sgpr11
	s_and_saveexec_b64 s[52:53], s[12:13]
	s_cbranch_execz .LBB150_285
; %bb.185:                              ;   in Loop: Header=BB150_18 Depth=1
	s_cmp_eq_u64 s[22:23], 1
	s_cselect_b64 s[2:3], -1, 0
	v_cmp_eq_u64_e32 vcc, 1, v[6:7]
	s_and_b64 s[10:11], s[2:3], vcc
	s_mov_b64 s[6:7], -1
                                        ; implicit-def: $sgpr8_sgpr9
                                        ; implicit-def: $sgpr50_sgpr51
                                        ; implicit-def: $vcc
	s_and_saveexec_b64 s[54:55], s[10:11]
	s_cbranch_execz .LBB150_219
; %bb.186:                              ;   in Loop: Header=BB150_18 Depth=1
	ds_read_b64 v[2:3], v15 offset:5120
	s_waitcnt lgkmcnt(0)
	s_barrier
	v_readfirstlane_b32 s2, v2
	v_readfirstlane_b32 s3, v3
	s_mov_b64 s[6:7], exec
	v_readlane_b32 s8, v47, 48
	v_readlane_b32 s9, v47, 49
	s_and_b64 s[8:9], s[6:7], s[8:9]
	s_mov_b64 exec, s[8:9]
	s_cbranch_execz .LBB150_188
; %bb.187:                              ;   in Loop: Header=BB150_18 Depth=1
	ds_write_b32 v32, v15
.LBB150_188:                            ;   in Loop: Header=BB150_18 Depth=1
	s_or_b64 exec, exec, s[6:7]
	v_and_b32_e32 v2, s48, v20
	v_lshl_or_b32 v20, 2, s49, v2
	v_or_b32_e32 v24, s90, v24
	s_cmp_eq_u64 s[2:3], 0
	s_waitcnt lgkmcnt(0)
	s_barrier
	s_cbranch_scc1 .LBB150_202
; %bb.189:                              ;   in Loop: Header=BB150_18 Depth=1
	v_readlane_b32 s6, v47, 52
	s_add_u32 s12, s6, s2
	v_readlane_b32 s6, v47, 54
	s_addc_u32 s7, s6, s3
	s_mov_b32 s6, s91
	s_cmp_lg_u64 s[6:7], 0
	s_cbranch_scc0 .LBB150_237
; %bb.190:                              ;   in Loop: Header=BB150_18 Depth=1
	v_cvt_f32_u32_e32 v2, s89
	s_sub_u32 s6, 0, s89
	s_subb_u32 s8, 0, 0
	v_mac_f32_e32 v2, 0, v35
	v_rcp_f32_e32 v2, v2
	v_mul_f32_e32 v2, 0x5f7ffffc, v2
	v_mul_f32_e32 v3, 0x2f800000, v2
	v_trunc_f32_e32 v3, v3
	v_mac_f32_e32 v2, 0xcf800000, v3
	v_cvt_u32_f32_e32 v3, v3
	v_cvt_u32_f32_e32 v2, v2
	v_readfirstlane_b32 s9, v3
	v_readfirstlane_b32 s13, v2
	s_mul_i32 s50, s6, s9
	s_mul_hi_u32 s56, s6, s13
	s_mul_i32 s51, s8, s13
	s_add_i32 s50, s56, s50
	s_mul_i32 s57, s6, s13
	s_add_i32 s50, s50, s51
	s_mul_hi_u32 s56, s13, s57
	s_mul_hi_u32 s51, s13, s50
	s_mul_i32 s13, s13, s50
	s_add_u32 s13, s56, s13
	s_addc_u32 s51, 0, s51
	s_mul_hi_u32 s72, s9, s57
	s_mul_i32 s57, s9, s57
	s_add_u32 s13, s13, s57
	s_mul_hi_u32 s56, s9, s50
	s_addc_u32 s13, s51, s72
	s_addc_u32 s51, s56, 0
	s_mul_i32 s50, s9, s50
	s_add_u32 s13, s13, s50
	s_addc_u32 s50, 0, s51
	v_add_co_u32_e32 v2, vcc, s13, v2
	s_cmp_lg_u64 vcc, 0
	s_addc_u32 s9, s9, s50
	v_readfirstlane_b32 s50, v2
	s_mul_i32 s13, s6, s9
	s_mul_hi_u32 s51, s6, s50
	s_add_i32 s13, s51, s13
	s_mul_i32 s8, s8, s50
	s_add_i32 s13, s13, s8
	s_mul_i32 s6, s6, s50
	s_mul_hi_u32 s51, s9, s6
	s_mul_i32 s56, s9, s6
	s_mul_i32 s72, s50, s13
	s_mul_hi_u32 s6, s50, s6
	s_mul_hi_u32 s57, s50, s13
	s_add_u32 s6, s6, s72
	s_addc_u32 s50, 0, s57
	s_add_u32 s6, s6, s56
	s_mul_hi_u32 s8, s9, s13
	s_addc_u32 s6, s50, s51
	s_addc_u32 s8, s8, 0
	s_mul_i32 s13, s9, s13
	s_add_u32 s6, s6, s13
	s_addc_u32 s8, 0, s8
	v_add_co_u32_e32 v2, vcc, s6, v2
	s_cmp_lg_u64 vcc, 0
	s_addc_u32 s6, s9, s8
	v_readfirstlane_b32 s13, v2
	s_mul_i32 s9, s12, s6
	s_mul_hi_u32 s50, s12, s13
	s_mul_hi_u32 s8, s12, s6
	s_add_u32 s9, s50, s9
	s_addc_u32 s8, 0, s8
	s_mul_hi_u32 s51, s7, s13
	s_mul_i32 s13, s7, s13
	s_add_u32 s9, s9, s13
	s_mul_hi_u32 s50, s7, s6
	s_addc_u32 s8, s8, s51
	s_addc_u32 s9, s50, 0
	s_mul_i32 s6, s7, s6
	s_add_u32 s6, s8, s6
	s_addc_u32 s8, 0, s9
	s_mul_hi_u32 s9, s89, s6
	s_mul_i32 s6, s89, s6
	s_mul_i32 s8, s89, s8
	v_mov_b32_e32 v2, s6
	s_add_i32 s9, s9, s8
	v_sub_co_u32_e32 v2, vcc, s12, v2
	s_cmp_lg_u64 vcc, 0
	s_subb_u32 s6, s7, s9
	v_subrev_co_u32_e32 v3, vcc, s89, v2
	s_cmp_lg_u64 vcc, 0
	s_subb_u32 s8, s6, 0
	v_subrev_co_u32_e32 v4, vcc, s89, v3
	s_cmp_lg_u64 vcc, 0
	s_subb_u32 s9, s8, 0
	v_cmp_le_u32_e32 vcc, s89, v3
	s_cmp_eq_u32 s8, 0
	v_cndmask_b32_e64 v5, 0, -1, vcc
	s_cselect_b64 vcc, -1, 0
	v_cndmask_b32_e32 v5, -1, v5, vcc
	v_mov_b32_e32 v8, s8
	v_mov_b32_e32 v9, s9
	v_cmp_ne_u32_e32 vcc, 0, v5
	v_cndmask_b32_e32 v5, v8, v9, vcc
	v_cndmask_b32_e32 v4, v3, v4, vcc
	v_cmp_le_u32_e32 vcc, s89, v2
	s_cmp_eq_u32 s6, 0
	v_cndmask_b32_e64 v3, 0, -1, vcc
	s_cselect_b64 vcc, -1, 0
	v_cndmask_b32_e32 v3, -1, v3, vcc
	v_mov_b32_e32 v8, s6
	v_cmp_ne_u32_e32 vcc, 0, v3
	v_cndmask_b32_e32 v3, v8, v5, vcc
	v_cndmask_b32_e32 v2, v2, v4, vcc
	s_cbranch_execnz .LBB150_192
.LBB150_191:                            ;   in Loop: Header=BB150_18 Depth=1
	v_cvt_f32_u32_e32 v2, s89
	s_sub_i32 s6, 0, s89
	v_rcp_iflag_f32_e32 v2, v2
	v_mul_f32_e32 v2, 0x4f7ffffe, v2
	v_cvt_u32_f32_e32 v2, v2
	v_mul_lo_u32 v3, s6, v2
	v_mul_hi_u32 v3, v2, v3
	v_add_u32_e32 v2, v2, v3
	v_mul_hi_u32 v2, s12, v2
	v_mul_lo_u32 v2, v2, s89
	v_sub_u32_e32 v2, s12, v2
	v_subrev_u32_e32 v3, s89, v2
	v_cmp_le_u32_e32 vcc, s89, v2
	v_cndmask_b32_e32 v2, v2, v3, vcc
	v_subrev_u32_e32 v3, s89, v2
	v_cmp_le_u32_e32 vcc, s89, v2
	v_cndmask_b32_e32 v14, v2, v3, vcc
	v_pk_mov_b32 v[2:3], v[14:15], v[14:15] op_sel:[0,1]
.LBB150_192:                            ;   in Loop: Header=BB150_18 Depth=1
	v_mov_b32_e32 v5, s7
	v_sub_co_u32_e32 v4, vcc, s12, v2
	v_subb_co_u32_e32 v5, vcc, v5, v3, vcc
	v_cmp_gt_u64_e32 vcc, v[4:5], v[0:1]
	s_mov_b64 s[6:7], 0
                                        ; implicit-def: $vgpr3
	s_and_saveexec_b64 s[8:9], vcc
	s_cbranch_execz .LBB150_204
; %bb.193:                              ;   in Loop: Header=BB150_18 Depth=1
	v_mov_b32_e32 v14, v16
	v_pk_mov_b32 v[8:9], v[0:1], v[0:1] op_sel:[0,1]
                                        ; implicit-def: $sgpr12_sgpr13
	s_branch .LBB150_195
.LBB150_194:                            ;   in Loop: Header=BB150_195 Depth=2
	s_or_b64 exec, exec, s[50:51]
	s_waitcnt lgkmcnt(0)
	s_barrier
	ds_read_b64 v[2:3], v15 offset:3072
	v_add_co_u32_e32 v8, vcc, s89, v8
	v_add_u32_e32 v14, s5, v14
	s_waitcnt lgkmcnt(0)
	v_readfirstlane_b32 s50, v2
	v_mov_b32_e32 v2, s74
	s_cmp_lg_u32 s50, 0
	v_addc_co_u32_e32 v9, vcc, v9, v2, vcc
	s_cselect_b64 s[50:51], -1, 0
	v_cmp_ge_u64_e32 vcc, v[8:9], v[4:5]
	s_or_b64 s[56:57], vcc, s[50:51]
	s_and_b64 s[56:57], exec, s[56:57]
	s_or_b64 s[6:7], s[56:57], s[6:7]
	s_andn2_b64 s[12:13], s[12:13], exec
	s_and_b64 s[50:51], s[50:51], exec
	s_or_b64 s[12:13], s[12:13], s[50:51]
	s_barrier
	s_andn2_b64 exec, exec, s[6:7]
	s_cbranch_execz .LBB150_203
.LBB150_195:                            ;   Parent Loop BB150_18 Depth=1
                                        ; =>  This Inner Loop Header: Depth=2
	v_cmp_gt_u64_e32 vcc, s[2:3], v[8:9]
	s_waitcnt vmcnt(0)
	v_mov_b32_e32 v19, 0
	s_and_saveexec_b64 s[50:51], vcc
	s_cbranch_execz .LBB150_197
; %bb.196:                              ;   in Loop: Header=BB150_195 Depth=2
	ds_read_b32 v19, v14
.LBB150_197:                            ;   in Loop: Header=BB150_195 Depth=2
	s_or_b64 exec, exec, s[50:51]
	s_and_saveexec_b64 s[50:51], vcc
	s_cbranch_execz .LBB150_194
; %bb.198:                              ;   in Loop: Header=BB150_195 Depth=2
	s_waitcnt lgkmcnt(0)
	v_xor_b32_e32 v2, 0x80000000, v19
	v_and_b32_e32 v2, v2, v24
	v_cmp_eq_u32_e32 vcc, v2, v20
	s_and_b64 exec, exec, vcc
	s_cbranch_execz .LBB150_194
; %bb.199:                              ;   in Loop: Header=BB150_195 Depth=2
	ds_write_b64 v15, v[18:19] offset:3072
	s_branch .LBB150_194
.LBB150_200:                            ;   in Loop: Header=BB150_18 Depth=1
                                        ; implicit-def: $vgpr2_vgpr3
	s_branch .LBB150_145
.LBB150_201:                            ;   in Loop: Header=BB150_18 Depth=1
                                        ; implicit-def: $vgpr2_vgpr3
	s_branch .LBB150_161
.LBB150_202:                            ;   in Loop: Header=BB150_18 Depth=1
	s_mov_b64 s[8:9], -1
	s_mov_b64 s[6:7], 0
                                        ; implicit-def: $sgpr2_sgpr3
                                        ; implicit-def: $vgpr3
	s_mov_b64 s[50:51], s[8:9]
	s_cbranch_execnz .LBB150_205
	s_branch .LBB150_218
.LBB150_203:                            ;   in Loop: Header=BB150_18 Depth=1
	s_or_b64 exec, exec, s[6:7]
	s_and_b64 s[6:7], s[12:13], exec
.LBB150_204:                            ;   in Loop: Header=BB150_18 Depth=1
	s_or_b64 exec, exec, s[8:9]
	s_mov_b64 s[2:3], -1
	s_mov_b64 s[8:9], 0
	s_mov_b64 s[50:51], s[8:9]
	s_branch .LBB150_218
.LBB150_205:                            ;   in Loop: Header=BB150_18 Depth=1
	s_mov_b32 s72, s91
	s_cmp_lg_u64 s[72:73], 0
	s_cbranch_scc0 .LBB150_238
; %bb.206:                              ;   in Loop: Header=BB150_18 Depth=1
	v_cvt_f32_u32_e32 v2, s89
	s_sub_u32 s2, 0, s89
	s_subb_u32 s3, 0, 0
	v_mac_f32_e32 v2, 0, v35
	v_rcp_f32_e32 v2, v2
	v_mul_f32_e32 v2, 0x5f7ffffc, v2
	v_mul_f32_e32 v3, 0x2f800000, v2
	v_trunc_f32_e32 v3, v3
	v_mac_f32_e32 v2, 0xcf800000, v3
	v_cvt_u32_f32_e32 v3, v3
	v_cvt_u32_f32_e32 v2, v2
	v_readfirstlane_b32 s6, v3
	v_readfirstlane_b32 s7, v2
	s_mul_i32 s8, s2, s6
	s_mul_hi_u32 s12, s2, s7
	s_mul_i32 s9, s3, s7
	s_add_i32 s8, s12, s8
	s_mul_i32 s13, s2, s7
	s_add_i32 s8, s8, s9
	s_mul_hi_u32 s12, s7, s13
	s_mul_hi_u32 s9, s7, s8
	s_mul_i32 s7, s7, s8
	s_add_u32 s7, s12, s7
	s_addc_u32 s9, 0, s9
	s_mul_hi_u32 s50, s6, s13
	s_mul_i32 s13, s6, s13
	s_add_u32 s7, s7, s13
	s_mul_hi_u32 s12, s6, s8
	s_addc_u32 s7, s9, s50
	s_addc_u32 s9, s12, 0
	s_mul_i32 s8, s6, s8
	s_add_u32 s7, s7, s8
	s_addc_u32 s8, 0, s9
	v_add_co_u32_e32 v2, vcc, s7, v2
	s_cmp_lg_u64 vcc, 0
	s_addc_u32 s6, s6, s8
	v_readfirstlane_b32 s8, v2
	s_mul_i32 s7, s2, s6
	s_mul_hi_u32 s9, s2, s8
	s_add_i32 s7, s9, s7
	s_mul_i32 s3, s3, s8
	s_add_i32 s7, s7, s3
	s_mul_i32 s2, s2, s8
	s_mul_hi_u32 s9, s6, s2
	s_mul_i32 s12, s6, s2
	s_mul_i32 s50, s8, s7
	s_mul_hi_u32 s2, s8, s2
	s_mul_hi_u32 s13, s8, s7
	s_add_u32 s2, s2, s50
	s_addc_u32 s8, 0, s13
	s_add_u32 s2, s2, s12
	s_mul_hi_u32 s3, s6, s7
	s_addc_u32 s2, s8, s9
	s_addc_u32 s3, s3, 0
	s_mul_i32 s7, s6, s7
	s_add_u32 s2, s2, s7
	s_addc_u32 s3, 0, s3
	v_add_co_u32_e32 v2, vcc, s2, v2
	s_cmp_lg_u64 vcc, 0
	s_addc_u32 s2, s6, s3
	v_readlane_b32 s12, v47, 53
	v_readfirstlane_b32 s7, v2
	s_mul_i32 s6, s12, s2
	s_mul_hi_u32 s8, s12, s7
	s_mul_hi_u32 s3, s12, s2
	s_add_u32 s6, s8, s6
	s_addc_u32 s3, 0, s3
	s_mul_hi_u32 s9, s73, s7
	s_mul_i32 s7, s73, s7
	s_add_u32 s6, s6, s7
	s_mul_hi_u32 s8, s73, s2
	s_addc_u32 s3, s3, s9
	s_addc_u32 s6, s8, 0
	s_mul_i32 s2, s73, s2
	s_add_u32 s2, s3, s2
	s_addc_u32 s3, 0, s6
	s_mul_hi_u32 s6, s89, s2
	s_mul_i32 s2, s89, s2
	s_mul_i32 s3, s89, s3
	v_mov_b32_e32 v2, s2
	s_add_i32 s6, s6, s3
	v_sub_co_u32_e32 v2, vcc, s12, v2
	s_cmp_lg_u64 vcc, 0
	s_subb_u32 s2, s73, s6
	v_subrev_co_u32_e32 v3, vcc, s89, v2
	s_cmp_lg_u64 vcc, 0
	s_subb_u32 s3, s2, 0
	v_subrev_co_u32_e32 v4, vcc, s89, v3
	s_cmp_lg_u64 vcc, 0
	s_subb_u32 s6, s3, 0
	v_cmp_le_u32_e32 vcc, s89, v3
	s_cmp_eq_u32 s3, 0
	v_cndmask_b32_e64 v5, 0, -1, vcc
	s_cselect_b64 vcc, -1, 0
	v_cndmask_b32_e32 v5, -1, v5, vcc
	v_mov_b32_e32 v8, s3
	v_mov_b32_e32 v9, s6
	v_cmp_ne_u32_e32 vcc, 0, v5
	v_cndmask_b32_e32 v5, v8, v9, vcc
	v_cndmask_b32_e32 v4, v3, v4, vcc
	v_cmp_le_u32_e32 vcc, s89, v2
	s_cmp_eq_u32 s2, 0
	v_cndmask_b32_e64 v3, 0, -1, vcc
	s_cselect_b64 vcc, -1, 0
	v_cndmask_b32_e32 v3, -1, v3, vcc
	v_mov_b32_e32 v8, s2
	v_cmp_ne_u32_e32 vcc, 0, v3
	v_cndmask_b32_e32 v3, v8, v5, vcc
	v_cndmask_b32_e32 v2, v2, v4, vcc
	s_cbranch_execnz .LBB150_208
.LBB150_207:                            ;   in Loop: Header=BB150_18 Depth=1
	v_cvt_f32_u32_e32 v2, s89
	s_sub_i32 s2, 0, s89
	v_rcp_iflag_f32_e32 v2, v2
	v_mul_f32_e32 v2, 0x4f7ffffe, v2
	v_cvt_u32_f32_e32 v2, v2
	v_mul_lo_u32 v3, s2, v2
	v_mul_hi_u32 v3, v2, v3
	v_add_u32_e32 v2, v2, v3
	v_readlane_b32 s2, v47, 53
	v_mul_hi_u32 v2, s2, v2
	v_mul_lo_u32 v2, v2, s89
	v_sub_u32_e32 v2, s2, v2
	v_subrev_u32_e32 v3, s89, v2
	v_cmp_le_u32_e32 vcc, s89, v2
	v_cndmask_b32_e32 v2, v2, v3, vcc
	v_subrev_u32_e32 v3, s89, v2
	v_cmp_le_u32_e32 vcc, s89, v2
	v_cndmask_b32_e32 v14, v2, v3, vcc
	v_pk_mov_b32 v[2:3], v[14:15], v[14:15] op_sel:[0,1]
.LBB150_208:                            ;   in Loop: Header=BB150_18 Depth=1
	v_readlane_b32 s2, v47, 53
	v_mov_b32_e32 v5, s73
	v_sub_co_u32_e32 v4, vcc, s2, v2
	v_subb_co_u32_e32 v5, vcc, v5, v3, vcc
	v_cmp_gt_u64_e32 vcc, v[4:5], v[0:1]
	s_mov_b64 s[6:7], 0
                                        ; implicit-def: $vgpr3
	s_and_saveexec_b64 s[2:3], vcc
	s_cbranch_execz .LBB150_217
; %bb.209:                              ;   in Loop: Header=BB150_18 Depth=1
	s_mov_b64 s[8:9], 0
	v_pk_mov_b32 v[8:9], v[0:1], v[0:1] op_sel:[0,1]
                                        ; implicit-def: $sgpr12_sgpr13
	s_branch .LBB150_211
.LBB150_210:                            ;   in Loop: Header=BB150_211 Depth=2
	s_or_b64 exec, exec, s[6:7]
	s_waitcnt lgkmcnt(0)
	s_barrier
	ds_read_b64 v[2:3], v15 offset:3072
	v_add_co_u32_e32 v8, vcc, s89, v8
	s_waitcnt lgkmcnt(0)
	s_barrier
	v_readfirstlane_b32 s6, v2
	v_mov_b32_e32 v2, s74
	s_cmp_lg_u32 s6, 0
	v_addc_co_u32_e32 v9, vcc, v9, v2, vcc
	s_cselect_b64 s[6:7], -1, 0
	v_cmp_ge_u64_e32 vcc, v[8:9], v[4:5]
	s_or_b64 s[50:51], vcc, s[6:7]
	s_and_b64 s[50:51], exec, s[50:51]
	s_or_b64 s[8:9], s[50:51], s[8:9]
	s_andn2_b64 s[12:13], s[12:13], exec
	s_and_b64 s[6:7], s[6:7], exec
	s_or_b64 s[12:13], s[12:13], s[6:7]
	s_andn2_b64 exec, exec, s[8:9]
	s_cbranch_execz .LBB150_216
.LBB150_211:                            ;   Parent Loop BB150_18 Depth=1
                                        ; =>  This Inner Loop Header: Depth=2
	v_cmp_gt_u64_e32 vcc, s[60:61], v[8:9]
	s_waitcnt vmcnt(0)
	v_mov_b32_e32 v19, 0
	s_and_saveexec_b64 s[50:51], vcc
	s_cbranch_execz .LBB150_213
; %bb.212:                              ;   in Loop: Header=BB150_211 Depth=2
	v_mul_lo_u32 v14, v9, s58
	v_mul_lo_u32 v19, v8, s59
	v_mad_u64_u32 v[2:3], s[6:7], v8, s58, 0
	v_add3_u32 v3, v3, v19, v14
	v_lshlrev_b64 v[2:3], 2, v[2:3]
	v_mov_b32_e32 v14, s88
	v_add_co_u32_e64 v2, s[6:7], s33, v2
	v_addc_co_u32_e64 v3, s[6:7], v14, v3, s[6:7]
	global_load_dword v19, v[2:3], off
.LBB150_213:                            ;   in Loop: Header=BB150_211 Depth=2
	s_or_b64 exec, exec, s[50:51]
	s_and_saveexec_b64 s[6:7], vcc
	s_cbranch_execz .LBB150_210
; %bb.214:                              ;   in Loop: Header=BB150_211 Depth=2
	s_waitcnt vmcnt(0)
	v_xor_b32_e32 v2, 0x80000000, v19
	v_and_b32_e32 v2, v2, v24
	v_cmp_eq_u32_e32 vcc, v2, v20
	s_and_b64 exec, exec, vcc
	s_cbranch_execz .LBB150_210
; %bb.215:                              ;   in Loop: Header=BB150_211 Depth=2
	ds_write_b64 v15, v[18:19] offset:3072
	s_branch .LBB150_210
.LBB150_216:                            ;   in Loop: Header=BB150_18 Depth=1
	s_or_b64 exec, exec, s[8:9]
	s_and_b64 s[6:7], s[12:13], exec
.LBB150_217:                            ;   in Loop: Header=BB150_18 Depth=1
	s_or_b64 exec, exec, s[2:3]
	s_mov_b64 s[50:51], -1
	s_mov_b64 s[8:9], 0
	s_mov_b64 s[2:3], 0
.LBB150_218:                            ;   in Loop: Header=BB150_18 Depth=1
	s_orn2_b64 s[6:7], s[6:7], exec
	s_mov_b64 vcc, s[2:3]
.LBB150_219:                            ;   in Loop: Header=BB150_18 Depth=1
	s_or_b64 exec, exec, s[54:55]
	s_mov_b64 s[2:3], 0
                                        ; implicit-def: $vgpr8
	s_and_saveexec_b64 s[54:55], s[6:7]
	s_cbranch_execz .LBB150_284
; %bb.220:                              ;   in Loop: Header=BB150_18 Depth=1
	v_mov_b32_e32 v4, 1
	s_xor_b64 s[6:7], s[10:11], -1
	s_mov_b64 s[92:93], 0
	v_mov_b32_e32 v5, 0
	v_mov_b32_e32 v8, 1
	s_and_saveexec_b64 s[2:3], s[6:7]
	s_cbranch_execz .LBB150_230
; %bb.221:                              ;   in Loop: Header=BB150_18 Depth=1
	s_mov_b64 s[94:95], vcc
	v_cmp_ge_u64_e32 vcc, s[22:23], v[6:7]
                                        ; implicit-def: $sgpr12
                                        ; implicit-def: $sgpr6_sgpr7
	s_and_saveexec_b64 s[10:11], vcc
	s_xor_b64 s[10:11], exec, s[10:11]
	s_cbranch_execz .LBB150_227
; %bb.222:                              ;   in Loop: Header=BB150_18 Depth=1
	ds_read_b64 v[4:5], v15 offset:5120
	s_waitcnt lgkmcnt(0)
	v_cmp_ne_u64_e32 vcc, 0, v[4:5]
	s_cbranch_vccnz .LBB150_226
; %bb.223:                              ;   in Loop: Header=BB150_18 Depth=1
	s_mov_b64 s[6:7], exec
	v_readlane_b32 s12, v47, 32
	v_readlane_b32 s13, v47, 33
	s_and_b64 s[12:13], s[6:7], s[12:13]
	s_mov_b64 exec, s[12:13]
	s_cbranch_execz .LBB150_225
; %bb.224:                              ;   in Loop: Header=BB150_18 Depth=1
	v_pk_mov_b32 v[4:5], s[22:23], s[22:23] op_sel:[0,1]
	ds_write_b64 v15, v[4:5] offset:5128
.LBB150_225:                            ;   in Loop: Header=BB150_18 Depth=1
	s_or_b64 exec, exec, s[6:7]
	s_waitcnt lgkmcnt(0)
	s_barrier
.LBB150_226:                            ;   in Loop: Header=BB150_18 Depth=1
	v_and_b32_e32 v2, s48, v20
	v_lshl_or_b32 v20, 2, s49, v2
	v_or_b32_e32 v24, s90, v24
	s_mov_b64 s[6:7], 0
	s_mov_b32 s12, 8
.LBB150_227:                            ;   in Loop: Header=BB150_18 Depth=1
	s_or_saveexec_b64 s[10:11], s[10:11]
	v_mov_b32_e32 v8, s12
	s_xor_b64 exec, exec, s[10:11]
; %bb.228:                              ;   in Loop: Header=BB150_18 Depth=1
	v_mov_b32_e32 v2, s23
	v_subrev_co_u32_e32 v6, vcc, s22, v6
	v_subb_co_u32_e32 v7, vcc, v7, v2, vcc
	v_mov_b32_e32 v8, 0
	s_or_b64 s[6:7], s[6:7], exec
; %bb.229:                              ;   in Loop: Header=BB150_18 Depth=1
	s_or_b64 exec, exec, s[10:11]
	s_and_b64 s[92:93], s[6:7], exec
	v_pk_mov_b32 v[4:5], v[6:7], v[6:7] op_sel:[0,1]
	s_mov_b64 vcc, s[94:95]
.LBB150_230:                            ;   in Loop: Header=BB150_18 Depth=1
	s_or_b64 exec, exec, s[2:3]
	s_mov_b64 s[56:57], -1
                                        ; implicit-def: $sgpr2_sgpr3
                                        ; implicit-def: $sgpr12_sgpr13
                                        ; implicit-def: $sgpr6_sgpr7
	s_and_saveexec_b64 s[10:11], s[92:93]
	s_cbranch_execz .LBB150_283
; %bb.231:                              ;   in Loop: Header=BB150_18 Depth=1
                                        ; implicit-def: $vgpr46 : SGPR spill to VGPR lane
	v_writelane_b32 v47, vcc_lo, 63
	s_cmp_eq_u64 s[24:25], 1
	v_writelane_b32 v46, vcc_hi, 0
	s_cselect_b64 s[2:3], -1, 0
	v_cmp_eq_u64_e32 vcc, 1, v[4:5]
	s_mov_b64 s[92:93], -1
	s_and_b64 s[56:57], s[2:3], vcc
                                        ; implicit-def: $sgpr2_sgpr3
                                        ; implicit-def: $sgpr12_sgpr13
                                        ; implicit-def: $sgpr6_sgpr7
	s_mov_b64 s[94:95], exec
	v_writelane_b32 v46, s56, 1
	v_writelane_b32 v46, s57, 2
	s_and_b64 s[56:57], s[94:95], s[56:57]
	s_mov_b64 exec, s[56:57]
	s_cbranch_execz .LBB150_270
; %bb.232:                              ;   in Loop: Header=BB150_18 Depth=1
	ds_read_b64 v[2:3], v15 offset:5120
	s_waitcnt lgkmcnt(0)
	s_barrier
	v_readfirstlane_b32 s2, v2
	v_readfirstlane_b32 s3, v3
	s_mov_b64 s[6:7], exec
	v_readlane_b32 s12, v47, 48
	v_readlane_b32 s13, v47, 49
	s_and_b64 s[12:13], s[6:7], s[12:13]
	s_mov_b64 exec, s[12:13]
	s_cbranch_execz .LBB150_234
; %bb.233:                              ;   in Loop: Header=BB150_18 Depth=1
	ds_write_b32 v32, v15
.LBB150_234:                            ;   in Loop: Header=BB150_18 Depth=1
	s_or_b64 exec, exec, s[6:7]
	v_or_b32_e32 v20, s90, v20
	v_or_b32_e32 v24, s90, v24
	s_cmp_eq_u64 s[2:3], 0
	v_writelane_b32 v46, s94, 3
	s_waitcnt lgkmcnt(0)
	s_barrier
	v_writelane_b32 v46, s95, 4
	s_cbranch_scc1 .LBB150_239
; %bb.235:                              ;   in Loop: Header=BB150_18 Depth=1
	v_readlane_b32 s6, v47, 52
	s_add_u32 s56, s6, s2
	v_readlane_b32 s6, v47, 54
	s_addc_u32 s7, s6, s3
	s_mov_b32 s6, s91
	s_cmp_lg_u64 s[6:7], 0
	s_cbranch_scc0 .LBB150_240
; %bb.236:                              ;   in Loop: Header=BB150_18 Depth=1
	v_cvt_f32_u32_e32 v2, s89
	s_sub_u32 s6, 0, s89
	s_subb_u32 s12, 0, 0
	v_mac_f32_e32 v2, 0, v35
	v_rcp_f32_e32 v2, v2
	v_mul_f32_e32 v2, 0x5f7ffffc, v2
	v_mul_f32_e32 v3, 0x2f800000, v2
	v_trunc_f32_e32 v3, v3
	v_mac_f32_e32 v2, 0xcf800000, v3
	v_cvt_u32_f32_e32 v3, v3
	v_cvt_u32_f32_e32 v2, v2
	v_readfirstlane_b32 s13, v3
	v_readfirstlane_b32 s57, v2
	s_mul_i32 s72, s6, s13
	s_mul_hi_u32 s93, s6, s57
	s_mul_i32 s92, s12, s57
	s_add_i32 s72, s93, s72
	s_mul_i32 s94, s6, s57
	s_add_i32 s72, s72, s92
	s_mul_hi_u32 s93, s57, s94
	s_mul_hi_u32 s92, s57, s72
	s_mul_i32 s57, s57, s72
	s_add_u32 s57, s93, s57
	s_addc_u32 s92, 0, s92
	s_mul_hi_u32 s95, s13, s94
	s_mul_i32 s94, s13, s94
	s_add_u32 s57, s57, s94
	s_mul_hi_u32 s93, s13, s72
	s_addc_u32 s57, s92, s95
	s_addc_u32 s92, s93, 0
	s_mul_i32 s72, s13, s72
	s_add_u32 s57, s57, s72
	s_addc_u32 s72, 0, s92
	v_add_co_u32_e32 v2, vcc, s57, v2
	s_cmp_lg_u64 vcc, 0
	s_addc_u32 s13, s13, s72
	v_readfirstlane_b32 s72, v2
	s_mul_i32 s57, s6, s13
	s_mul_hi_u32 s92, s6, s72
	s_add_i32 s57, s92, s57
	s_mul_i32 s12, s12, s72
	s_add_i32 s57, s57, s12
	s_mul_i32 s6, s6, s72
	s_mul_hi_u32 s92, s13, s6
	s_mul_i32 s93, s13, s6
	s_mul_i32 s95, s72, s57
	s_mul_hi_u32 s6, s72, s6
	s_mul_hi_u32 s94, s72, s57
	s_add_u32 s6, s6, s95
	s_addc_u32 s72, 0, s94
	s_add_u32 s6, s6, s93
	s_mul_hi_u32 s12, s13, s57
	s_addc_u32 s6, s72, s92
	s_addc_u32 s12, s12, 0
	s_mul_i32 s57, s13, s57
	s_add_u32 s6, s6, s57
	s_addc_u32 s12, 0, s12
	v_add_co_u32_e32 v2, vcc, s6, v2
	s_cmp_lg_u64 vcc, 0
	s_addc_u32 s6, s13, s12
	v_readfirstlane_b32 s57, v2
	s_mul_i32 s13, s56, s6
	s_mul_hi_u32 s72, s56, s57
	s_mul_hi_u32 s12, s56, s6
	s_add_u32 s13, s72, s13
	s_addc_u32 s12, 0, s12
	s_mul_hi_u32 s92, s7, s57
	s_mul_i32 s57, s7, s57
	s_add_u32 s13, s13, s57
	s_mul_hi_u32 s72, s7, s6
	s_addc_u32 s12, s12, s92
	s_addc_u32 s13, s72, 0
	s_mul_i32 s6, s7, s6
	s_add_u32 s6, s12, s6
	s_addc_u32 s12, 0, s13
	s_mul_hi_u32 s13, s89, s6
	s_mul_i32 s6, s89, s6
	s_mul_i32 s12, s89, s12
	v_mov_b32_e32 v2, s6
	s_add_i32 s13, s13, s12
	v_sub_co_u32_e32 v2, vcc, s56, v2
	s_cmp_lg_u64 vcc, 0
	s_subb_u32 s6, s7, s13
	v_subrev_co_u32_e32 v3, vcc, s89, v2
	s_cmp_lg_u64 vcc, 0
	s_subb_u32 s12, s6, 0
	v_subrev_co_u32_e32 v6, vcc, s89, v3
	s_cmp_lg_u64 vcc, 0
	s_subb_u32 s13, s12, 0
	v_cmp_le_u32_e32 vcc, s89, v3
	s_cmp_eq_u32 s12, 0
	v_cndmask_b32_e64 v7, 0, -1, vcc
	s_cselect_b64 vcc, -1, 0
	v_cndmask_b32_e32 v7, -1, v7, vcc
	v_mov_b32_e32 v8, s12
	v_mov_b32_e32 v9, s13
	v_cmp_ne_u32_e32 vcc, 0, v7
	v_cndmask_b32_e32 v7, v8, v9, vcc
	v_cndmask_b32_e32 v6, v3, v6, vcc
	v_cmp_le_u32_e32 vcc, s89, v2
	s_cmp_eq_u32 s6, 0
	v_cndmask_b32_e64 v3, 0, -1, vcc
	s_cselect_b64 vcc, -1, 0
	v_cndmask_b32_e32 v3, -1, v3, vcc
	v_mov_b32_e32 v8, s6
	v_cmp_ne_u32_e32 vcc, 0, v3
	v_cndmask_b32_e32 v3, v8, v7, vcc
	v_cndmask_b32_e32 v2, v2, v6, vcc
	s_mov_b64 s[12:13], 0
	s_branch .LBB150_241
.LBB150_237:                            ;   in Loop: Header=BB150_18 Depth=1
                                        ; implicit-def: $vgpr2_vgpr3
	s_branch .LBB150_191
.LBB150_238:                            ;   in Loop: Header=BB150_18 Depth=1
                                        ; implicit-def: $vgpr2_vgpr3
	s_branch .LBB150_207
.LBB150_239:                            ;   in Loop: Header=BB150_18 Depth=1
	s_mov_b64 s[2:3], -1
	s_mov_b64 s[56:57], 0
                                        ; implicit-def: $sgpr6_sgpr7
                                        ; implicit-def: $vgpr3
	s_branch .LBB150_253
.LBB150_240:                            ;   in Loop: Header=BB150_18 Depth=1
	s_mov_b64 s[12:13], -1
                                        ; implicit-def: $vgpr2_vgpr3
.LBB150_241:                            ;   in Loop: Header=BB150_18 Depth=1
	s_andn2_b64 vcc, exec, s[12:13]
	s_cbranch_vccnz .LBB150_243
; %bb.242:                              ;   in Loop: Header=BB150_18 Depth=1
	v_cvt_f32_u32_e32 v2, s89
	s_sub_i32 s6, 0, s89
	v_rcp_iflag_f32_e32 v2, v2
	v_mul_f32_e32 v2, 0x4f7ffffe, v2
	v_cvt_u32_f32_e32 v2, v2
	v_mul_lo_u32 v3, s6, v2
	v_mul_hi_u32 v3, v2, v3
	v_add_u32_e32 v2, v2, v3
	v_mul_hi_u32 v2, s56, v2
	v_mul_lo_u32 v2, v2, s89
	v_sub_u32_e32 v2, s56, v2
	v_subrev_u32_e32 v3, s89, v2
	v_cmp_le_u32_e32 vcc, s89, v2
	v_cndmask_b32_e32 v2, v2, v3, vcc
	v_subrev_u32_e32 v3, s89, v2
	v_cmp_le_u32_e32 vcc, s89, v2
	v_cndmask_b32_e32 v14, v2, v3, vcc
	v_pk_mov_b32 v[2:3], v[14:15], v[14:15] op_sel:[0,1]
.LBB150_243:                            ;   in Loop: Header=BB150_18 Depth=1
	v_mov_b32_e32 v7, s7
	v_sub_co_u32_e32 v6, vcc, s56, v2
	v_subb_co_u32_e32 v7, vcc, v7, v3, vcc
	v_cmp_gt_u64_e32 vcc, v[6:7], v[0:1]
	s_mov_b64 s[56:57], 0
                                        ; implicit-def: $vgpr3
	s_and_saveexec_b64 s[6:7], vcc
	s_cbranch_execz .LBB150_252
; %bb.244:                              ;   in Loop: Header=BB150_18 Depth=1
	s_mov_b64 s[12:13], 0
	v_mov_b32_e32 v14, v16
	v_pk_mov_b32 v[8:9], v[0:1], v[0:1] op_sel:[0,1]
                                        ; implicit-def: $sgpr56_sgpr57
	s_branch .LBB150_246
.LBB150_245:                            ;   in Loop: Header=BB150_246 Depth=2
	s_or_b64 exec, exec, s[92:93]
	s_waitcnt lgkmcnt(0)
	s_barrier
	ds_read_b64 v[2:3], v15 offset:3072
	v_add_co_u32_e32 v8, vcc, s89, v8
	v_add_u32_e32 v14, s5, v14
	s_waitcnt lgkmcnt(0)
	v_readfirstlane_b32 s72, v2
	v_mov_b32_e32 v2, s74
	s_cmp_lg_u32 s72, 0
	v_addc_co_u32_e32 v9, vcc, v9, v2, vcc
	s_cselect_b64 s[92:93], -1, 0
	v_cmp_ge_u64_e32 vcc, v[8:9], v[6:7]
	s_or_b64 s[94:95], vcc, s[92:93]
	s_and_b64 s[94:95], exec, s[94:95]
	s_or_b64 s[12:13], s[94:95], s[12:13]
	s_andn2_b64 s[56:57], s[56:57], exec
	s_and_b64 s[92:93], s[92:93], exec
	s_or_b64 s[56:57], s[56:57], s[92:93]
	s_barrier
	s_andn2_b64 exec, exec, s[12:13]
	s_cbranch_execz .LBB150_251
.LBB150_246:                            ;   Parent Loop BB150_18 Depth=1
                                        ; =>  This Inner Loop Header: Depth=2
	v_cmp_gt_u64_e32 vcc, s[2:3], v[8:9]
	s_waitcnt vmcnt(0)
	v_mov_b32_e32 v19, 0
	s_and_saveexec_b64 s[92:93], vcc
	s_cbranch_execz .LBB150_248
; %bb.247:                              ;   in Loop: Header=BB150_246 Depth=2
	ds_read_b32 v19, v14
.LBB150_248:                            ;   in Loop: Header=BB150_246 Depth=2
	s_or_b64 exec, exec, s[92:93]
	s_and_saveexec_b64 s[92:93], vcc
	s_cbranch_execz .LBB150_245
; %bb.249:                              ;   in Loop: Header=BB150_246 Depth=2
	s_waitcnt lgkmcnt(0)
	v_xor_b32_e32 v2, 0x80000000, v19
	v_and_b32_e32 v2, v2, v24
	v_cmp_eq_u32_e32 vcc, v2, v20
	s_and_b64 exec, exec, vcc
	s_cbranch_execz .LBB150_245
; %bb.250:                              ;   in Loop: Header=BB150_246 Depth=2
	ds_write_b64 v15, v[18:19] offset:3072
	s_branch .LBB150_245
.LBB150_251:                            ;   in Loop: Header=BB150_18 Depth=1
	s_or_b64 exec, exec, s[12:13]
	s_and_b64 s[56:57], s[56:57], exec
.LBB150_252:                            ;   in Loop: Header=BB150_18 Depth=1
	s_or_b64 exec, exec, s[6:7]
	s_mov_b64 s[6:7], -1
	s_mov_b64 s[2:3], 0
.LBB150_253:                            ;   in Loop: Header=BB150_18 Depth=1
	s_and_b64 vcc, exec, s[2:3]
	s_mov_b64 s[12:13], s[2:3]
	s_cbranch_vccz .LBB150_269
; %bb.254:                              ;   in Loop: Header=BB150_18 Depth=1
	s_mov_b32 s72, s91
	s_cmp_lg_u64 s[72:73], 0
	s_cbranch_scc0 .LBB150_256
; %bb.255:                              ;   in Loop: Header=BB150_18 Depth=1
	v_cvt_f32_u32_e32 v2, s89
	s_sub_u32 s2, 0, s89
	s_subb_u32 s3, 0, 0
	v_mac_f32_e32 v2, 0, v35
	v_rcp_f32_e32 v2, v2
	v_mul_f32_e32 v2, 0x5f7ffffc, v2
	v_mul_f32_e32 v3, 0x2f800000, v2
	v_trunc_f32_e32 v3, v3
	v_mac_f32_e32 v2, 0xcf800000, v3
	v_cvt_u32_f32_e32 v3, v3
	v_cvt_u32_f32_e32 v2, v2
	v_readfirstlane_b32 s6, v3
	v_readfirstlane_b32 s7, v2
	s_mul_i32 s12, s2, s6
	s_mul_hi_u32 s56, s2, s7
	s_mul_i32 s13, s3, s7
	s_add_i32 s12, s56, s12
	s_mul_i32 s57, s2, s7
	s_add_i32 s12, s12, s13
	s_mul_hi_u32 s56, s7, s57
	s_mul_hi_u32 s13, s7, s12
	s_mul_i32 s7, s7, s12
	s_add_u32 s7, s56, s7
	s_addc_u32 s13, 0, s13
	s_mul_hi_u32 s72, s6, s57
	s_mul_i32 s57, s6, s57
	s_add_u32 s7, s7, s57
	s_mul_hi_u32 s56, s6, s12
	s_addc_u32 s7, s13, s72
	s_addc_u32 s13, s56, 0
	s_mul_i32 s12, s6, s12
	s_add_u32 s7, s7, s12
	s_addc_u32 s12, 0, s13
	v_add_co_u32_e32 v2, vcc, s7, v2
	s_cmp_lg_u64 vcc, 0
	s_addc_u32 s6, s6, s12
	v_readfirstlane_b32 s12, v2
	s_mul_i32 s7, s2, s6
	s_mul_hi_u32 s13, s2, s12
	s_add_i32 s7, s13, s7
	s_mul_i32 s3, s3, s12
	s_add_i32 s7, s7, s3
	s_mul_i32 s2, s2, s12
	s_mul_hi_u32 s13, s6, s2
	s_mul_i32 s56, s6, s2
	s_mul_i32 s72, s12, s7
	s_mul_hi_u32 s2, s12, s2
	s_mul_hi_u32 s57, s12, s7
	s_add_u32 s2, s2, s72
	s_addc_u32 s12, 0, s57
	s_add_u32 s2, s2, s56
	s_mul_hi_u32 s3, s6, s7
	s_addc_u32 s2, s12, s13
	s_addc_u32 s3, s3, 0
	s_mul_i32 s7, s6, s7
	s_add_u32 s2, s2, s7
	s_addc_u32 s3, 0, s3
	v_add_co_u32_e32 v2, vcc, s2, v2
	s_cmp_lg_u64 vcc, 0
	s_addc_u32 s2, s6, s3
	v_readlane_b32 s56, v47, 53
	v_readfirstlane_b32 s7, v2
	s_mul_i32 s6, s56, s2
	s_mul_hi_u32 s12, s56, s7
	s_mul_hi_u32 s3, s56, s2
	s_add_u32 s6, s12, s6
	s_addc_u32 s3, 0, s3
	s_mul_hi_u32 s13, s73, s7
	s_mul_i32 s7, s73, s7
	s_add_u32 s6, s6, s7
	s_mul_hi_u32 s12, s73, s2
	s_addc_u32 s3, s3, s13
	s_addc_u32 s6, s12, 0
	s_mul_i32 s2, s73, s2
	s_add_u32 s2, s3, s2
	s_addc_u32 s3, 0, s6
	s_mul_hi_u32 s6, s89, s2
	s_mul_i32 s2, s89, s2
	s_mul_i32 s3, s89, s3
	v_mov_b32_e32 v2, s2
	s_add_i32 s6, s6, s3
	v_sub_co_u32_e32 v2, vcc, s56, v2
	s_cmp_lg_u64 vcc, 0
	s_subb_u32 s2, s73, s6
	v_subrev_co_u32_e32 v3, vcc, s89, v2
	s_cmp_lg_u64 vcc, 0
	s_subb_u32 s3, s2, 0
	v_subrev_co_u32_e32 v6, vcc, s89, v3
	s_cmp_lg_u64 vcc, 0
	s_subb_u32 s6, s3, 0
	v_cmp_le_u32_e32 vcc, s89, v3
	s_cmp_eq_u32 s3, 0
	v_cndmask_b32_e64 v7, 0, -1, vcc
	s_cselect_b64 vcc, -1, 0
	v_cndmask_b32_e32 v7, -1, v7, vcc
	v_mov_b32_e32 v8, s3
	v_mov_b32_e32 v9, s6
	v_cmp_ne_u32_e32 vcc, 0, v7
	v_cndmask_b32_e32 v7, v8, v9, vcc
	v_cndmask_b32_e32 v6, v3, v6, vcc
	v_cmp_le_u32_e32 vcc, s89, v2
	s_cmp_eq_u32 s2, 0
	v_cndmask_b32_e64 v3, 0, -1, vcc
	s_cselect_b64 vcc, -1, 0
	v_cndmask_b32_e32 v3, -1, v3, vcc
	v_mov_b32_e32 v8, s2
	v_cmp_ne_u32_e32 vcc, 0, v3
	v_cndmask_b32_e32 v3, v8, v7, vcc
	v_cndmask_b32_e32 v2, v2, v6, vcc
	s_mov_b64 s[2:3], 0
	s_branch .LBB150_257
.LBB150_256:                            ;   in Loop: Header=BB150_18 Depth=1
	s_mov_b64 s[2:3], -1
                                        ; implicit-def: $vgpr2_vgpr3
.LBB150_257:                            ;   in Loop: Header=BB150_18 Depth=1
	s_andn2_b64 vcc, exec, s[2:3]
	s_cbranch_vccnz .LBB150_259
; %bb.258:                              ;   in Loop: Header=BB150_18 Depth=1
	v_cvt_f32_u32_e32 v2, s89
	s_sub_i32 s2, 0, s89
	v_rcp_iflag_f32_e32 v2, v2
	v_mul_f32_e32 v2, 0x4f7ffffe, v2
	v_cvt_u32_f32_e32 v2, v2
	v_mul_lo_u32 v3, s2, v2
	v_mul_hi_u32 v3, v2, v3
	v_add_u32_e32 v2, v2, v3
	v_readlane_b32 s2, v47, 53
	v_mul_hi_u32 v2, s2, v2
	v_mul_lo_u32 v2, v2, s89
	v_sub_u32_e32 v2, s2, v2
	v_subrev_u32_e32 v3, s89, v2
	v_cmp_le_u32_e32 vcc, s89, v2
	v_cndmask_b32_e32 v2, v2, v3, vcc
	v_subrev_u32_e32 v3, s89, v2
	v_cmp_le_u32_e32 vcc, s89, v2
	v_cndmask_b32_e32 v14, v2, v3, vcc
	v_pk_mov_b32 v[2:3], v[14:15], v[14:15] op_sel:[0,1]
.LBB150_259:                            ;   in Loop: Header=BB150_18 Depth=1
	v_readlane_b32 s2, v47, 53
	v_mov_b32_e32 v7, s73
	v_sub_co_u32_e32 v6, vcc, s2, v2
	v_subb_co_u32_e32 v7, vcc, v7, v3, vcc
	v_cmp_gt_u64_e32 vcc, v[6:7], v[0:1]
	s_mov_b64 s[56:57], 0
                                        ; implicit-def: $vgpr3
	s_and_saveexec_b64 s[2:3], vcc
	s_cbranch_execz .LBB150_268
; %bb.260:                              ;   in Loop: Header=BB150_18 Depth=1
	s_mov_b64 s[12:13], 0
	v_pk_mov_b32 v[8:9], v[0:1], v[0:1] op_sel:[0,1]
                                        ; implicit-def: $sgpr56_sgpr57
	s_branch .LBB150_262
.LBB150_261:                            ;   in Loop: Header=BB150_262 Depth=2
	s_or_b64 exec, exec, s[6:7]
	s_waitcnt lgkmcnt(0)
	s_barrier
	ds_read_b64 v[2:3], v15 offset:3072
	v_add_co_u32_e32 v8, vcc, s89, v8
	s_waitcnt lgkmcnt(0)
	s_barrier
	v_readfirstlane_b32 s6, v2
	v_mov_b32_e32 v2, s74
	s_cmp_lg_u32 s6, 0
	v_addc_co_u32_e32 v9, vcc, v9, v2, vcc
	s_cselect_b64 s[6:7], -1, 0
	v_cmp_ge_u64_e32 vcc, v[8:9], v[6:7]
	s_or_b64 s[92:93], vcc, s[6:7]
	s_and_b64 s[92:93], exec, s[92:93]
	s_or_b64 s[12:13], s[92:93], s[12:13]
	s_andn2_b64 s[56:57], s[56:57], exec
	s_and_b64 s[6:7], s[6:7], exec
	s_or_b64 s[56:57], s[56:57], s[6:7]
	s_andn2_b64 exec, exec, s[12:13]
	s_cbranch_execz .LBB150_267
.LBB150_262:                            ;   Parent Loop BB150_18 Depth=1
                                        ; =>  This Inner Loop Header: Depth=2
	v_cmp_gt_u64_e32 vcc, s[60:61], v[8:9]
	s_waitcnt vmcnt(0)
	v_mov_b32_e32 v19, 0
	s_and_saveexec_b64 s[92:93], vcc
	s_cbranch_execz .LBB150_264
; %bb.263:                              ;   in Loop: Header=BB150_262 Depth=2
	v_mul_lo_u32 v14, v9, s58
	v_mul_lo_u32 v19, v8, s59
	v_mad_u64_u32 v[2:3], s[6:7], v8, s58, 0
	v_add3_u32 v3, v3, v19, v14
	v_lshlrev_b64 v[2:3], 2, v[2:3]
	v_mov_b32_e32 v14, s88
	v_add_co_u32_e64 v2, s[6:7], s33, v2
	v_addc_co_u32_e64 v3, s[6:7], v14, v3, s[6:7]
	global_load_dword v19, v[2:3], off
.LBB150_264:                            ;   in Loop: Header=BB150_262 Depth=2
	s_or_b64 exec, exec, s[92:93]
	s_and_saveexec_b64 s[6:7], vcc
	s_cbranch_execz .LBB150_261
; %bb.265:                              ;   in Loop: Header=BB150_262 Depth=2
	s_waitcnt vmcnt(0)
	v_xor_b32_e32 v2, 0x80000000, v19
	v_and_b32_e32 v2, v2, v24
	v_cmp_eq_u32_e32 vcc, v2, v20
	s_and_b64 exec, exec, vcc
	s_cbranch_execz .LBB150_261
; %bb.266:                              ;   in Loop: Header=BB150_262 Depth=2
	ds_write_b64 v15, v[18:19] offset:3072
	s_branch .LBB150_261
.LBB150_267:                            ;   in Loop: Header=BB150_18 Depth=1
	s_or_b64 exec, exec, s[12:13]
	s_and_b64 s[56:57], s[56:57], exec
.LBB150_268:                            ;   in Loop: Header=BB150_18 Depth=1
	s_or_b64 exec, exec, s[2:3]
	s_mov_b64 s[12:13], -1
	s_mov_b64 s[2:3], 0
	s_mov_b64 s[6:7], 0
.LBB150_269:                            ;   in Loop: Header=BB150_18 Depth=1
	v_readlane_b32 s94, v46, 3
	s_orn2_b64 s[92:93], s[56:57], exec
	v_readlane_b32 s95, v46, 4
.LBB150_270:                            ;   in Loop: Header=BB150_18 Depth=1
	s_or_b64 exec, exec, s[94:95]
	s_mov_b64 s[94:95], 0
                                        ; implicit-def: $vgpr8
                                        ; implicit-def: $vgpr6_vgpr7
	s_and_saveexec_b64 s[56:57], s[92:93]
	v_readlane_b32 vcc_lo, v47, 63
	v_readlane_b32 vcc_hi, v46, 0
	s_cbranch_execz .LBB150_282
; %bb.271:                              ;   in Loop: Header=BB150_18 Depth=1
	v_readlane_b32 s92, v46, 1
	v_readlane_b32 s93, v46, 2
	v_mov_b32_e32 v6, 1
	s_xor_b64 s[94:95], s[92:93], -1
	v_mov_b32_e32 v8, 1
	v_mov_b32_e32 v7, 0
	s_and_saveexec_b64 s[92:93], s[94:95]
	s_cbranch_execz .LBB150_281
; %bb.272:                              ;   in Loop: Header=BB150_18 Depth=1
	v_cmp_ge_u64_e32 vcc, s[24:25], v[4:5]
                                        ; implicit-def: $sgpr72
	s_and_saveexec_b64 s[94:95], vcc
	s_xor_b64 s[94:95], exec, s[94:95]
	s_cbranch_execz .LBB150_278
; %bb.273:                              ;   in Loop: Header=BB150_18 Depth=1
	ds_read_b64 v[6:7], v15 offset:5120
	s_waitcnt lgkmcnt(0)
	v_cmp_ne_u64_e32 vcc, 0, v[6:7]
	s_cbranch_vccnz .LBB150_277
; %bb.274:                              ;   in Loop: Header=BB150_18 Depth=1
	v_writelane_b32 v46, s10, 5
	v_writelane_b32 v46, s11, 6
	s_mov_b64 s[10:11], exec
	v_writelane_b32 v46, s10, 7
	v_writelane_b32 v46, s11, 8
	v_readlane_b32 vcc_lo, v47, 32
	v_readlane_b32 s10, v46, 7
	v_readlane_b32 vcc_hi, v47, 33
	v_readlane_b32 s11, v46, 8
	s_and_b64 vcc, s[10:11], vcc
	s_mov_b64 exec, vcc
	s_cbranch_execz .LBB150_276
; %bb.275:                              ;   in Loop: Header=BB150_18 Depth=1
	v_pk_mov_b32 v[6:7], s[24:25], s[24:25] op_sel:[0,1]
	ds_write_b64 v15, v[6:7] offset:5128
.LBB150_276:                            ;   in Loop: Header=BB150_18 Depth=1
	v_readlane_b32 vcc_lo, v46, 7
	v_readlane_b32 vcc_hi, v46, 8
	s_or_b64 exec, exec, vcc
	v_readlane_b32 s10, v46, 5
	v_readlane_b32 s11, v46, 6
	s_waitcnt lgkmcnt(0)
	s_barrier
.LBB150_277:                            ;   in Loop: Header=BB150_18 Depth=1
	v_or_b32_e32 v20, s90, v20
	v_or_b32_e32 v24, s90, v24
	s_mov_b32 s72, 8
.LBB150_278:                            ;   in Loop: Header=BB150_18 Depth=1
	s_or_saveexec_b64 s[94:95], s[94:95]
	v_mov_b32_e32 v8, s72
	s_xor_b64 exec, exec, s[94:95]
; %bb.279:                              ;   in Loop: Header=BB150_18 Depth=1
	v_mov_b32_e32 v2, s25
	v_subrev_co_u32_e32 v4, vcc, s24, v4
	v_subb_co_u32_e32 v5, vcc, v5, v2, vcc
	v_mov_b32_e32 v8, 8
; %bb.280:                              ;   in Loop: Header=BB150_18 Depth=1
	s_or_b64 exec, exec, s[94:95]
	v_readlane_b32 vcc_lo, v47, 63
	v_pk_mov_b32 v[6:7], v[4:5], v[4:5] op_sel:[0,1]
	v_readlane_b32 vcc_hi, v46, 0
.LBB150_281:                            ;   in Loop: Header=BB150_18 Depth=1
	s_or_b64 exec, exec, s[92:93]
	s_mov_b64 s[94:95], exec
.LBB150_282:                            ;   in Loop: Header=BB150_18 Depth=1
	s_or_b64 exec, exec, s[56:57]
	s_orn2_b64 s[56:57], s[94:95], exec
	v_pk_mov_b32 v[4:5], v[6:7], v[6:7] op_sel:[0,1]
.LBB150_283:                            ;   in Loop: Header=BB150_18 Depth=1
	s_or_b64 exec, exec, s[10:11]
	s_andn2_b64 s[8:9], s[8:9], exec
	s_and_b64 s[2:3], s[2:3], exec
	s_or_b64 s[8:9], s[8:9], s[2:3]
	s_andn2_b64 s[2:3], s[50:51], exec
	s_and_b64 s[10:11], s[12:13], exec
	s_or_b64 s[50:51], s[2:3], s[10:11]
	s_andn2_b64 s[2:3], vcc, exec
	s_and_b64 s[6:7], s[6:7], exec
	s_or_b64 vcc, s[2:3], s[6:7]
	s_and_b64 s[2:3], s[56:57], exec
	v_pk_mov_b32 v[6:7], v[4:5], v[4:5] op_sel:[0,1]
.LBB150_284:                            ;   in Loop: Header=BB150_18 Depth=1
	s_or_b64 exec, exec, s[54:55]
	s_and_b64 s[10:11], s[8:9], exec
	s_and_b64 s[8:9], s[50:51], exec
	s_and_b64 s[6:7], vcc, exec
	s_orn2_b64 s[2:3], s[2:3], exec
.LBB150_285:                            ;   in Loop: Header=BB150_18 Depth=1
	s_or_b64 exec, exec, s[52:53]
	s_andn2_b64 s[12:13], s[28:29], exec
	s_and_b64 s[10:11], s[10:11], exec
	s_or_b64 s[28:29], s[12:13], s[10:11]
	s_andn2_b64 s[10:11], s[44:45], exec
	s_and_b64 s[8:9], s[8:9], exec
	s_or_b64 s[44:45], s[10:11], s[8:9]
	;; [unrolled: 3-line block ×3, first 2 shown]
	s_and_b64 s[6:7], s[2:3], exec
	v_pk_mov_b32 v[4:5], v[6:7], v[6:7] op_sel:[0,1]
.LBB150_286:                            ;   in Loop: Header=BB150_18 Depth=1
	s_or_b64 exec, exec, s[46:47]
	s_and_b64 s[10:11], s[28:29], exec
	s_and_b64 s[8:9], s[44:45], exec
	;; [unrolled: 1-line block ×3, first 2 shown]
	s_orn2_b64 s[28:29], s[6:7], exec
.LBB150_287:                            ;   in Loop: Header=BB150_18 Depth=1
	s_or_b64 exec, exec, s[26:27]
	s_mov_b64 s[6:7], 0
	s_mov_b64 s[12:13], 0
	s_and_saveexec_b64 s[26:27], s[28:29]
	s_xor_b64 s[26:27], exec, s[26:27]
; %bb.288:                              ;   in Loop: Header=BB150_18 Depth=1
	v_cmp_eq_u32_e32 vcc, 8, v8
	v_cmp_ne_u32_e64 s[6:7], 8, v8
	s_andn2_b64 s[10:11], s[10:11], exec
	s_andn2_b64 s[8:9], s[8:9], exec
	;; [unrolled: 1-line block ×3, first 2 shown]
	s_and_b64 s[12:13], s[6:7], exec
	s_and_b64 s[6:7], vcc, exec
; %bb.289:                              ;   in Loop: Header=BB150_18 Depth=1
	s_or_b64 exec, exec, s[26:27]
	s_andn2_b64 s[20:21], s[20:21], exec
	s_and_b64 s[10:11], s[10:11], exec
	s_or_b64 s[20:21], s[20:21], s[10:11]
	s_andn2_b64 s[10:11], s[36:37], exec
	s_and_b64 s[8:9], s[8:9], exec
	s_or_b64 s[36:37], s[10:11], s[8:9]
	;; [unrolled: 3-line block ×3, first 2 shown]
	s_and_b64 s[26:27], s[12:13], exec
	s_and_b64 s[28:29], s[6:7], exec
.LBB150_290:                            ;   in Loop: Header=BB150_18 Depth=1
	s_or_b64 exec, exec, s[40:41]
	s_and_b64 vcc, exec, s[38:39]
	s_cbranch_vccz .LBB150_106
.LBB150_291:                            ;   in Loop: Header=BB150_18 Depth=1
	s_cmp_eq_u64 s[24:25], 1
	s_cselect_b64 s[2:3], -1, 0
	s_and_b64 s[8:9], s[2:3], s[14:15]
	s_mov_b64 s[2:3], -1
                                        ; implicit-def: $sgpr14_sgpr15
                                        ; implicit-def: $sgpr38_sgpr39
                                        ; implicit-def: $sgpr20_sgpr21
	s_and_saveexec_b64 s[10:11], s[8:9]
	s_cbranch_execz .LBB150_323
; %bb.292:                              ;   in Loop: Header=BB150_18 Depth=1
	ds_read_b64 v[2:3], v15 offset:5120
	s_waitcnt lgkmcnt(0)
	s_barrier
	v_readfirstlane_b32 s2, v2
	v_readfirstlane_b32 s3, v3
	s_mov_b64 s[6:7], exec
	v_readlane_b32 s12, v47, 48
	v_readlane_b32 s13, v47, 49
	s_and_b64 s[12:13], s[6:7], s[12:13]
	s_mov_b64 exec, s[12:13]
	s_cbranch_execz .LBB150_294
; %bb.293:                              ;   in Loop: Header=BB150_18 Depth=1
	ds_write_b32 v32, v15
.LBB150_294:                            ;   in Loop: Header=BB150_18 Depth=1
	s_or_b64 exec, exec, s[6:7]
	v_or_b32_e32 v37, s90, v37
	v_or_b32_e32 v36, s90, v36
	s_cmp_eq_u64 s[2:3], 0
	s_waitcnt lgkmcnt(0)
	s_barrier
	s_cbranch_scc1 .LBB150_306
; %bb.295:                              ;   in Loop: Header=BB150_18 Depth=1
	v_readlane_b32 s6, v47, 52
	s_add_u32 s14, s6, s2
	v_readlane_b32 s6, v47, 54
	s_addc_u32 s7, s6, s3
	s_mov_b32 s6, s91
	s_cmp_lg_u64 s[6:7], 0
	s_cbranch_scc0 .LBB150_350
; %bb.296:                              ;   in Loop: Header=BB150_18 Depth=1
	v_cvt_f32_u32_e32 v2, s89
	s_sub_u32 s6, 0, s89
	s_subb_u32 s12, 0, 0
	v_mac_f32_e32 v2, 0, v35
	v_rcp_f32_e32 v2, v2
	v_mul_f32_e32 v2, 0x5f7ffffc, v2
	v_mul_f32_e32 v3, 0x2f800000, v2
	v_trunc_f32_e32 v3, v3
	v_mac_f32_e32 v2, 0xcf800000, v3
	v_cvt_u32_f32_e32 v3, v3
	v_cvt_u32_f32_e32 v2, v2
	v_readfirstlane_b32 s13, v3
	v_readfirstlane_b32 s15, v2
	s_mul_i32 s20, s6, s13
	s_mul_hi_u32 s34, s6, s15
	s_mul_i32 s21, s12, s15
	s_add_i32 s20, s34, s20
	s_mul_i32 s35, s6, s15
	s_add_i32 s20, s20, s21
	s_mul_hi_u32 s34, s15, s35
	s_mul_hi_u32 s21, s15, s20
	s_mul_i32 s15, s15, s20
	s_add_u32 s15, s34, s15
	s_addc_u32 s21, 0, s21
	s_mul_hi_u32 s36, s13, s35
	s_mul_i32 s35, s13, s35
	s_add_u32 s15, s15, s35
	s_mul_hi_u32 s34, s13, s20
	s_addc_u32 s15, s21, s36
	s_addc_u32 s21, s34, 0
	s_mul_i32 s20, s13, s20
	s_add_u32 s15, s15, s20
	s_addc_u32 s20, 0, s21
	v_add_co_u32_e32 v2, vcc, s15, v2
	s_cmp_lg_u64 vcc, 0
	s_addc_u32 s13, s13, s20
	v_readfirstlane_b32 s20, v2
	s_mul_i32 s15, s6, s13
	s_mul_hi_u32 s21, s6, s20
	s_add_i32 s15, s21, s15
	s_mul_i32 s12, s12, s20
	s_add_i32 s15, s15, s12
	s_mul_i32 s6, s6, s20
	s_mul_hi_u32 s21, s13, s6
	s_mul_i32 s34, s13, s6
	s_mul_i32 s36, s20, s15
	s_mul_hi_u32 s6, s20, s6
	s_mul_hi_u32 s35, s20, s15
	s_add_u32 s6, s6, s36
	s_addc_u32 s20, 0, s35
	s_add_u32 s6, s6, s34
	s_mul_hi_u32 s12, s13, s15
	s_addc_u32 s6, s20, s21
	s_addc_u32 s12, s12, 0
	s_mul_i32 s15, s13, s15
	s_add_u32 s6, s6, s15
	s_addc_u32 s12, 0, s12
	v_add_co_u32_e32 v2, vcc, s6, v2
	s_cmp_lg_u64 vcc, 0
	s_addc_u32 s6, s13, s12
	v_readfirstlane_b32 s15, v2
	s_mul_i32 s13, s14, s6
	s_mul_hi_u32 s20, s14, s15
	s_mul_hi_u32 s12, s14, s6
	s_add_u32 s13, s20, s13
	s_addc_u32 s12, 0, s12
	s_mul_hi_u32 s21, s7, s15
	s_mul_i32 s15, s7, s15
	s_add_u32 s13, s13, s15
	s_mul_hi_u32 s20, s7, s6
	s_addc_u32 s12, s12, s21
	s_addc_u32 s13, s20, 0
	s_mul_i32 s6, s7, s6
	s_add_u32 s6, s12, s6
	s_addc_u32 s12, 0, s13
	s_mul_hi_u32 s13, s89, s6
	s_mul_i32 s6, s89, s6
	s_mul_i32 s12, s89, s12
	v_mov_b32_e32 v2, s6
	s_add_i32 s13, s13, s12
	v_sub_co_u32_e32 v2, vcc, s14, v2
	s_cmp_lg_u64 vcc, 0
	s_subb_u32 s6, s7, s13
	v_subrev_co_u32_e32 v3, vcc, s89, v2
	s_cmp_lg_u64 vcc, 0
	s_subb_u32 s12, s6, 0
	v_subrev_co_u32_e32 v4, vcc, s89, v3
	s_cmp_lg_u64 vcc, 0
	s_subb_u32 s13, s12, 0
	v_cmp_le_u32_e32 vcc, s89, v3
	s_cmp_eq_u32 s12, 0
	v_cndmask_b32_e64 v5, 0, -1, vcc
	s_cselect_b64 vcc, -1, 0
	v_cndmask_b32_e32 v5, -1, v5, vcc
	v_mov_b32_e32 v6, s12
	v_mov_b32_e32 v7, s13
	v_cmp_ne_u32_e32 vcc, 0, v5
	v_cndmask_b32_e32 v5, v6, v7, vcc
	v_cndmask_b32_e32 v4, v3, v4, vcc
	v_cmp_le_u32_e32 vcc, s89, v2
	s_cmp_eq_u32 s6, 0
	v_cndmask_b32_e64 v3, 0, -1, vcc
	s_cselect_b64 vcc, -1, 0
	v_cndmask_b32_e32 v3, -1, v3, vcc
	v_mov_b32_e32 v6, s6
	v_cmp_ne_u32_e32 vcc, 0, v3
	v_cndmask_b32_e32 v3, v6, v5, vcc
	v_cndmask_b32_e32 v2, v2, v4, vcc
	s_cbranch_execnz .LBB150_298
.LBB150_297:                            ;   in Loop: Header=BB150_18 Depth=1
	v_cvt_f32_u32_e32 v2, s89
	s_sub_i32 s6, 0, s89
	v_rcp_iflag_f32_e32 v2, v2
	v_mul_f32_e32 v2, 0x4f7ffffe, v2
	v_cvt_u32_f32_e32 v2, v2
	v_mul_lo_u32 v3, s6, v2
	v_mul_hi_u32 v3, v2, v3
	v_add_u32_e32 v2, v2, v3
	v_mul_hi_u32 v2, s14, v2
	v_mul_lo_u32 v2, v2, s89
	v_sub_u32_e32 v2, s14, v2
	v_subrev_u32_e32 v3, s89, v2
	v_cmp_le_u32_e32 vcc, s89, v2
	v_cndmask_b32_e32 v2, v2, v3, vcc
	v_subrev_u32_e32 v3, s89, v2
	v_cmp_le_u32_e32 vcc, s89, v2
	v_cndmask_b32_e32 v14, v2, v3, vcc
	v_pk_mov_b32 v[2:3], v[14:15], v[14:15] op_sel:[0,1]
.LBB150_298:                            ;   in Loop: Header=BB150_18 Depth=1
	v_mov_b32_e32 v4, s7
	v_sub_co_u32_e32 v2, vcc, s14, v2
	v_subb_co_u32_e32 v3, vcc, v4, v3, vcc
	v_cmp_gt_u64_e32 vcc, v[2:3], v[0:1]
	s_mov_b64 s[6:7], 0
                                        ; implicit-def: $vgpr21
	s_and_saveexec_b64 s[12:13], vcc
	s_cbranch_execz .LBB150_308
; %bb.299:                              ;   in Loop: Header=BB150_18 Depth=1
	v_mov_b32_e32 v6, v16
	v_pk_mov_b32 v[4:5], v[0:1], v[0:1] op_sel:[0,1]
                                        ; implicit-def: $sgpr14_sgpr15
	s_branch .LBB150_301
.LBB150_300:                            ;   in Loop: Header=BB150_301 Depth=2
	s_or_b64 exec, exec, s[20:21]
	s_waitcnt lgkmcnt(0)
	s_barrier
	ds_read_b64 v[20:21], v15 offset:3072
	v_mov_b32_e32 v7, s74
	v_add_co_u32_e32 v4, vcc, s89, v4
	v_addc_co_u32_e32 v5, vcc, v5, v7, vcc
	s_waitcnt lgkmcnt(0)
	v_readfirstlane_b32 s20, v20
	s_cmp_lg_u32 s20, 0
	s_cselect_b64 s[20:21], -1, 0
	v_cmp_ge_u64_e32 vcc, v[4:5], v[2:3]
	s_or_b64 s[34:35], vcc, s[20:21]
	s_and_b64 s[34:35], exec, s[34:35]
	s_or_b64 s[6:7], s[34:35], s[6:7]
	s_andn2_b64 s[14:15], s[14:15], exec
	s_and_b64 s[20:21], s[20:21], exec
	v_add_u32_e32 v6, s5, v6
	s_or_b64 s[14:15], s[14:15], s[20:21]
	s_barrier
	s_andn2_b64 exec, exec, s[6:7]
	s_cbranch_execz .LBB150_307
.LBB150_301:                            ;   Parent Loop BB150_18 Depth=1
                                        ; =>  This Inner Loop Header: Depth=2
	v_cmp_gt_u64_e32 vcc, s[2:3], v[4:5]
	s_waitcnt vmcnt(0)
	v_mov_b32_e32 v19, 0
	s_and_saveexec_b64 s[20:21], vcc
	s_cbranch_execz .LBB150_303
; %bb.302:                              ;   in Loop: Header=BB150_301 Depth=2
	ds_read_b32 v19, v6
.LBB150_303:                            ;   in Loop: Header=BB150_301 Depth=2
	s_or_b64 exec, exec, s[20:21]
	s_and_saveexec_b64 s[20:21], vcc
	s_cbranch_execz .LBB150_300
; %bb.304:                              ;   in Loop: Header=BB150_301 Depth=2
	s_waitcnt lgkmcnt(0)
	v_xor_b32_e32 v7, 0x80000000, v19
	v_and_b32_e32 v7, v7, v36
	v_cmp_eq_u32_e32 vcc, v7, v37
	s_and_b64 exec, exec, vcc
	s_cbranch_execz .LBB150_300
; %bb.305:                              ;   in Loop: Header=BB150_301 Depth=2
	ds_write_b64 v15, v[18:19] offset:3072
	s_branch .LBB150_300
.LBB150_306:                            ;   in Loop: Header=BB150_18 Depth=1
	s_mov_b64 s[14:15], -1
	s_mov_b64 s[6:7], 0
                                        ; implicit-def: $sgpr38_sgpr39
                                        ; implicit-def: $vgpr21
	s_mov_b64 s[20:21], s[14:15]
	s_cbranch_execnz .LBB150_309
	s_branch .LBB150_322
.LBB150_307:                            ;   in Loop: Header=BB150_18 Depth=1
	s_or_b64 exec, exec, s[6:7]
	s_and_b64 s[6:7], s[14:15], exec
.LBB150_308:                            ;   in Loop: Header=BB150_18 Depth=1
	s_or_b64 exec, exec, s[12:13]
	s_mov_b64 s[14:15], 0
	s_mov_b64 s[38:39], -1
	s_mov_b64 s[20:21], s[14:15]
	s_branch .LBB150_322
.LBB150_309:                            ;   in Loop: Header=BB150_18 Depth=1
	s_mov_b32 s72, s91
	s_cmp_lg_u64 s[72:73], 0
	s_cbranch_scc0 .LBB150_351
; %bb.310:                              ;   in Loop: Header=BB150_18 Depth=1
	v_cvt_f32_u32_e32 v2, s89
	s_sub_u32 s2, 0, s89
	s_subb_u32 s3, 0, 0
	v_mac_f32_e32 v2, 0, v35
	v_rcp_f32_e32 v2, v2
	v_mul_f32_e32 v2, 0x5f7ffffc, v2
	v_mul_f32_e32 v3, 0x2f800000, v2
	v_trunc_f32_e32 v3, v3
	v_mac_f32_e32 v2, 0xcf800000, v3
	v_cvt_u32_f32_e32 v3, v3
	v_cvt_u32_f32_e32 v2, v2
	v_readfirstlane_b32 s6, v3
	v_readfirstlane_b32 s7, v2
	s_mul_i32 s12, s2, s6
	s_mul_hi_u32 s14, s2, s7
	s_mul_i32 s13, s3, s7
	s_add_i32 s12, s14, s12
	s_mul_i32 s15, s2, s7
	s_add_i32 s12, s12, s13
	s_mul_hi_u32 s14, s7, s15
	s_mul_hi_u32 s13, s7, s12
	s_mul_i32 s7, s7, s12
	s_add_u32 s7, s14, s7
	s_addc_u32 s13, 0, s13
	s_mul_hi_u32 s20, s6, s15
	s_mul_i32 s15, s6, s15
	s_add_u32 s7, s7, s15
	s_mul_hi_u32 s14, s6, s12
	s_addc_u32 s7, s13, s20
	s_addc_u32 s13, s14, 0
	s_mul_i32 s12, s6, s12
	s_add_u32 s7, s7, s12
	s_addc_u32 s12, 0, s13
	v_add_co_u32_e32 v2, vcc, s7, v2
	s_cmp_lg_u64 vcc, 0
	s_addc_u32 s6, s6, s12
	v_readfirstlane_b32 s12, v2
	s_mul_i32 s7, s2, s6
	s_mul_hi_u32 s13, s2, s12
	s_add_i32 s7, s13, s7
	s_mul_i32 s3, s3, s12
	s_add_i32 s7, s7, s3
	s_mul_i32 s2, s2, s12
	s_mul_hi_u32 s13, s6, s2
	s_mul_i32 s14, s6, s2
	s_mul_i32 s20, s12, s7
	s_mul_hi_u32 s2, s12, s2
	s_mul_hi_u32 s15, s12, s7
	s_add_u32 s2, s2, s20
	s_addc_u32 s12, 0, s15
	s_add_u32 s2, s2, s14
	s_mul_hi_u32 s3, s6, s7
	s_addc_u32 s2, s12, s13
	s_addc_u32 s3, s3, 0
	s_mul_i32 s7, s6, s7
	s_add_u32 s2, s2, s7
	s_addc_u32 s3, 0, s3
	v_add_co_u32_e32 v2, vcc, s2, v2
	s_cmp_lg_u64 vcc, 0
	s_addc_u32 s2, s6, s3
	v_readlane_b32 s14, v47, 53
	v_readfirstlane_b32 s7, v2
	s_mul_i32 s6, s14, s2
	s_mul_hi_u32 s12, s14, s7
	s_mul_hi_u32 s3, s14, s2
	s_add_u32 s6, s12, s6
	s_addc_u32 s3, 0, s3
	s_mul_hi_u32 s13, s73, s7
	s_mul_i32 s7, s73, s7
	s_add_u32 s6, s6, s7
	s_mul_hi_u32 s12, s73, s2
	s_addc_u32 s3, s3, s13
	s_addc_u32 s6, s12, 0
	s_mul_i32 s2, s73, s2
	s_add_u32 s2, s3, s2
	s_addc_u32 s3, 0, s6
	s_mul_hi_u32 s6, s89, s2
	s_mul_i32 s2, s89, s2
	s_mul_i32 s3, s89, s3
	v_mov_b32_e32 v2, s2
	s_add_i32 s6, s6, s3
	v_sub_co_u32_e32 v2, vcc, s14, v2
	s_cmp_lg_u64 vcc, 0
	s_subb_u32 s2, s73, s6
	v_subrev_co_u32_e32 v3, vcc, s89, v2
	s_cmp_lg_u64 vcc, 0
	s_subb_u32 s3, s2, 0
	v_subrev_co_u32_e32 v4, vcc, s89, v3
	s_cmp_lg_u64 vcc, 0
	s_subb_u32 s6, s3, 0
	v_cmp_le_u32_e32 vcc, s89, v3
	s_cmp_eq_u32 s3, 0
	v_cndmask_b32_e64 v5, 0, -1, vcc
	s_cselect_b64 vcc, -1, 0
	v_cndmask_b32_e32 v5, -1, v5, vcc
	v_mov_b32_e32 v6, s3
	v_mov_b32_e32 v7, s6
	v_cmp_ne_u32_e32 vcc, 0, v5
	v_cndmask_b32_e32 v5, v6, v7, vcc
	v_cndmask_b32_e32 v4, v3, v4, vcc
	v_cmp_le_u32_e32 vcc, s89, v2
	s_cmp_eq_u32 s2, 0
	v_cndmask_b32_e64 v3, 0, -1, vcc
	s_cselect_b64 vcc, -1, 0
	v_cndmask_b32_e32 v3, -1, v3, vcc
	v_mov_b32_e32 v6, s2
	v_cmp_ne_u32_e32 vcc, 0, v3
	v_cndmask_b32_e32 v3, v6, v5, vcc
	v_cndmask_b32_e32 v2, v2, v4, vcc
	s_cbranch_execnz .LBB150_312
.LBB150_311:                            ;   in Loop: Header=BB150_18 Depth=1
	v_cvt_f32_u32_e32 v2, s89
	s_sub_i32 s2, 0, s89
	v_rcp_iflag_f32_e32 v2, v2
	v_mul_f32_e32 v2, 0x4f7ffffe, v2
	v_cvt_u32_f32_e32 v2, v2
	v_mul_lo_u32 v3, s2, v2
	v_mul_hi_u32 v3, v2, v3
	v_add_u32_e32 v2, v2, v3
	v_readlane_b32 s2, v47, 53
	v_mul_hi_u32 v2, s2, v2
	v_mul_lo_u32 v2, v2, s89
	v_sub_u32_e32 v2, s2, v2
	v_subrev_u32_e32 v3, s89, v2
	v_cmp_le_u32_e32 vcc, s89, v2
	v_cndmask_b32_e32 v2, v2, v3, vcc
	v_subrev_u32_e32 v3, s89, v2
	v_cmp_le_u32_e32 vcc, s89, v2
	v_cndmask_b32_e32 v14, v2, v3, vcc
	v_pk_mov_b32 v[2:3], v[14:15], v[14:15] op_sel:[0,1]
.LBB150_312:                            ;   in Loop: Header=BB150_18 Depth=1
	v_readlane_b32 s2, v47, 53
	v_mov_b32_e32 v4, s73
	v_sub_co_u32_e32 v2, vcc, s2, v2
	v_subb_co_u32_e32 v3, vcc, v4, v3, vcc
	v_cmp_gt_u64_e32 vcc, v[2:3], v[0:1]
	s_mov_b64 s[6:7], 0
                                        ; implicit-def: $vgpr21
	s_and_saveexec_b64 s[2:3], vcc
	s_cbranch_execz .LBB150_321
; %bb.313:                              ;   in Loop: Header=BB150_18 Depth=1
	s_mov_b64 s[12:13], 0
	v_pk_mov_b32 v[4:5], v[0:1], v[0:1] op_sel:[0,1]
                                        ; implicit-def: $sgpr14_sgpr15
	s_branch .LBB150_315
.LBB150_314:                            ;   in Loop: Header=BB150_315 Depth=2
	s_or_b64 exec, exec, s[6:7]
	s_waitcnt lgkmcnt(0)
	s_barrier
	ds_read_b64 v[20:21], v15 offset:3072
	v_mov_b32_e32 v6, s74
	v_add_co_u32_e32 v4, vcc, s89, v4
	v_addc_co_u32_e32 v5, vcc, v5, v6, vcc
	s_waitcnt lgkmcnt(0)
	v_readfirstlane_b32 s6, v20
	s_cmp_lg_u32 s6, 0
	s_cselect_b64 s[6:7], -1, 0
	v_cmp_ge_u64_e32 vcc, v[4:5], v[2:3]
	s_or_b64 s[20:21], vcc, s[6:7]
	s_and_b64 s[20:21], exec, s[20:21]
	s_or_b64 s[12:13], s[20:21], s[12:13]
	s_andn2_b64 s[14:15], s[14:15], exec
	s_and_b64 s[6:7], s[6:7], exec
	s_or_b64 s[14:15], s[14:15], s[6:7]
	s_barrier
	s_andn2_b64 exec, exec, s[12:13]
	s_cbranch_execz .LBB150_320
.LBB150_315:                            ;   Parent Loop BB150_18 Depth=1
                                        ; =>  This Inner Loop Header: Depth=2
	v_cmp_gt_u64_e32 vcc, s[60:61], v[4:5]
	s_waitcnt vmcnt(0)
	v_mov_b32_e32 v19, 0
	s_and_saveexec_b64 s[20:21], vcc
	s_cbranch_execz .LBB150_317
; %bb.316:                              ;   in Loop: Header=BB150_315 Depth=2
	v_mul_lo_u32 v8, v5, s58
	v_mul_lo_u32 v9, v4, s59
	v_mad_u64_u32 v[6:7], s[6:7], v4, s58, 0
	v_add3_u32 v7, v7, v9, v8
	v_lshlrev_b64 v[6:7], 2, v[6:7]
	v_mov_b32_e32 v8, s88
	v_add_co_u32_e64 v6, s[6:7], s33, v6
	v_addc_co_u32_e64 v7, s[6:7], v8, v7, s[6:7]
	global_load_dword v19, v[6:7], off
.LBB150_317:                            ;   in Loop: Header=BB150_315 Depth=2
	s_or_b64 exec, exec, s[20:21]
	s_and_saveexec_b64 s[6:7], vcc
	s_cbranch_execz .LBB150_314
; %bb.318:                              ;   in Loop: Header=BB150_315 Depth=2
	s_waitcnt vmcnt(0)
	v_xor_b32_e32 v6, 0x80000000, v19
	v_and_b32_e32 v6, v6, v36
	v_cmp_eq_u32_e32 vcc, v6, v37
	s_and_b64 exec, exec, vcc
	s_cbranch_execz .LBB150_314
; %bb.319:                              ;   in Loop: Header=BB150_315 Depth=2
	ds_write_b64 v15, v[18:19] offset:3072
	s_branch .LBB150_314
.LBB150_320:                            ;   in Loop: Header=BB150_18 Depth=1
	s_or_b64 exec, exec, s[12:13]
	s_and_b64 s[6:7], s[14:15], exec
.LBB150_321:                            ;   in Loop: Header=BB150_18 Depth=1
	s_or_b64 exec, exec, s[2:3]
	s_mov_b64 s[38:39], 0
	s_mov_b64 s[14:15], -1
	s_mov_b64 s[20:21], 0
.LBB150_322:                            ;   in Loop: Header=BB150_18 Depth=1
	s_orn2_b64 s[2:3], s[6:7], exec
.LBB150_323:                            ;   in Loop: Header=BB150_18 Depth=1
	s_or_b64 exec, exec, s[10:11]
                                        ; implicit-def: $vgpr8
                                        ; implicit-def: $vgpr4_vgpr5
                                        ; implicit-def: $vgpr20
                                        ; implicit-def: $vgpr24
                                        ; implicit-def: $vgpr3
	s_and_saveexec_b64 s[34:35], s[2:3]
	s_cbranch_execz .LBB150_486
; %bb.324:                              ;   in Loop: Header=BB150_18 Depth=1
	v_mov_b32_e32 v4, 1
	s_xor_b64 s[8:9], s[8:9], -1
	s_mov_b64 s[6:7], 0
	v_mov_b32_e32 v5, 0
	v_mov_b32_e32 v8, 1
	s_and_saveexec_b64 s[2:3], s[8:9]
	s_cbranch_execz .LBB150_334
; %bb.325:                              ;   in Loop: Header=BB150_18 Depth=1
	v_cmp_ge_u64_e32 vcc, s[24:25], v[22:23]
                                        ; implicit-def: $sgpr10
                                        ; implicit-def: $sgpr6_sgpr7
	s_and_saveexec_b64 s[8:9], vcc
	s_xor_b64 s[8:9], exec, s[8:9]
	s_cbranch_execz .LBB150_331
; %bb.326:                              ;   in Loop: Header=BB150_18 Depth=1
	ds_read_b64 v[2:3], v15 offset:5120
	s_waitcnt lgkmcnt(0)
	v_cmp_ne_u64_e32 vcc, 0, v[2:3]
	s_cbranch_vccnz .LBB150_330
; %bb.327:                              ;   in Loop: Header=BB150_18 Depth=1
	s_mov_b64 s[6:7], exec
	v_readlane_b32 s10, v47, 32
	v_readlane_b32 s11, v47, 33
	s_and_b64 s[10:11], s[6:7], s[10:11]
	s_mov_b64 exec, s[10:11]
	s_cbranch_execz .LBB150_329
; %bb.328:                              ;   in Loop: Header=BB150_18 Depth=1
	v_pk_mov_b32 v[2:3], s[24:25], s[24:25] op_sel:[0,1]
	ds_write_b64 v15, v[2:3] offset:5128
.LBB150_329:                            ;   in Loop: Header=BB150_18 Depth=1
	s_or_b64 exec, exec, s[6:7]
	s_waitcnt lgkmcnt(0)
	s_barrier
.LBB150_330:                            ;   in Loop: Header=BB150_18 Depth=1
	v_or_b32_e32 v37, s90, v37
	v_or_b32_e32 v36, s90, v36
	s_mov_b64 s[6:7], 0
	s_mov_b32 s10, 5
.LBB150_331:                            ;   in Loop: Header=BB150_18 Depth=1
	s_or_saveexec_b64 s[8:9], s[8:9]
	v_mov_b32_e32 v8, s10
	s_xor_b64 exec, exec, s[8:9]
; %bb.332:                              ;   in Loop: Header=BB150_18 Depth=1
	v_mov_b32_e32 v2, s25
	v_subrev_co_u32_e32 v22, vcc, s24, v22
	v_subb_co_u32_e32 v23, vcc, v23, v2, vcc
	v_mov_b32_e32 v8, 0
	s_or_b64 s[6:7], s[6:7], exec
; %bb.333:                              ;   in Loop: Header=BB150_18 Depth=1
	s_or_b64 exec, exec, s[8:9]
	s_and_b64 s[6:7], s[6:7], exec
	v_pk_mov_b32 v[4:5], v[22:23], v[22:23] op_sel:[0,1]
.LBB150_334:                            ;   in Loop: Header=BB150_18 Depth=1
	s_or_b64 exec, exec, s[2:3]
	s_mov_b64 s[36:37], -1
                                        ; implicit-def: $sgpr2_sgpr3
                                        ; implicit-def: $sgpr8_sgpr9
                                        ; implicit-def: $sgpr10_sgpr11
	s_and_saveexec_b64 s[12:13], s[6:7]
	s_xor_b64 s[24:25], exec, s[12:13]
	s_cbranch_execz .LBB150_483
; %bb.335:                              ;   in Loop: Header=BB150_18 Depth=1
	s_cmp_eq_u64 s[22:23], 1
	s_cselect_b64 s[2:3], -1, 0
	v_cmp_eq_u64_e32 vcc, 1, v[4:5]
	s_and_b64 s[8:9], s[2:3], vcc
	s_mov_b64 s[2:3], -1
                                        ; implicit-def: $sgpr36_sgpr37
                                        ; implicit-def: $sgpr40_sgpr41
                                        ; implicit-def: $sgpr42_sgpr43
	s_and_saveexec_b64 s[10:11], s[8:9]
	s_cbranch_execz .LBB150_369
; %bb.336:                              ;   in Loop: Header=BB150_18 Depth=1
	ds_read_b64 v[2:3], v15 offset:5120
	s_waitcnt lgkmcnt(0)
	s_barrier
	v_readfirstlane_b32 s2, v2
	v_readfirstlane_b32 s3, v3
	s_mov_b64 s[6:7], exec
	v_readlane_b32 s12, v47, 48
	v_readlane_b32 s13, v47, 49
	s_and_b64 s[12:13], s[6:7], s[12:13]
	s_mov_b64 exec, s[12:13]
	s_cbranch_execz .LBB150_338
; %bb.337:                              ;   in Loop: Header=BB150_18 Depth=1
	ds_write_b32 v32, v15
.LBB150_338:                            ;   in Loop: Header=BB150_18 Depth=1
	s_or_b64 exec, exec, s[6:7]
	v_and_b32_e32 v2, s48, v37
	v_lshl_or_b32 v37, 2, s49, v2
	v_or_b32_e32 v36, s90, v36
	s_cmp_eq_u64 s[2:3], 0
	s_waitcnt lgkmcnt(0)
	s_barrier
	s_cbranch_scc1 .LBB150_352
; %bb.339:                              ;   in Loop: Header=BB150_18 Depth=1
	v_readlane_b32 s6, v47, 52
	s_add_u32 s36, s6, s2
	v_readlane_b32 s6, v47, 54
	s_addc_u32 s7, s6, s3
	s_mov_b32 s6, s91
	s_cmp_lg_u64 s[6:7], 0
	s_cbranch_scc0 .LBB150_396
; %bb.340:                              ;   in Loop: Header=BB150_18 Depth=1
	v_cvt_f32_u32_e32 v2, s89
	s_sub_u32 s6, 0, s89
	s_subb_u32 s12, 0, 0
	v_mac_f32_e32 v2, 0, v35
	v_rcp_f32_e32 v2, v2
	v_mul_f32_e32 v2, 0x5f7ffffc, v2
	v_mul_f32_e32 v3, 0x2f800000, v2
	v_trunc_f32_e32 v3, v3
	v_mac_f32_e32 v2, 0xcf800000, v3
	v_cvt_u32_f32_e32 v3, v3
	v_cvt_u32_f32_e32 v2, v2
	v_readfirstlane_b32 s13, v3
	v_readfirstlane_b32 s37, v2
	s_mul_i32 s40, s6, s13
	s_mul_hi_u32 s42, s6, s37
	s_mul_i32 s41, s12, s37
	s_add_i32 s40, s42, s40
	s_mul_i32 s43, s6, s37
	s_add_i32 s40, s40, s41
	s_mul_hi_u32 s42, s37, s43
	s_mul_hi_u32 s41, s37, s40
	s_mul_i32 s37, s37, s40
	s_add_u32 s37, s42, s37
	s_addc_u32 s41, 0, s41
	s_mul_hi_u32 s44, s13, s43
	s_mul_i32 s43, s13, s43
	s_add_u32 s37, s37, s43
	s_mul_hi_u32 s42, s13, s40
	s_addc_u32 s37, s41, s44
	s_addc_u32 s41, s42, 0
	s_mul_i32 s40, s13, s40
	s_add_u32 s37, s37, s40
	s_addc_u32 s40, 0, s41
	v_add_co_u32_e32 v2, vcc, s37, v2
	s_cmp_lg_u64 vcc, 0
	s_addc_u32 s13, s13, s40
	v_readfirstlane_b32 s40, v2
	s_mul_i32 s37, s6, s13
	s_mul_hi_u32 s41, s6, s40
	s_add_i32 s37, s41, s37
	s_mul_i32 s12, s12, s40
	s_add_i32 s37, s37, s12
	s_mul_i32 s6, s6, s40
	s_mul_hi_u32 s41, s13, s6
	s_mul_i32 s42, s13, s6
	s_mul_i32 s44, s40, s37
	s_mul_hi_u32 s6, s40, s6
	s_mul_hi_u32 s43, s40, s37
	s_add_u32 s6, s6, s44
	s_addc_u32 s40, 0, s43
	s_add_u32 s6, s6, s42
	s_mul_hi_u32 s12, s13, s37
	s_addc_u32 s6, s40, s41
	s_addc_u32 s12, s12, 0
	s_mul_i32 s37, s13, s37
	s_add_u32 s6, s6, s37
	s_addc_u32 s12, 0, s12
	v_add_co_u32_e32 v2, vcc, s6, v2
	s_cmp_lg_u64 vcc, 0
	s_addc_u32 s6, s13, s12
	v_readfirstlane_b32 s37, v2
	s_mul_i32 s13, s36, s6
	s_mul_hi_u32 s40, s36, s37
	s_mul_hi_u32 s12, s36, s6
	s_add_u32 s13, s40, s13
	s_addc_u32 s12, 0, s12
	s_mul_hi_u32 s41, s7, s37
	s_mul_i32 s37, s7, s37
	s_add_u32 s13, s13, s37
	s_mul_hi_u32 s40, s7, s6
	s_addc_u32 s12, s12, s41
	s_addc_u32 s13, s40, 0
	s_mul_i32 s6, s7, s6
	s_add_u32 s6, s12, s6
	s_addc_u32 s12, 0, s13
	s_mul_hi_u32 s13, s89, s6
	s_mul_i32 s6, s89, s6
	s_mul_i32 s12, s89, s12
	v_mov_b32_e32 v2, s6
	s_add_i32 s13, s13, s12
	v_sub_co_u32_e32 v2, vcc, s36, v2
	s_cmp_lg_u64 vcc, 0
	s_subb_u32 s6, s7, s13
	v_subrev_co_u32_e32 v3, vcc, s89, v2
	s_cmp_lg_u64 vcc, 0
	s_subb_u32 s12, s6, 0
	v_subrev_co_u32_e32 v6, vcc, s89, v3
	s_cmp_lg_u64 vcc, 0
	s_subb_u32 s13, s12, 0
	v_cmp_le_u32_e32 vcc, s89, v3
	s_cmp_eq_u32 s12, 0
	v_cndmask_b32_e64 v7, 0, -1, vcc
	s_cselect_b64 vcc, -1, 0
	v_cndmask_b32_e32 v7, -1, v7, vcc
	v_mov_b32_e32 v8, s12
	v_mov_b32_e32 v9, s13
	v_cmp_ne_u32_e32 vcc, 0, v7
	v_cndmask_b32_e32 v7, v8, v9, vcc
	v_cndmask_b32_e32 v6, v3, v6, vcc
	v_cmp_le_u32_e32 vcc, s89, v2
	s_cmp_eq_u32 s6, 0
	v_cndmask_b32_e64 v3, 0, -1, vcc
	s_cselect_b64 vcc, -1, 0
	v_cndmask_b32_e32 v3, -1, v3, vcc
	v_mov_b32_e32 v8, s6
	v_cmp_ne_u32_e32 vcc, 0, v3
	v_cndmask_b32_e32 v3, v8, v7, vcc
	v_cndmask_b32_e32 v2, v2, v6, vcc
	s_cbranch_execnz .LBB150_342
.LBB150_341:                            ;   in Loop: Header=BB150_18 Depth=1
	v_cvt_f32_u32_e32 v2, s89
	s_sub_i32 s6, 0, s89
	v_rcp_iflag_f32_e32 v2, v2
	v_mul_f32_e32 v2, 0x4f7ffffe, v2
	v_cvt_u32_f32_e32 v2, v2
	v_mul_lo_u32 v3, s6, v2
	v_mul_hi_u32 v3, v2, v3
	v_add_u32_e32 v2, v2, v3
	v_mul_hi_u32 v2, s36, v2
	v_mul_lo_u32 v2, v2, s89
	v_sub_u32_e32 v2, s36, v2
	v_subrev_u32_e32 v3, s89, v2
	v_cmp_le_u32_e32 vcc, s89, v2
	v_cndmask_b32_e32 v2, v2, v3, vcc
	v_subrev_u32_e32 v3, s89, v2
	v_cmp_le_u32_e32 vcc, s89, v2
	v_cndmask_b32_e32 v14, v2, v3, vcc
	v_pk_mov_b32 v[2:3], v[14:15], v[14:15] op_sel:[0,1]
.LBB150_342:                            ;   in Loop: Header=BB150_18 Depth=1
	v_mov_b32_e32 v6, s7
	v_sub_co_u32_e32 v2, vcc, s36, v2
	v_subb_co_u32_e32 v3, vcc, v6, v3, vcc
	v_cmp_gt_u64_e32 vcc, v[2:3], v[0:1]
	s_mov_b64 s[6:7], 0
                                        ; implicit-def: $vgpr21
	s_and_saveexec_b64 s[12:13], vcc
	s_cbranch_execz .LBB150_354
; %bb.343:                              ;   in Loop: Header=BB150_18 Depth=1
	v_mov_b32_e32 v8, v16
	v_pk_mov_b32 v[6:7], v[0:1], v[0:1] op_sel:[0,1]
                                        ; implicit-def: $sgpr36_sgpr37
	s_branch .LBB150_345
.LBB150_344:                            ;   in Loop: Header=BB150_345 Depth=2
	s_or_b64 exec, exec, s[40:41]
	s_waitcnt lgkmcnt(0)
	s_barrier
	ds_read_b64 v[20:21], v15 offset:3072
	v_mov_b32_e32 v9, s74
	v_add_co_u32_e32 v6, vcc, s89, v6
	v_addc_co_u32_e32 v7, vcc, v7, v9, vcc
	s_waitcnt lgkmcnt(0)
	v_readfirstlane_b32 s40, v20
	s_cmp_lg_u32 s40, 0
	s_cselect_b64 s[40:41], -1, 0
	v_cmp_ge_u64_e32 vcc, v[6:7], v[2:3]
	s_or_b64 s[42:43], vcc, s[40:41]
	s_and_b64 s[42:43], exec, s[42:43]
	s_or_b64 s[6:7], s[42:43], s[6:7]
	s_andn2_b64 s[36:37], s[36:37], exec
	s_and_b64 s[40:41], s[40:41], exec
	v_add_u32_e32 v8, s5, v8
	s_or_b64 s[36:37], s[36:37], s[40:41]
	s_barrier
	s_andn2_b64 exec, exec, s[6:7]
	s_cbranch_execz .LBB150_353
.LBB150_345:                            ;   Parent Loop BB150_18 Depth=1
                                        ; =>  This Inner Loop Header: Depth=2
	v_cmp_gt_u64_e32 vcc, s[2:3], v[6:7]
	s_waitcnt vmcnt(0)
	v_mov_b32_e32 v19, 0
	s_and_saveexec_b64 s[40:41], vcc
	s_cbranch_execz .LBB150_347
; %bb.346:                              ;   in Loop: Header=BB150_345 Depth=2
	ds_read_b32 v19, v8
.LBB150_347:                            ;   in Loop: Header=BB150_345 Depth=2
	s_or_b64 exec, exec, s[40:41]
	s_and_saveexec_b64 s[40:41], vcc
	s_cbranch_execz .LBB150_344
; %bb.348:                              ;   in Loop: Header=BB150_345 Depth=2
	s_waitcnt lgkmcnt(0)
	v_xor_b32_e32 v9, 0x80000000, v19
	v_and_b32_e32 v9, v9, v36
	v_cmp_eq_u32_e32 vcc, v9, v37
	s_and_b64 exec, exec, vcc
	s_cbranch_execz .LBB150_344
; %bb.349:                              ;   in Loop: Header=BB150_345 Depth=2
	ds_write_b64 v15, v[18:19] offset:3072
	s_branch .LBB150_344
.LBB150_350:                            ;   in Loop: Header=BB150_18 Depth=1
                                        ; implicit-def: $vgpr2_vgpr3
	s_branch .LBB150_297
.LBB150_351:                            ;   in Loop: Header=BB150_18 Depth=1
                                        ; implicit-def: $vgpr2_vgpr3
	s_branch .LBB150_311
.LBB150_352:                            ;   in Loop: Header=BB150_18 Depth=1
	s_mov_b64 s[36:37], -1
	s_mov_b64 s[6:7], 0
                                        ; implicit-def: $sgpr40_sgpr41
                                        ; implicit-def: $vgpr21
	s_mov_b64 s[42:43], s[36:37]
	s_cbranch_execnz .LBB150_355
	s_branch .LBB150_368
.LBB150_353:                            ;   in Loop: Header=BB150_18 Depth=1
	s_or_b64 exec, exec, s[6:7]
	s_and_b64 s[6:7], s[36:37], exec
.LBB150_354:                            ;   in Loop: Header=BB150_18 Depth=1
	s_or_b64 exec, exec, s[12:13]
	s_mov_b64 s[36:37], 0
	s_mov_b64 s[40:41], -1
	s_mov_b64 s[42:43], s[36:37]
	s_branch .LBB150_368
.LBB150_355:                            ;   in Loop: Header=BB150_18 Depth=1
	s_mov_b32 s72, s91
	s_cmp_lg_u64 s[72:73], 0
	s_cbranch_scc0 .LBB150_397
; %bb.356:                              ;   in Loop: Header=BB150_18 Depth=1
	v_cvt_f32_u32_e32 v2, s89
	s_sub_u32 s2, 0, s89
	s_subb_u32 s3, 0, 0
	v_mac_f32_e32 v2, 0, v35
	v_rcp_f32_e32 v2, v2
	v_mul_f32_e32 v2, 0x5f7ffffc, v2
	v_mul_f32_e32 v3, 0x2f800000, v2
	v_trunc_f32_e32 v3, v3
	v_mac_f32_e32 v2, 0xcf800000, v3
	v_cvt_u32_f32_e32 v3, v3
	v_cvt_u32_f32_e32 v2, v2
	v_readfirstlane_b32 s6, v3
	v_readfirstlane_b32 s7, v2
	s_mul_i32 s12, s2, s6
	s_mul_hi_u32 s36, s2, s7
	s_mul_i32 s13, s3, s7
	s_add_i32 s12, s36, s12
	s_mul_i32 s37, s2, s7
	s_add_i32 s12, s12, s13
	s_mul_hi_u32 s36, s7, s37
	s_mul_hi_u32 s13, s7, s12
	s_mul_i32 s7, s7, s12
	s_add_u32 s7, s36, s7
	s_addc_u32 s13, 0, s13
	s_mul_hi_u32 s40, s6, s37
	s_mul_i32 s37, s6, s37
	s_add_u32 s7, s7, s37
	s_mul_hi_u32 s36, s6, s12
	s_addc_u32 s7, s13, s40
	s_addc_u32 s13, s36, 0
	s_mul_i32 s12, s6, s12
	s_add_u32 s7, s7, s12
	s_addc_u32 s12, 0, s13
	v_add_co_u32_e32 v2, vcc, s7, v2
	s_cmp_lg_u64 vcc, 0
	s_addc_u32 s6, s6, s12
	v_readfirstlane_b32 s12, v2
	s_mul_i32 s7, s2, s6
	s_mul_hi_u32 s13, s2, s12
	s_add_i32 s7, s13, s7
	s_mul_i32 s3, s3, s12
	s_add_i32 s7, s7, s3
	s_mul_i32 s2, s2, s12
	s_mul_hi_u32 s13, s6, s2
	s_mul_i32 s36, s6, s2
	s_mul_i32 s40, s12, s7
	s_mul_hi_u32 s2, s12, s2
	s_mul_hi_u32 s37, s12, s7
	s_add_u32 s2, s2, s40
	s_addc_u32 s12, 0, s37
	s_add_u32 s2, s2, s36
	s_mul_hi_u32 s3, s6, s7
	s_addc_u32 s2, s12, s13
	s_addc_u32 s3, s3, 0
	s_mul_i32 s7, s6, s7
	s_add_u32 s2, s2, s7
	s_addc_u32 s3, 0, s3
	v_add_co_u32_e32 v2, vcc, s2, v2
	s_cmp_lg_u64 vcc, 0
	s_addc_u32 s2, s6, s3
	v_readlane_b32 s36, v47, 53
	v_readfirstlane_b32 s7, v2
	s_mul_i32 s6, s36, s2
	s_mul_hi_u32 s12, s36, s7
	s_mul_hi_u32 s3, s36, s2
	s_add_u32 s6, s12, s6
	s_addc_u32 s3, 0, s3
	s_mul_hi_u32 s13, s73, s7
	s_mul_i32 s7, s73, s7
	s_add_u32 s6, s6, s7
	s_mul_hi_u32 s12, s73, s2
	s_addc_u32 s3, s3, s13
	s_addc_u32 s6, s12, 0
	s_mul_i32 s2, s73, s2
	s_add_u32 s2, s3, s2
	s_addc_u32 s3, 0, s6
	s_mul_hi_u32 s6, s89, s2
	s_mul_i32 s2, s89, s2
	s_mul_i32 s3, s89, s3
	v_mov_b32_e32 v2, s2
	s_add_i32 s6, s6, s3
	v_sub_co_u32_e32 v2, vcc, s36, v2
	s_cmp_lg_u64 vcc, 0
	s_subb_u32 s2, s73, s6
	v_subrev_co_u32_e32 v3, vcc, s89, v2
	s_cmp_lg_u64 vcc, 0
	s_subb_u32 s3, s2, 0
	v_subrev_co_u32_e32 v6, vcc, s89, v3
	s_cmp_lg_u64 vcc, 0
	s_subb_u32 s6, s3, 0
	v_cmp_le_u32_e32 vcc, s89, v3
	s_cmp_eq_u32 s3, 0
	v_cndmask_b32_e64 v7, 0, -1, vcc
	s_cselect_b64 vcc, -1, 0
	v_cndmask_b32_e32 v7, -1, v7, vcc
	v_mov_b32_e32 v8, s3
	v_mov_b32_e32 v9, s6
	v_cmp_ne_u32_e32 vcc, 0, v7
	v_cndmask_b32_e32 v7, v8, v9, vcc
	v_cndmask_b32_e32 v6, v3, v6, vcc
	v_cmp_le_u32_e32 vcc, s89, v2
	s_cmp_eq_u32 s2, 0
	v_cndmask_b32_e64 v3, 0, -1, vcc
	s_cselect_b64 vcc, -1, 0
	v_cndmask_b32_e32 v3, -1, v3, vcc
	v_mov_b32_e32 v8, s2
	v_cmp_ne_u32_e32 vcc, 0, v3
	v_cndmask_b32_e32 v3, v8, v7, vcc
	v_cndmask_b32_e32 v2, v2, v6, vcc
	s_cbranch_execnz .LBB150_358
.LBB150_357:                            ;   in Loop: Header=BB150_18 Depth=1
	v_cvt_f32_u32_e32 v2, s89
	s_sub_i32 s2, 0, s89
	v_rcp_iflag_f32_e32 v2, v2
	v_mul_f32_e32 v2, 0x4f7ffffe, v2
	v_cvt_u32_f32_e32 v2, v2
	v_mul_lo_u32 v3, s2, v2
	v_mul_hi_u32 v3, v2, v3
	v_add_u32_e32 v2, v2, v3
	v_readlane_b32 s2, v47, 53
	v_mul_hi_u32 v2, s2, v2
	v_mul_lo_u32 v2, v2, s89
	v_sub_u32_e32 v2, s2, v2
	v_subrev_u32_e32 v3, s89, v2
	v_cmp_le_u32_e32 vcc, s89, v2
	v_cndmask_b32_e32 v2, v2, v3, vcc
	v_subrev_u32_e32 v3, s89, v2
	v_cmp_le_u32_e32 vcc, s89, v2
	v_cndmask_b32_e32 v14, v2, v3, vcc
	v_pk_mov_b32 v[2:3], v[14:15], v[14:15] op_sel:[0,1]
.LBB150_358:                            ;   in Loop: Header=BB150_18 Depth=1
	v_readlane_b32 s2, v47, 53
	v_mov_b32_e32 v6, s73
	v_sub_co_u32_e32 v2, vcc, s2, v2
	v_subb_co_u32_e32 v3, vcc, v6, v3, vcc
	v_cmp_gt_u64_e32 vcc, v[2:3], v[0:1]
	s_mov_b64 s[6:7], 0
                                        ; implicit-def: $vgpr21
	s_and_saveexec_b64 s[2:3], vcc
	s_cbranch_execz .LBB150_367
; %bb.359:                              ;   in Loop: Header=BB150_18 Depth=1
	s_mov_b64 s[12:13], 0
	v_pk_mov_b32 v[6:7], v[0:1], v[0:1] op_sel:[0,1]
                                        ; implicit-def: $sgpr36_sgpr37
	s_branch .LBB150_361
.LBB150_360:                            ;   in Loop: Header=BB150_361 Depth=2
	s_or_b64 exec, exec, s[6:7]
	s_waitcnt lgkmcnt(0)
	s_barrier
	ds_read_b64 v[20:21], v15 offset:3072
	v_mov_b32_e32 v8, s74
	v_add_co_u32_e32 v6, vcc, s89, v6
	v_addc_co_u32_e32 v7, vcc, v7, v8, vcc
	s_waitcnt lgkmcnt(0)
	v_readfirstlane_b32 s6, v20
	s_cmp_lg_u32 s6, 0
	s_cselect_b64 s[6:7], -1, 0
	v_cmp_ge_u64_e32 vcc, v[6:7], v[2:3]
	s_or_b64 s[40:41], vcc, s[6:7]
	s_and_b64 s[40:41], exec, s[40:41]
	s_or_b64 s[12:13], s[40:41], s[12:13]
	s_andn2_b64 s[36:37], s[36:37], exec
	s_and_b64 s[6:7], s[6:7], exec
	s_or_b64 s[36:37], s[36:37], s[6:7]
	s_barrier
	s_andn2_b64 exec, exec, s[12:13]
	s_cbranch_execz .LBB150_366
.LBB150_361:                            ;   Parent Loop BB150_18 Depth=1
                                        ; =>  This Inner Loop Header: Depth=2
	v_cmp_gt_u64_e32 vcc, s[60:61], v[6:7]
	s_waitcnt vmcnt(0)
	v_mov_b32_e32 v19, 0
	s_and_saveexec_b64 s[40:41], vcc
	s_cbranch_execz .LBB150_363
; %bb.362:                              ;   in Loop: Header=BB150_361 Depth=2
	v_mul_lo_u32 v14, v7, s58
	v_mul_lo_u32 v19, v6, s59
	v_mad_u64_u32 v[8:9], s[6:7], v6, s58, 0
	v_add3_u32 v9, v9, v19, v14
	v_lshlrev_b64 v[8:9], 2, v[8:9]
	v_mov_b32_e32 v14, s88
	v_add_co_u32_e64 v8, s[6:7], s33, v8
	v_addc_co_u32_e64 v9, s[6:7], v14, v9, s[6:7]
	global_load_dword v19, v[8:9], off
.LBB150_363:                            ;   in Loop: Header=BB150_361 Depth=2
	s_or_b64 exec, exec, s[40:41]
	s_and_saveexec_b64 s[6:7], vcc
	s_cbranch_execz .LBB150_360
; %bb.364:                              ;   in Loop: Header=BB150_361 Depth=2
	s_waitcnt vmcnt(0)
	v_xor_b32_e32 v8, 0x80000000, v19
	v_and_b32_e32 v8, v8, v36
	v_cmp_eq_u32_e32 vcc, v8, v37
	s_and_b64 exec, exec, vcc
	s_cbranch_execz .LBB150_360
; %bb.365:                              ;   in Loop: Header=BB150_361 Depth=2
	ds_write_b64 v15, v[18:19] offset:3072
	s_branch .LBB150_360
.LBB150_366:                            ;   in Loop: Header=BB150_18 Depth=1
	s_or_b64 exec, exec, s[12:13]
	s_and_b64 s[6:7], s[36:37], exec
.LBB150_367:                            ;   in Loop: Header=BB150_18 Depth=1
	s_or_b64 exec, exec, s[2:3]
	s_mov_b64 s[40:41], 0
	s_mov_b64 s[36:37], -1
	s_mov_b64 s[42:43], 0
.LBB150_368:                            ;   in Loop: Header=BB150_18 Depth=1
	s_orn2_b64 s[2:3], s[6:7], exec
.LBB150_369:                            ;   in Loop: Header=BB150_18 Depth=1
	s_or_b64 exec, exec, s[10:11]
	s_mov_b64 s[6:7], 0
                                        ; implicit-def: $vgpr8
	s_and_saveexec_b64 s[44:45], s[2:3]
	s_cbranch_execz .LBB150_482
; %bb.370:                              ;   in Loop: Header=BB150_18 Depth=1
	v_mov_b32_e32 v2, 1
	s_xor_b64 s[6:7], s[8:9], -1
	s_mov_b64 s[12:13], 0
	v_mov_b32_e32 v3, 0
	v_mov_b32_e32 v8, 1
	s_and_saveexec_b64 s[2:3], s[6:7]
	s_cbranch_execz .LBB150_380
; %bb.371:                              ;   in Loop: Header=BB150_18 Depth=1
	v_cmp_ge_u64_e32 vcc, s[22:23], v[4:5]
                                        ; implicit-def: $sgpr10
                                        ; implicit-def: $sgpr6_sgpr7
	s_and_saveexec_b64 s[8:9], vcc
	s_xor_b64 s[8:9], exec, s[8:9]
	s_cbranch_execz .LBB150_377
; %bb.372:                              ;   in Loop: Header=BB150_18 Depth=1
	ds_read_b64 v[2:3], v15 offset:5120
	s_waitcnt lgkmcnt(0)
	v_cmp_ne_u64_e32 vcc, 0, v[2:3]
	s_cbranch_vccnz .LBB150_376
; %bb.373:                              ;   in Loop: Header=BB150_18 Depth=1
	s_mov_b64 s[6:7], exec
	v_readlane_b32 s10, v47, 32
	v_readlane_b32 s11, v47, 33
	s_and_b64 s[10:11], s[6:7], s[10:11]
	s_mov_b64 exec, s[10:11]
	s_cbranch_execz .LBB150_375
; %bb.374:                              ;   in Loop: Header=BB150_18 Depth=1
	v_pk_mov_b32 v[2:3], s[22:23], s[22:23] op_sel:[0,1]
	ds_write_b64 v15, v[2:3] offset:5128
.LBB150_375:                            ;   in Loop: Header=BB150_18 Depth=1
	s_or_b64 exec, exec, s[6:7]
	s_waitcnt lgkmcnt(0)
	s_barrier
.LBB150_376:                            ;   in Loop: Header=BB150_18 Depth=1
	v_and_b32_e32 v2, s48, v37
	v_lshl_or_b32 v37, 2, s49, v2
	v_or_b32_e32 v36, s90, v36
	s_mov_b64 s[6:7], 0
	s_mov_b32 s10, 5
.LBB150_377:                            ;   in Loop: Header=BB150_18 Depth=1
	s_or_saveexec_b64 s[8:9], s[8:9]
	v_mov_b32_e32 v8, s10
	s_xor_b64 exec, exec, s[8:9]
; %bb.378:                              ;   in Loop: Header=BB150_18 Depth=1
	v_mov_b32_e32 v2, s23
	v_subrev_co_u32_e32 v4, vcc, s22, v4
	v_subb_co_u32_e32 v5, vcc, v5, v2, vcc
	v_mov_b32_e32 v8, 0
	s_or_b64 s[6:7], s[6:7], exec
; %bb.379:                              ;   in Loop: Header=BB150_18 Depth=1
	s_or_b64 exec, exec, s[8:9]
	s_and_b64 s[12:13], s[6:7], exec
	v_pk_mov_b32 v[2:3], v[4:5], v[4:5] op_sel:[0,1]
.LBB150_380:                            ;   in Loop: Header=BB150_18 Depth=1
	s_or_b64 exec, exec, s[2:3]
	s_mov_b64 s[2:3], -1
                                        ; implicit-def: $sgpr6_sgpr7
                                        ; implicit-def: $sgpr8_sgpr9
                                        ; implicit-def: $sgpr10_sgpr11
	s_and_saveexec_b64 s[22:23], s[12:13]
	s_cbranch_execz .LBB150_481
; %bb.381:                              ;   in Loop: Header=BB150_18 Depth=1
	s_cmp_eq_u64 s[18:19], 1
	s_cselect_b64 s[2:3], -1, 0
	v_cmp_eq_u64_e32 vcc, 1, v[2:3]
	s_and_b64 s[10:11], s[2:3], vcc
	s_mov_b64 s[6:7], -1
                                        ; implicit-def: $sgpr8_sgpr9
                                        ; implicit-def: $sgpr46_sgpr47
                                        ; implicit-def: $sgpr92_sgpr93
	s_and_saveexec_b64 s[50:51], s[10:11]
	s_cbranch_execz .LBB150_415
; %bb.382:                              ;   in Loop: Header=BB150_18 Depth=1
	ds_read_b64 v[4:5], v15 offset:5120
	s_waitcnt lgkmcnt(0)
	s_barrier
	v_readfirstlane_b32 s2, v4
	v_readfirstlane_b32 s3, v5
	s_mov_b64 s[6:7], exec
	v_readlane_b32 s8, v47, 48
	v_readlane_b32 s9, v47, 49
	s_and_b64 s[8:9], s[6:7], s[8:9]
	s_mov_b64 exec, s[8:9]
	s_cbranch_execz .LBB150_384
; %bb.383:                              ;   in Loop: Header=BB150_18 Depth=1
	ds_write_b32 v32, v15
.LBB150_384:                            ;   in Loop: Header=BB150_18 Depth=1
	s_or_b64 exec, exec, s[6:7]
	v_and_b32_e32 v4, s48, v37
	v_lshl_or_b32 v37, 1, s49, v4
	v_or_b32_e32 v36, s90, v36
	s_cmp_eq_u64 s[2:3], 0
	s_waitcnt lgkmcnt(0)
	s_barrier
	s_cbranch_scc1 .LBB150_398
; %bb.385:                              ;   in Loop: Header=BB150_18 Depth=1
	v_readlane_b32 s6, v47, 52
	s_add_u32 s12, s6, s2
	v_readlane_b32 s6, v47, 54
	s_addc_u32 s7, s6, s3
	s_mov_b32 s6, s91
	s_cmp_lg_u64 s[6:7], 0
	s_cbranch_scc0 .LBB150_433
; %bb.386:                              ;   in Loop: Header=BB150_18 Depth=1
	v_cvt_f32_u32_e32 v4, s89
	s_sub_u32 s6, 0, s89
	s_subb_u32 s8, 0, 0
	v_mac_f32_e32 v4, 0, v35
	v_rcp_f32_e32 v4, v4
	v_mul_f32_e32 v4, 0x5f7ffffc, v4
	v_mul_f32_e32 v5, 0x2f800000, v4
	v_trunc_f32_e32 v5, v5
	v_mac_f32_e32 v4, 0xcf800000, v5
	v_cvt_u32_f32_e32 v5, v5
	v_cvt_u32_f32_e32 v4, v4
	v_readfirstlane_b32 s9, v5
	v_readfirstlane_b32 s13, v4
	s_mul_i32 s46, s6, s9
	s_mul_hi_u32 s52, s6, s13
	s_mul_i32 s47, s8, s13
	s_add_i32 s46, s52, s46
	s_mul_i32 s53, s6, s13
	s_add_i32 s46, s46, s47
	s_mul_hi_u32 s52, s13, s53
	s_mul_hi_u32 s47, s13, s46
	s_mul_i32 s13, s13, s46
	s_add_u32 s13, s52, s13
	s_addc_u32 s47, 0, s47
	s_mul_hi_u32 s54, s9, s53
	s_mul_i32 s53, s9, s53
	s_add_u32 s13, s13, s53
	s_mul_hi_u32 s52, s9, s46
	s_addc_u32 s13, s47, s54
	s_addc_u32 s47, s52, 0
	s_mul_i32 s46, s9, s46
	s_add_u32 s13, s13, s46
	s_addc_u32 s46, 0, s47
	v_add_co_u32_e32 v4, vcc, s13, v4
	s_cmp_lg_u64 vcc, 0
	s_addc_u32 s9, s9, s46
	v_readfirstlane_b32 s46, v4
	s_mul_i32 s13, s6, s9
	s_mul_hi_u32 s47, s6, s46
	s_add_i32 s13, s47, s13
	s_mul_i32 s8, s8, s46
	s_add_i32 s13, s13, s8
	s_mul_i32 s6, s6, s46
	s_mul_hi_u32 s47, s9, s6
	s_mul_i32 s52, s9, s6
	s_mul_i32 s54, s46, s13
	s_mul_hi_u32 s6, s46, s6
	s_mul_hi_u32 s53, s46, s13
	s_add_u32 s6, s6, s54
	s_addc_u32 s46, 0, s53
	s_add_u32 s6, s6, s52
	s_mul_hi_u32 s8, s9, s13
	s_addc_u32 s6, s46, s47
	s_addc_u32 s8, s8, 0
	s_mul_i32 s13, s9, s13
	s_add_u32 s6, s6, s13
	s_addc_u32 s8, 0, s8
	v_add_co_u32_e32 v4, vcc, s6, v4
	s_cmp_lg_u64 vcc, 0
	s_addc_u32 s6, s9, s8
	v_readfirstlane_b32 s13, v4
	s_mul_i32 s9, s12, s6
	s_mul_hi_u32 s46, s12, s13
	s_mul_hi_u32 s8, s12, s6
	s_add_u32 s9, s46, s9
	s_addc_u32 s8, 0, s8
	s_mul_hi_u32 s47, s7, s13
	s_mul_i32 s13, s7, s13
	s_add_u32 s9, s9, s13
	s_mul_hi_u32 s46, s7, s6
	s_addc_u32 s8, s8, s47
	s_addc_u32 s9, s46, 0
	s_mul_i32 s6, s7, s6
	s_add_u32 s6, s8, s6
	s_addc_u32 s8, 0, s9
	s_mul_hi_u32 s9, s89, s6
	s_mul_i32 s6, s89, s6
	s_mul_i32 s8, s89, s8
	v_mov_b32_e32 v4, s6
	s_add_i32 s9, s9, s8
	v_sub_co_u32_e32 v4, vcc, s12, v4
	s_cmp_lg_u64 vcc, 0
	s_subb_u32 s6, s7, s9
	v_subrev_co_u32_e32 v5, vcc, s89, v4
	s_cmp_lg_u64 vcc, 0
	s_subb_u32 s8, s6, 0
	v_subrev_co_u32_e32 v6, vcc, s89, v5
	s_cmp_lg_u64 vcc, 0
	s_subb_u32 s9, s8, 0
	v_cmp_le_u32_e32 vcc, s89, v5
	s_cmp_eq_u32 s8, 0
	v_cndmask_b32_e64 v7, 0, -1, vcc
	s_cselect_b64 vcc, -1, 0
	v_cndmask_b32_e32 v7, -1, v7, vcc
	v_mov_b32_e32 v8, s8
	v_mov_b32_e32 v9, s9
	v_cmp_ne_u32_e32 vcc, 0, v7
	v_cndmask_b32_e32 v7, v8, v9, vcc
	v_cndmask_b32_e32 v6, v5, v6, vcc
	v_cmp_le_u32_e32 vcc, s89, v4
	s_cmp_eq_u32 s6, 0
	v_cndmask_b32_e64 v5, 0, -1, vcc
	s_cselect_b64 vcc, -1, 0
	v_cndmask_b32_e32 v5, -1, v5, vcc
	v_mov_b32_e32 v8, s6
	v_cmp_ne_u32_e32 vcc, 0, v5
	v_cndmask_b32_e32 v5, v8, v7, vcc
	v_cndmask_b32_e32 v4, v4, v6, vcc
	s_cbranch_execnz .LBB150_388
.LBB150_387:                            ;   in Loop: Header=BB150_18 Depth=1
	v_cvt_f32_u32_e32 v4, s89
	s_sub_i32 s6, 0, s89
	v_rcp_iflag_f32_e32 v4, v4
	v_mul_f32_e32 v4, 0x4f7ffffe, v4
	v_cvt_u32_f32_e32 v4, v4
	v_mul_lo_u32 v5, s6, v4
	v_mul_hi_u32 v5, v4, v5
	v_add_u32_e32 v4, v4, v5
	v_mul_hi_u32 v4, s12, v4
	v_mul_lo_u32 v4, v4, s89
	v_sub_u32_e32 v4, s12, v4
	v_subrev_u32_e32 v5, s89, v4
	v_cmp_le_u32_e32 vcc, s89, v4
	v_cndmask_b32_e32 v4, v4, v5, vcc
	v_subrev_u32_e32 v5, s89, v4
	v_cmp_le_u32_e32 vcc, s89, v4
	v_cndmask_b32_e32 v14, v4, v5, vcc
	v_pk_mov_b32 v[4:5], v[14:15], v[14:15] op_sel:[0,1]
.LBB150_388:                            ;   in Loop: Header=BB150_18 Depth=1
	v_mov_b32_e32 v6, s7
	v_sub_co_u32_e32 v4, vcc, s12, v4
	v_subb_co_u32_e32 v5, vcc, v6, v5, vcc
	v_cmp_gt_u64_e32 vcc, v[4:5], v[0:1]
	s_mov_b64 s[6:7], 0
                                        ; implicit-def: $vgpr21
	s_and_saveexec_b64 s[8:9], vcc
	s_cbranch_execz .LBB150_400
; %bb.389:                              ;   in Loop: Header=BB150_18 Depth=1
	v_mov_b32_e32 v8, v16
	v_pk_mov_b32 v[6:7], v[0:1], v[0:1] op_sel:[0,1]
                                        ; implicit-def: $sgpr12_sgpr13
	s_branch .LBB150_391
.LBB150_390:                            ;   in Loop: Header=BB150_391 Depth=2
	s_or_b64 exec, exec, s[46:47]
	s_waitcnt lgkmcnt(0)
	s_barrier
	ds_read_b64 v[20:21], v15 offset:3072
	v_mov_b32_e32 v9, s74
	v_add_co_u32_e32 v6, vcc, s89, v6
	v_addc_co_u32_e32 v7, vcc, v7, v9, vcc
	s_waitcnt lgkmcnt(0)
	v_readfirstlane_b32 s46, v20
	s_cmp_lg_u32 s46, 0
	s_cselect_b64 s[46:47], -1, 0
	v_cmp_ge_u64_e32 vcc, v[6:7], v[4:5]
	s_or_b64 s[52:53], vcc, s[46:47]
	s_and_b64 s[52:53], exec, s[52:53]
	s_or_b64 s[6:7], s[52:53], s[6:7]
	s_andn2_b64 s[12:13], s[12:13], exec
	s_and_b64 s[46:47], s[46:47], exec
	v_add_u32_e32 v8, s5, v8
	s_or_b64 s[12:13], s[12:13], s[46:47]
	s_barrier
	s_andn2_b64 exec, exec, s[6:7]
	s_cbranch_execz .LBB150_399
.LBB150_391:                            ;   Parent Loop BB150_18 Depth=1
                                        ; =>  This Inner Loop Header: Depth=2
	v_cmp_gt_u64_e32 vcc, s[2:3], v[6:7]
	s_waitcnt vmcnt(0)
	v_mov_b32_e32 v19, 0
	s_and_saveexec_b64 s[46:47], vcc
	s_cbranch_execz .LBB150_393
; %bb.392:                              ;   in Loop: Header=BB150_391 Depth=2
	ds_read_b32 v19, v8
.LBB150_393:                            ;   in Loop: Header=BB150_391 Depth=2
	s_or_b64 exec, exec, s[46:47]
	s_and_saveexec_b64 s[46:47], vcc
	s_cbranch_execz .LBB150_390
; %bb.394:                              ;   in Loop: Header=BB150_391 Depth=2
	s_waitcnt lgkmcnt(0)
	v_xor_b32_e32 v9, 0x80000000, v19
	v_and_b32_e32 v9, v9, v36
	v_cmp_eq_u32_e32 vcc, v9, v37
	s_and_b64 exec, exec, vcc
	s_cbranch_execz .LBB150_390
; %bb.395:                              ;   in Loop: Header=BB150_391 Depth=2
	ds_write_b64 v15, v[18:19] offset:3072
	s_branch .LBB150_390
.LBB150_396:                            ;   in Loop: Header=BB150_18 Depth=1
                                        ; implicit-def: $vgpr2_vgpr3
	s_branch .LBB150_341
.LBB150_397:                            ;   in Loop: Header=BB150_18 Depth=1
                                        ; implicit-def: $vgpr2_vgpr3
	s_branch .LBB150_357
.LBB150_398:                            ;   in Loop: Header=BB150_18 Depth=1
	s_mov_b64 s[8:9], -1
	s_mov_b64 s[6:7], 0
                                        ; implicit-def: $sgpr46_sgpr47
                                        ; implicit-def: $vgpr21
	s_mov_b64 s[92:93], s[8:9]
	s_cbranch_execnz .LBB150_401
	s_branch .LBB150_414
.LBB150_399:                            ;   in Loop: Header=BB150_18 Depth=1
	s_or_b64 exec, exec, s[6:7]
	s_and_b64 s[6:7], s[12:13], exec
.LBB150_400:                            ;   in Loop: Header=BB150_18 Depth=1
	s_or_b64 exec, exec, s[8:9]
	s_mov_b64 s[8:9], 0
	s_mov_b64 s[46:47], -1
	s_mov_b64 s[92:93], s[8:9]
	s_branch .LBB150_414
.LBB150_401:                            ;   in Loop: Header=BB150_18 Depth=1
	s_mov_b32 s72, s91
	s_cmp_lg_u64 s[72:73], 0
	s_cbranch_scc0 .LBB150_434
; %bb.402:                              ;   in Loop: Header=BB150_18 Depth=1
	v_cvt_f32_u32_e32 v4, s89
	s_sub_u32 s2, 0, s89
	s_subb_u32 s3, 0, 0
	v_mac_f32_e32 v4, 0, v35
	v_rcp_f32_e32 v4, v4
	v_mul_f32_e32 v4, 0x5f7ffffc, v4
	v_mul_f32_e32 v5, 0x2f800000, v4
	v_trunc_f32_e32 v5, v5
	v_mac_f32_e32 v4, 0xcf800000, v5
	v_cvt_u32_f32_e32 v5, v5
	v_cvt_u32_f32_e32 v4, v4
	v_readfirstlane_b32 s6, v5
	v_readfirstlane_b32 s7, v4
	s_mul_i32 s8, s2, s6
	s_mul_hi_u32 s12, s2, s7
	s_mul_i32 s9, s3, s7
	s_add_i32 s8, s12, s8
	s_mul_i32 s13, s2, s7
	s_add_i32 s8, s8, s9
	s_mul_hi_u32 s12, s7, s13
	s_mul_hi_u32 s9, s7, s8
	s_mul_i32 s7, s7, s8
	s_add_u32 s7, s12, s7
	s_addc_u32 s9, 0, s9
	s_mul_hi_u32 s46, s6, s13
	s_mul_i32 s13, s6, s13
	s_add_u32 s7, s7, s13
	s_mul_hi_u32 s12, s6, s8
	s_addc_u32 s7, s9, s46
	s_addc_u32 s9, s12, 0
	s_mul_i32 s8, s6, s8
	s_add_u32 s7, s7, s8
	s_addc_u32 s8, 0, s9
	v_add_co_u32_e32 v4, vcc, s7, v4
	s_cmp_lg_u64 vcc, 0
	s_addc_u32 s6, s6, s8
	v_readfirstlane_b32 s8, v4
	s_mul_i32 s7, s2, s6
	s_mul_hi_u32 s9, s2, s8
	s_add_i32 s7, s9, s7
	s_mul_i32 s3, s3, s8
	s_add_i32 s7, s7, s3
	s_mul_i32 s2, s2, s8
	s_mul_hi_u32 s9, s6, s2
	s_mul_i32 s12, s6, s2
	s_mul_i32 s46, s8, s7
	s_mul_hi_u32 s2, s8, s2
	s_mul_hi_u32 s13, s8, s7
	s_add_u32 s2, s2, s46
	s_addc_u32 s8, 0, s13
	s_add_u32 s2, s2, s12
	s_mul_hi_u32 s3, s6, s7
	s_addc_u32 s2, s8, s9
	s_addc_u32 s3, s3, 0
	s_mul_i32 s7, s6, s7
	s_add_u32 s2, s2, s7
	s_addc_u32 s3, 0, s3
	v_add_co_u32_e32 v4, vcc, s2, v4
	s_cmp_lg_u64 vcc, 0
	s_addc_u32 s2, s6, s3
	v_readlane_b32 s12, v47, 53
	v_readfirstlane_b32 s7, v4
	s_mul_i32 s6, s12, s2
	s_mul_hi_u32 s8, s12, s7
	s_mul_hi_u32 s3, s12, s2
	s_add_u32 s6, s8, s6
	s_addc_u32 s3, 0, s3
	s_mul_hi_u32 s9, s73, s7
	s_mul_i32 s7, s73, s7
	s_add_u32 s6, s6, s7
	s_mul_hi_u32 s8, s73, s2
	s_addc_u32 s3, s3, s9
	s_addc_u32 s6, s8, 0
	s_mul_i32 s2, s73, s2
	s_add_u32 s2, s3, s2
	s_addc_u32 s3, 0, s6
	s_mul_hi_u32 s6, s89, s2
	s_mul_i32 s2, s89, s2
	s_mul_i32 s3, s89, s3
	v_mov_b32_e32 v4, s2
	s_add_i32 s6, s6, s3
	v_sub_co_u32_e32 v4, vcc, s12, v4
	s_cmp_lg_u64 vcc, 0
	s_subb_u32 s2, s73, s6
	v_subrev_co_u32_e32 v5, vcc, s89, v4
	s_cmp_lg_u64 vcc, 0
	s_subb_u32 s3, s2, 0
	v_subrev_co_u32_e32 v6, vcc, s89, v5
	s_cmp_lg_u64 vcc, 0
	s_subb_u32 s6, s3, 0
	v_cmp_le_u32_e32 vcc, s89, v5
	s_cmp_eq_u32 s3, 0
	v_cndmask_b32_e64 v7, 0, -1, vcc
	s_cselect_b64 vcc, -1, 0
	v_cndmask_b32_e32 v7, -1, v7, vcc
	v_mov_b32_e32 v8, s3
	v_mov_b32_e32 v9, s6
	v_cmp_ne_u32_e32 vcc, 0, v7
	v_cndmask_b32_e32 v7, v8, v9, vcc
	v_cndmask_b32_e32 v6, v5, v6, vcc
	v_cmp_le_u32_e32 vcc, s89, v4
	s_cmp_eq_u32 s2, 0
	v_cndmask_b32_e64 v5, 0, -1, vcc
	s_cselect_b64 vcc, -1, 0
	v_cndmask_b32_e32 v5, -1, v5, vcc
	v_mov_b32_e32 v8, s2
	v_cmp_ne_u32_e32 vcc, 0, v5
	v_cndmask_b32_e32 v5, v8, v7, vcc
	v_cndmask_b32_e32 v4, v4, v6, vcc
	s_cbranch_execnz .LBB150_404
.LBB150_403:                            ;   in Loop: Header=BB150_18 Depth=1
	v_cvt_f32_u32_e32 v4, s89
	s_sub_i32 s2, 0, s89
	v_rcp_iflag_f32_e32 v4, v4
	v_mul_f32_e32 v4, 0x4f7ffffe, v4
	v_cvt_u32_f32_e32 v4, v4
	v_mul_lo_u32 v5, s2, v4
	v_mul_hi_u32 v5, v4, v5
	v_add_u32_e32 v4, v4, v5
	v_readlane_b32 s2, v47, 53
	v_mul_hi_u32 v4, s2, v4
	v_mul_lo_u32 v4, v4, s89
	v_sub_u32_e32 v4, s2, v4
	v_subrev_u32_e32 v5, s89, v4
	v_cmp_le_u32_e32 vcc, s89, v4
	v_cndmask_b32_e32 v4, v4, v5, vcc
	v_subrev_u32_e32 v5, s89, v4
	v_cmp_le_u32_e32 vcc, s89, v4
	v_cndmask_b32_e32 v14, v4, v5, vcc
	v_pk_mov_b32 v[4:5], v[14:15], v[14:15] op_sel:[0,1]
.LBB150_404:                            ;   in Loop: Header=BB150_18 Depth=1
	v_readlane_b32 s2, v47, 53
	v_mov_b32_e32 v6, s73
	v_sub_co_u32_e32 v4, vcc, s2, v4
	v_subb_co_u32_e32 v5, vcc, v6, v5, vcc
	v_cmp_gt_u64_e32 vcc, v[4:5], v[0:1]
	s_mov_b64 s[6:7], 0
                                        ; implicit-def: $vgpr21
	s_and_saveexec_b64 s[2:3], vcc
	s_cbranch_execz .LBB150_413
; %bb.405:                              ;   in Loop: Header=BB150_18 Depth=1
	s_mov_b64 s[8:9], 0
	v_pk_mov_b32 v[6:7], v[0:1], v[0:1] op_sel:[0,1]
                                        ; implicit-def: $sgpr12_sgpr13
	s_branch .LBB150_407
.LBB150_406:                            ;   in Loop: Header=BB150_407 Depth=2
	s_or_b64 exec, exec, s[6:7]
	s_waitcnt lgkmcnt(0)
	s_barrier
	ds_read_b64 v[20:21], v15 offset:3072
	v_mov_b32_e32 v8, s74
	v_add_co_u32_e32 v6, vcc, s89, v6
	v_addc_co_u32_e32 v7, vcc, v7, v8, vcc
	s_waitcnt lgkmcnt(0)
	v_readfirstlane_b32 s6, v20
	s_cmp_lg_u32 s6, 0
	s_cselect_b64 s[6:7], -1, 0
	v_cmp_ge_u64_e32 vcc, v[6:7], v[4:5]
	s_or_b64 s[46:47], vcc, s[6:7]
	s_and_b64 s[46:47], exec, s[46:47]
	s_or_b64 s[8:9], s[46:47], s[8:9]
	s_andn2_b64 s[12:13], s[12:13], exec
	s_and_b64 s[6:7], s[6:7], exec
	s_or_b64 s[12:13], s[12:13], s[6:7]
	s_barrier
	s_andn2_b64 exec, exec, s[8:9]
	s_cbranch_execz .LBB150_412
.LBB150_407:                            ;   Parent Loop BB150_18 Depth=1
                                        ; =>  This Inner Loop Header: Depth=2
	v_cmp_gt_u64_e32 vcc, s[60:61], v[6:7]
	s_waitcnt vmcnt(0)
	v_mov_b32_e32 v19, 0
	s_and_saveexec_b64 s[46:47], vcc
	s_cbranch_execz .LBB150_409
; %bb.408:                              ;   in Loop: Header=BB150_407 Depth=2
	v_mul_lo_u32 v14, v7, s58
	v_mul_lo_u32 v19, v6, s59
	v_mad_u64_u32 v[8:9], s[6:7], v6, s58, 0
	v_add3_u32 v9, v9, v19, v14
	v_lshlrev_b64 v[8:9], 2, v[8:9]
	v_mov_b32_e32 v14, s88
	v_add_co_u32_e64 v8, s[6:7], s33, v8
	v_addc_co_u32_e64 v9, s[6:7], v14, v9, s[6:7]
	global_load_dword v19, v[8:9], off
.LBB150_409:                            ;   in Loop: Header=BB150_407 Depth=2
	s_or_b64 exec, exec, s[46:47]
	s_and_saveexec_b64 s[6:7], vcc
	s_cbranch_execz .LBB150_406
; %bb.410:                              ;   in Loop: Header=BB150_407 Depth=2
	s_waitcnt vmcnt(0)
	v_xor_b32_e32 v8, 0x80000000, v19
	v_and_b32_e32 v8, v8, v36
	v_cmp_eq_u32_e32 vcc, v8, v37
	s_and_b64 exec, exec, vcc
	s_cbranch_execz .LBB150_406
; %bb.411:                              ;   in Loop: Header=BB150_407 Depth=2
	ds_write_b64 v15, v[18:19] offset:3072
	s_branch .LBB150_406
.LBB150_412:                            ;   in Loop: Header=BB150_18 Depth=1
	s_or_b64 exec, exec, s[8:9]
	s_and_b64 s[6:7], s[12:13], exec
.LBB150_413:                            ;   in Loop: Header=BB150_18 Depth=1
	s_or_b64 exec, exec, s[2:3]
	s_mov_b64 s[46:47], 0
	s_mov_b64 s[8:9], -1
	s_mov_b64 s[92:93], 0
.LBB150_414:                            ;   in Loop: Header=BB150_18 Depth=1
	s_orn2_b64 s[6:7], s[6:7], exec
.LBB150_415:                            ;   in Loop: Header=BB150_18 Depth=1
	s_or_b64 exec, exec, s[50:51]
	s_mov_b64 s[2:3], 0
                                        ; implicit-def: $vgpr8
	s_and_saveexec_b64 s[50:51], s[6:7]
	s_cbranch_execz .LBB150_480
; %bb.416:                              ;   in Loop: Header=BB150_18 Depth=1
	v_mov_b32_e32 v4, 1
	s_xor_b64 s[6:7], s[10:11], -1
	s_mov_b64 s[52:53], 0
	v_mov_b32_e32 v5, 0
	v_mov_b32_e32 v8, 1
	s_and_saveexec_b64 s[2:3], s[6:7]
	s_cbranch_execz .LBB150_426
; %bb.417:                              ;   in Loop: Header=BB150_18 Depth=1
	v_cmp_ge_u64_e32 vcc, s[18:19], v[2:3]
                                        ; implicit-def: $sgpr12
                                        ; implicit-def: $sgpr6_sgpr7
	s_and_saveexec_b64 s[10:11], vcc
	s_xor_b64 s[10:11], exec, s[10:11]
	s_cbranch_execz .LBB150_423
; %bb.418:                              ;   in Loop: Header=BB150_18 Depth=1
	ds_read_b64 v[4:5], v15 offset:5120
	s_waitcnt lgkmcnt(0)
	v_cmp_ne_u64_e32 vcc, 0, v[4:5]
	s_cbranch_vccnz .LBB150_422
; %bb.419:                              ;   in Loop: Header=BB150_18 Depth=1
	s_mov_b64 s[6:7], exec
	v_readlane_b32 s12, v47, 32
	v_readlane_b32 s13, v47, 33
	s_and_b64 s[12:13], s[6:7], s[12:13]
	s_mov_b64 exec, s[12:13]
	s_cbranch_execz .LBB150_421
; %bb.420:                              ;   in Loop: Header=BB150_18 Depth=1
	v_pk_mov_b32 v[4:5], s[18:19], s[18:19] op_sel:[0,1]
	ds_write_b64 v15, v[4:5] offset:5128
.LBB150_421:                            ;   in Loop: Header=BB150_18 Depth=1
	s_or_b64 exec, exec, s[6:7]
	s_waitcnt lgkmcnt(0)
	s_barrier
.LBB150_422:                            ;   in Loop: Header=BB150_18 Depth=1
	v_and_b32_e32 v4, s48, v37
	v_lshl_or_b32 v37, 1, s49, v4
	v_or_b32_e32 v36, s90, v36
	s_mov_b64 s[6:7], 0
	s_mov_b32 s12, 5
.LBB150_423:                            ;   in Loop: Header=BB150_18 Depth=1
	s_or_saveexec_b64 s[10:11], s[10:11]
	v_mov_b32_e32 v8, s12
	s_xor_b64 exec, exec, s[10:11]
; %bb.424:                              ;   in Loop: Header=BB150_18 Depth=1
	v_mov_b32_e32 v4, s19
	v_subrev_co_u32_e32 v2, vcc, s18, v2
	v_subb_co_u32_e32 v3, vcc, v3, v4, vcc
	v_mov_b32_e32 v8, 0
	s_or_b64 s[6:7], s[6:7], exec
; %bb.425:                              ;   in Loop: Header=BB150_18 Depth=1
	s_or_b64 exec, exec, s[10:11]
	s_and_b64 s[52:53], s[6:7], exec
	v_pk_mov_b32 v[4:5], v[2:3], v[2:3] op_sel:[0,1]
.LBB150_426:                            ;   in Loop: Header=BB150_18 Depth=1
	s_or_b64 exec, exec, s[2:3]
	s_mov_b64 s[10:11], -1
                                        ; implicit-def: $sgpr2_sgpr3
                                        ; implicit-def: $sgpr6_sgpr7
                                        ; implicit-def: $sgpr12_sgpr13
	s_and_saveexec_b64 s[18:19], s[52:53]
	s_cbranch_execz .LBB150_479
; %bb.427:                              ;   in Loop: Header=BB150_18 Depth=1
	s_cmp_eq_u64 s[16:17], 1
	s_cselect_b64 s[2:3], -1, 0
	v_cmp_eq_u64_e32 vcc, 1, v[4:5]
	s_and_b64 s[10:11], s[2:3], vcc
	s_mov_b64 s[54:55], -1
                                        ; implicit-def: $sgpr2_sgpr3
                                        ; implicit-def: $sgpr6_sgpr7
                                        ; implicit-def: $sgpr12_sgpr13
	s_and_saveexec_b64 s[52:53], s[10:11]
	s_cbranch_execz .LBB150_466
; %bb.428:                              ;   in Loop: Header=BB150_18 Depth=1
	ds_read_b64 v[2:3], v15 offset:5120
	s_waitcnt lgkmcnt(0)
	s_barrier
	v_readfirstlane_b32 s2, v2
	v_readfirstlane_b32 s3, v3
	s_mov_b64 s[6:7], exec
	v_readlane_b32 s12, v47, 48
	v_readlane_b32 s13, v47, 49
	s_and_b64 s[12:13], s[6:7], s[12:13]
	s_mov_b64 exec, s[12:13]
	s_cbranch_execz .LBB150_430
; %bb.429:                              ;   in Loop: Header=BB150_18 Depth=1
	ds_write_b32 v32, v15
.LBB150_430:                            ;   in Loop: Header=BB150_18 Depth=1
	s_or_b64 exec, exec, s[6:7]
	v_and_b32_e32 v37, s48, v37
	v_or_b32_e32 v36, s90, v36
	s_cmp_eq_u64 s[2:3], 0
	s_waitcnt lgkmcnt(0)
	s_barrier
	s_cbranch_scc1 .LBB150_435
; %bb.431:                              ;   in Loop: Header=BB150_18 Depth=1
	v_readlane_b32 s6, v47, 52
	s_add_u32 s49, s6, s2
	v_readlane_b32 s6, v47, 54
	s_addc_u32 s7, s6, s3
	s_mov_b32 s6, s91
	s_cmp_lg_u64 s[6:7], 0
	s_cbranch_scc0 .LBB150_436
; %bb.432:                              ;   in Loop: Header=BB150_18 Depth=1
	v_cvt_f32_u32_e32 v2, s89
	s_sub_u32 s6, 0, s89
	s_subb_u32 s12, 0, 0
	v_mac_f32_e32 v2, 0, v35
	v_rcp_f32_e32 v2, v2
	v_mul_f32_e32 v2, 0x5f7ffffc, v2
	v_mul_f32_e32 v3, 0x2f800000, v2
	v_trunc_f32_e32 v3, v3
	v_mac_f32_e32 v2, 0xcf800000, v3
	v_cvt_u32_f32_e32 v3, v3
	v_cvt_u32_f32_e32 v2, v2
	v_readfirstlane_b32 s13, v3
	v_readfirstlane_b32 s54, v2
	s_mul_i32 s55, s6, s13
	s_mul_hi_u32 s57, s6, s54
	s_mul_i32 s56, s12, s54
	s_add_i32 s55, s57, s55
	s_mul_i32 s72, s6, s54
	s_add_i32 s55, s55, s56
	s_mul_hi_u32 s57, s54, s72
	s_mul_hi_u32 s56, s54, s55
	s_mul_i32 s54, s54, s55
	s_add_u32 s54, s57, s54
	s_addc_u32 s56, 0, s56
	s_mul_hi_u32 s94, s13, s72
	s_mul_i32 s72, s13, s72
	s_add_u32 s54, s54, s72
	s_mul_hi_u32 s57, s13, s55
	s_addc_u32 s54, s56, s94
	s_addc_u32 s56, s57, 0
	s_mul_i32 s55, s13, s55
	s_add_u32 s54, s54, s55
	s_addc_u32 s55, 0, s56
	v_add_co_u32_e32 v2, vcc, s54, v2
	s_cmp_lg_u64 vcc, 0
	s_addc_u32 s13, s13, s55
	v_readfirstlane_b32 s55, v2
	s_mul_i32 s54, s6, s13
	s_mul_hi_u32 s56, s6, s55
	s_add_i32 s54, s56, s54
	s_mul_i32 s12, s12, s55
	s_add_i32 s54, s54, s12
	s_mul_i32 s6, s6, s55
	s_mul_hi_u32 s56, s13, s6
	s_mul_i32 s57, s13, s6
	s_mul_i32 s94, s55, s54
	s_mul_hi_u32 s6, s55, s6
	s_mul_hi_u32 s72, s55, s54
	s_add_u32 s6, s6, s94
	s_addc_u32 s55, 0, s72
	s_add_u32 s6, s6, s57
	s_mul_hi_u32 s12, s13, s54
	s_addc_u32 s6, s55, s56
	s_addc_u32 s12, s12, 0
	s_mul_i32 s54, s13, s54
	s_add_u32 s6, s6, s54
	s_addc_u32 s12, 0, s12
	v_add_co_u32_e32 v2, vcc, s6, v2
	s_cmp_lg_u64 vcc, 0
	s_addc_u32 s6, s13, s12
	v_readfirstlane_b32 s54, v2
	s_mul_i32 s13, s49, s6
	s_mul_hi_u32 s55, s49, s54
	s_mul_hi_u32 s12, s49, s6
	s_add_u32 s13, s55, s13
	s_addc_u32 s12, 0, s12
	s_mul_hi_u32 s56, s7, s54
	s_mul_i32 s54, s7, s54
	s_add_u32 s13, s13, s54
	s_mul_hi_u32 s55, s7, s6
	s_addc_u32 s12, s12, s56
	s_addc_u32 s13, s55, 0
	s_mul_i32 s6, s7, s6
	s_add_u32 s6, s12, s6
	s_addc_u32 s12, 0, s13
	s_mul_hi_u32 s13, s89, s6
	s_mul_i32 s6, s89, s6
	s_mul_i32 s12, s89, s12
	v_mov_b32_e32 v2, s6
	s_add_i32 s13, s13, s12
	v_sub_co_u32_e32 v2, vcc, s49, v2
	s_cmp_lg_u64 vcc, 0
	s_subb_u32 s6, s7, s13
	v_subrev_co_u32_e32 v3, vcc, s89, v2
	s_cmp_lg_u64 vcc, 0
	s_subb_u32 s12, s6, 0
	v_subrev_co_u32_e32 v6, vcc, s89, v3
	s_cmp_lg_u64 vcc, 0
	s_subb_u32 s13, s12, 0
	v_cmp_le_u32_e32 vcc, s89, v3
	s_cmp_eq_u32 s12, 0
	v_cndmask_b32_e64 v7, 0, -1, vcc
	s_cselect_b64 vcc, -1, 0
	v_cndmask_b32_e32 v7, -1, v7, vcc
	v_mov_b32_e32 v8, s12
	v_mov_b32_e32 v9, s13
	v_cmp_ne_u32_e32 vcc, 0, v7
	v_cndmask_b32_e32 v7, v8, v9, vcc
	v_cndmask_b32_e32 v6, v3, v6, vcc
	v_cmp_le_u32_e32 vcc, s89, v2
	s_cmp_eq_u32 s6, 0
	v_cndmask_b32_e64 v3, 0, -1, vcc
	s_cselect_b64 vcc, -1, 0
	v_cndmask_b32_e32 v3, -1, v3, vcc
	v_mov_b32_e32 v8, s6
	v_cmp_ne_u32_e32 vcc, 0, v3
	v_cndmask_b32_e32 v3, v8, v7, vcc
	v_cndmask_b32_e32 v2, v2, v6, vcc
	s_mov_b64 s[12:13], 0
	s_branch .LBB150_437
.LBB150_433:                            ;   in Loop: Header=BB150_18 Depth=1
                                        ; implicit-def: $vgpr4_vgpr5
	s_branch .LBB150_387
.LBB150_434:                            ;   in Loop: Header=BB150_18 Depth=1
                                        ; implicit-def: $vgpr4_vgpr5
	s_branch .LBB150_403
.LBB150_435:                            ;   in Loop: Header=BB150_18 Depth=1
	s_mov_b64 s[2:3], -1
	s_mov_b64 s[54:55], 0
                                        ; implicit-def: $sgpr6_sgpr7
                                        ; implicit-def: $vgpr21
	s_branch .LBB150_449
.LBB150_436:                            ;   in Loop: Header=BB150_18 Depth=1
	s_mov_b64 s[12:13], -1
                                        ; implicit-def: $vgpr2_vgpr3
.LBB150_437:                            ;   in Loop: Header=BB150_18 Depth=1
	s_andn2_b64 vcc, exec, s[12:13]
	s_cbranch_vccnz .LBB150_439
; %bb.438:                              ;   in Loop: Header=BB150_18 Depth=1
	v_cvt_f32_u32_e32 v2, s89
	s_sub_i32 s6, 0, s89
	v_rcp_iflag_f32_e32 v2, v2
	v_mul_f32_e32 v2, 0x4f7ffffe, v2
	v_cvt_u32_f32_e32 v2, v2
	v_mul_lo_u32 v3, s6, v2
	v_mul_hi_u32 v3, v2, v3
	v_add_u32_e32 v2, v2, v3
	v_mul_hi_u32 v2, s49, v2
	v_mul_lo_u32 v2, v2, s89
	v_sub_u32_e32 v2, s49, v2
	v_subrev_u32_e32 v3, s89, v2
	v_cmp_le_u32_e32 vcc, s89, v2
	v_cndmask_b32_e32 v2, v2, v3, vcc
	v_subrev_u32_e32 v3, s89, v2
	v_cmp_le_u32_e32 vcc, s89, v2
	v_cndmask_b32_e32 v14, v2, v3, vcc
	v_pk_mov_b32 v[2:3], v[14:15], v[14:15] op_sel:[0,1]
.LBB150_439:                            ;   in Loop: Header=BB150_18 Depth=1
	v_mov_b32_e32 v6, s7
	v_sub_co_u32_e32 v2, vcc, s49, v2
	v_subb_co_u32_e32 v3, vcc, v6, v3, vcc
	v_cmp_gt_u64_e32 vcc, v[2:3], v[0:1]
	s_mov_b64 s[54:55], 0
                                        ; implicit-def: $vgpr21
	s_and_saveexec_b64 s[6:7], vcc
	s_cbranch_execz .LBB150_448
; %bb.440:                              ;   in Loop: Header=BB150_18 Depth=1
	s_mov_b64 s[12:13], 0
	v_mov_b32_e32 v8, v16
	v_pk_mov_b32 v[6:7], v[0:1], v[0:1] op_sel:[0,1]
                                        ; implicit-def: $sgpr54_sgpr55
	s_branch .LBB150_442
.LBB150_441:                            ;   in Loop: Header=BB150_442 Depth=2
	s_or_b64 exec, exec, s[56:57]
	s_waitcnt lgkmcnt(0)
	s_barrier
	ds_read_b64 v[20:21], v15 offset:3072
	v_mov_b32_e32 v9, s74
	v_add_co_u32_e32 v6, vcc, s89, v6
	v_addc_co_u32_e32 v7, vcc, v7, v9, vcc
	s_waitcnt lgkmcnt(0)
	v_readfirstlane_b32 s49, v20
	s_cmp_lg_u32 s49, 0
	s_cselect_b64 s[56:57], -1, 0
	v_cmp_ge_u64_e32 vcc, v[6:7], v[2:3]
	s_or_b64 s[94:95], vcc, s[56:57]
	s_and_b64 s[94:95], exec, s[94:95]
	s_or_b64 s[12:13], s[94:95], s[12:13]
	s_andn2_b64 s[54:55], s[54:55], exec
	s_and_b64 s[56:57], s[56:57], exec
	v_add_u32_e32 v8, s5, v8
	s_or_b64 s[54:55], s[54:55], s[56:57]
	s_barrier
	s_andn2_b64 exec, exec, s[12:13]
	s_cbranch_execz .LBB150_447
.LBB150_442:                            ;   Parent Loop BB150_18 Depth=1
                                        ; =>  This Inner Loop Header: Depth=2
	v_cmp_gt_u64_e32 vcc, s[2:3], v[6:7]
	s_waitcnt vmcnt(0)
	v_mov_b32_e32 v19, 0
	s_and_saveexec_b64 s[56:57], vcc
	s_cbranch_execz .LBB150_444
; %bb.443:                              ;   in Loop: Header=BB150_442 Depth=2
	ds_read_b32 v19, v8
.LBB150_444:                            ;   in Loop: Header=BB150_442 Depth=2
	s_or_b64 exec, exec, s[56:57]
	s_and_saveexec_b64 s[56:57], vcc
	s_cbranch_execz .LBB150_441
; %bb.445:                              ;   in Loop: Header=BB150_442 Depth=2
	s_waitcnt lgkmcnt(0)
	v_xor_b32_e32 v9, 0x80000000, v19
	v_and_b32_e32 v9, v9, v36
	v_cmp_eq_u32_e32 vcc, v9, v37
	s_and_b64 exec, exec, vcc
	s_cbranch_execz .LBB150_441
; %bb.446:                              ;   in Loop: Header=BB150_442 Depth=2
	ds_write_b64 v15, v[18:19] offset:3072
	s_branch .LBB150_441
.LBB150_447:                            ;   in Loop: Header=BB150_18 Depth=1
	s_or_b64 exec, exec, s[12:13]
	s_and_b64 s[54:55], s[54:55], exec
.LBB150_448:                            ;   in Loop: Header=BB150_18 Depth=1
	s_or_b64 exec, exec, s[6:7]
	s_mov_b64 s[2:3], 0
	s_mov_b64 s[6:7], -1
.LBB150_449:                            ;   in Loop: Header=BB150_18 Depth=1
	s_and_b64 vcc, exec, s[2:3]
	s_mov_b64 s[12:13], s[2:3]
	s_cbranch_vccz .LBB150_465
; %bb.450:                              ;   in Loop: Header=BB150_18 Depth=1
	s_mov_b32 s72, s91
	s_cmp_lg_u64 s[72:73], 0
	s_cbranch_scc0 .LBB150_452
; %bb.451:                              ;   in Loop: Header=BB150_18 Depth=1
	v_cvt_f32_u32_e32 v2, s89
	s_sub_u32 s2, 0, s89
	s_subb_u32 s3, 0, 0
	v_mac_f32_e32 v2, 0, v35
	v_rcp_f32_e32 v2, v2
	v_mul_f32_e32 v2, 0x5f7ffffc, v2
	v_mul_f32_e32 v3, 0x2f800000, v2
	v_trunc_f32_e32 v3, v3
	v_mac_f32_e32 v2, 0xcf800000, v3
	v_cvt_u32_f32_e32 v3, v3
	v_cvt_u32_f32_e32 v2, v2
	v_readfirstlane_b32 s6, v3
	v_readfirstlane_b32 s7, v2
	s_mul_i32 s12, s2, s6
	s_mul_hi_u32 s49, s2, s7
	s_mul_i32 s13, s3, s7
	s_add_i32 s12, s49, s12
	s_mul_i32 s54, s2, s7
	s_add_i32 s12, s12, s13
	s_mul_hi_u32 s49, s7, s54
	s_mul_hi_u32 s13, s7, s12
	s_mul_i32 s7, s7, s12
	s_add_u32 s7, s49, s7
	s_addc_u32 s13, 0, s13
	s_mul_hi_u32 s55, s6, s54
	s_mul_i32 s54, s6, s54
	s_add_u32 s7, s7, s54
	s_mul_hi_u32 s49, s6, s12
	s_addc_u32 s7, s13, s55
	s_addc_u32 s13, s49, 0
	s_mul_i32 s12, s6, s12
	s_add_u32 s7, s7, s12
	s_addc_u32 s12, 0, s13
	v_add_co_u32_e32 v2, vcc, s7, v2
	s_cmp_lg_u64 vcc, 0
	s_addc_u32 s6, s6, s12
	v_readfirstlane_b32 s12, v2
	s_mul_i32 s7, s2, s6
	s_mul_hi_u32 s13, s2, s12
	s_add_i32 s7, s13, s7
	s_mul_i32 s3, s3, s12
	s_add_i32 s7, s7, s3
	s_mul_i32 s2, s2, s12
	s_mul_hi_u32 s13, s6, s2
	s_mul_i32 s49, s6, s2
	s_mul_i32 s55, s12, s7
	s_mul_hi_u32 s2, s12, s2
	s_mul_hi_u32 s54, s12, s7
	s_add_u32 s2, s2, s55
	s_addc_u32 s12, 0, s54
	s_add_u32 s2, s2, s49
	s_mul_hi_u32 s3, s6, s7
	s_addc_u32 s2, s12, s13
	s_addc_u32 s3, s3, 0
	s_mul_i32 s7, s6, s7
	s_add_u32 s2, s2, s7
	s_addc_u32 s3, 0, s3
	v_add_co_u32_e32 v2, vcc, s2, v2
	s_cmp_lg_u64 vcc, 0
	s_addc_u32 s2, s6, s3
	v_readlane_b32 s49, v47, 53
	v_readfirstlane_b32 s7, v2
	s_mul_i32 s6, s49, s2
	s_mul_hi_u32 s12, s49, s7
	s_mul_hi_u32 s3, s49, s2
	s_add_u32 s6, s12, s6
	s_addc_u32 s3, 0, s3
	s_mul_hi_u32 s13, s73, s7
	s_mul_i32 s7, s73, s7
	s_add_u32 s6, s6, s7
	s_mul_hi_u32 s12, s73, s2
	s_addc_u32 s3, s3, s13
	s_addc_u32 s6, s12, 0
	s_mul_i32 s2, s73, s2
	s_add_u32 s2, s3, s2
	s_addc_u32 s3, 0, s6
	s_mul_hi_u32 s6, s89, s2
	s_mul_i32 s2, s89, s2
	s_mul_i32 s3, s89, s3
	v_mov_b32_e32 v2, s2
	s_add_i32 s6, s6, s3
	v_sub_co_u32_e32 v2, vcc, s49, v2
	s_cmp_lg_u64 vcc, 0
	s_subb_u32 s2, s73, s6
	v_subrev_co_u32_e32 v3, vcc, s89, v2
	s_cmp_lg_u64 vcc, 0
	s_subb_u32 s3, s2, 0
	v_subrev_co_u32_e32 v6, vcc, s89, v3
	s_cmp_lg_u64 vcc, 0
	s_subb_u32 s6, s3, 0
	v_cmp_le_u32_e32 vcc, s89, v3
	s_cmp_eq_u32 s3, 0
	v_cndmask_b32_e64 v7, 0, -1, vcc
	s_cselect_b64 vcc, -1, 0
	v_cndmask_b32_e32 v7, -1, v7, vcc
	v_mov_b32_e32 v8, s3
	v_mov_b32_e32 v9, s6
	v_cmp_ne_u32_e32 vcc, 0, v7
	v_cndmask_b32_e32 v7, v8, v9, vcc
	v_cndmask_b32_e32 v6, v3, v6, vcc
	v_cmp_le_u32_e32 vcc, s89, v2
	s_cmp_eq_u32 s2, 0
	v_cndmask_b32_e64 v3, 0, -1, vcc
	s_cselect_b64 vcc, -1, 0
	v_cndmask_b32_e32 v3, -1, v3, vcc
	v_mov_b32_e32 v8, s2
	v_cmp_ne_u32_e32 vcc, 0, v3
	v_cndmask_b32_e32 v3, v8, v7, vcc
	v_cndmask_b32_e32 v2, v2, v6, vcc
	s_mov_b64 s[2:3], 0
	s_branch .LBB150_453
.LBB150_452:                            ;   in Loop: Header=BB150_18 Depth=1
	s_mov_b64 s[2:3], -1
                                        ; implicit-def: $vgpr2_vgpr3
.LBB150_453:                            ;   in Loop: Header=BB150_18 Depth=1
	s_andn2_b64 vcc, exec, s[2:3]
	s_cbranch_vccnz .LBB150_455
; %bb.454:                              ;   in Loop: Header=BB150_18 Depth=1
	v_cvt_f32_u32_e32 v2, s89
	s_sub_i32 s2, 0, s89
	v_rcp_iflag_f32_e32 v2, v2
	v_mul_f32_e32 v2, 0x4f7ffffe, v2
	v_cvt_u32_f32_e32 v2, v2
	v_mul_lo_u32 v3, s2, v2
	v_mul_hi_u32 v3, v2, v3
	v_add_u32_e32 v2, v2, v3
	v_readlane_b32 s2, v47, 53
	v_mul_hi_u32 v2, s2, v2
	v_mul_lo_u32 v2, v2, s89
	v_sub_u32_e32 v2, s2, v2
	v_subrev_u32_e32 v3, s89, v2
	v_cmp_le_u32_e32 vcc, s89, v2
	v_cndmask_b32_e32 v2, v2, v3, vcc
	v_subrev_u32_e32 v3, s89, v2
	v_cmp_le_u32_e32 vcc, s89, v2
	v_cndmask_b32_e32 v14, v2, v3, vcc
	v_pk_mov_b32 v[2:3], v[14:15], v[14:15] op_sel:[0,1]
.LBB150_455:                            ;   in Loop: Header=BB150_18 Depth=1
	v_readlane_b32 s2, v47, 53
	v_mov_b32_e32 v6, s73
	v_sub_co_u32_e32 v2, vcc, s2, v2
	v_subb_co_u32_e32 v3, vcc, v6, v3, vcc
	v_cmp_gt_u64_e32 vcc, v[2:3], v[0:1]
	s_mov_b64 s[54:55], 0
                                        ; implicit-def: $vgpr21
	s_and_saveexec_b64 s[2:3], vcc
	s_cbranch_execz .LBB150_464
; %bb.456:                              ;   in Loop: Header=BB150_18 Depth=1
	s_mov_b64 s[12:13], 0
	v_pk_mov_b32 v[6:7], v[0:1], v[0:1] op_sel:[0,1]
                                        ; implicit-def: $sgpr54_sgpr55
	s_branch .LBB150_458
.LBB150_457:                            ;   in Loop: Header=BB150_458 Depth=2
	s_or_b64 exec, exec, s[6:7]
	s_waitcnt lgkmcnt(0)
	s_barrier
	ds_read_b64 v[20:21], v15 offset:3072
	v_mov_b32_e32 v8, s74
	v_add_co_u32_e32 v6, vcc, s89, v6
	v_addc_co_u32_e32 v7, vcc, v7, v8, vcc
	s_waitcnt lgkmcnt(0)
	v_readfirstlane_b32 s6, v20
	s_cmp_lg_u32 s6, 0
	s_cselect_b64 s[6:7], -1, 0
	v_cmp_ge_u64_e32 vcc, v[6:7], v[2:3]
	s_or_b64 s[56:57], vcc, s[6:7]
	s_and_b64 s[56:57], exec, s[56:57]
	s_or_b64 s[12:13], s[56:57], s[12:13]
	s_andn2_b64 s[54:55], s[54:55], exec
	s_and_b64 s[6:7], s[6:7], exec
	s_or_b64 s[54:55], s[54:55], s[6:7]
	s_barrier
	s_andn2_b64 exec, exec, s[12:13]
	s_cbranch_execz .LBB150_463
.LBB150_458:                            ;   Parent Loop BB150_18 Depth=1
                                        ; =>  This Inner Loop Header: Depth=2
	v_cmp_gt_u64_e32 vcc, s[60:61], v[6:7]
	s_waitcnt vmcnt(0)
	v_mov_b32_e32 v19, 0
	s_and_saveexec_b64 s[56:57], vcc
	s_cbranch_execz .LBB150_460
; %bb.459:                              ;   in Loop: Header=BB150_458 Depth=2
	v_mul_lo_u32 v14, v7, s58
	v_mul_lo_u32 v19, v6, s59
	v_mad_u64_u32 v[8:9], s[6:7], v6, s58, 0
	v_add3_u32 v9, v9, v19, v14
	v_lshlrev_b64 v[8:9], 2, v[8:9]
	v_mov_b32_e32 v14, s88
	v_add_co_u32_e64 v8, s[6:7], s33, v8
	v_addc_co_u32_e64 v9, s[6:7], v14, v9, s[6:7]
	global_load_dword v19, v[8:9], off
.LBB150_460:                            ;   in Loop: Header=BB150_458 Depth=2
	s_or_b64 exec, exec, s[56:57]
	s_and_saveexec_b64 s[6:7], vcc
	s_cbranch_execz .LBB150_457
; %bb.461:                              ;   in Loop: Header=BB150_458 Depth=2
	s_waitcnt vmcnt(0)
	v_xor_b32_e32 v8, 0x80000000, v19
	v_and_b32_e32 v8, v8, v36
	v_cmp_eq_u32_e32 vcc, v8, v37
	s_and_b64 exec, exec, vcc
	s_cbranch_execz .LBB150_457
; %bb.462:                              ;   in Loop: Header=BB150_458 Depth=2
	ds_write_b64 v15, v[18:19] offset:3072
	s_branch .LBB150_457
.LBB150_463:                            ;   in Loop: Header=BB150_18 Depth=1
	s_or_b64 exec, exec, s[12:13]
	s_and_b64 s[54:55], s[54:55], exec
.LBB150_464:                            ;   in Loop: Header=BB150_18 Depth=1
	s_or_b64 exec, exec, s[2:3]
	s_mov_b64 s[6:7], 0
	s_mov_b64 s[2:3], -1
	s_mov_b64 s[12:13], 0
.LBB150_465:                            ;   in Loop: Header=BB150_18 Depth=1
	s_orn2_b64 s[54:55], s[54:55], exec
.LBB150_466:                            ;   in Loop: Header=BB150_18 Depth=1
	s_or_b64 exec, exec, s[52:53]
	s_mov_b64 s[56:57], 0
                                        ; implicit-def: $vgpr8
                                        ; implicit-def: $vgpr2_vgpr3
	s_and_saveexec_b64 s[52:53], s[54:55]
	s_cbranch_execz .LBB150_478
; %bb.467:                              ;   in Loop: Header=BB150_18 Depth=1
	v_mov_b32_e32 v2, 1
	s_xor_b64 s[54:55], s[10:11], -1
	v_mov_b32_e32 v8, 1
	v_mov_b32_e32 v3, 0
	s_and_saveexec_b64 s[10:11], s[54:55]
	s_cbranch_execz .LBB150_477
; %bb.468:                              ;   in Loop: Header=BB150_18 Depth=1
	v_cmp_ge_u64_e32 vcc, s[16:17], v[4:5]
                                        ; implicit-def: $sgpr49
	s_and_saveexec_b64 s[54:55], vcc
	s_xor_b64 s[54:55], exec, s[54:55]
	s_cbranch_execz .LBB150_474
; %bb.469:                              ;   in Loop: Header=BB150_18 Depth=1
	ds_read_b64 v[2:3], v15 offset:5120
	s_waitcnt lgkmcnt(0)
	v_cmp_ne_u64_e32 vcc, 0, v[2:3]
	s_cbranch_vccnz .LBB150_473
; %bb.470:                              ;   in Loop: Header=BB150_18 Depth=1
	s_mov_b64 s[56:57], exec
	v_readlane_b32 s94, v47, 32
	v_readlane_b32 s95, v47, 33
	s_and_b64 s[94:95], s[56:57], s[94:95]
	s_mov_b64 exec, s[94:95]
	s_cbranch_execz .LBB150_472
; %bb.471:                              ;   in Loop: Header=BB150_18 Depth=1
	v_pk_mov_b32 v[2:3], s[16:17], s[16:17] op_sel:[0,1]
	ds_write_b64 v15, v[2:3] offset:5128
.LBB150_472:                            ;   in Loop: Header=BB150_18 Depth=1
	s_or_b64 exec, exec, s[56:57]
	s_waitcnt lgkmcnt(0)
	s_barrier
.LBB150_473:                            ;   in Loop: Header=BB150_18 Depth=1
	v_and_b32_e32 v37, s48, v37
	v_or_b32_e32 v36, s90, v36
	s_mov_b32 s49, 5
.LBB150_474:                            ;   in Loop: Header=BB150_18 Depth=1
	s_or_saveexec_b64 s[54:55], s[54:55]
	v_mov_b32_e32 v8, s49
	s_xor_b64 exec, exec, s[54:55]
; %bb.475:                              ;   in Loop: Header=BB150_18 Depth=1
	v_mov_b32_e32 v2, s17
	v_subrev_co_u32_e32 v4, vcc, s16, v4
	v_subb_co_u32_e32 v5, vcc, v5, v2, vcc
	v_mov_b32_e32 v8, 5
; %bb.476:                              ;   in Loop: Header=BB150_18 Depth=1
	s_or_b64 exec, exec, s[54:55]
	v_pk_mov_b32 v[2:3], v[4:5], v[4:5] op_sel:[0,1]
.LBB150_477:                            ;   in Loop: Header=BB150_18 Depth=1
	s_or_b64 exec, exec, s[10:11]
	s_mov_b64 s[56:57], exec
.LBB150_478:                            ;   in Loop: Header=BB150_18 Depth=1
	s_or_b64 exec, exec, s[52:53]
	s_orn2_b64 s[10:11], s[56:57], exec
	v_pk_mov_b32 v[4:5], v[2:3], v[2:3] op_sel:[0,1]
.LBB150_479:                            ;   in Loop: Header=BB150_18 Depth=1
	s_or_b64 exec, exec, s[18:19]
	s_andn2_b64 s[8:9], s[8:9], exec
	s_and_b64 s[2:3], s[2:3], exec
	s_or_b64 s[8:9], s[8:9], s[2:3]
	s_andn2_b64 s[2:3], s[46:47], exec
	s_and_b64 s[6:7], s[6:7], exec
	s_or_b64 s[46:47], s[2:3], s[6:7]
	s_andn2_b64 s[2:3], s[92:93], exec
	s_and_b64 s[6:7], s[12:13], exec
	s_or_b64 s[92:93], s[2:3], s[6:7]
	s_and_b64 s[2:3], s[10:11], exec
	v_pk_mov_b32 v[2:3], v[4:5], v[4:5] op_sel:[0,1]
.LBB150_480:                            ;   in Loop: Header=BB150_18 Depth=1
	s_or_b64 exec, exec, s[50:51]
	s_and_b64 s[10:11], s[8:9], exec
	s_and_b64 s[8:9], s[46:47], exec
	;; [unrolled: 1-line block ×3, first 2 shown]
	s_orn2_b64 s[2:3], s[2:3], exec
.LBB150_481:                            ;   in Loop: Header=BB150_18 Depth=1
	s_or_b64 exec, exec, s[22:23]
	s_andn2_b64 s[12:13], s[36:37], exec
	s_and_b64 s[10:11], s[10:11], exec
	s_or_b64 s[36:37], s[12:13], s[10:11]
	s_andn2_b64 s[10:11], s[40:41], exec
	s_and_b64 s[8:9], s[8:9], exec
	s_or_b64 s[40:41], s[10:11], s[8:9]
	;; [unrolled: 3-line block ×3, first 2 shown]
	s_and_b64 s[6:7], s[2:3], exec
	v_pk_mov_b32 v[4:5], v[2:3], v[2:3] op_sel:[0,1]
.LBB150_482:                            ;   in Loop: Header=BB150_18 Depth=1
	s_or_b64 exec, exec, s[44:45]
	s_and_b64 s[10:11], s[36:37], exec
	s_and_b64 s[8:9], s[40:41], exec
	;; [unrolled: 1-line block ×3, first 2 shown]
	s_orn2_b64 s[36:37], s[6:7], exec
.LBB150_483:                            ;   in Loop: Header=BB150_18 Depth=1
	s_or_b64 exec, exec, s[24:25]
	s_mov_b64 s[6:7], s[28:29]
	s_mov_b64 s[12:13], s[26:27]
	s_and_saveexec_b64 s[16:17], s[36:37]
; %bb.484:                              ;   in Loop: Header=BB150_18 Depth=1
	v_cmp_ne_u32_e64 s[6:7], 5, v8
	v_cmp_eq_u32_e32 vcc, 5, v8
	s_andn2_b64 s[12:13], s[26:27], exec
	s_and_b64 s[6:7], s[6:7], exec
	s_or_b64 s[12:13], s[12:13], s[6:7]
	s_andn2_b64 s[6:7], s[28:29], exec
	s_and_b64 s[18:19], vcc, exec
	s_andn2_b64 s[10:11], s[10:11], exec
	s_andn2_b64 s[8:9], s[8:9], exec
	;; [unrolled: 1-line block ×3, first 2 shown]
	s_or_b64 s[6:7], s[6:7], s[18:19]
; %bb.485:                              ;   in Loop: Header=BB150_18 Depth=1
	s_or_b64 exec, exec, s[16:17]
	s_andn2_b64 s[14:15], s[14:15], exec
	s_and_b64 s[10:11], s[10:11], exec
	s_or_b64 s[14:15], s[14:15], s[10:11]
	s_andn2_b64 s[10:11], s[38:39], exec
	s_and_b64 s[8:9], s[8:9], exec
	s_or_b64 s[38:39], s[10:11], s[8:9]
	s_andn2_b64 s[8:9], s[20:21], exec
	s_and_b64 s[2:3], s[2:3], exec
	s_or_b64 s[20:21], s[8:9], s[2:3]
	s_andn2_b64 s[2:3], s[26:27], exec
	s_and_b64 s[8:9], s[12:13], exec
	s_or_b64 s[26:27], s[2:3], s[8:9]
	s_andn2_b64 s[2:3], s[28:29], exec
	s_and_b64 s[6:7], s[6:7], exec
	s_or_b64 s[28:29], s[2:3], s[6:7]
	v_mov_b32_e32 v20, v37
	v_mov_b32_e32 v24, v36
	;; [unrolled: 1-line block ×3, first 2 shown]
.LBB150_486:                            ;   in Loop: Header=BB150_18 Depth=1
	s_or_b64 exec, exec, s[34:35]
	s_mov_b64 s[36:37], s[20:21]
	s_mov_b64 s[34:35], s[20:21]
	s_and_saveexec_b64 s[2:3], s[28:29]
.LBB150_487:                            ;   in Loop: Header=BB150_18 Depth=1
	v_mov_b32_e32 v8, 0
	s_andn2_b64 s[20:21], s[20:21], exec
	s_andn2_b64 s[14:15], s[14:15], exec
	;; [unrolled: 1-line block ×5, first 2 shown]
	s_or_b64 s[26:27], s[26:27], exec
.LBB150_488:                            ;   in Loop: Header=BB150_18 Depth=1
	s_or_b64 exec, exec, s[2:3]
	s_andn2_b64 s[2:3], s[78:79], exec
	s_and_b64 s[8:9], s[20:21], exec
	s_or_b64 s[78:79], s[2:3], s[8:9]
	s_andn2_b64 s[2:3], s[76:77], exec
	s_and_b64 s[8:9], s[14:15], exec
	s_or_b64 s[76:77], s[2:3], s[8:9]
	;; [unrolled: 3-line block ×4, first 2 shown]
	s_andn2_b64 s[2:3], s[70:71], exec
	s_and_b64 s[8:9], s[34:35], exec
	s_mov_b64 s[6:7], -1
	s_or_b64 s[70:71], s[2:3], s[8:9]
                                        ; implicit-def: $vgpr36
                                        ; implicit-def: $vgpr37
                                        ; implicit-def: $vgpr22_vgpr23
                                        ; implicit-def: $vgpr21
	s_and_saveexec_b64 s[2:3], s[26:27]
	s_xor_b64 s[2:3], exec, s[2:3]
	s_cbranch_execz .LBB150_17
; %bb.489:                              ;   in Loop: Header=BB150_18 Depth=1
	v_cmp_eq_u32_e32 vcc, 0, v8
	s_mov_b64 s[8:9], -1
	s_and_saveexec_b64 s[10:11], vcc
	s_cbranch_execz .LBB150_16
; %bb.490:                              ;   in Loop: Header=BB150_18 Depth=1
	v_readlane_b32 s6, v47, 62
	s_xor_b32 s6, s6, 1
	s_add_i32 s12, s75, -2
	s_cmp_eq_u32 s75, 0
	v_writelane_b32 v47, s6, 62
	s_cselect_b64 s[6:7], -1, 0
	s_xor_b64 s[8:9], exec, -1
	s_orn2_b64 s[6:7], s[6:7], exec
	s_mov_b32 s75, s12
	s_branch .LBB150_16
.LBB150_491:
	s_or_b64 exec, exec, s[82:83]
	s_xor_b64 s[4:5], s[68:69], -1
	s_xor_b64 s[14:15], s[66:67], -1
	;; [unrolled: 1-line block ×5, first 2 shown]
	s_mov_b64 s[8:9], 0
	s_and_saveexec_b64 s[10:11], s[6:7]
	s_xor_b64 s[6:7], exec, s[10:11]
	s_cbranch_execnz .LBB150_496
; %bb.492:
	s_andn2_saveexec_b64 s[0:1], s[6:7]
	s_cbranch_execnz .LBB150_515
.LBB150_493:
	s_or_b64 exec, exec, s[0:1]
	s_and_saveexec_b64 s[0:1], s[8:9]
.LBB150_494:
	; divergent unreachable
.LBB150_495:
	s_endpgm
.LBB150_496:
	s_mov_b64 s[10:11], 0
	s_and_saveexec_b64 s[8:9], s[12:13]
	s_xor_b64 s[8:9], exec, s[8:9]
	s_cbranch_execz .LBB150_513
; %bb.497:
	s_mov_b64 s[12:13], 0
	s_and_saveexec_b64 s[10:11], s[14:15]
	s_xor_b64 s[10:11], exec, s[10:11]
	s_cbranch_execz .LBB150_511
; %bb.498:
	;; [unrolled: 5-line block ×3, first 2 shown]
	s_and_saveexec_b64 s[4:5], s[2:3]
	s_xor_b64 s[2:3], exec, s[4:5]
; %bb.500:
	v_xor_b32_e32 v3, 0x80000000, v20
; %bb.501:
	s_or_b64 exec, exec, s[2:3]
	s_mov_b64 s[2:3], exec
	v_readlane_b32 s4, v47, 32
	v_readlane_b32 s5, v47, 33
	v_readlane_b32 s24, v47, 36
	v_readlane_b32 s38, v47, 38
	s_and_b64 s[4:5], s[2:3], s[4:5]
	v_readlane_b32 s25, v47, 37
	v_readlane_b32 s20, v47, 34
	;; [unrolled: 1-line block ×4, first 2 shown]
	s_mov_b64 exec, s[4:5]
	s_cbranch_execz .LBB150_503
; %bb.502:
	v_mov_b32_e32 v4, 0
	v_mov_b32_e32 v5, v4
	ds_write_b64 v4, v[4:5] offset:5136
.LBB150_503:
	s_or_b64 exec, exec, s[2:3]
	v_mov_b32_e32 v2, 0
	s_waitcnt lgkmcnt(0)
	s_barrier
	s_mov_b64 s[2:3], exec
	v_readlane_b32 s4, v47, 46
	v_readlane_b32 s5, v47, 47
	s_and_b64 s[4:5], s[2:3], s[4:5]
	s_mov_b64 exec, s[4:5]
	s_cbranch_execz .LBB150_505
; %bb.504:
	global_load_dword v2, v[12:13], off
.LBB150_505:
	s_or_b64 exec, exec, s[2:3]
	v_readlane_b32 s40, v47, 24
	s_add_u32 s2, s60, 63
	v_readlane_b32 s42, v47, 26
	v_readlane_b32 s43, v47, 27
	;; [unrolled: 1-line block ×3, first 2 shown]
	s_addc_u32 s15, s61, 0
	s_and_b32 s14, s2, 0xffffffc0
	s_mul_i32 s2, s34, s43
	s_mul_hi_u32 s3, s34, s42
	s_add_i32 s3, s3, s2
	s_mul_i32 s2, s34, s42
	v_readlane_b32 s16, v47, 10
	s_sub_u32 s2, s20, s2
	v_readlane_b32 s17, v47, 11
	s_subb_u32 s3, 0, s3
	s_mul_i32 s4, s2, s17
	s_mul_hi_u32 s5, s2, s16
	s_add_i32 s4, s5, s4
	s_mul_i32 s3, s3, s16
	s_add_i32 s3, s4, s3
	v_readlane_b32 s28, v47, 2
	v_readlane_b32 s4, v47, 0
	;; [unrolled: 1-line block ×4, first 2 shown]
	s_mov_b32 s18, s4
	s_mul_i32 s4, s4, s29
	s_mul_hi_u32 s5, s18, s28
	s_add_i32 s5, s5, s4
	s_mul_i32 s4, s18, s28
	v_readlane_b32 s22, v47, 8
	v_readlane_b32 s44, v47, 18
	;; [unrolled: 1-line block ×3, first 2 shown]
	s_sub_u32 s4, s22, s4
	v_readlane_b32 s46, v47, 20
	v_readlane_b32 s47, v47, 21
	s_mul_i32 s2, s2, s16
	s_subb_u32 s5, s23, s5
	s_mul_i32 s16, s4, s47
	s_mul_hi_u32 s17, s4, s46
	v_readlane_b32 s45, v47, 19
	s_add_i32 s16, s17, s16
	s_mul_i32 s5, s5, s46
	v_readlane_b32 s30, v47, 4
	v_readlane_b32 s31, v47, 5
	s_add_i32 s5, s16, s5
	s_mul_i32 s16, s18, s45
	s_mul_hi_u32 s17, s18, s44
	s_add_i32 s17, s17, s16
	s_mul_i32 s16, s18, s44
	s_mul_i32 s18, s22, s31
	s_mul_hi_u32 s19, s22, s30
	s_add_i32 s19, s19, s18
	s_mul_i32 s18, s22, s30
	v_readlane_b32 s22, v47, 16
	s_sub_u32 s18, s20, s18
	v_readlane_b32 s23, v47, 17
	s_subb_u32 s19, 0, s19
	s_mul_i32 s20, s18, s23
	s_mul_hi_u32 s21, s18, s22
	s_add_i32 s20, s21, s20
	s_mul_i32 s19, s19, s22
	s_add_i32 s19, s20, s19
	v_readlane_b32 s20, v47, 6
	v_readlane_b32 s41, v47, 25
	;; [unrolled: 1-line block ×3, first 2 shown]
	s_mov_b32 s26, s20
	s_mul_i32 s20, s20, s41
	s_mul_hi_u32 s21, s26, s40
	s_add_i32 s21, s21, s20
	s_mul_i32 s20, s26, s40
	v_readlane_b32 s28, v47, 12
	v_readlane_b32 s35, v47, 23
	s_sub_u32 s20, s34, s20
	v_readlane_b32 s30, v47, 14
	v_readlane_b32 s31, v47, 15
	s_mul_i32 s18, s18, s22
	s_subb_u32 s21, s35, s21
	s_mul_i32 s22, s20, s31
	s_mul_hi_u32 s23, s20, s30
	v_readlane_b32 s29, v47, 13
	s_add_i32 s22, s23, s22
	s_mul_i32 s21, s21, s30
	s_add_i32 s21, s22, s21
	s_mul_i32 s22, s26, s29
	s_mul_hi_u32 s23, s26, s28
	s_add_i32 s23, s23, s22
	s_mul_i32 s22, s26, s28
	s_lshl_b64 s[16:17], s[16:17], 2
	v_readlane_b32 s26, v47, 30
	s_mul_i32 s4, s4, s46
	v_readlane_b32 s27, v47, 31
	s_add_u32 s16, s26, s16
	s_addc_u32 s17, s27, s17
	s_lshl_b64 s[4:5], s[4:5], 2
	s_add_u32 s16, s16, s4
	s_addc_u32 s17, s17, s5
	s_lshl_b64 s[4:5], s[18:19], 2
	;; [unrolled: 3-line block ×3, first 2 shown]
	v_readlane_b32 s16, v47, 28
	s_mul_i32 s20, s20, s30
	v_readlane_b32 s17, v47, 29
	s_add_u32 s16, s16, s4
	s_addc_u32 s17, s17, s5
	s_lshl_b64 s[4:5], s[20:21], 3
	s_add_u32 s4, s16, s4
	s_addc_u32 s5, s17, s5
	s_load_dwordx2 s[16:17], s[24:25], 0x368
	s_load_dwordx2 s[18:19], s[24:25], 0x510
	s_lshl_b64 s[2:3], s[2:3], 3
	s_add_u32 s48, s4, s2
	s_addc_u32 s49, s5, s3
	v_cmp_gt_u64_e32 vcc, s[14:15], v[0:1]
	s_mov_b64 s[22:23], -1
	s_mov_b64 s[2:3], 0
	s_mov_b64 s[4:5], 0
	s_and_saveexec_b64 s[20:21], vcc
	s_cbranch_execnz .LBB150_516
; %bb.506:
	s_or_b64 exec, exec, s[20:21]
	s_and_saveexec_b64 s[20:21], s[22:23]
	s_cbranch_execnz .LBB150_531
.LBB150_507:
	s_or_b64 exec, exec, s[20:21]
	s_and_saveexec_b64 s[0:1], s[4:5]
	s_xor_b64 s[0:1], exec, s[0:1]
	s_cbranch_execnz .LBB150_553
.LBB150_508:
	s_or_b64 exec, exec, s[0:1]
	s_and_b64 s[14:15], s[2:3], exec
.LBB150_509:
	s_andn2_saveexec_b64 s[0:1], s[12:13]
	s_cbranch_execnz .LBB150_556
.LBB150_510:
	s_or_b64 exec, exec, s[0:1]
	s_and_b64 s[12:13], s[14:15], exec
.LBB150_511:
	s_andn2_saveexec_b64 s[0:1], s[10:11]
	s_cbranch_execnz .LBB150_555
.LBB150_512:
	s_or_b64 exec, exec, s[0:1]
	s_and_b64 s[10:11], s[12:13], exec
.LBB150_513:
	s_andn2_saveexec_b64 s[0:1], s[8:9]
	s_cbranch_execnz .LBB150_554
.LBB150_514:
	s_or_b64 exec, exec, s[0:1]
	s_and_b64 s[8:9], s[10:11], exec
	s_andn2_saveexec_b64 s[0:1], s[6:7]
	s_cbranch_execz .LBB150_493
.LBB150_515:
	s_or_b64 s[8:9], s[8:9], exec
	s_trap 2
	s_or_b64 exec, exec, s[0:1]
	s_and_saveexec_b64 s[0:1], s[8:9]
	s_cbranch_execnz .LBB150_494
	s_branch .LBB150_495
.LBB150_516:
	v_xor_b32_e32 v18, 0x80000000, v3
	s_mov_b64 s[22:23], 0
	s_waitcnt vmcnt(0)
	v_mov_b32_e32 v19, s74
	v_mov_b32_e32 v5, 0
	v_pk_mov_b32 v[14:15], v[0:1], v[0:1] op_sel:[0,1]
                                        ; implicit-def: $sgpr24_sgpr25
                                        ; implicit-def: $vgpr8_vgpr9
	s_branch .LBB150_518
.LBB150_517:                            ;   in Loop: Header=BB150_518 Depth=1
	s_or_b64 exec, exec, s[26:27]
	s_xor_b64 s[26:27], s[30:31], -1
	s_and_b64 s[4:5], exec, s[4:5]
	s_or_b64 s[22:23], s[4:5], s[22:23]
	s_andn2_b64 s[4:5], s[24:25], exec
	s_and_b64 s[24:25], s[26:27], exec
	s_or_b64 s[24:25], s[4:5], s[24:25]
	s_waitcnt vmcnt(0)
	v_mov_b32_e32 v2, v20
	v_pk_mov_b32 v[14:15], v[6:7], v[6:7] op_sel:[0,1]
	s_andn2_b64 exec, exec, s[22:23]
	s_cbranch_execz .LBB150_530
.LBB150_518:                            ; =>This Inner Loop Header: Depth=1
	v_add_co_u32_e32 v6, vcc, s89, v14
	v_addc_co_u32_e32 v7, vcc, v15, v19, vcc
	v_cmp_gt_u64_e32 vcc, s[60:61], v[6:7]
	v_mov_b32_e32 v20, 0
	s_and_saveexec_b64 s[4:5], vcc
	s_cbranch_execz .LBB150_520
; %bb.519:                              ;   in Loop: Header=BB150_518 Depth=1
	v_mul_lo_u32 v4, v7, s58
	v_mul_lo_u32 v20, v6, s59
	v_mad_u64_u32 v[16:17], s[26:27], v6, s58, 0
	v_add3_u32 v17, v17, v20, v4
	v_lshlrev_b64 v[16:17], 2, v[16:17]
	v_mov_b32_e32 v4, s88
	v_add_co_u32_e32 v16, vcc, s33, v16
	v_addc_co_u32_e32 v17, vcc, v4, v17, vcc
	global_load_dword v20, v[16:17], off
.LBB150_520:                            ;   in Loop: Header=BB150_518 Depth=1
	s_or_b64 exec, exec, s[4:5]
	v_xor_b32_e32 v4, 0x80000000, v2
	v_cmp_gt_u32_e64 s[4:5], v4, v18
	v_cndmask_b32_e64 v16, 0, 1, s[4:5]
	v_cmp_lt_u32_e64 s[4:5], v4, v18
	v_cndmask_b32_e64 v4, 0, 1, s[4:5]
	v_cndmask_b32_e64 v4, v4, v16, s[38:39]
	v_and_b32_e32 v4, 1, v4
	v_cmp_gt_u64_e32 vcc, s[60:61], v[14:15]
	v_cmp_eq_u32_e64 s[4:5], 1, v4
	s_and_b64 s[28:29], vcc, s[4:5]
	v_cndmask_b32_e64 v4, 0, 1, s[28:29]
	v_cmp_ne_u32_e32 vcc, 0, v4
	s_cmp_lg_u64 vcc, 0
	s_cselect_b64 s[4:5], -1, 0
	s_and_b64 s[4:5], s[0:1], s[4:5]
	s_and_saveexec_b64 s[26:27], s[4:5]
	s_cbranch_execz .LBB150_524
; %bb.521:                              ;   in Loop: Header=BB150_518 Depth=1
	s_mov_b64 s[34:35], exec
	v_mbcnt_lo_u32_b32 v4, s34, 0
	v_mbcnt_hi_u32_b32 v16, s35, v4
	s_bcnt1_i32_b64 s36, vcc
	v_cmp_eq_u32_e64 s[4:5], 0, v16
                                        ; implicit-def: $vgpr8_vgpr9
	s_and_saveexec_b64 s[30:31], s[4:5]
	s_cbranch_execz .LBB150_523
; %bb.522:                              ;   in Loop: Header=BB150_518 Depth=1
	s_bcnt1_i32_b64 s4, s[34:35]
	s_mul_i32 s4, s36, s4
	v_mov_b32_e32 v4, s4
	s_waitcnt lgkmcnt(0)
	ds_add_rtn_u64 v[8:9], v5, v[4:5] offset:5136
.LBB150_523:                            ;   in Loop: Header=BB150_518 Depth=1
	s_or_b64 exec, exec, s[30:31]
	s_waitcnt lgkmcnt(0)
	v_readfirstlane_b32 s4, v9
	v_readfirstlane_b32 s5, v8
	v_mov_b32_e32 v8, s5
	v_mov_b32_e32 v9, s4
	v_mad_u64_u32 v[8:9], s[4:5], s36, v16, v[8:9]
.LBB150_524:                            ;   in Loop: Header=BB150_518 Depth=1
	s_or_b64 exec, exec, s[26:27]
	s_waitcnt lgkmcnt(0)
	ds_bpermute_b32 v8, v28, v8
	ds_bpermute_b32 v9, v28, v9
	s_mov_b64 s[4:5], -1
	s_mov_b64 s[34:35], -1
                                        ; implicit-def: $sgpr30_sgpr31
	s_and_saveexec_b64 s[26:27], s[28:29]
	s_cbranch_execz .LBB150_528
; %bb.525:                              ;   in Loop: Header=BB150_518 Depth=1
	v_and_b32_e32 v16, vcc_lo, v10
	v_and_b32_e32 v4, vcc_hi, v11
	v_bcnt_u32_b32 v16, v16, 0
	v_bcnt_u32_b32 v4, v4, v16
	s_waitcnt lgkmcnt(0)
	v_add_co_u32_e32 v16, vcc, v8, v4
	v_addc_co_u32_e32 v17, vcc, 0, v9, vcc
	v_cmp_gt_u64_e32 vcc, s[62:63], v[16:17]
	s_mov_b64 s[28:29], 0
	s_and_saveexec_b64 s[30:31], vcc
	s_cbranch_execz .LBB150_527
; %bb.526:                              ;   in Loop: Header=BB150_518 Depth=1
	v_mul_lo_u32 v4, v17, s16
	v_mul_lo_u32 v21, v16, s17
	v_mad_u64_u32 v[22:23], s[34:35], v16, s16, 0
	v_add3_u32 v23, v23, v21, v4
	v_mul_lo_u32 v4, v17, s18
	v_mul_lo_u32 v21, v16, s19
	v_mad_u64_u32 v[16:17], s[34:35], v16, s18, 0
	v_lshlrev_b64 v[22:23], 2, v[22:23]
	v_add3_u32 v17, v17, v21, v4
	v_mov_b32_e32 v4, s47
	v_add_co_u32_e32 v22, vcc, s46, v22
	v_addc_co_u32_e32 v23, vcc, v4, v23, vcc
	v_lshlrev_b64 v[16:17], 3, v[16:17]
	global_store_dword v[22:23], v2, off
	v_mov_b32_e32 v2, s49
	v_add_co_u32_e32 v16, vcc, s48, v16
	s_mov_b64 s[28:29], exec
	v_addc_co_u32_e32 v17, vcc, v2, v17, vcc
	global_store_dwordx2 v[16:17], v[14:15], off
.LBB150_527:                            ;   in Loop: Header=BB150_518 Depth=1
	s_or_b64 exec, exec, s[30:31]
	s_mov_b64 s[30:31], -1
	s_orn2_b64 s[34:35], s[28:29], exec
.LBB150_528:                            ;   in Loop: Header=BB150_518 Depth=1
	s_or_b64 exec, exec, s[26:27]
	s_and_saveexec_b64 s[26:27], s[34:35]
	s_cbranch_execz .LBB150_517
; %bb.529:                              ;   in Loop: Header=BB150_518 Depth=1
	v_cmp_le_u64_e32 vcc, s[14:15], v[6:7]
	s_andn2_b64 s[30:31], s[30:31], exec
	s_orn2_b64 s[4:5], vcc, exec
	s_branch .LBB150_517
.LBB150_530:
	s_or_b64 exec, exec, s[22:23]
	s_mov_b64 s[4:5], exec
	s_orn2_b64 s[22:23], s[24:25], exec
	s_or_b64 exec, exec, s[20:21]
	s_and_saveexec_b64 s[20:21], s[22:23]
	s_cbranch_execz .LBB150_507
.LBB150_531:
	v_mov_b32_e32 v5, 0
	s_waitcnt vmcnt(0)
	v_mov_b32_e32 v2, 0
	s_waitcnt lgkmcnt(0)
	s_barrier
	s_mov_b64 s[2:3], exec
	v_readlane_b32 s22, v47, 46
	v_readlane_b32 s23, v47, 47
	s_and_b64 s[22:23], s[2:3], s[22:23]
	s_mov_b64 exec, s[22:23]
	s_cbranch_execz .LBB150_533
; %bb.532:
	global_load_dword v2, v[12:13], off
.LBB150_533:
	s_or_b64 exec, exec, s[2:3]
	s_mov_b64 s[24:25], 0
                                        ; implicit-def: $sgpr22_sgpr23
                                        ; implicit-def: $sgpr26_sgpr27
                                        ; implicit-def: $sgpr28_sgpr29
                                        ; implicit-def: $vgpr6_vgpr7
	s_branch .LBB150_536
.LBB150_534:                            ;   in Loop: Header=BB150_536 Depth=1
	s_or_b64 exec, exec, s[36:37]
	s_andn2_b64 s[28:29], s[28:29], exec
	s_and_b64 s[34:35], s[40:41], exec
	s_andn2_b64 s[26:27], s[26:27], exec
	s_and_b64 s[2:3], s[2:3], exec
	s_or_b64 s[28:29], s[28:29], s[34:35]
	s_or_b64 s[26:27], s[26:27], s[2:3]
	v_pk_mov_b32 v[0:1], v[8:9], v[8:9] op_sel:[0,1]
.LBB150_535:                            ;   in Loop: Header=BB150_536 Depth=1
	s_or_b64 exec, exec, s[30:31]
	s_xor_b64 s[2:3], s[28:29], -1
	s_and_b64 s[30:31], exec, s[26:27]
	s_or_b64 s[24:25], s[30:31], s[24:25]
	s_andn2_b64 s[22:23], s[22:23], exec
	s_and_b64 s[2:3], s[2:3], exec
	s_or_b64 s[22:23], s[22:23], s[2:3]
	s_andn2_b64 exec, exec, s[24:25]
	s_cbranch_execz .LBB150_551
.LBB150_536:                            ; =>This Inner Loop Header: Depth=1
	v_cmp_gt_u64_e32 vcc, s[14:15], v[0:1]
	s_or_b64 s[28:29], s[28:29], exec
	s_or_b64 s[26:27], s[26:27], exec
	s_and_saveexec_b64 s[30:31], vcc
	s_cbranch_execz .LBB150_535
; %bb.537:                              ;   in Loop: Header=BB150_536 Depth=1
	v_mov_b32_e32 v4, s74
	v_add_co_u32_e32 v8, vcc, s89, v0
	v_addc_co_u32_e32 v9, vcc, v1, v4, vcc
	v_cmp_gt_u64_e32 vcc, s[60:61], v[8:9]
	v_mov_b32_e32 v14, 0
	s_and_saveexec_b64 s[2:3], vcc
	s_cbranch_execz .LBB150_539
; %bb.538:                              ;   in Loop: Header=BB150_536 Depth=1
	v_mul_lo_u32 v4, v9, s58
	v_mul_lo_u32 v14, v8, s59
	v_mad_u64_u32 v[12:13], s[34:35], v8, s58, 0
	v_add3_u32 v13, v13, v14, v4
	v_lshlrev_b64 v[12:13], 2, v[12:13]
	v_mov_b32_e32 v4, s88
	v_add_co_u32_e32 v12, vcc, s33, v12
	v_addc_co_u32_e32 v13, vcc, v4, v13, vcc
	global_load_dword v14, v[12:13], off
.LBB150_539:                            ;   in Loop: Header=BB150_536 Depth=1
	s_or_b64 exec, exec, s[2:3]
	v_cmp_gt_u64_e32 vcc, s[60:61], v[0:1]
	s_waitcnt vmcnt(0)
	v_cmp_eq_u32_e64 s[2:3], v2, v3
	s_and_b64 s[36:37], vcc, s[2:3]
	v_cndmask_b32_e64 v4, 0, 1, s[36:37]
	v_cmp_ne_u32_e32 vcc, 0, v4
	s_cmp_lg_u64 vcc, 0
	s_cselect_b64 s[2:3], -1, 0
	s_and_b64 s[2:3], s[0:1], s[2:3]
	s_and_saveexec_b64 s[34:35], s[2:3]
	s_cbranch_execz .LBB150_543
; %bb.540:                              ;   in Loop: Header=BB150_536 Depth=1
	s_mov_b64 s[40:41], exec
	v_mbcnt_lo_u32_b32 v4, s40, 0
	v_mbcnt_hi_u32_b32 v12, s41, v4
	s_bcnt1_i32_b64 s42, vcc
	v_cmp_eq_u32_e64 s[2:3], 0, v12
                                        ; implicit-def: $vgpr6_vgpr7
	s_and_saveexec_b64 s[38:39], s[2:3]
	s_cbranch_execz .LBB150_542
; %bb.541:                              ;   in Loop: Header=BB150_536 Depth=1
	s_bcnt1_i32_b64 s2, s[40:41]
	s_mul_i32 s2, s42, s2
	v_mov_b32_e32 v4, s2
	ds_add_rtn_u64 v[6:7], v5, v[4:5] offset:5136
.LBB150_542:                            ;   in Loop: Header=BB150_536 Depth=1
	s_or_b64 exec, exec, s[38:39]
	s_waitcnt lgkmcnt(0)
	v_readfirstlane_b32 s2, v7
	v_readfirstlane_b32 s3, v6
	v_mov_b32_e32 v6, s3
	v_mov_b32_e32 v7, s2
	v_mad_u64_u32 v[6:7], s[2:3], s42, v12, v[6:7]
.LBB150_543:                            ;   in Loop: Header=BB150_536 Depth=1
	s_or_b64 exec, exec, s[34:35]
	ds_bpermute_b32 v6, v28, v6
	ds_bpermute_b32 v7, v28, v7
	s_cmp_eq_u64 vcc, 0
	s_cselect_b64 s[34:35], -1, 0
	s_mov_b64 s[38:39], -1
	s_mov_b64 s[40:41], -1
	s_waitcnt lgkmcnt(0)
	v_cmp_gt_u64_e64 s[2:3], s[62:63], v[6:7]
	s_or_b64 s[34:35], s[34:35], s[2:3]
	v_cndmask_b32_e64 v2, v2, v14, s[34:35]
	s_and_b64 s[42:43], s[36:37], s[34:35]
	s_mov_b64 s[2:3], -1
	s_and_saveexec_b64 s[36:37], s[42:43]
	s_cbranch_execz .LBB150_549
; %bb.544:                              ;   in Loop: Header=BB150_536 Depth=1
	v_and_b32_e32 v4, vcc_lo, v10
	v_and_b32_e32 v2, vcc_hi, v11
	v_bcnt_u32_b32 v4, v4, 0
	v_bcnt_u32_b32 v4, v2, v4
	v_mov_b32_e32 v2, s63
	v_sub_co_u32_e32 v12, vcc, s62, v6
	v_subb_co_u32_e32 v13, vcc, v2, v7, vcc
	v_cmp_le_u64_e64 s[38:39], v[12:13], v[4:5]
	v_cmp_gt_u64_e32 vcc, v[12:13], v[4:5]
	s_mov_b64 s[42:43], -1
	s_and_saveexec_b64 s[40:41], vcc
	s_cbranch_execz .LBB150_548
; %bb.545:                              ;   in Loop: Header=BB150_536 Depth=1
	v_add_co_u32_e32 v12, vcc, v6, v4
	v_addc_co_u32_e32 v13, vcc, 0, v7, vcc
	v_cmp_gt_u64_e32 vcc, s[62:63], v[12:13]
	s_mov_b64 s[44:45], s[38:39]
	s_and_saveexec_b64 s[42:43], vcc
	s_cbranch_execz .LBB150_547
; %bb.546:                              ;   in Loop: Header=BB150_536 Depth=1
	v_mul_lo_u32 v2, v13, s16
	v_mul_lo_u32 v4, v12, s17
	v_mad_u64_u32 v[16:17], s[44:45], v12, s16, 0
	v_add3_u32 v17, v17, v4, v2
	v_mul_lo_u32 v2, v13, s18
	v_mul_lo_u32 v4, v12, s19
	v_mad_u64_u32 v[12:13], s[44:45], v12, s18, 0
	v_lshlrev_b64 v[16:17], 2, v[16:17]
	v_add3_u32 v13, v13, v4, v2
	v_mov_b32_e32 v2, s47
	v_add_co_u32_e32 v16, vcc, s46, v16
	v_addc_co_u32_e32 v17, vcc, v2, v17, vcc
	v_lshlrev_b64 v[12:13], 3, v[12:13]
	v_mov_b32_e32 v2, s49
	v_add_co_u32_e32 v12, vcc, s48, v12
	v_addc_co_u32_e32 v13, vcc, v2, v13, vcc
	s_or_b64 s[44:45], s[38:39], exec
	global_store_dword v[16:17], v3, off
	global_store_dwordx2 v[12:13], v[0:1], off
.LBB150_547:                            ;   in Loop: Header=BB150_536 Depth=1
	s_or_b64 exec, exec, s[42:43]
	s_andn2_b64 s[38:39], s[38:39], exec
	s_and_b64 s[44:45], s[44:45], exec
	s_xor_b64 s[42:43], exec, -1
	s_or_b64 s[38:39], s[38:39], s[44:45]
.LBB150_548:                            ;   in Loop: Header=BB150_536 Depth=1
	s_or_b64 exec, exec, s[40:41]
	s_orn2_b64 s[40:41], s[42:43], exec
	s_or_b64 s[34:35], s[34:35], exec
	s_orn2_b64 s[38:39], s[38:39], exec
	v_mov_b32_e32 v2, v14
.LBB150_549:                            ;   in Loop: Header=BB150_536 Depth=1
	s_or_b64 exec, exec, s[36:37]
	s_and_saveexec_b64 s[36:37], s[38:39]
	s_cbranch_execz .LBB150_534
; %bb.550:                              ;   in Loop: Header=BB150_536 Depth=1
	s_xor_b64 s[2:3], s[34:35], -1
	s_or_b64 s[40:41], s[40:41], exec
	s_orn2_b64 s[2:3], s[2:3], exec
	s_branch .LBB150_534
.LBB150_551:
	s_or_b64 exec, exec, s[24:25]
	s_mov_b64 s[0:1], 0
	s_and_saveexec_b64 s[2:3], s[22:23]
	s_xor_b64 s[2:3], exec, s[2:3]
	s_cbranch_execnz .LBB150_557
.LBB150_552:
	s_or_b64 exec, exec, s[2:3]
	s_and_b64 s[2:3], s[0:1], exec
	s_andn2_b64 s[4:5], s[4:5], exec
	s_or_b64 exec, exec, s[20:21]
	s_and_saveexec_b64 s[0:1], s[4:5]
	s_xor_b64 s[0:1], exec, s[0:1]
	s_cbranch_execz .LBB150_508
.LBB150_553:
	s_or_b64 s[2:3], s[2:3], exec
	s_trap 2
	s_branch .LBB150_508
.LBB150_554:
	s_or_b64 s[10:11], s[10:11], exec
	s_trap 2
	s_branch .LBB150_514
.LBB150_555:
	s_or_b64 s[12:13], s[12:13], exec
	s_trap 2
	s_branch .LBB150_512
.LBB150_556:
	s_trap 2
	s_or_b64 s[14:15], s[14:15], exec
	s_branch .LBB150_510
.LBB150_557:
	s_mov_b64 s[0:1], exec
	s_trap 2
	s_branch .LBB150_552
	.section	.rodata,"a",@progbits
	.p2align	6, 0x0
	.amdhsa_kernel _ZN2at6native6sbtopk10gatherTopKIimLi3ELb0EEEvNS_4cuda6detail10TensorInfoIKT_T0_EES8_S8_bS8_S8_NS5_IS6_S8_EES8_NS5_IlS8_EES8_PS6_
		.amdhsa_group_segment_fixed_size 5152
		.amdhsa_private_segment_fixed_size 0
		.amdhsa_kernarg_size 1568
		.amdhsa_user_sgpr_count 6
		.amdhsa_user_sgpr_private_segment_buffer 1
		.amdhsa_user_sgpr_dispatch_ptr 0
		.amdhsa_user_sgpr_queue_ptr 0
		.amdhsa_user_sgpr_kernarg_segment_ptr 1
		.amdhsa_user_sgpr_dispatch_id 0
		.amdhsa_user_sgpr_flat_scratch_init 0
		.amdhsa_user_sgpr_kernarg_preload_length 0
		.amdhsa_user_sgpr_kernarg_preload_offset 0
		.amdhsa_user_sgpr_private_segment_size 0
		.amdhsa_uses_dynamic_stack 0
		.amdhsa_system_sgpr_private_segment_wavefront_offset 0
		.amdhsa_system_sgpr_workgroup_id_x 1
		.amdhsa_system_sgpr_workgroup_id_y 1
		.amdhsa_system_sgpr_workgroup_id_z 1
		.amdhsa_system_sgpr_workgroup_info 0
		.amdhsa_system_vgpr_workitem_id 0
		.amdhsa_next_free_vgpr 48
		.amdhsa_next_free_sgpr 96
		.amdhsa_accum_offset 48
		.amdhsa_reserve_vcc 1
		.amdhsa_reserve_flat_scratch 0
		.amdhsa_float_round_mode_32 0
		.amdhsa_float_round_mode_16_64 0
		.amdhsa_float_denorm_mode_32 3
		.amdhsa_float_denorm_mode_16_64 3
		.amdhsa_dx10_clamp 1
		.amdhsa_ieee_mode 1
		.amdhsa_fp16_overflow 0
		.amdhsa_tg_split 0
		.amdhsa_exception_fp_ieee_invalid_op 0
		.amdhsa_exception_fp_denorm_src 0
		.amdhsa_exception_fp_ieee_div_zero 0
		.amdhsa_exception_fp_ieee_overflow 0
		.amdhsa_exception_fp_ieee_underflow 0
		.amdhsa_exception_fp_ieee_inexact 0
		.amdhsa_exception_int_div_zero 0
	.end_amdhsa_kernel
	.section	.text._ZN2at6native6sbtopk10gatherTopKIimLi3ELb0EEEvNS_4cuda6detail10TensorInfoIKT_T0_EES8_S8_bS8_S8_NS5_IS6_S8_EES8_NS5_IlS8_EES8_PS6_,"axG",@progbits,_ZN2at6native6sbtopk10gatherTopKIimLi3ELb0EEEvNS_4cuda6detail10TensorInfoIKT_T0_EES8_S8_bS8_S8_NS5_IS6_S8_EES8_NS5_IlS8_EES8_PS6_,comdat
.Lfunc_end150:
	.size	_ZN2at6native6sbtopk10gatherTopKIimLi3ELb0EEEvNS_4cuda6detail10TensorInfoIKT_T0_EES8_S8_bS8_S8_NS5_IS6_S8_EES8_NS5_IlS8_EES8_PS6_, .Lfunc_end150-_ZN2at6native6sbtopk10gatherTopKIimLi3ELb0EEEvNS_4cuda6detail10TensorInfoIKT_T0_EES8_S8_bS8_S8_NS5_IS6_S8_EES8_NS5_IlS8_EES8_PS6_
                                        ; -- End function
	.section	.AMDGPU.csdata,"",@progbits
; Kernel info:
; codeLenInByte = 27588
; NumSgprs: 100
; NumVgprs: 48
; NumAgprs: 0
; TotalNumVgprs: 48
; ScratchSize: 0
; MemoryBound: 0
; FloatMode: 240
; IeeeMode: 1
; LDSByteSize: 5152 bytes/workgroup (compile time only)
; SGPRBlocks: 12
; VGPRBlocks: 5
; NumSGPRsForWavesPerEU: 100
; NumVGPRsForWavesPerEU: 48
; AccumOffset: 48
; Occupancy: 8
; WaveLimiterHint : 1
; COMPUTE_PGM_RSRC2:SCRATCH_EN: 0
; COMPUTE_PGM_RSRC2:USER_SGPR: 6
; COMPUTE_PGM_RSRC2:TRAP_HANDLER: 0
; COMPUTE_PGM_RSRC2:TGID_X_EN: 1
; COMPUTE_PGM_RSRC2:TGID_Y_EN: 1
; COMPUTE_PGM_RSRC2:TGID_Z_EN: 1
; COMPUTE_PGM_RSRC2:TIDIG_COMP_CNT: 0
; COMPUTE_PGM_RSRC3_GFX90A:ACCUM_OFFSET: 11
; COMPUTE_PGM_RSRC3_GFX90A:TG_SPLIT: 0
	.section	.text._ZN2at6native6mbtopk23computeBlockDigitCountsIimjLin1EEEvNS_4cuda6detail10TensorInfoIKT_T0_EEjPjjS8_iijT1_PSB_Ps,"axG",@progbits,_ZN2at6native6mbtopk23computeBlockDigitCountsIimjLin1EEEvNS_4cuda6detail10TensorInfoIKT_T0_EEjPjjS8_iijT1_PSB_Ps,comdat
	.protected	_ZN2at6native6mbtopk23computeBlockDigitCountsIimjLin1EEEvNS_4cuda6detail10TensorInfoIKT_T0_EEjPjjS8_iijT1_PSB_Ps ; -- Begin function _ZN2at6native6mbtopk23computeBlockDigitCountsIimjLin1EEEvNS_4cuda6detail10TensorInfoIKT_T0_EEjPjjS8_iijT1_PSB_Ps
	.globl	_ZN2at6native6mbtopk23computeBlockDigitCountsIimjLin1EEEvNS_4cuda6detail10TensorInfoIKT_T0_EEjPjjS8_iijT1_PSB_Ps
	.p2align	8
	.type	_ZN2at6native6mbtopk23computeBlockDigitCountsIimjLin1EEEvNS_4cuda6detail10TensorInfoIKT_T0_EEjPjjS8_iijT1_PSB_Ps,@function
_ZN2at6native6mbtopk23computeBlockDigitCountsIimjLin1EEEvNS_4cuda6detail10TensorInfoIKT_T0_EEjPjjS8_iijT1_PSB_Ps: ; @_ZN2at6native6mbtopk23computeBlockDigitCountsIimjLin1EEEvNS_4cuda6detail10TensorInfoIKT_T0_EEjPjjS8_iijT1_PSB_Ps
; %bb.0:
	s_load_dwordx4 s[12:15], s[4:5], 0x1c0
	s_load_dword s2, s[4:5], 0x1b0
	s_load_dwordx2 s[0:1], s[4:5], 0x1e0
	s_mov_b32 s9, 0
	s_waitcnt lgkmcnt(0)
	v_cvt_f32_u32_e32 v1, s14
	s_sub_i32 s3, 0, s14
	s_mul_i32 s1, s1, s8
	s_add_i32 s1, s1, s7
	v_rcp_iflag_f32_e32 v1, v1
	s_mul_i32 s26, s1, s0
	s_add_i32 s26, s26, s6
	v_mul_f32_e32 v1, 0x4f7ffffe, v1
	v_cvt_u32_f32_e32 v1, v1
	v_readfirstlane_b32 s0, v1
	s_mul_i32 s3, s3, s0
	s_mul_hi_u32 s1, s0, s3
	s_add_i32 s0, s0, s1
	s_mul_hi_u32 s0, s26, s0
	s_mul_i32 s1, s0, s14
	s_sub_i32 s1, s26, s1
	s_add_i32 s3, s0, 1
	s_sub_i32 s6, s1, s14
	s_cmp_ge_u32 s1, s14
	s_cselect_b32 s0, s3, s0
	s_cselect_b32 s1, s6, s1
	s_add_i32 s3, s0, 1
	s_cmp_ge_u32 s1, s14
	s_cselect_b32 s8, s3, s0
	s_cmp_ge_u32 s8, s2
	s_cbranch_scc1 .LBB151_32
; %bb.1:
	s_load_dwordx4 s[0:3], s[4:5], 0x1d0
	s_load_dword s16, s[4:5], 0x198
	s_lshl_b64 s[6:7], s[8:9], 2
	s_mov_b64 s[20:21], s[8:9]
	s_waitcnt lgkmcnt(0)
	s_add_u32 s10, s0, s6
	s_addc_u32 s11, s1, s7
	s_cmp_lt_i32 s16, 2
	s_mov_b64 s[6:7], 0
	s_cbranch_scc1 .LBB151_9
; %bb.2:
	s_add_i32 s9, s16, 1
	s_add_i32 s0, s16, -1
	s_mov_b32 s16, 0
	s_mov_b32 s1, s16
	s_lshl_b64 s[0:1], s[0:1], 3
	s_add_u32 s0, s0, s4
	s_addc_u32 s1, s1, s5
	s_add_u32 s18, s0, 8
	s_addc_u32 s19, s1, 0
.LBB151_3:                              ; =>This Inner Loop Header: Depth=1
	s_load_dwordx2 s[22:23], s[18:19], 0x0
	s_waitcnt lgkmcnt(0)
	s_or_b64 s[0:1], s[20:21], s[22:23]
	s_mov_b32 s17, s1
	s_cmp_lg_u64 s[16:17], 0
	s_cbranch_scc0 .LBB151_8
; %bb.4:                                ;   in Loop: Header=BB151_3 Depth=1
	v_cvt_f32_u32_e32 v1, s22
	v_cvt_f32_u32_e32 v2, s23
	s_sub_u32 s0, 0, s22
	s_subb_u32 s1, 0, s23
	v_mac_f32_e32 v1, 0x4f800000, v2
	v_rcp_f32_e32 v1, v1
	v_mul_f32_e32 v1, 0x5f7ffffc, v1
	v_mul_f32_e32 v2, 0x2f800000, v1
	v_trunc_f32_e32 v2, v2
	v_mac_f32_e32 v1, 0xcf800000, v2
	v_cvt_u32_f32_e32 v2, v2
	v_cvt_u32_f32_e32 v1, v1
	v_readfirstlane_b32 s17, v2
	v_readfirstlane_b32 s24, v1
	s_mul_i32 s25, s0, s17
	s_mul_hi_u32 s28, s0, s24
	s_mul_i32 s27, s1, s24
	s_add_i32 s25, s28, s25
	s_mul_i32 s29, s0, s24
	s_add_i32 s25, s25, s27
	s_mul_hi_u32 s27, s24, s25
	s_mul_i32 s28, s24, s25
	s_mul_hi_u32 s24, s24, s29
	s_add_u32 s24, s24, s28
	s_addc_u32 s27, 0, s27
	s_mul_hi_u32 s30, s17, s29
	s_mul_i32 s29, s17, s29
	s_add_u32 s24, s24, s29
	s_mul_hi_u32 s28, s17, s25
	s_addc_u32 s24, s27, s30
	s_addc_u32 s27, s28, 0
	s_mul_i32 s25, s17, s25
	s_add_u32 s24, s24, s25
	s_addc_u32 s25, 0, s27
	v_add_co_u32_e32 v1, vcc, s24, v1
	s_cmp_lg_u64 vcc, 0
	s_addc_u32 s17, s17, s25
	v_readfirstlane_b32 s25, v1
	s_mul_i32 s24, s0, s17
	s_mul_hi_u32 s27, s0, s25
	s_add_i32 s24, s27, s24
	s_mul_i32 s1, s1, s25
	s_add_i32 s24, s24, s1
	s_mul_i32 s0, s0, s25
	s_mul_hi_u32 s27, s17, s0
	s_mul_i32 s28, s17, s0
	s_mul_i32 s30, s25, s24
	s_mul_hi_u32 s0, s25, s0
	s_mul_hi_u32 s29, s25, s24
	s_add_u32 s0, s0, s30
	s_addc_u32 s25, 0, s29
	s_add_u32 s0, s0, s28
	s_mul_hi_u32 s1, s17, s24
	s_addc_u32 s0, s25, s27
	s_addc_u32 s1, s1, 0
	s_mul_i32 s24, s17, s24
	s_add_u32 s0, s0, s24
	s_addc_u32 s1, 0, s1
	v_add_co_u32_e32 v1, vcc, s0, v1
	s_cmp_lg_u64 vcc, 0
	s_addc_u32 s0, s17, s1
	v_readfirstlane_b32 s24, v1
	s_mul_i32 s17, s20, s0
	s_mul_hi_u32 s25, s20, s24
	s_mul_hi_u32 s1, s20, s0
	s_add_u32 s17, s25, s17
	s_addc_u32 s1, 0, s1
	s_mul_hi_u32 s27, s21, s24
	s_mul_i32 s24, s21, s24
	s_add_u32 s17, s17, s24
	s_mul_hi_u32 s25, s21, s0
	s_addc_u32 s1, s1, s27
	s_addc_u32 s17, s25, 0
	s_mul_i32 s0, s21, s0
	s_add_u32 s24, s1, s0
	s_addc_u32 s17, 0, s17
	s_mul_i32 s0, s22, s17
	s_mul_hi_u32 s1, s22, s24
	s_add_i32 s0, s1, s0
	s_mul_i32 s1, s23, s24
	s_add_i32 s25, s0, s1
	s_mul_i32 s1, s22, s24
	v_mov_b32_e32 v1, s1
	s_sub_i32 s0, s21, s25
	v_sub_co_u32_e32 v1, vcc, s20, v1
	s_cmp_lg_u64 vcc, 0
	s_subb_u32 s27, s0, s23
	v_subrev_co_u32_e64 v2, s[0:1], s22, v1
	s_cmp_lg_u64 s[0:1], 0
	s_subb_u32 s0, s27, 0
	s_cmp_ge_u32 s0, s23
	v_readfirstlane_b32 s27, v2
	s_cselect_b32 s1, -1, 0
	s_cmp_ge_u32 s27, s22
	s_cselect_b32 s27, -1, 0
	s_cmp_eq_u32 s0, s23
	s_cselect_b32 s0, s27, s1
	s_add_u32 s1, s24, 1
	s_addc_u32 s27, s17, 0
	s_add_u32 s28, s24, 2
	s_addc_u32 s29, s17, 0
	s_cmp_lg_u32 s0, 0
	s_cselect_b32 s0, s28, s1
	s_cselect_b32 s1, s29, s27
	s_cmp_lg_u64 vcc, 0
	s_subb_u32 s25, s21, s25
	s_cmp_ge_u32 s25, s23
	v_readfirstlane_b32 s28, v1
	s_cselect_b32 s27, -1, 0
	s_cmp_ge_u32 s28, s22
	s_cselect_b32 s28, -1, 0
	s_cmp_eq_u32 s25, s23
	s_cselect_b32 s25, s28, s27
	s_cmp_lg_u32 s25, 0
	s_cselect_b32 s1, s1, s17
	s_cselect_b32 s0, s0, s24
	s_cbranch_execnz .LBB151_6
.LBB151_5:                              ;   in Loop: Header=BB151_3 Depth=1
	v_cvt_f32_u32_e32 v1, s22
	s_sub_i32 s0, 0, s22
	v_rcp_iflag_f32_e32 v1, v1
	v_mul_f32_e32 v1, 0x4f7ffffe, v1
	v_cvt_u32_f32_e32 v1, v1
	v_readfirstlane_b32 s1, v1
	s_mul_i32 s0, s0, s1
	s_mul_hi_u32 s0, s1, s0
	s_add_i32 s1, s1, s0
	s_mul_hi_u32 s0, s20, s1
	s_mul_i32 s17, s0, s22
	s_sub_i32 s17, s20, s17
	s_add_i32 s1, s0, 1
	s_sub_i32 s24, s17, s22
	s_cmp_ge_u32 s17, s22
	s_cselect_b32 s0, s1, s0
	s_cselect_b32 s17, s24, s17
	s_add_i32 s1, s0, 1
	s_cmp_ge_u32 s17, s22
	s_cselect_b32 s0, s1, s0
	s_mov_b32 s1, s16
.LBB151_6:                              ;   in Loop: Header=BB151_3 Depth=1
	s_mul_i32 s17, s0, s23
	s_mul_hi_u32 s23, s0, s22
	s_load_dwordx2 s[24:25], s[18:19], 0xc8
	s_add_i32 s17, s23, s17
	s_mul_i32 s23, s1, s22
	s_add_i32 s17, s17, s23
	s_mul_i32 s22, s0, s22
	s_sub_u32 s20, s20, s22
	s_subb_u32 s17, s21, s17
	s_waitcnt lgkmcnt(0)
	s_mul_i32 s17, s24, s17
	s_mul_hi_u32 s21, s24, s20
	s_add_i32 s17, s21, s17
	s_mul_i32 s21, s25, s20
	s_add_i32 s17, s17, s21
	s_mul_i32 s20, s24, s20
	s_add_u32 s6, s20, s6
	s_addc_u32 s7, s17, s7
	s_add_i32 s9, s9, -1
	s_add_u32 s18, s18, -8
	s_addc_u32 s19, s19, -1
	s_cmp_gt_u32 s9, 2
	s_cbranch_scc0 .LBB151_10
; %bb.7:                                ;   in Loop: Header=BB151_3 Depth=1
	s_mov_b64 s[20:21], s[0:1]
	s_branch .LBB151_3
.LBB151_8:                              ;   in Loop: Header=BB151_3 Depth=1
                                        ; implicit-def: $sgpr0_sgpr1
	s_branch .LBB151_5
.LBB151_9:
	s_mov_b64 s[0:1], s[20:21]
.LBB151_10:
	s_load_dword s16, s[10:11], 0x0
	s_movk_i32 s9, 0x100
	v_cmp_gt_u32_e32 vcc, s9, v0
	v_lshlrev_b32_e32 v1, 2, v0
	s_and_saveexec_b64 s[10:11], vcc
	s_cbranch_execz .LBB151_12
; %bb.11:
	v_mov_b32_e32 v2, 0
	ds_write_b32 v1, v2
.LBB151_12:
	s_or_b64 exec, exec, s[10:11]
	s_load_dword s10, s[4:5], 0x1a0
	s_mul_i32 s8, s8, s14
	s_sub_i32 s8, s26, s8
	s_add_i32 s9, s8, 1
	s_mul_i32 s8, s13, s8
	s_lshl_b32 s17, s8, 8
	s_waitcnt lgkmcnt(0)
	s_sub_i32 s8, s10, s17
	s_add_u32 s8, s8, 0xff
	s_addc_u32 s11, 0, 0
	v_mov_b32_e32 v2, s8
	v_alignbit_b32 v2, s11, v2, 8
	s_cmp_lt_u32 s9, s14
	v_readfirstlane_b32 s8, v2
	s_cselect_b32 s11, s13, s8
	s_cmp_lt_i32 s11, 1
	s_mov_b32 s14, 0
	s_barrier
	s_cbranch_scc1 .LBB151_28
; %bb.13:
	s_load_dwordx2 s[18:19], s[4:5], 0xd0
	s_load_dwordx2 s[8:9], s[4:5], 0x1b8
	;; [unrolled: 1-line block ×3, first 2 shown]
	v_add_u32_e32 v2, s17, v0
	s_waitcnt lgkmcnt(0)
	s_mul_i32 s1, s18, s1
	s_mul_hi_u32 s4, s18, s0
	s_mul_i32 s5, s19, s0
	s_add_i32 s1, s4, s1
	s_add_i32 s1, s1, s5
	s_mul_i32 s0, s18, s0
	s_lshl_b64 s[0:1], s[0:1], 2
	s_add_u32 s4, s20, s0
	s_addc_u32 s5, s21, s1
	s_lshl_b64 s[0:1], s[6:7], 2
	s_add_u32 s7, s4, s0
	s_addc_u32 s13, s5, s1
	s_and_b32 s6, s12, 0xff
	s_cmp_eq_u32 s11, 1
	s_cbranch_scc1 .LBB151_23
; %bb.14:
	s_and_b32 s12, s11, 0x7ffffffe
	v_mov_b32_e32 v3, 1
	v_mov_b32_e32 v4, v2
	s_branch .LBB151_16
.LBB151_15:                             ;   in Loop: Header=BB151_16 Depth=1
	s_or_b64 exec, exec, s[4:5]
	s_add_i32 s14, s14, 2
	s_cmp_eq_u32 s12, s14
	v_add_u32_e32 v4, 0x200, v4
	s_cbranch_scc1 .LBB151_22
.LBB151_16:                             ; =>This Inner Loop Header: Depth=1
	v_cmp_gt_u32_e64 s[0:1], s10, v4
	s_and_saveexec_b64 s[4:5], s[0:1]
	s_cbranch_execz .LBB151_19
; %bb.17:                               ;   in Loop: Header=BB151_16 Depth=1
	v_mad_u64_u32 v[6:7], s[0:1], v4, s8, 0
	v_mov_b32_e32 v8, v7
	v_mad_u64_u32 v[8:9], s[0:1], v4, s9, v[8:9]
	v_mov_b32_e32 v7, v8
	v_lshlrev_b64 v[6:7], 2, v[6:7]
	v_mov_b32_e32 v5, s13
	v_add_co_u32_e64 v6, s[0:1], s7, v6
	v_addc_co_u32_e64 v7, s[0:1], v5, v7, s[0:1]
	global_load_dword v5, v[6:7], off
	s_waitcnt vmcnt(0)
	v_xor_b32_e32 v5, 0x80000000, v5
	v_xor_b32_e32 v6, s16, v5
	v_and_b32_e32 v6, s15, v6
	v_cmp_eq_u32_e64 s[0:1], 0, v6
	s_and_b64 exec, exec, s[0:1]
	s_cbranch_execz .LBB151_19
; %bb.18:                               ;   in Loop: Header=BB151_16 Depth=1
	v_bfe_u32 v5, v5, s6, 8
	v_lshlrev_b32_e32 v5, 2, v5
	ds_add_u32 v5, v3
.LBB151_19:                             ;   in Loop: Header=BB151_16 Depth=1
	s_or_b64 exec, exec, s[4:5]
	v_add_u32_e32 v5, 0x100, v4
	v_cmp_gt_u32_e64 s[0:1], s10, v5
	s_and_saveexec_b64 s[4:5], s[0:1]
	s_cbranch_execz .LBB151_15
; %bb.20:                               ;   in Loop: Header=BB151_16 Depth=1
	v_mad_u64_u32 v[6:7], s[0:1], v5, s8, 0
	v_mov_b32_e32 v8, v7
	v_mad_u64_u32 v[8:9], s[0:1], v5, s9, v[8:9]
	v_mov_b32_e32 v7, v8
	v_lshlrev_b64 v[6:7], 2, v[6:7]
	v_mov_b32_e32 v5, s13
	v_add_co_u32_e64 v6, s[0:1], s7, v6
	v_addc_co_u32_e64 v7, s[0:1], v5, v7, s[0:1]
	global_load_dword v5, v[6:7], off
	s_waitcnt vmcnt(0)
	v_xor_b32_e32 v5, 0x80000000, v5
	v_xor_b32_e32 v6, s16, v5
	v_and_b32_e32 v6, s15, v6
	v_cmp_eq_u32_e64 s[0:1], 0, v6
	s_and_b64 exec, exec, s[0:1]
	s_cbranch_execz .LBB151_15
; %bb.21:                               ;   in Loop: Header=BB151_16 Depth=1
	v_bfe_u32 v5, v5, s6, 8
	v_lshlrev_b32_e32 v5, 2, v5
	ds_add_u32 v5, v3
	s_branch .LBB151_15
.LBB151_22:
	s_lshl_b32 s14, s12, 8
.LBB151_23:
	s_bitcmp0_b32 s11, 0
	s_cbranch_scc1 .LBB151_28
; %bb.24:
	v_add_u32_e32 v2, s14, v2
	v_cmp_gt_u32_e64 s[0:1], s10, v2
	s_and_saveexec_b64 s[4:5], s[0:1]
	s_cbranch_execz .LBB151_27
; %bb.25:
	v_mad_u64_u32 v[4:5], s[0:1], v2, s8, 0
	v_mov_b32_e32 v6, v5
	v_mad_u64_u32 v[2:3], s[0:1], v2, s9, v[6:7]
	v_mov_b32_e32 v5, v2
	v_lshlrev_b64 v[2:3], 2, v[4:5]
	v_mov_b32_e32 v4, s13
	v_add_co_u32_e64 v2, s[0:1], s7, v2
	v_addc_co_u32_e64 v3, s[0:1], v4, v3, s[0:1]
	global_load_dword v2, v[2:3], off
	s_waitcnt vmcnt(0)
	v_xor_b32_e32 v2, 0x80000000, v2
	v_xor_b32_e32 v3, s16, v2
	v_and_b32_e32 v3, s15, v3
	v_cmp_eq_u32_e64 s[0:1], 0, v3
	s_and_b64 exec, exec, s[0:1]
	s_cbranch_execz .LBB151_27
; %bb.26:
	v_bfe_u32 v2, v2, s6, 8
	v_lshlrev_b32_e32 v2, 2, v2
	v_mov_b32_e32 v3, 1
	ds_add_u32 v2, v3
.LBB151_27:
	s_or_b64 exec, exec, s[4:5]
.LBB151_28:
	v_mov_b32_e32 v2, 0
	s_waitcnt lgkmcnt(0)
	s_barrier
	s_and_saveexec_b64 s[0:1], vcc
	s_cbranch_execz .LBB151_30
; %bb.29:
	ds_read_b32 v2, v1
.LBB151_30:
	s_or_b64 exec, exec, s[0:1]
	s_and_saveexec_b64 s[0:1], vcc
	s_cbranch_execz .LBB151_32
; %bb.31:
	v_lshl_or_b32 v0, s26, 8, v0
	v_mov_b32_e32 v1, 0
	v_lshlrev_b64 v[0:1], 1, v[0:1]
	v_mov_b32_e32 v3, s3
	v_add_co_u32_e32 v0, vcc, s2, v0
	v_addc_co_u32_e32 v1, vcc, v3, v1, vcc
	s_waitcnt lgkmcnt(0)
	global_store_short v[0:1], v2, off
.LBB151_32:
	s_endpgm
	.section	.rodata,"a",@progbits
	.p2align	6, 0x0
	.amdhsa_kernel _ZN2at6native6mbtopk23computeBlockDigitCountsIimjLin1EEEvNS_4cuda6detail10TensorInfoIKT_T0_EEjPjjS8_iijT1_PSB_Ps
		.amdhsa_group_segment_fixed_size 1024
		.amdhsa_private_segment_fixed_size 0
		.amdhsa_kernarg_size 736
		.amdhsa_user_sgpr_count 6
		.amdhsa_user_sgpr_private_segment_buffer 1
		.amdhsa_user_sgpr_dispatch_ptr 0
		.amdhsa_user_sgpr_queue_ptr 0
		.amdhsa_user_sgpr_kernarg_segment_ptr 1
		.amdhsa_user_sgpr_dispatch_id 0
		.amdhsa_user_sgpr_flat_scratch_init 0
		.amdhsa_user_sgpr_kernarg_preload_length 0
		.amdhsa_user_sgpr_kernarg_preload_offset 0
		.amdhsa_user_sgpr_private_segment_size 0
		.amdhsa_uses_dynamic_stack 0
		.amdhsa_system_sgpr_private_segment_wavefront_offset 0
		.amdhsa_system_sgpr_workgroup_id_x 1
		.amdhsa_system_sgpr_workgroup_id_y 1
		.amdhsa_system_sgpr_workgroup_id_z 1
		.amdhsa_system_sgpr_workgroup_info 0
		.amdhsa_system_vgpr_workitem_id 0
		.amdhsa_next_free_vgpr 10
		.amdhsa_next_free_sgpr 31
		.amdhsa_accum_offset 12
		.amdhsa_reserve_vcc 1
		.amdhsa_reserve_flat_scratch 0
		.amdhsa_float_round_mode_32 0
		.amdhsa_float_round_mode_16_64 0
		.amdhsa_float_denorm_mode_32 3
		.amdhsa_float_denorm_mode_16_64 3
		.amdhsa_dx10_clamp 1
		.amdhsa_ieee_mode 1
		.amdhsa_fp16_overflow 0
		.amdhsa_tg_split 0
		.amdhsa_exception_fp_ieee_invalid_op 0
		.amdhsa_exception_fp_denorm_src 0
		.amdhsa_exception_fp_ieee_div_zero 0
		.amdhsa_exception_fp_ieee_overflow 0
		.amdhsa_exception_fp_ieee_underflow 0
		.amdhsa_exception_fp_ieee_inexact 0
		.amdhsa_exception_int_div_zero 0
	.end_amdhsa_kernel
	.section	.text._ZN2at6native6mbtopk23computeBlockDigitCountsIimjLin1EEEvNS_4cuda6detail10TensorInfoIKT_T0_EEjPjjS8_iijT1_PSB_Ps,"axG",@progbits,_ZN2at6native6mbtopk23computeBlockDigitCountsIimjLin1EEEvNS_4cuda6detail10TensorInfoIKT_T0_EEjPjjS8_iijT1_PSB_Ps,comdat
.Lfunc_end151:
	.size	_ZN2at6native6mbtopk23computeBlockDigitCountsIimjLin1EEEvNS_4cuda6detail10TensorInfoIKT_T0_EEjPjjS8_iijT1_PSB_Ps, .Lfunc_end151-_ZN2at6native6mbtopk23computeBlockDigitCountsIimjLin1EEEvNS_4cuda6detail10TensorInfoIKT_T0_EEjPjjS8_iijT1_PSB_Ps
                                        ; -- End function
	.section	.AMDGPU.csdata,"",@progbits
; Kernel info:
; codeLenInByte = 1736
; NumSgprs: 35
; NumVgprs: 10
; NumAgprs: 0
; TotalNumVgprs: 10
; ScratchSize: 0
; MemoryBound: 0
; FloatMode: 240
; IeeeMode: 1
; LDSByteSize: 1024 bytes/workgroup (compile time only)
; SGPRBlocks: 4
; VGPRBlocks: 1
; NumSGPRsForWavesPerEU: 35
; NumVGPRsForWavesPerEU: 10
; AccumOffset: 12
; Occupancy: 8
; WaveLimiterHint : 0
; COMPUTE_PGM_RSRC2:SCRATCH_EN: 0
; COMPUTE_PGM_RSRC2:USER_SGPR: 6
; COMPUTE_PGM_RSRC2:TRAP_HANDLER: 0
; COMPUTE_PGM_RSRC2:TGID_X_EN: 1
; COMPUTE_PGM_RSRC2:TGID_Y_EN: 1
; COMPUTE_PGM_RSRC2:TGID_Z_EN: 1
; COMPUTE_PGM_RSRC2:TIDIG_COMP_CNT: 0
; COMPUTE_PGM_RSRC3_GFX90A:ACCUM_OFFSET: 2
; COMPUTE_PGM_RSRC3_GFX90A:TG_SPLIT: 0
	.section	.text._ZN2at6native6mbtopk10gatherTopKIimLin1EEEvNS_4cuda6detail10TensorInfoIKT_T0_EES8_S8_bjS8_NS5_IS6_S8_EES8_NS5_IlS8_EES8_jjPS6_PjSD_j,"axG",@progbits,_ZN2at6native6mbtopk10gatherTopKIimLin1EEEvNS_4cuda6detail10TensorInfoIKT_T0_EES8_S8_bjS8_NS5_IS6_S8_EES8_NS5_IlS8_EES8_jjPS6_PjSD_j,comdat
	.protected	_ZN2at6native6mbtopk10gatherTopKIimLin1EEEvNS_4cuda6detail10TensorInfoIKT_T0_EES8_S8_bjS8_NS5_IS6_S8_EES8_NS5_IlS8_EES8_jjPS6_PjSD_j ; -- Begin function _ZN2at6native6mbtopk10gatherTopKIimLin1EEEvNS_4cuda6detail10TensorInfoIKT_T0_EES8_S8_bjS8_NS5_IS6_S8_EES8_NS5_IlS8_EES8_jjPS6_PjSD_j
	.globl	_ZN2at6native6mbtopk10gatherTopKIimLin1EEEvNS_4cuda6detail10TensorInfoIKT_T0_EES8_S8_bjS8_NS5_IS6_S8_EES8_NS5_IlS8_EES8_jjPS6_PjSD_j
	.p2align	8
	.type	_ZN2at6native6mbtopk10gatherTopKIimLin1EEEvNS_4cuda6detail10TensorInfoIKT_T0_EES8_S8_bjS8_NS5_IS6_S8_EES8_NS5_IlS8_EES8_jjPS6_PjSD_j,@function
_ZN2at6native6mbtopk10gatherTopKIimLin1EEEvNS_4cuda6detail10TensorInfoIKT_T0_EES8_S8_bjS8_NS5_IS6_S8_EES8_NS5_IlS8_EES8_jjPS6_PjSD_j: ; @_ZN2at6native6mbtopk10gatherTopKIimLin1EEEvNS_4cuda6detail10TensorInfoIKT_T0_EES8_S8_bjS8_NS5_IS6_S8_EES8_NS5_IlS8_EES8_jjPS6_PjSD_j
; %bb.0:
	s_load_dwordx2 s[0:1], s[4:5], 0x538
	s_load_dword s2, s[4:5], 0x530
	s_waitcnt lgkmcnt(0)
	s_mul_i32 s1, s1, s8
	s_add_i32 s1, s1, s7
	s_mul_i32 s0, s1, s0
	s_add_i32 s0, s0, s6
	s_cmp_ge_u32 s0, s2
	s_cbranch_scc1 .LBB152_67
; %bb.1:
	s_load_dwordx2 s[20:21], s[4:5], 0x510
	s_load_dwordx4 s[8:11], s[4:5], 0x1a0
	s_mov_b32 s3, 0
	s_waitcnt lgkmcnt(0)
	v_cvt_f32_u32_e32 v1, s21
	s_sub_i32 s2, 0, s21
	s_lshl_b32 s1, s20, 8
	v_rcp_iflag_f32_e32 v1, v1
	v_mul_f32_e32 v1, 0x4f7ffffe, v1
	v_cvt_u32_f32_e32 v1, v1
	v_readfirstlane_b32 s6, v1
	s_mul_i32 s2, s2, s6
	s_mul_hi_u32 s2, s6, s2
	s_add_i32 s6, s6, s2
	s_mul_hi_u32 s2, s0, s6
	s_mul_i32 s6, s2, s21
	s_sub_i32 s6, s0, s6
	s_add_i32 s7, s2, 1
	s_sub_i32 s12, s6, s21
	s_cmp_ge_u32 s6, s21
	s_cselect_b32 s2, s7, s2
	s_cselect_b32 s6, s12, s6
	s_add_i32 s7, s2, 1
	s_cmp_ge_u32 s6, s21
	s_cselect_b32 s2, s7, s2
	s_mul_i32 s22, s2, s21
	s_sub_i32 s54, s0, s22
	s_add_i32 s0, s54, 1
	s_cmp_lt_u32 s0, s21
	s_mul_i32 s33, s54, s1
	s_cbranch_scc1 .LBB152_3
; %bb.2:
	s_sub_u32 s0, s8, s33
	s_subb_u32 s1, s9, 0
	s_add_u32 s0, s0, 0xff
	s_addc_u32 s1, s1, 0
	s_ashr_i32 s6, s1, 31
	s_lshr_b32 s6, s6, 24
	s_add_u32 s0, s0, s6
	s_addc_u32 s1, s1, 0
	v_mov_b32_e32 v1, s0
	v_alignbit_b32 v1, s1, v1, 8
	v_readfirstlane_b32 s20, v1
.LBB152_3:
	s_load_dword s0, s[4:5], 0x198
	s_mov_b64 s[6:7], 0
	s_mov_b64 s[24:25], s[2:3]
	s_waitcnt lgkmcnt(0)
	s_cmp_lt_i32 s0, 2
	s_cbranch_scc1 .LBB152_11
; %bb.4:
	s_mov_b32 s12, 0
	s_add_i32 s23, s0, 1
	s_add_i32 s0, s0, -1
	s_mov_b32 s1, s12
	s_lshl_b64 s[0:1], s[0:1], 3
	s_add_u32 s0, s0, s4
	s_addc_u32 s1, s1, s5
	s_add_u32 s14, s0, 8
	s_addc_u32 s15, s1, 0
	s_mov_b64 s[16:17], s[2:3]
.LBB152_5:                              ; =>This Inner Loop Header: Depth=1
	s_load_dwordx2 s[18:19], s[14:15], 0x0
	s_waitcnt lgkmcnt(0)
	s_or_b64 s[0:1], s[16:17], s[18:19]
	s_mov_b32 s13, s1
	s_cmp_lg_u64 s[12:13], 0
	s_cbranch_scc0 .LBB152_10
; %bb.6:                                ;   in Loop: Header=BB152_5 Depth=1
	v_cvt_f32_u32_e32 v1, s18
	v_cvt_f32_u32_e32 v2, s19
	s_sub_u32 s0, 0, s18
	s_subb_u32 s1, 0, s19
	v_mac_f32_e32 v1, 0x4f800000, v2
	v_rcp_f32_e32 v1, v1
	v_mul_f32_e32 v1, 0x5f7ffffc, v1
	v_mul_f32_e32 v2, 0x2f800000, v1
	v_trunc_f32_e32 v2, v2
	v_mac_f32_e32 v1, 0xcf800000, v2
	v_cvt_u32_f32_e32 v2, v2
	v_cvt_u32_f32_e32 v1, v1
	v_readfirstlane_b32 s13, v2
	v_readfirstlane_b32 s24, v1
	s_mul_i32 s25, s0, s13
	s_mul_hi_u32 s27, s0, s24
	s_mul_i32 s26, s1, s24
	s_add_i32 s25, s27, s25
	s_mul_i32 s28, s0, s24
	s_add_i32 s25, s25, s26
	s_mul_hi_u32 s26, s24, s25
	s_mul_i32 s27, s24, s25
	s_mul_hi_u32 s24, s24, s28
	s_add_u32 s24, s24, s27
	s_addc_u32 s26, 0, s26
	s_mul_hi_u32 s29, s13, s28
	s_mul_i32 s28, s13, s28
	s_add_u32 s24, s24, s28
	s_mul_hi_u32 s27, s13, s25
	s_addc_u32 s24, s26, s29
	s_addc_u32 s26, s27, 0
	s_mul_i32 s25, s13, s25
	s_add_u32 s24, s24, s25
	s_addc_u32 s25, 0, s26
	v_add_co_u32_e32 v1, vcc, s24, v1
	s_cmp_lg_u64 vcc, 0
	s_addc_u32 s13, s13, s25
	v_readfirstlane_b32 s25, v1
	s_mul_i32 s24, s0, s13
	s_mul_hi_u32 s26, s0, s25
	s_add_i32 s24, s26, s24
	s_mul_i32 s1, s1, s25
	s_add_i32 s24, s24, s1
	s_mul_i32 s0, s0, s25
	s_mul_hi_u32 s26, s13, s0
	s_mul_i32 s27, s13, s0
	s_mul_i32 s29, s25, s24
	s_mul_hi_u32 s0, s25, s0
	s_mul_hi_u32 s28, s25, s24
	s_add_u32 s0, s0, s29
	s_addc_u32 s25, 0, s28
	s_add_u32 s0, s0, s27
	s_mul_hi_u32 s1, s13, s24
	s_addc_u32 s0, s25, s26
	s_addc_u32 s1, s1, 0
	s_mul_i32 s24, s13, s24
	s_add_u32 s0, s0, s24
	s_addc_u32 s1, 0, s1
	v_add_co_u32_e32 v1, vcc, s0, v1
	s_cmp_lg_u64 vcc, 0
	s_addc_u32 s0, s13, s1
	v_readfirstlane_b32 s24, v1
	s_mul_i32 s13, s16, s0
	s_mul_hi_u32 s25, s16, s24
	s_mul_hi_u32 s1, s16, s0
	s_add_u32 s13, s25, s13
	s_addc_u32 s1, 0, s1
	s_mul_hi_u32 s26, s17, s24
	s_mul_i32 s24, s17, s24
	s_add_u32 s13, s13, s24
	s_mul_hi_u32 s25, s17, s0
	s_addc_u32 s1, s1, s26
	s_addc_u32 s13, s25, 0
	s_mul_i32 s0, s17, s0
	s_add_u32 s24, s1, s0
	s_addc_u32 s13, 0, s13
	s_mul_i32 s0, s18, s13
	s_mul_hi_u32 s1, s18, s24
	s_add_i32 s0, s1, s0
	s_mul_i32 s1, s19, s24
	s_add_i32 s25, s0, s1
	s_mul_i32 s1, s18, s24
	v_mov_b32_e32 v1, s1
	s_sub_i32 s0, s17, s25
	v_sub_co_u32_e32 v1, vcc, s16, v1
	s_cmp_lg_u64 vcc, 0
	s_subb_u32 s26, s0, s19
	v_subrev_co_u32_e64 v2, s[0:1], s18, v1
	s_cmp_lg_u64 s[0:1], 0
	s_subb_u32 s0, s26, 0
	s_cmp_ge_u32 s0, s19
	v_readfirstlane_b32 s26, v2
	s_cselect_b32 s1, -1, 0
	s_cmp_ge_u32 s26, s18
	s_cselect_b32 s26, -1, 0
	s_cmp_eq_u32 s0, s19
	s_cselect_b32 s0, s26, s1
	s_add_u32 s1, s24, 1
	s_addc_u32 s26, s13, 0
	s_add_u32 s27, s24, 2
	s_addc_u32 s28, s13, 0
	s_cmp_lg_u32 s0, 0
	s_cselect_b32 s0, s27, s1
	s_cselect_b32 s1, s28, s26
	s_cmp_lg_u64 vcc, 0
	s_subb_u32 s25, s17, s25
	s_cmp_ge_u32 s25, s19
	v_readfirstlane_b32 s27, v1
	s_cselect_b32 s26, -1, 0
	s_cmp_ge_u32 s27, s18
	s_cselect_b32 s27, -1, 0
	s_cmp_eq_u32 s25, s19
	s_cselect_b32 s25, s27, s26
	s_cmp_lg_u32 s25, 0
	s_cselect_b32 s25, s1, s13
	s_cselect_b32 s24, s0, s24
	s_cbranch_execnz .LBB152_8
.LBB152_7:                              ;   in Loop: Header=BB152_5 Depth=1
	v_cvt_f32_u32_e32 v1, s18
	s_sub_i32 s0, 0, s18
	s_mov_b32 s25, s12
	v_rcp_iflag_f32_e32 v1, v1
	v_mul_f32_e32 v1, 0x4f7ffffe, v1
	v_cvt_u32_f32_e32 v1, v1
	v_readfirstlane_b32 s1, v1
	s_mul_i32 s0, s0, s1
	s_mul_hi_u32 s0, s1, s0
	s_add_i32 s1, s1, s0
	s_mul_hi_u32 s0, s16, s1
	s_mul_i32 s13, s0, s18
	s_sub_i32 s13, s16, s13
	s_add_i32 s1, s0, 1
	s_sub_i32 s24, s13, s18
	s_cmp_ge_u32 s13, s18
	s_cselect_b32 s0, s1, s0
	s_cselect_b32 s13, s24, s13
	s_add_i32 s1, s0, 1
	s_cmp_ge_u32 s13, s18
	s_cselect_b32 s24, s1, s0
.LBB152_8:                              ;   in Loop: Header=BB152_5 Depth=1
	s_mul_i32 s0, s24, s19
	s_mul_hi_u32 s1, s24, s18
	s_add_i32 s13, s1, s0
	s_load_dwordx2 s[0:1], s[14:15], 0xc8
	s_mul_i32 s19, s25, s18
	s_add_i32 s13, s13, s19
	s_mul_i32 s18, s24, s18
	s_sub_u32 s16, s16, s18
	s_subb_u32 s13, s17, s13
	s_waitcnt lgkmcnt(0)
	s_mul_i32 s13, s0, s13
	s_mul_hi_u32 s17, s0, s16
	s_add_i32 s13, s17, s13
	s_mul_i32 s1, s1, s16
	s_add_i32 s13, s13, s1
	s_mul_i32 s0, s0, s16
	s_add_u32 s6, s0, s6
	s_addc_u32 s7, s13, s7
	s_add_i32 s23, s23, -1
	s_add_u32 s14, s14, -8
	s_addc_u32 s15, s15, -1
	s_cmp_gt_u32 s23, 2
	s_cbranch_scc0 .LBB152_11
; %bb.9:                                ;   in Loop: Header=BB152_5 Depth=1
	s_mov_b64 s[16:17], s[24:25]
	s_branch .LBB152_5
.LBB152_10:                             ;   in Loop: Header=BB152_5 Depth=1
                                        ; implicit-def: $sgpr24_sgpr25
	s_branch .LBB152_7
.LBB152_11:
	s_load_dword s0, s[4:5], 0x358
	s_load_dwordx2 s[28:29], s[4:5], 0xd0
	s_add_u32 s12, s4, 0x1c0
	s_addc_u32 s13, s5, 0
	s_mov_b64 s[26:27], 0
	s_waitcnt lgkmcnt(0)
	s_cmp_lt_i32 s0, 2
	s_mov_b64 s[30:31], s[2:3]
	s_cbranch_scc1 .LBB152_19
; %bb.12:
	s_mov_b32 s14, 0
	s_add_i32 s23, s0, 1
	s_add_i32 s0, s0, -1
	s_mov_b32 s1, s14
	s_lshl_b64 s[0:1], s[0:1], 3
	s_add_u32 s0, s0, s12
	s_addc_u32 s1, s1, s13
	s_add_u32 s16, s0, 8
	s_addc_u32 s17, s1, 0
	s_mov_b64 s[18:19], s[2:3]
.LBB152_13:                             ; =>This Inner Loop Header: Depth=1
	s_load_dwordx2 s[34:35], s[16:17], 0x0
	s_waitcnt lgkmcnt(0)
	s_or_b64 s[0:1], s[18:19], s[34:35]
	s_mov_b32 s15, s1
	s_cmp_lg_u64 s[14:15], 0
	s_cbranch_scc0 .LBB152_18
; %bb.14:                               ;   in Loop: Header=BB152_13 Depth=1
	v_cvt_f32_u32_e32 v1, s34
	v_cvt_f32_u32_e32 v2, s35
	s_sub_u32 s0, 0, s34
	s_subb_u32 s1, 0, s35
	v_mac_f32_e32 v1, 0x4f800000, v2
	v_rcp_f32_e32 v1, v1
	v_mul_f32_e32 v1, 0x5f7ffffc, v1
	v_mul_f32_e32 v2, 0x2f800000, v1
	v_trunc_f32_e32 v2, v2
	v_mac_f32_e32 v1, 0xcf800000, v2
	v_cvt_u32_f32_e32 v2, v2
	v_cvt_u32_f32_e32 v1, v1
	v_readfirstlane_b32 s15, v2
	v_readfirstlane_b32 s30, v1
	s_mul_i32 s31, s0, s15
	s_mul_hi_u32 s37, s0, s30
	s_mul_i32 s36, s1, s30
	s_add_i32 s31, s37, s31
	s_mul_i32 s38, s0, s30
	s_add_i32 s31, s31, s36
	s_mul_hi_u32 s36, s30, s31
	s_mul_i32 s37, s30, s31
	s_mul_hi_u32 s30, s30, s38
	s_add_u32 s30, s30, s37
	s_addc_u32 s36, 0, s36
	s_mul_hi_u32 s39, s15, s38
	s_mul_i32 s38, s15, s38
	s_add_u32 s30, s30, s38
	s_mul_hi_u32 s37, s15, s31
	s_addc_u32 s30, s36, s39
	s_addc_u32 s36, s37, 0
	s_mul_i32 s31, s15, s31
	s_add_u32 s30, s30, s31
	s_addc_u32 s31, 0, s36
	v_add_co_u32_e32 v1, vcc, s30, v1
	s_cmp_lg_u64 vcc, 0
	s_addc_u32 s15, s15, s31
	v_readfirstlane_b32 s31, v1
	s_mul_i32 s30, s0, s15
	s_mul_hi_u32 s36, s0, s31
	s_add_i32 s30, s36, s30
	s_mul_i32 s1, s1, s31
	s_add_i32 s30, s30, s1
	s_mul_i32 s0, s0, s31
	s_mul_hi_u32 s36, s15, s0
	s_mul_i32 s37, s15, s0
	s_mul_i32 s39, s31, s30
	s_mul_hi_u32 s0, s31, s0
	s_mul_hi_u32 s38, s31, s30
	s_add_u32 s0, s0, s39
	s_addc_u32 s31, 0, s38
	s_add_u32 s0, s0, s37
	s_mul_hi_u32 s1, s15, s30
	s_addc_u32 s0, s31, s36
	s_addc_u32 s1, s1, 0
	s_mul_i32 s30, s15, s30
	s_add_u32 s0, s0, s30
	s_addc_u32 s1, 0, s1
	v_add_co_u32_e32 v1, vcc, s0, v1
	s_cmp_lg_u64 vcc, 0
	s_addc_u32 s0, s15, s1
	v_readfirstlane_b32 s30, v1
	s_mul_i32 s15, s18, s0
	s_mul_hi_u32 s31, s18, s30
	s_mul_hi_u32 s1, s18, s0
	s_add_u32 s15, s31, s15
	s_addc_u32 s1, 0, s1
	s_mul_hi_u32 s36, s19, s30
	s_mul_i32 s30, s19, s30
	s_add_u32 s15, s15, s30
	s_mul_hi_u32 s31, s19, s0
	s_addc_u32 s1, s1, s36
	s_addc_u32 s15, s31, 0
	s_mul_i32 s0, s19, s0
	s_add_u32 s30, s1, s0
	s_addc_u32 s15, 0, s15
	s_mul_i32 s0, s34, s15
	s_mul_hi_u32 s1, s34, s30
	s_add_i32 s0, s1, s0
	s_mul_i32 s1, s35, s30
	s_add_i32 s31, s0, s1
	s_mul_i32 s1, s34, s30
	v_mov_b32_e32 v1, s1
	s_sub_i32 s0, s19, s31
	v_sub_co_u32_e32 v1, vcc, s18, v1
	s_cmp_lg_u64 vcc, 0
	s_subb_u32 s36, s0, s35
	v_subrev_co_u32_e64 v2, s[0:1], s34, v1
	s_cmp_lg_u64 s[0:1], 0
	s_subb_u32 s0, s36, 0
	s_cmp_ge_u32 s0, s35
	v_readfirstlane_b32 s36, v2
	s_cselect_b32 s1, -1, 0
	s_cmp_ge_u32 s36, s34
	s_cselect_b32 s36, -1, 0
	s_cmp_eq_u32 s0, s35
	s_cselect_b32 s0, s36, s1
	s_add_u32 s1, s30, 1
	s_addc_u32 s36, s15, 0
	s_add_u32 s37, s30, 2
	s_addc_u32 s38, s15, 0
	s_cmp_lg_u32 s0, 0
	s_cselect_b32 s0, s37, s1
	s_cselect_b32 s1, s38, s36
	s_cmp_lg_u64 vcc, 0
	s_subb_u32 s31, s19, s31
	s_cmp_ge_u32 s31, s35
	v_readfirstlane_b32 s37, v1
	s_cselect_b32 s36, -1, 0
	s_cmp_ge_u32 s37, s34
	s_cselect_b32 s37, -1, 0
	s_cmp_eq_u32 s31, s35
	s_cselect_b32 s31, s37, s36
	s_cmp_lg_u32 s31, 0
	s_cselect_b32 s31, s1, s15
	s_cselect_b32 s30, s0, s30
	s_cbranch_execnz .LBB152_16
.LBB152_15:                             ;   in Loop: Header=BB152_13 Depth=1
	v_cvt_f32_u32_e32 v1, s34
	s_sub_i32 s0, 0, s34
	s_mov_b32 s31, s14
	v_rcp_iflag_f32_e32 v1, v1
	v_mul_f32_e32 v1, 0x4f7ffffe, v1
	v_cvt_u32_f32_e32 v1, v1
	v_readfirstlane_b32 s1, v1
	s_mul_i32 s0, s0, s1
	s_mul_hi_u32 s0, s1, s0
	s_add_i32 s1, s1, s0
	s_mul_hi_u32 s0, s18, s1
	s_mul_i32 s15, s0, s34
	s_sub_i32 s15, s18, s15
	s_add_i32 s1, s0, 1
	s_sub_i32 s30, s15, s34
	s_cmp_ge_u32 s15, s34
	s_cselect_b32 s0, s1, s0
	s_cselect_b32 s15, s30, s15
	s_add_i32 s1, s0, 1
	s_cmp_ge_u32 s15, s34
	s_cselect_b32 s30, s1, s0
.LBB152_16:                             ;   in Loop: Header=BB152_13 Depth=1
	s_mul_i32 s0, s30, s35
	s_mul_hi_u32 s1, s30, s34
	s_add_i32 s15, s1, s0
	s_load_dwordx2 s[0:1], s[16:17], 0xc8
	s_mul_i32 s35, s31, s34
	s_add_i32 s15, s15, s35
	s_mul_i32 s34, s30, s34
	s_sub_u32 s18, s18, s34
	s_subb_u32 s15, s19, s15
	s_waitcnt lgkmcnt(0)
	s_mul_i32 s15, s0, s15
	s_mul_hi_u32 s19, s0, s18
	s_add_i32 s15, s19, s15
	s_mul_i32 s1, s1, s18
	s_add_i32 s15, s15, s1
	s_mul_i32 s0, s0, s18
	s_add_u32 s26, s0, s26
	s_addc_u32 s27, s15, s27
	s_add_i32 s23, s23, -1
	s_add_u32 s16, s16, -8
	s_addc_u32 s17, s17, -1
	s_cmp_gt_u32 s23, 2
	s_cbranch_scc0 .LBB152_19
; %bb.17:                               ;   in Loop: Header=BB152_13 Depth=1
	s_mov_b64 s[18:19], s[30:31]
	s_branch .LBB152_13
.LBB152_18:                             ;   in Loop: Header=BB152_13 Depth=1
                                        ; implicit-def: $sgpr30_sgpr31
	s_branch .LBB152_15
.LBB152_19:
	s_load_dword s14, s[4:5], 0x500
	s_load_dwordx2 s[36:37], s[12:13], 0xd0
	s_add_u32 s0, s4, 0x368
	s_addc_u32 s1, s5, 0
	s_mov_b64 s[34:35], 0
	s_waitcnt lgkmcnt(0)
	s_cmp_lt_i32 s14, 2
	s_cbranch_scc1 .LBB152_27
; %bb.20:
	s_mov_b32 s12, 0
	s_add_i32 s23, s14, 1
	s_add_i32 s14, s14, -1
	s_mov_b32 s15, s12
	s_lshl_b64 s[14:15], s[14:15], 3
	s_add_u32 s0, s14, s0
	s_addc_u32 s1, s15, s1
	s_add_u32 s14, s0, 8
	s_addc_u32 s15, s1, 0
	s_mov_b64 s[16:17], s[2:3]
.LBB152_21:                             ; =>This Inner Loop Header: Depth=1
	s_load_dwordx2 s[18:19], s[14:15], 0x0
	s_waitcnt lgkmcnt(0)
	s_or_b64 s[0:1], s[16:17], s[18:19]
	s_mov_b32 s13, s1
	s_cmp_lg_u64 s[12:13], 0
	s_cbranch_scc0 .LBB152_26
; %bb.22:                               ;   in Loop: Header=BB152_21 Depth=1
	v_cvt_f32_u32_e32 v1, s18
	v_cvt_f32_u32_e32 v2, s19
	s_sub_u32 s0, 0, s18
	s_subb_u32 s1, 0, s19
	v_mac_f32_e32 v1, 0x4f800000, v2
	v_rcp_f32_e32 v1, v1
	v_mul_f32_e32 v1, 0x5f7ffffc, v1
	v_mul_f32_e32 v2, 0x2f800000, v1
	v_trunc_f32_e32 v2, v2
	v_mac_f32_e32 v1, 0xcf800000, v2
	v_cvt_u32_f32_e32 v2, v2
	v_cvt_u32_f32_e32 v1, v1
	v_readfirstlane_b32 s13, v2
	v_readfirstlane_b32 s38, v1
	s_mul_i32 s39, s0, s13
	s_mul_hi_u32 s41, s0, s38
	s_mul_i32 s40, s1, s38
	s_add_i32 s39, s41, s39
	s_mul_i32 s42, s0, s38
	s_add_i32 s39, s39, s40
	s_mul_hi_u32 s40, s38, s39
	s_mul_i32 s41, s38, s39
	s_mul_hi_u32 s38, s38, s42
	s_add_u32 s38, s38, s41
	s_addc_u32 s40, 0, s40
	s_mul_hi_u32 s43, s13, s42
	s_mul_i32 s42, s13, s42
	s_add_u32 s38, s38, s42
	s_mul_hi_u32 s41, s13, s39
	s_addc_u32 s38, s40, s43
	s_addc_u32 s40, s41, 0
	s_mul_i32 s39, s13, s39
	s_add_u32 s38, s38, s39
	s_addc_u32 s39, 0, s40
	v_add_co_u32_e32 v1, vcc, s38, v1
	s_cmp_lg_u64 vcc, 0
	s_addc_u32 s13, s13, s39
	v_readfirstlane_b32 s39, v1
	s_mul_i32 s38, s0, s13
	s_mul_hi_u32 s40, s0, s39
	s_add_i32 s38, s40, s38
	s_mul_i32 s1, s1, s39
	s_add_i32 s38, s38, s1
	s_mul_i32 s0, s0, s39
	s_mul_hi_u32 s40, s13, s0
	s_mul_i32 s41, s13, s0
	s_mul_i32 s43, s39, s38
	s_mul_hi_u32 s0, s39, s0
	s_mul_hi_u32 s42, s39, s38
	s_add_u32 s0, s0, s43
	s_addc_u32 s39, 0, s42
	s_add_u32 s0, s0, s41
	s_mul_hi_u32 s1, s13, s38
	s_addc_u32 s0, s39, s40
	s_addc_u32 s1, s1, 0
	s_mul_i32 s38, s13, s38
	s_add_u32 s0, s0, s38
	s_addc_u32 s1, 0, s1
	v_add_co_u32_e32 v1, vcc, s0, v1
	s_cmp_lg_u64 vcc, 0
	s_addc_u32 s0, s13, s1
	v_readfirstlane_b32 s38, v1
	s_mul_i32 s13, s16, s0
	s_mul_hi_u32 s39, s16, s38
	s_mul_hi_u32 s1, s16, s0
	s_add_u32 s13, s39, s13
	s_addc_u32 s1, 0, s1
	s_mul_hi_u32 s40, s17, s38
	s_mul_i32 s38, s17, s38
	s_add_u32 s13, s13, s38
	s_mul_hi_u32 s39, s17, s0
	s_addc_u32 s1, s1, s40
	s_addc_u32 s13, s39, 0
	s_mul_i32 s0, s17, s0
	s_add_u32 s38, s1, s0
	s_addc_u32 s13, 0, s13
	s_mul_i32 s0, s18, s13
	s_mul_hi_u32 s1, s18, s38
	s_add_i32 s0, s1, s0
	s_mul_i32 s1, s19, s38
	s_add_i32 s39, s0, s1
	s_mul_i32 s1, s18, s38
	v_mov_b32_e32 v1, s1
	s_sub_i32 s0, s17, s39
	v_sub_co_u32_e32 v1, vcc, s16, v1
	s_cmp_lg_u64 vcc, 0
	s_subb_u32 s40, s0, s19
	v_subrev_co_u32_e64 v2, s[0:1], s18, v1
	s_cmp_lg_u64 s[0:1], 0
	s_subb_u32 s0, s40, 0
	s_cmp_ge_u32 s0, s19
	v_readfirstlane_b32 s40, v2
	s_cselect_b32 s1, -1, 0
	s_cmp_ge_u32 s40, s18
	s_cselect_b32 s40, -1, 0
	s_cmp_eq_u32 s0, s19
	s_cselect_b32 s0, s40, s1
	s_add_u32 s1, s38, 1
	s_addc_u32 s40, s13, 0
	s_add_u32 s41, s38, 2
	s_addc_u32 s42, s13, 0
	s_cmp_lg_u32 s0, 0
	s_cselect_b32 s0, s41, s1
	s_cselect_b32 s1, s42, s40
	s_cmp_lg_u64 vcc, 0
	s_subb_u32 s39, s17, s39
	s_cmp_ge_u32 s39, s19
	v_readfirstlane_b32 s41, v1
	s_cselect_b32 s40, -1, 0
	s_cmp_ge_u32 s41, s18
	s_cselect_b32 s41, -1, 0
	s_cmp_eq_u32 s39, s19
	s_cselect_b32 s39, s41, s40
	s_cmp_lg_u32 s39, 0
	s_cselect_b32 s39, s1, s13
	s_cselect_b32 s38, s0, s38
	s_cbranch_execnz .LBB152_24
.LBB152_23:                             ;   in Loop: Header=BB152_21 Depth=1
	v_cvt_f32_u32_e32 v1, s18
	s_sub_i32 s0, 0, s18
	s_mov_b32 s39, s12
	v_rcp_iflag_f32_e32 v1, v1
	v_mul_f32_e32 v1, 0x4f7ffffe, v1
	v_cvt_u32_f32_e32 v1, v1
	v_readfirstlane_b32 s1, v1
	s_mul_i32 s0, s0, s1
	s_mul_hi_u32 s0, s1, s0
	s_add_i32 s1, s1, s0
	s_mul_hi_u32 s0, s16, s1
	s_mul_i32 s13, s0, s18
	s_sub_i32 s13, s16, s13
	s_add_i32 s1, s0, 1
	s_sub_i32 s38, s13, s18
	s_cmp_ge_u32 s13, s18
	s_cselect_b32 s0, s1, s0
	s_cselect_b32 s13, s38, s13
	s_add_i32 s1, s0, 1
	s_cmp_ge_u32 s13, s18
	s_cselect_b32 s38, s1, s0
.LBB152_24:                             ;   in Loop: Header=BB152_21 Depth=1
	s_mul_i32 s0, s38, s19
	s_mul_hi_u32 s1, s38, s18
	s_add_i32 s13, s1, s0
	s_load_dwordx2 s[0:1], s[14:15], 0xc8
	s_mul_i32 s19, s39, s18
	s_add_i32 s13, s13, s19
	s_mul_i32 s18, s38, s18
	s_sub_u32 s16, s16, s18
	s_subb_u32 s13, s17, s13
	s_waitcnt lgkmcnt(0)
	s_mul_i32 s13, s0, s13
	s_mul_hi_u32 s17, s0, s16
	s_add_i32 s13, s17, s13
	s_mul_i32 s1, s1, s16
	s_add_i32 s13, s13, s1
	s_mul_i32 s0, s0, s16
	s_add_u32 s34, s0, s34
	s_addc_u32 s35, s13, s35
	s_add_i32 s23, s23, -1
	s_add_u32 s14, s14, -8
	s_addc_u32 s15, s15, -1
	s_cmp_gt_u32 s23, 2
	s_cbranch_scc0 .LBB152_28
; %bb.25:                               ;   in Loop: Header=BB152_21 Depth=1
	s_mov_b64 s[16:17], s[38:39]
	s_branch .LBB152_21
.LBB152_26:                             ;   in Loop: Header=BB152_21 Depth=1
                                        ; implicit-def: $sgpr38_sgpr39
	s_branch .LBB152_23
.LBB152_27:
	s_mov_b64 s[38:39], s[2:3]
.LBB152_28:
	s_load_dwordx4 s[12:15], s[4:5], 0x518
	s_load_dwordx2 s[44:45], s[4:5], 0x0
	s_load_dwordx2 s[42:43], s[4:5], 0x1c0
	;; [unrolled: 1-line block ×4, first 2 shown]
	s_lshl_b64 s[0:1], s[2:3], 2
	s_waitcnt lgkmcnt(0)
	s_add_u32 s0, s12, s0
	s_addc_u32 s1, s13, s1
	s_load_dword s55, s[0:1], 0x0
	s_mov_b32 s23, 0
	v_cmp_ne_u32_e64 s[0:1], 0, v0
	v_cmp_eq_u32_e64 s[2:3], 0, v0
	s_and_saveexec_b64 s[12:13], s[2:3]
	s_cbranch_execz .LBB152_44
; %bb.29:
	s_load_dwordx2 s[48:49], s[4:5], 0x528
	s_lshl_b64 s[50:51], s[22:23], 2
	s_add_u32 s16, s14, s50
	s_addc_u32 s17, s15, s51
	s_mov_b32 s22, 0
	s_waitcnt lgkmcnt(0)
	s_add_u32 s18, s48, s50
	s_addc_u32 s19, s49, s51
	s_mov_b32 s56, 0
	s_cmp_lt_u32 s21, 4
	s_cbranch_scc1 .LBB152_41
; %bb.30:
	s_mov_b32 s57, 0
.LBB152_31:                             ; =>This Inner Loop Header: Depth=1
	s_add_u32 s16, s14, s50
	s_addc_u32 s17, s15, s51
	s_load_dwordx4 s[16:19], s[16:17], 0x0
	s_add_u32 s52, s48, s50
	s_addc_u32 s53, s49, s51
	s_cmp_ge_u32 s57, s54
	s_cbranch_scc0 .LBB152_38
; %bb.32:                               ;   in Loop: Header=BB152_31 Depth=1
	s_add_i32 s58, s57, 1
	s_cmp_ge_u32 s58, s54
	s_cbranch_scc0 .LBB152_39
.LBB152_33:                             ;   in Loop: Header=BB152_31 Depth=1
	s_add_i32 s58, s58, 1
	s_cmp_ge_u32 s58, s54
	s_cbranch_scc0 .LBB152_40
.LBB152_34:                             ;   in Loop: Header=BB152_31 Depth=1
	s_add_i32 s58, s58, 1
	s_cmp_ge_u32 s58, s54
	s_cbranch_scc1 .LBB152_36
.LBB152_35:                             ;   in Loop: Header=BB152_31 Depth=1
	s_load_dword s52, s[52:53], 0xc
	s_waitcnt lgkmcnt(0)
	s_add_i32 s23, s23, s19
	s_add_i32 s22, s52, s22
.LBB152_36:                             ;   in Loop: Header=BB152_31 Depth=1
	s_waitcnt lgkmcnt(0)
	s_add_i32 s16, s16, s56
	s_add_i32 s16, s16, s17
	;; [unrolled: 1-line block ×4, first 2 shown]
	s_add_u32 s14, s14, 16
	s_addc_u32 s15, s15, 0
	s_add_u32 s48, s48, 16
	s_addc_u32 s49, s49, 0
	s_add_i32 s53, s58, 4
	s_add_u32 s18, s48, s50
	s_addc_u32 s19, s49, s51
	s_add_u32 s16, s14, s50
	s_addc_u32 s17, s15, s51
	s_add_i32 s52, s58, 1
	s_cmp_ge_u32 s53, s21
	s_cbranch_scc1 .LBB152_42
; %bb.37:                               ;   in Loop: Header=BB152_31 Depth=1
	s_mov_b32 s57, s52
	s_branch .LBB152_31
.LBB152_38:                             ;   in Loop: Header=BB152_31 Depth=1
	s_load_dword s58, s[52:53], 0x0
	s_waitcnt lgkmcnt(0)
	s_add_i32 s23, s16, s23
	s_add_i32 s22, s58, s22
	;; [unrolled: 1-line block ×3, first 2 shown]
	s_cmp_ge_u32 s58, s54
	s_cbranch_scc1 .LBB152_33
.LBB152_39:                             ;   in Loop: Header=BB152_31 Depth=1
	s_load_dword s59, s[52:53], 0x4
	s_waitcnt lgkmcnt(0)
	s_add_i32 s23, s23, s17
	s_add_i32 s22, s59, s22
	;; [unrolled: 1-line block ×3, first 2 shown]
	s_cmp_ge_u32 s58, s54
	s_cbranch_scc1 .LBB152_34
.LBB152_40:                             ;   in Loop: Header=BB152_31 Depth=1
	s_load_dword s59, s[52:53], 0x8
	s_waitcnt lgkmcnt(0)
	s_add_i32 s23, s23, s18
	s_add_i32 s22, s59, s22
	;; [unrolled: 1-line block ×3, first 2 shown]
	s_cmp_ge_u32 s58, s54
	s_cbranch_scc0 .LBB152_35
	s_branch .LBB152_36
.LBB152_41:
	s_mov_b32 s14, 0
	s_cmp_ge_u32 s14, s21
	s_cbranch_scc0 .LBB152_65
	s_branch .LBB152_43
.LBB152_42:
	s_add_i32 s14, s57, 4
	s_cmp_ge_u32 s14, s21
	s_cbranch_scc0 .LBB152_65
.LBB152_43:
	v_mov_b32_e32 v2, s22
	v_mov_b32_e32 v3, s56
	;; [unrolled: 1-line block ×4, first 2 shown]
	ds_write_b96 v1, v[2:4] offset:1056
.LBB152_44:
	s_or_b64 exec, exec, s[12:13]
	s_cmp_eq_u32 s20, 0
	s_waitcnt lgkmcnt(0)
	s_barrier
	s_cbranch_scc1 .LBB152_67
; %bb.45:
	s_mul_i32 s14, s28, s25
	s_mul_hi_u32 s15, s28, s24
	s_mul_i32 s12, s36, s31
	s_mul_hi_u32 s13, s36, s30
	s_add_i32 s14, s15, s14
	s_mul_i32 s15, s29, s24
	s_mul_i32 s16, s46, s39
	s_mul_hi_u32 s17, s46, s38
	s_add_i32 s12, s13, s12
	s_mul_i32 s13, s37, s30
	s_add_i32 s15, s14, s15
	s_mul_i32 s14, s28, s24
	;; [unrolled: 2-line block ×3, first 2 shown]
	s_add_i32 s13, s12, s13
	s_add_i32 s17, s16, s17
	s_lshl_b64 s[14:15], s[14:15], 2
	s_add_u32 s14, s44, s14
	s_addc_u32 s15, s45, s15
	s_lshl_b64 s[6:7], s[6:7], 2
	s_mul_i32 s12, s36, s30
	s_add_u32 s21, s14, s6
	s_addc_u32 s22, s15, s7
	s_lshl_b64 s[6:7], s[12:13], 2
	s_add_u32 s12, s42, s6
	v_mov_b32_e32 v1, 0
	s_addc_u32 s13, s43, s7
	s_lshl_b64 s[6:7], s[26:27], 2
	ds_read_b96 v[2:4], v1 offset:1056
	s_mul_i32 s16, s46, s38
	s_add_u32 s23, s12, s6
	s_addc_u32 s24, s13, s7
	s_lshl_b64 s[6:7], s[16:17], 3
	s_add_u32 s12, s40, s6
	s_addc_u32 s13, s41, s7
	s_lshl_b64 s[6:7], s[34:35], 3
	s_add_u32 s25, s12, s6
	s_load_dword s6, s[4:5], 0x1b0
	s_waitcnt lgkmcnt(0)
	v_add_u32_e32 v2, v2, v3
	v_lshrrev_b32_e32 v3, 5, v0
	s_addc_u32 s26, s13, s7
	s_load_dwordx2 s[12:13], s[4:5], 0x1b8
	s_load_dwordx2 s[14:15], s[4:5], 0x360
	;; [unrolled: 1-line block ×3, first 2 shown]
	v_add_lshl_u32 v5, v3, v0, 2
	v_lshlrev_b32_e32 v3, 2, v0
	v_lshrrev_b32_e32 v6, 3, v0
	v_add_lshl_u32 v8, v6, v3, 2
	v_add_u32_e32 v3, -1, v0
	v_lshrrev_b32_e32 v6, 5, v3
	s_xor_b32 s27, s55, 0x80000000
	v_add_lshl_u32 v9, v6, v3, 2
	v_mbcnt_lo_u32_b32 v3, -1, 0
	s_bitcmp1_b32 s6, 0
	v_mbcnt_hi_u32_b32 v10, -1, v3
	s_cselect_b64 s[4:5], -1, 0
	v_cmp_gt_u32_e64 s[6:7], 64, v0
	v_add_u32_e32 v0, s33, v0
	v_and_b32_e32 v11, 15, v10
	v_bfe_i32 v12, v10, 4, 1
	v_add_u32_e32 v13, -1, v10
	v_and_b32_e32 v14, 64, v10
                                        ; implicit-def: $vgpr15
	s_branch .LBB152_48
.LBB152_46:                             ;   in Loop: Header=BB152_48 Depth=1
	s_or_b64 exec, exec, s[18:19]
	v_add_u32_e32 v2, v3, v2
.LBB152_47:                             ;   in Loop: Header=BB152_48 Depth=1
	s_add_i32 s20, s20, -1
	v_add_u32_e32 v4, v16, v4
	s_cmp_lg_u32 s20, 0
	v_add_u32_e32 v0, 0x100, v0
	s_cbranch_scc0 .LBB152_67
.LBB152_48:                             ; =>This Inner Loop Header: Depth=1
	v_cmp_gt_u64_e32 vcc, s[8:9], v[0:1]
	v_mov_b32_e32 v3, v1
	v_mov_b32_e32 v6, v1
	s_and_saveexec_b64 s[18:19], vcc
	s_cbranch_execz .LBB152_50
; %bb.49:                               ;   in Loop: Header=BB152_48 Depth=1
	s_waitcnt lgkmcnt(0)
	v_mad_u64_u32 v[6:7], s[28:29], v0, s12, 0
	v_mov_b32_e32 v16, v7
	v_mad_u64_u32 v[16:17], s[28:29], v0, s13, v[16:17]
	v_mov_b32_e32 v7, v16
	v_lshlrev_b64 v[6:7], 2, v[6:7]
	v_mov_b32_e32 v3, s22
	v_add_co_u32_e32 v6, vcc, s21, v6
	v_addc_co_u32_e32 v7, vcc, v3, v7, vcc
	global_load_dword v15, v[6:7], off
	s_waitcnt vmcnt(0)
	v_xor_b32_e32 v3, 0x80000000, v15
	v_cmp_lt_u32_e32 vcc, s27, v3
	v_cndmask_b32_e64 v6, 0, 1, vcc
	v_cmp_gt_u32_e32 vcc, s27, v3
	v_cndmask_b32_e64 v3, 0, 1, vcc
	v_cndmask_b32_e64 v3, v3, v6, s[4:5]
	v_cmp_eq_u32_e32 vcc, s55, v15
	v_and_b32_e32 v3, 1, v3
	v_cndmask_b32_e64 v6, 0, 1, vcc
.LBB152_50:                             ;   in Loop: Header=BB152_48 Depth=1
	s_or_b64 exec, exec, s[18:19]
	ds_write_b32 v5, v3
	s_waitcnt lgkmcnt(0)
	s_barrier
	s_and_saveexec_b64 s[18:19], s[6:7]
	s_cbranch_execz .LBB152_52
; %bb.51:                               ;   in Loop: Header=BB152_48 Depth=1
	ds_read2_b32 v[16:17], v8 offset1:1
	ds_read2_b32 v[18:19], v8 offset0:2 offset1:3
	v_cmp_ne_u32_e32 vcc, 0, v11
	; wave barrier
	s_waitcnt lgkmcnt(1)
	v_add_u32_e32 v7, v17, v16
	s_waitcnt lgkmcnt(0)
	v_add3_u32 v7, v7, v18, v19
	s_nop 1
	v_mov_b32_dpp v17, v7 row_shr:1 row_mask:0xf bank_mask:0xf
	v_cndmask_b32_e32 v17, 0, v17, vcc
	v_add_u32_e32 v7, v17, v7
	v_cmp_lt_u32_e32 vcc, 1, v11
	s_nop 0
	v_mov_b32_dpp v17, v7 row_shr:2 row_mask:0xf bank_mask:0xf
	v_cndmask_b32_e32 v17, 0, v17, vcc
	v_add_u32_e32 v7, v7, v17
	v_cmp_lt_u32_e32 vcc, 3, v11
	;; [unrolled: 5-line block ×4, first 2 shown]
	s_nop 0
	v_mov_b32_dpp v17, v7 row_bcast:15 row_mask:0xf bank_mask:0xf
	v_and_b32_e32 v17, v12, v17
	v_add_u32_e32 v7, v7, v17
	s_nop 1
	v_mov_b32_dpp v17, v7 row_bcast:31 row_mask:0xf bank_mask:0xf
	v_cndmask_b32_e32 v17, 0, v17, vcc
	v_cmp_lt_i32_e32 vcc, v13, v14
	v_add_u32_e32 v7, v7, v17
	v_cndmask_b32_e32 v17, v13, v10, vcc
	v_lshlrev_b32_e32 v17, 2, v17
	ds_bpermute_b32 v7, v17, v7
	s_waitcnt lgkmcnt(0)
	v_add_u32_e32 v7, v7, v16
	v_cndmask_b32_e64 v7, v7, v3, s[2:3]
	ds_write_b32 v8, v7
	; wave barrier
	ds_read2_b32 v[16:17], v8 offset0:1 offset1:2
	ds_read_b32 v18, v8 offset:12
	s_waitcnt lgkmcnt(1)
	v_add_u32_e32 v7, v16, v7
	v_add_u32_e32 v16, v17, v7
	ds_write2_b32 v8, v7, v16 offset0:1 offset1:2
	s_waitcnt lgkmcnt(1)
	v_add_u32_e32 v7, v18, v16
	ds_write_b32 v8, v7 offset:12
.LBB152_52:                             ;   in Loop: Header=BB152_48 Depth=1
	s_or_b64 exec, exec, s[18:19]
	v_mov_b32_e32 v7, 0
	s_waitcnt lgkmcnt(0)
	s_barrier
	s_and_saveexec_b64 s[18:19], s[0:1]
	s_cbranch_execz .LBB152_54
; %bb.53:                               ;   in Loop: Header=BB152_48 Depth=1
	ds_read_b32 v7, v9
.LBB152_54:                             ;   in Loop: Header=BB152_48 Depth=1
	s_or_b64 exec, exec, s[18:19]
	ds_read_b32 v16, v1 offset:1048
	v_cmp_ne_u32_e32 vcc, 0, v3
	s_waitcnt lgkmcnt(0)
	s_barrier
	s_and_saveexec_b64 s[18:19], vcc
	s_cbranch_execz .LBB152_56
; %bb.55:                               ;   in Loop: Header=BB152_48 Depth=1
	v_add_u32_e32 v3, v7, v4
	v_mad_u64_u32 v[18:19], s[28:29], v3, s14, 0
	v_mov_b32_e32 v20, v19
	v_mad_u64_u32 v[20:21], s[28:29], v3, s15, v[20:21]
	v_mov_b32_e32 v19, v20
	v_lshlrev_b64 v[18:19], 2, v[18:19]
	v_mov_b32_e32 v7, s24
	v_add_co_u32_e32 v18, vcc, s23, v18
	v_addc_co_u32_e32 v19, vcc, v7, v19, vcc
	global_store_dword v[18:19], v15, off
	v_mad_u64_u32 v[18:19], s[28:29], v3, s16, 0
	v_mov_b32_e32 v20, v19
	v_mad_u64_u32 v[20:21], s[28:29], v3, s17, v[20:21]
	v_mov_b32_e32 v19, v20
	v_lshlrev_b64 v[18:19], 3, v[18:19]
	v_mov_b32_e32 v3, s26
	v_add_co_u32_e32 v18, vcc, s25, v18
	v_addc_co_u32_e32 v19, vcc, v3, v19, vcc
	global_store_dwordx2 v[18:19], v[0:1], off
.LBB152_56:                             ;   in Loop: Header=BB152_48 Depth=1
	s_or_b64 exec, exec, s[18:19]
	v_mov_b32_e32 v3, v1
	v_cmp_le_u64_e32 vcc, s[10:11], v[2:3]
	s_cbranch_vccnz .LBB152_47
; %bb.57:                               ;   in Loop: Header=BB152_48 Depth=1
	ds_write_b32 v5, v6
	s_waitcnt lgkmcnt(0)
	s_barrier
	s_and_saveexec_b64 s[18:19], s[6:7]
	s_cbranch_execz .LBB152_59
; %bb.58:                               ;   in Loop: Header=BB152_48 Depth=1
	ds_read2_b32 v[18:19], v8 offset1:1
	ds_read2_b32 v[20:21], v8 offset0:2 offset1:3
	v_cmp_ne_u32_e32 vcc, 0, v11
	; wave barrier
	s_waitcnt lgkmcnt(1)
	v_add_u32_e32 v3, v19, v18
	s_waitcnt lgkmcnt(0)
	v_add3_u32 v3, v3, v20, v21
	s_nop 1
	v_mov_b32_dpp v7, v3 row_shr:1 row_mask:0xf bank_mask:0xf
	v_cndmask_b32_e32 v7, 0, v7, vcc
	v_add_u32_e32 v3, v7, v3
	v_cmp_lt_u32_e32 vcc, 1, v11
	s_nop 0
	v_mov_b32_dpp v7, v3 row_shr:2 row_mask:0xf bank_mask:0xf
	v_cndmask_b32_e32 v7, 0, v7, vcc
	v_add_u32_e32 v3, v3, v7
	v_cmp_lt_u32_e32 vcc, 3, v11
	;; [unrolled: 5-line block ×4, first 2 shown]
	s_nop 0
	v_mov_b32_dpp v7, v3 row_bcast:15 row_mask:0xf bank_mask:0xf
	v_and_b32_e32 v7, v12, v7
	v_add_u32_e32 v3, v3, v7
	s_nop 1
	v_mov_b32_dpp v7, v3 row_bcast:31 row_mask:0xf bank_mask:0xf
	v_cndmask_b32_e32 v7, 0, v7, vcc
	v_cmp_lt_i32_e32 vcc, v13, v14
	v_add_u32_e32 v3, v3, v7
	v_cndmask_b32_e32 v7, v13, v10, vcc
	v_lshlrev_b32_e32 v7, 2, v7
	ds_bpermute_b32 v3, v7, v3
	s_waitcnt lgkmcnt(0)
	v_add_u32_e32 v3, v3, v18
	v_cndmask_b32_e64 v3, v3, v6, s[2:3]
	ds_write_b32 v8, v3
	; wave barrier
	ds_read2_b32 v[18:19], v8 offset0:1 offset1:2
	ds_read_b32 v7, v8 offset:12
	s_waitcnt lgkmcnt(1)
	v_add_u32_e32 v3, v18, v3
	v_add_u32_e32 v17, v19, v3
	ds_write2_b32 v8, v3, v17 offset0:1 offset1:2
	s_waitcnt lgkmcnt(1)
	v_add_u32_e32 v3, v7, v17
	ds_write_b32 v8, v3 offset:12
.LBB152_59:                             ;   in Loop: Header=BB152_48 Depth=1
	s_or_b64 exec, exec, s[18:19]
	v_mov_b32_e32 v7, 0
	s_waitcnt lgkmcnt(0)
	s_barrier
	s_and_saveexec_b64 s[18:19], s[0:1]
	s_cbranch_execz .LBB152_61
; %bb.60:                               ;   in Loop: Header=BB152_48 Depth=1
	ds_read_b32 v7, v9
.LBB152_61:                             ;   in Loop: Header=BB152_48 Depth=1
	s_or_b64 exec, exec, s[18:19]
	ds_read_b32 v3, v1 offset:1048
	v_cmp_ne_u32_e32 vcc, 0, v6
	s_waitcnt lgkmcnt(0)
	s_barrier
	s_and_saveexec_b64 s[18:19], vcc
	s_cbranch_execz .LBB152_46
; %bb.62:                               ;   in Loop: Header=BB152_48 Depth=1
	v_add_u32_e32 v6, v7, v2
	v_mov_b32_e32 v7, v1
	v_cmp_gt_u64_e32 vcc, s[10:11], v[6:7]
	s_and_b64 exec, exec, vcc
	s_cbranch_execz .LBB152_46
; %bb.63:                               ;   in Loop: Header=BB152_48 Depth=1
	v_mad_u64_u32 v[18:19], s[28:29], v6, s14, 0
	v_mov_b32_e32 v20, v19
	v_mad_u64_u32 v[20:21], s[28:29], v6, s15, v[20:21]
	v_mov_b32_e32 v19, v20
	v_lshlrev_b64 v[18:19], 2, v[18:19]
	v_mov_b32_e32 v7, s24
	v_add_co_u32_e32 v18, vcc, s23, v18
	v_addc_co_u32_e32 v19, vcc, v7, v19, vcc
	global_store_dword v[18:19], v15, off
	v_mad_u64_u32 v[18:19], s[28:29], v6, s16, 0
	v_mov_b32_e32 v20, v19
	v_mad_u64_u32 v[6:7], s[28:29], v6, s17, v[20:21]
	v_mov_b32_e32 v19, v6
	v_lshlrev_b64 v[6:7], 3, v[18:19]
	v_mov_b32_e32 v17, s26
	v_add_co_u32_e32 v6, vcc, s25, v6
	v_addc_co_u32_e32 v7, vcc, v17, v7, vcc
	global_store_dwordx2 v[6:7], v[0:1], off
	s_branch .LBB152_46
.LBB152_64:                             ;   in Loop: Header=BB152_65 Depth=1
	s_add_u32 s16, s16, 4
	s_addc_u32 s17, s17, 0
	s_waitcnt lgkmcnt(0)
	s_add_i32 s56, s15, s56
	s_add_u32 s18, s18, 4
	s_addc_u32 s19, s19, 0
	s_add_i32 s14, s14, 1
	s_cmp_lt_u32 s14, s21
	s_cbranch_scc0 .LBB152_43
.LBB152_65:                             ; =>This Inner Loop Header: Depth=1
	s_load_dword s15, s[16:17], 0x0
	s_cmp_ge_u32 s14, s54
	s_cbranch_scc1 .LBB152_64
; %bb.66:                               ;   in Loop: Header=BB152_65 Depth=1
	s_load_dword s48, s[18:19], 0x0
	s_waitcnt lgkmcnt(0)
	s_add_i32 s23, s15, s23
	s_add_i32 s22, s48, s22
	s_branch .LBB152_64
.LBB152_67:
	s_endpgm
	.section	.rodata,"a",@progbits
	.p2align	6, 0x0
	.amdhsa_kernel _ZN2at6native6mbtopk10gatherTopKIimLin1EEEvNS_4cuda6detail10TensorInfoIKT_T0_EES8_S8_bjS8_NS5_IS6_S8_EES8_NS5_IlS8_EES8_jjPS6_PjSD_j
		.amdhsa_group_segment_fixed_size 1068
		.amdhsa_private_segment_fixed_size 0
		.amdhsa_kernarg_size 1592
		.amdhsa_user_sgpr_count 6
		.amdhsa_user_sgpr_private_segment_buffer 1
		.amdhsa_user_sgpr_dispatch_ptr 0
		.amdhsa_user_sgpr_queue_ptr 0
		.amdhsa_user_sgpr_kernarg_segment_ptr 1
		.amdhsa_user_sgpr_dispatch_id 0
		.amdhsa_user_sgpr_flat_scratch_init 0
		.amdhsa_user_sgpr_kernarg_preload_length 0
		.amdhsa_user_sgpr_kernarg_preload_offset 0
		.amdhsa_user_sgpr_private_segment_size 0
		.amdhsa_uses_dynamic_stack 0
		.amdhsa_system_sgpr_private_segment_wavefront_offset 0
		.amdhsa_system_sgpr_workgroup_id_x 1
		.amdhsa_system_sgpr_workgroup_id_y 1
		.amdhsa_system_sgpr_workgroup_id_z 1
		.amdhsa_system_sgpr_workgroup_info 0
		.amdhsa_system_vgpr_workitem_id 0
		.amdhsa_next_free_vgpr 22
		.amdhsa_next_free_sgpr 60
		.amdhsa_accum_offset 24
		.amdhsa_reserve_vcc 1
		.amdhsa_reserve_flat_scratch 0
		.amdhsa_float_round_mode_32 0
		.amdhsa_float_round_mode_16_64 0
		.amdhsa_float_denorm_mode_32 3
		.amdhsa_float_denorm_mode_16_64 3
		.amdhsa_dx10_clamp 1
		.amdhsa_ieee_mode 1
		.amdhsa_fp16_overflow 0
		.amdhsa_tg_split 0
		.amdhsa_exception_fp_ieee_invalid_op 0
		.amdhsa_exception_fp_denorm_src 0
		.amdhsa_exception_fp_ieee_div_zero 0
		.amdhsa_exception_fp_ieee_overflow 0
		.amdhsa_exception_fp_ieee_underflow 0
		.amdhsa_exception_fp_ieee_inexact 0
		.amdhsa_exception_int_div_zero 0
	.end_amdhsa_kernel
	.section	.text._ZN2at6native6mbtopk10gatherTopKIimLin1EEEvNS_4cuda6detail10TensorInfoIKT_T0_EES8_S8_bjS8_NS5_IS6_S8_EES8_NS5_IlS8_EES8_jjPS6_PjSD_j,"axG",@progbits,_ZN2at6native6mbtopk10gatherTopKIimLin1EEEvNS_4cuda6detail10TensorInfoIKT_T0_EES8_S8_bjS8_NS5_IS6_S8_EES8_NS5_IlS8_EES8_jjPS6_PjSD_j,comdat
.Lfunc_end152:
	.size	_ZN2at6native6mbtopk10gatherTopKIimLin1EEEvNS_4cuda6detail10TensorInfoIKT_T0_EES8_S8_bjS8_NS5_IS6_S8_EES8_NS5_IlS8_EES8_jjPS6_PjSD_j, .Lfunc_end152-_ZN2at6native6mbtopk10gatherTopKIimLin1EEEvNS_4cuda6detail10TensorInfoIKT_T0_EES8_S8_bjS8_NS5_IS6_S8_EES8_NS5_IlS8_EES8_jjPS6_PjSD_j
                                        ; -- End function
	.section	.AMDGPU.csdata,"",@progbits
; Kernel info:
; codeLenInByte = 4624
; NumSgprs: 64
; NumVgprs: 22
; NumAgprs: 0
; TotalNumVgprs: 22
; ScratchSize: 0
; MemoryBound: 0
; FloatMode: 240
; IeeeMode: 1
; LDSByteSize: 1068 bytes/workgroup (compile time only)
; SGPRBlocks: 7
; VGPRBlocks: 2
; NumSGPRsForWavesPerEU: 64
; NumVGPRsForWavesPerEU: 22
; AccumOffset: 24
; Occupancy: 8
; WaveLimiterHint : 1
; COMPUTE_PGM_RSRC2:SCRATCH_EN: 0
; COMPUTE_PGM_RSRC2:USER_SGPR: 6
; COMPUTE_PGM_RSRC2:TRAP_HANDLER: 0
; COMPUTE_PGM_RSRC2:TGID_X_EN: 1
; COMPUTE_PGM_RSRC2:TGID_Y_EN: 1
; COMPUTE_PGM_RSRC2:TGID_Z_EN: 1
; COMPUTE_PGM_RSRC2:TIDIG_COMP_CNT: 0
; COMPUTE_PGM_RSRC3_GFX90A:ACCUM_OFFSET: 5
; COMPUTE_PGM_RSRC3_GFX90A:TG_SPLIT: 0
	.section	.text._ZN2at6native6sbtopk10gatherTopKIimLin1ELb0EEEvNS_4cuda6detail10TensorInfoIKT_T0_EES8_S8_bS8_S8_NS5_IS6_S8_EES8_NS5_IlS8_EES8_PS6_,"axG",@progbits,_ZN2at6native6sbtopk10gatherTopKIimLin1ELb0EEEvNS_4cuda6detail10TensorInfoIKT_T0_EES8_S8_bS8_S8_NS5_IS6_S8_EES8_NS5_IlS8_EES8_PS6_,comdat
	.protected	_ZN2at6native6sbtopk10gatherTopKIimLin1ELb0EEEvNS_4cuda6detail10TensorInfoIKT_T0_EES8_S8_bS8_S8_NS5_IS6_S8_EES8_NS5_IlS8_EES8_PS6_ ; -- Begin function _ZN2at6native6sbtopk10gatherTopKIimLin1ELb0EEEvNS_4cuda6detail10TensorInfoIKT_T0_EES8_S8_bS8_S8_NS5_IS6_S8_EES8_NS5_IlS8_EES8_PS6_
	.globl	_ZN2at6native6sbtopk10gatherTopKIimLin1ELb0EEEvNS_4cuda6detail10TensorInfoIKT_T0_EES8_S8_bS8_S8_NS5_IS6_S8_EES8_NS5_IlS8_EES8_PS6_
	.p2align	8
	.type	_ZN2at6native6sbtopk10gatherTopKIimLin1ELb0EEEvNS_4cuda6detail10TensorInfoIKT_T0_EES8_S8_bS8_S8_NS5_IS6_S8_EES8_NS5_IlS8_EES8_PS6_,@function
_ZN2at6native6sbtopk10gatherTopKIimLin1ELb0EEEvNS_4cuda6detail10TensorInfoIKT_T0_EES8_S8_bS8_S8_NS5_IS6_S8_EES8_NS5_IlS8_EES8_PS6_: ; @_ZN2at6native6sbtopk10gatherTopKIimLin1ELb0EEEvNS_4cuda6detail10TensorInfoIKT_T0_EES8_S8_bS8_S8_NS5_IS6_S8_EES8_NS5_IlS8_EES8_PS6_
; %bb.0:
	s_load_dwordx4 s[56:59], s[4:5], 0x1b8
	s_load_dwordx2 s[10:11], s[4:5], 0x520
	s_add_u32 s34, s4, 0x520
	s_addc_u32 s35, s5, 0
	s_mov_b32 s9, 0
	s_waitcnt lgkmcnt(0)
	v_mov_b32_e32 v2, s56
	s_mul_i32 s0, s11, s8
	s_add_i32 s0, s0, s7
	s_mul_i32 s0, s0, s10
	v_mov_b32_e32 v3, s57
	s_add_i32 s8, s0, s6
	v_cmp_ge_u64_e32 vcc, s[8:9], v[2:3]
	s_cbranch_vccnz .LBB153_508
; %bb.1:
	s_load_dword s0, s[4:5], 0x198
	s_mov_b64 s[2:3], 0
	s_mov_b64 s[12:13], s[8:9]
	s_waitcnt lgkmcnt(0)
	s_cmp_lt_i32 s0, 2
	s_cbranch_scc1 .LBB153_9
; %bb.2:
	s_mov_b32 s14, 0
	s_add_i32 s7, s0, 1
	s_add_i32 s0, s0, -1
	s_mov_b32 s1, s14
	s_lshl_b64 s[0:1], s[0:1], 3
	s_add_u32 s0, s0, s4
	s_addc_u32 s1, s1, s5
	s_add_u32 s16, s0, 8
	s_addc_u32 s17, s1, 0
	s_mov_b64 s[18:19], s[8:9]
.LBB153_3:                              ; =>This Inner Loop Header: Depth=1
	s_load_dwordx2 s[20:21], s[16:17], 0x0
	s_waitcnt lgkmcnt(0)
	s_or_b64 s[0:1], s[18:19], s[20:21]
	s_mov_b32 s15, s1
	s_cmp_lg_u64 s[14:15], 0
	s_cbranch_scc0 .LBB153_8
; %bb.4:                                ;   in Loop: Header=BB153_3 Depth=1
	v_cvt_f32_u32_e32 v1, s20
	v_cvt_f32_u32_e32 v2, s21
	s_sub_u32 s0, 0, s20
	s_subb_u32 s1, 0, s21
	v_mac_f32_e32 v1, 0x4f800000, v2
	v_rcp_f32_e32 v1, v1
	v_mul_f32_e32 v1, 0x5f7ffffc, v1
	v_mul_f32_e32 v2, 0x2f800000, v1
	v_trunc_f32_e32 v2, v2
	v_mac_f32_e32 v1, 0xcf800000, v2
	v_cvt_u32_f32_e32 v2, v2
	v_cvt_u32_f32_e32 v1, v1
	v_readfirstlane_b32 s11, v2
	v_readfirstlane_b32 s12, v1
	s_mul_i32 s13, s0, s11
	s_mul_hi_u32 s22, s0, s12
	s_mul_i32 s15, s1, s12
	s_add_i32 s13, s22, s13
	s_mul_i32 s23, s0, s12
	s_add_i32 s13, s13, s15
	s_mul_hi_u32 s15, s12, s13
	s_mul_i32 s22, s12, s13
	s_mul_hi_u32 s12, s12, s23
	s_add_u32 s12, s12, s22
	s_addc_u32 s15, 0, s15
	s_mul_hi_u32 s24, s11, s23
	s_mul_i32 s23, s11, s23
	s_add_u32 s12, s12, s23
	s_mul_hi_u32 s22, s11, s13
	s_addc_u32 s12, s15, s24
	s_addc_u32 s15, s22, 0
	s_mul_i32 s13, s11, s13
	s_add_u32 s12, s12, s13
	s_addc_u32 s13, 0, s15
	v_add_co_u32_e32 v1, vcc, s12, v1
	s_cmp_lg_u64 vcc, 0
	s_addc_u32 s11, s11, s13
	v_readfirstlane_b32 s13, v1
	s_mul_i32 s12, s0, s11
	s_mul_hi_u32 s15, s0, s13
	s_add_i32 s12, s15, s12
	s_mul_i32 s1, s1, s13
	s_add_i32 s12, s12, s1
	s_mul_i32 s0, s0, s13
	s_mul_hi_u32 s15, s11, s0
	s_mul_i32 s22, s11, s0
	s_mul_i32 s24, s13, s12
	s_mul_hi_u32 s0, s13, s0
	s_mul_hi_u32 s23, s13, s12
	s_add_u32 s0, s0, s24
	s_addc_u32 s13, 0, s23
	s_add_u32 s0, s0, s22
	s_mul_hi_u32 s1, s11, s12
	s_addc_u32 s0, s13, s15
	s_addc_u32 s1, s1, 0
	s_mul_i32 s12, s11, s12
	s_add_u32 s0, s0, s12
	s_addc_u32 s1, 0, s1
	v_add_co_u32_e32 v1, vcc, s0, v1
	s_cmp_lg_u64 vcc, 0
	s_addc_u32 s0, s11, s1
	v_readfirstlane_b32 s12, v1
	s_mul_i32 s11, s18, s0
	s_mul_hi_u32 s13, s18, s12
	s_mul_hi_u32 s1, s18, s0
	s_add_u32 s11, s13, s11
	s_addc_u32 s1, 0, s1
	s_mul_hi_u32 s15, s19, s12
	s_mul_i32 s12, s19, s12
	s_add_u32 s11, s11, s12
	s_mul_hi_u32 s13, s19, s0
	s_addc_u32 s1, s1, s15
	s_addc_u32 s11, s13, 0
	s_mul_i32 s0, s19, s0
	s_add_u32 s12, s1, s0
	s_addc_u32 s11, 0, s11
	s_mul_i32 s0, s20, s11
	s_mul_hi_u32 s1, s20, s12
	s_add_i32 s0, s1, s0
	s_mul_i32 s1, s21, s12
	s_add_i32 s13, s0, s1
	s_mul_i32 s1, s20, s12
	v_mov_b32_e32 v1, s1
	s_sub_i32 s0, s19, s13
	v_sub_co_u32_e32 v1, vcc, s18, v1
	s_cmp_lg_u64 vcc, 0
	s_subb_u32 s15, s0, s21
	v_subrev_co_u32_e64 v2, s[0:1], s20, v1
	s_cmp_lg_u64 s[0:1], 0
	s_subb_u32 s0, s15, 0
	s_cmp_ge_u32 s0, s21
	v_readfirstlane_b32 s15, v2
	s_cselect_b32 s1, -1, 0
	s_cmp_ge_u32 s15, s20
	s_cselect_b32 s15, -1, 0
	s_cmp_eq_u32 s0, s21
	s_cselect_b32 s0, s15, s1
	s_add_u32 s1, s12, 1
	s_addc_u32 s15, s11, 0
	s_add_u32 s22, s12, 2
	s_addc_u32 s23, s11, 0
	s_cmp_lg_u32 s0, 0
	s_cselect_b32 s0, s22, s1
	s_cselect_b32 s1, s23, s15
	s_cmp_lg_u64 vcc, 0
	s_subb_u32 s13, s19, s13
	s_cmp_ge_u32 s13, s21
	v_readfirstlane_b32 s22, v1
	s_cselect_b32 s15, -1, 0
	s_cmp_ge_u32 s22, s20
	s_cselect_b32 s22, -1, 0
	s_cmp_eq_u32 s13, s21
	s_cselect_b32 s13, s22, s15
	s_cmp_lg_u32 s13, 0
	s_cselect_b32 s13, s1, s11
	s_cselect_b32 s12, s0, s12
	s_cbranch_execnz .LBB153_6
.LBB153_5:                              ;   in Loop: Header=BB153_3 Depth=1
	v_cvt_f32_u32_e32 v1, s20
	s_sub_i32 s0, 0, s20
	s_mov_b32 s13, s14
	v_rcp_iflag_f32_e32 v1, v1
	v_mul_f32_e32 v1, 0x4f7ffffe, v1
	v_cvt_u32_f32_e32 v1, v1
	v_readfirstlane_b32 s1, v1
	s_mul_i32 s0, s0, s1
	s_mul_hi_u32 s0, s1, s0
	s_add_i32 s1, s1, s0
	s_mul_hi_u32 s0, s18, s1
	s_mul_i32 s11, s0, s20
	s_sub_i32 s11, s18, s11
	s_add_i32 s1, s0, 1
	s_sub_i32 s12, s11, s20
	s_cmp_ge_u32 s11, s20
	s_cselect_b32 s0, s1, s0
	s_cselect_b32 s11, s12, s11
	s_add_i32 s1, s0, 1
	s_cmp_ge_u32 s11, s20
	s_cselect_b32 s12, s1, s0
.LBB153_6:                              ;   in Loop: Header=BB153_3 Depth=1
	s_mul_i32 s0, s12, s21
	s_mul_hi_u32 s1, s12, s20
	s_add_i32 s11, s1, s0
	s_load_dwordx2 s[0:1], s[16:17], 0xc8
	s_mul_i32 s15, s13, s20
	s_add_i32 s11, s11, s15
	s_mul_i32 s15, s12, s20
	s_sub_u32 s15, s18, s15
	s_subb_u32 s11, s19, s11
	s_waitcnt lgkmcnt(0)
	s_mul_i32 s11, s0, s11
	s_mul_hi_u32 s18, s0, s15
	s_add_i32 s11, s18, s11
	s_mul_i32 s1, s1, s15
	s_add_i32 s11, s11, s1
	s_mul_i32 s0, s0, s15
	s_add_u32 s2, s0, s2
	s_addc_u32 s3, s11, s3
	s_add_i32 s7, s7, -1
	s_add_u32 s16, s16, -8
	s_addc_u32 s17, s17, -1
	s_cmp_gt_u32 s7, 2
	s_cbranch_scc0 .LBB153_9
; %bb.7:                                ;   in Loop: Header=BB153_3 Depth=1
	s_mov_b64 s[18:19], s[12:13]
	s_branch .LBB153_3
.LBB153_8:                              ;   in Loop: Header=BB153_3 Depth=1
                                        ; implicit-def: $sgpr12_sgpr13
	s_branch .LBB153_5
.LBB153_9:
	s_load_dword s0, s[4:5], 0x360
	s_load_dwordx2 s[14:15], s[4:5], 0xd0
	s_add_u32 s16, s4, 0x1c8
	s_addc_u32 s17, s5, 0
	s_mov_b64 s[56:57], 0
	s_waitcnt lgkmcnt(0)
	s_cmp_lt_i32 s0, 2
	s_mov_b64 s[28:29], s[8:9]
	s_cbranch_scc1 .LBB153_17
; %bb.10:
	s_mov_b32 s18, 0
	s_add_i32 s7, s0, 1
	s_add_i32 s0, s0, -1
	s_mov_b32 s1, s18
	s_lshl_b64 s[0:1], s[0:1], 3
	s_add_u32 s0, s0, s16
	s_addc_u32 s1, s1, s17
	s_add_u32 s20, s0, 8
	s_addc_u32 s21, s1, 0
	s_mov_b64 s[22:23], s[8:9]
.LBB153_11:                             ; =>This Inner Loop Header: Depth=1
	s_load_dwordx2 s[24:25], s[20:21], 0x0
	s_waitcnt lgkmcnt(0)
	s_or_b64 s[0:1], s[22:23], s[24:25]
	s_mov_b32 s19, s1
	s_cmp_lg_u64 s[18:19], 0
	s_cbranch_scc0 .LBB153_16
; %bb.12:                               ;   in Loop: Header=BB153_11 Depth=1
	v_cvt_f32_u32_e32 v1, s24
	v_cvt_f32_u32_e32 v2, s25
	s_sub_u32 s0, 0, s24
	s_subb_u32 s1, 0, s25
	v_mac_f32_e32 v1, 0x4f800000, v2
	v_rcp_f32_e32 v1, v1
	v_mul_f32_e32 v1, 0x5f7ffffc, v1
	v_mul_f32_e32 v2, 0x2f800000, v1
	v_trunc_f32_e32 v2, v2
	v_mac_f32_e32 v1, 0xcf800000, v2
	v_cvt_u32_f32_e32 v2, v2
	v_cvt_u32_f32_e32 v1, v1
	v_readfirstlane_b32 s11, v2
	v_readfirstlane_b32 s19, v1
	s_mul_i32 s26, s0, s11
	s_mul_hi_u32 s28, s0, s19
	s_mul_i32 s27, s1, s19
	s_add_i32 s26, s28, s26
	s_mul_i32 s29, s0, s19
	s_add_i32 s26, s26, s27
	s_mul_hi_u32 s27, s19, s26
	s_mul_i32 s28, s19, s26
	s_mul_hi_u32 s19, s19, s29
	s_add_u32 s19, s19, s28
	s_addc_u32 s27, 0, s27
	s_mul_hi_u32 s30, s11, s29
	s_mul_i32 s29, s11, s29
	s_add_u32 s19, s19, s29
	s_mul_hi_u32 s28, s11, s26
	s_addc_u32 s19, s27, s30
	s_addc_u32 s27, s28, 0
	s_mul_i32 s26, s11, s26
	s_add_u32 s19, s19, s26
	s_addc_u32 s26, 0, s27
	v_add_co_u32_e32 v1, vcc, s19, v1
	s_cmp_lg_u64 vcc, 0
	s_addc_u32 s11, s11, s26
	v_readfirstlane_b32 s26, v1
	s_mul_i32 s19, s0, s11
	s_mul_hi_u32 s27, s0, s26
	s_add_i32 s19, s27, s19
	s_mul_i32 s1, s1, s26
	s_add_i32 s19, s19, s1
	s_mul_i32 s0, s0, s26
	s_mul_hi_u32 s27, s11, s0
	s_mul_i32 s28, s11, s0
	s_mul_i32 s30, s26, s19
	s_mul_hi_u32 s0, s26, s0
	s_mul_hi_u32 s29, s26, s19
	s_add_u32 s0, s0, s30
	s_addc_u32 s26, 0, s29
	s_add_u32 s0, s0, s28
	s_mul_hi_u32 s1, s11, s19
	s_addc_u32 s0, s26, s27
	s_addc_u32 s1, s1, 0
	s_mul_i32 s19, s11, s19
	s_add_u32 s0, s0, s19
	s_addc_u32 s1, 0, s1
	v_add_co_u32_e32 v1, vcc, s0, v1
	s_cmp_lg_u64 vcc, 0
	s_addc_u32 s0, s11, s1
	v_readfirstlane_b32 s19, v1
	s_mul_i32 s11, s22, s0
	s_mul_hi_u32 s26, s22, s19
	s_mul_hi_u32 s1, s22, s0
	s_add_u32 s11, s26, s11
	s_addc_u32 s1, 0, s1
	s_mul_hi_u32 s27, s23, s19
	s_mul_i32 s19, s23, s19
	s_add_u32 s11, s11, s19
	s_mul_hi_u32 s26, s23, s0
	s_addc_u32 s1, s1, s27
	s_addc_u32 s11, s26, 0
	s_mul_i32 s0, s23, s0
	s_add_u32 s19, s1, s0
	s_addc_u32 s11, 0, s11
	s_mul_i32 s0, s24, s11
	s_mul_hi_u32 s1, s24, s19
	s_add_i32 s0, s1, s0
	s_mul_i32 s1, s25, s19
	s_add_i32 s26, s0, s1
	s_mul_i32 s1, s24, s19
	v_mov_b32_e32 v1, s1
	s_sub_i32 s0, s23, s26
	v_sub_co_u32_e32 v1, vcc, s22, v1
	s_cmp_lg_u64 vcc, 0
	s_subb_u32 s27, s0, s25
	v_subrev_co_u32_e64 v2, s[0:1], s24, v1
	s_cmp_lg_u64 s[0:1], 0
	s_subb_u32 s0, s27, 0
	s_cmp_ge_u32 s0, s25
	v_readfirstlane_b32 s27, v2
	s_cselect_b32 s1, -1, 0
	s_cmp_ge_u32 s27, s24
	s_cselect_b32 s27, -1, 0
	s_cmp_eq_u32 s0, s25
	s_cselect_b32 s0, s27, s1
	s_add_u32 s1, s19, 1
	s_addc_u32 s27, s11, 0
	s_add_u32 s28, s19, 2
	s_addc_u32 s29, s11, 0
	s_cmp_lg_u32 s0, 0
	s_cselect_b32 s0, s28, s1
	s_cselect_b32 s1, s29, s27
	s_cmp_lg_u64 vcc, 0
	s_subb_u32 s26, s23, s26
	s_cmp_ge_u32 s26, s25
	v_readfirstlane_b32 s28, v1
	s_cselect_b32 s27, -1, 0
	s_cmp_ge_u32 s28, s24
	s_cselect_b32 s28, -1, 0
	s_cmp_eq_u32 s26, s25
	s_cselect_b32 s26, s28, s27
	s_cmp_lg_u32 s26, 0
	s_cselect_b32 s29, s1, s11
	s_cselect_b32 s28, s0, s19
	s_cbranch_execnz .LBB153_14
.LBB153_13:                             ;   in Loop: Header=BB153_11 Depth=1
	v_cvt_f32_u32_e32 v1, s24
	s_sub_i32 s0, 0, s24
	s_mov_b32 s29, s18
	v_rcp_iflag_f32_e32 v1, v1
	v_mul_f32_e32 v1, 0x4f7ffffe, v1
	v_cvt_u32_f32_e32 v1, v1
	v_readfirstlane_b32 s1, v1
	s_mul_i32 s0, s0, s1
	s_mul_hi_u32 s0, s1, s0
	s_add_i32 s1, s1, s0
	s_mul_hi_u32 s0, s22, s1
	s_mul_i32 s11, s0, s24
	s_sub_i32 s11, s22, s11
	s_add_i32 s1, s0, 1
	s_sub_i32 s19, s11, s24
	s_cmp_ge_u32 s11, s24
	s_cselect_b32 s0, s1, s0
	s_cselect_b32 s11, s19, s11
	s_add_i32 s1, s0, 1
	s_cmp_ge_u32 s11, s24
	s_cselect_b32 s28, s1, s0
.LBB153_14:                             ;   in Loop: Header=BB153_11 Depth=1
	s_mul_i32 s0, s28, s25
	s_mul_hi_u32 s1, s28, s24
	s_add_i32 s11, s1, s0
	s_load_dwordx2 s[0:1], s[20:21], 0xc8
	s_mul_i32 s19, s29, s24
	s_add_i32 s11, s11, s19
	s_mul_i32 s19, s28, s24
	s_sub_u32 s19, s22, s19
	s_subb_u32 s11, s23, s11
	s_waitcnt lgkmcnt(0)
	s_mul_i32 s11, s0, s11
	s_mul_hi_u32 s22, s0, s19
	s_add_i32 s11, s22, s11
	s_mul_i32 s1, s1, s19
	s_add_i32 s11, s11, s1
	s_mul_i32 s0, s0, s19
	s_add_u32 s56, s0, s56
	s_addc_u32 s57, s11, s57
	s_add_i32 s7, s7, -1
	s_add_u32 s20, s20, -8
	s_addc_u32 s21, s21, -1
	s_cmp_gt_u32 s7, 2
	s_cbranch_scc0 .LBB153_17
; %bb.15:                               ;   in Loop: Header=BB153_11 Depth=1
	s_mov_b64 s[22:23], s[28:29]
	s_branch .LBB153_11
.LBB153_16:                             ;   in Loop: Header=BB153_11 Depth=1
                                        ; implicit-def: $sgpr28_sgpr29
	s_branch .LBB153_13
.LBB153_17:
	s_load_dword s11, s[4:5], 0x508
	s_load_dwordx2 s[0:1], s[16:17], 0xd0
                                        ; implicit-def: $vgpr56 : SGPR spill to VGPR lane
	s_mov_b64 s[74:75], 0
                                        ; kill: killed $sgpr16 killed $sgpr17
	s_waitcnt lgkmcnt(0)
	v_writelane_b32 v56, s0, 0
	v_writelane_b32 v56, s1, 1
	s_add_u32 s0, s4, 0x370
	s_addc_u32 s1, s5, 0
	s_cmp_lt_i32 s11, 2
	s_cbranch_scc1 .LBB153_25
; %bb.18:
	s_mov_b32 s16, 0
	s_add_i32 s18, s11, -1
	s_mov_b32 s19, s16
	s_add_i32 s7, s11, 1
	s_lshl_b64 s[18:19], s[18:19], 3
	s_add_u32 s0, s18, s0
	s_addc_u32 s1, s19, s1
	s_add_u32 s18, s0, 8
	s_addc_u32 s19, s1, 0
.LBB153_19:                             ; =>This Inner Loop Header: Depth=1
	s_load_dwordx2 s[20:21], s[18:19], 0x0
	s_waitcnt lgkmcnt(0)
	s_or_b64 s[0:1], s[8:9], s[20:21]
	s_mov_b32 s17, s1
	s_cmp_lg_u64 s[16:17], 0
	s_cbranch_scc0 .LBB153_24
; %bb.20:                               ;   in Loop: Header=BB153_19 Depth=1
	v_cvt_f32_u32_e32 v1, s20
	v_cvt_f32_u32_e32 v2, s21
	s_sub_u32 s0, 0, s20
	s_subb_u32 s1, 0, s21
	v_mac_f32_e32 v1, 0x4f800000, v2
	v_rcp_f32_e32 v1, v1
	v_mul_f32_e32 v1, 0x5f7ffffc, v1
	v_mul_f32_e32 v2, 0x2f800000, v1
	v_trunc_f32_e32 v2, v2
	v_mac_f32_e32 v1, 0xcf800000, v2
	v_cvt_u32_f32_e32 v2, v2
	v_cvt_u32_f32_e32 v1, v1
	v_readfirstlane_b32 s11, v2
	v_readfirstlane_b32 s17, v1
	s_mul_i32 s22, s0, s11
	s_mul_hi_u32 s24, s0, s17
	s_mul_i32 s23, s1, s17
	s_add_i32 s22, s24, s22
	s_mul_i32 s25, s0, s17
	s_add_i32 s22, s22, s23
	s_mul_hi_u32 s23, s17, s22
	s_mul_i32 s24, s17, s22
	s_mul_hi_u32 s17, s17, s25
	s_add_u32 s17, s17, s24
	s_addc_u32 s23, 0, s23
	s_mul_hi_u32 s26, s11, s25
	s_mul_i32 s25, s11, s25
	s_add_u32 s17, s17, s25
	s_mul_hi_u32 s24, s11, s22
	s_addc_u32 s17, s23, s26
	s_addc_u32 s23, s24, 0
	s_mul_i32 s22, s11, s22
	s_add_u32 s17, s17, s22
	s_addc_u32 s22, 0, s23
	v_add_co_u32_e32 v1, vcc, s17, v1
	s_cmp_lg_u64 vcc, 0
	s_addc_u32 s11, s11, s22
	v_readfirstlane_b32 s22, v1
	s_mul_i32 s17, s0, s11
	s_mul_hi_u32 s23, s0, s22
	s_add_i32 s17, s23, s17
	s_mul_i32 s1, s1, s22
	s_add_i32 s17, s17, s1
	s_mul_i32 s0, s0, s22
	s_mul_hi_u32 s23, s11, s0
	s_mul_i32 s24, s11, s0
	s_mul_i32 s26, s22, s17
	s_mul_hi_u32 s0, s22, s0
	s_mul_hi_u32 s25, s22, s17
	s_add_u32 s0, s0, s26
	s_addc_u32 s22, 0, s25
	s_add_u32 s0, s0, s24
	s_mul_hi_u32 s1, s11, s17
	s_addc_u32 s0, s22, s23
	s_addc_u32 s1, s1, 0
	s_mul_i32 s17, s11, s17
	s_add_u32 s0, s0, s17
	s_addc_u32 s1, 0, s1
	v_add_co_u32_e32 v1, vcc, s0, v1
	s_cmp_lg_u64 vcc, 0
	s_addc_u32 s0, s11, s1
	v_readfirstlane_b32 s17, v1
	s_mul_i32 s11, s8, s0
	s_mul_hi_u32 s22, s8, s17
	s_mul_hi_u32 s1, s8, s0
	s_add_u32 s11, s22, s11
	s_addc_u32 s1, 0, s1
	s_mul_hi_u32 s23, s9, s17
	s_mul_i32 s17, s9, s17
	s_add_u32 s11, s11, s17
	s_mul_hi_u32 s22, s9, s0
	s_addc_u32 s1, s1, s23
	s_addc_u32 s11, s22, 0
	s_mul_i32 s0, s9, s0
	s_add_u32 s17, s1, s0
	s_addc_u32 s11, 0, s11
	s_mul_i32 s0, s20, s11
	s_mul_hi_u32 s1, s20, s17
	s_add_i32 s0, s1, s0
	s_mul_i32 s1, s21, s17
	s_add_i32 s22, s0, s1
	s_mul_i32 s1, s20, s17
	v_mov_b32_e32 v1, s1
	s_sub_i32 s0, s9, s22
	v_sub_co_u32_e32 v1, vcc, s8, v1
	s_cmp_lg_u64 vcc, 0
	s_subb_u32 s23, s0, s21
	v_subrev_co_u32_e64 v2, s[0:1], s20, v1
	s_cmp_lg_u64 s[0:1], 0
	s_subb_u32 s0, s23, 0
	s_cmp_ge_u32 s0, s21
	v_readfirstlane_b32 s23, v2
	s_cselect_b32 s1, -1, 0
	s_cmp_ge_u32 s23, s20
	s_cselect_b32 s23, -1, 0
	s_cmp_eq_u32 s0, s21
	s_cselect_b32 s0, s23, s1
	s_add_u32 s1, s17, 1
	s_addc_u32 s23, s11, 0
	s_add_u32 s24, s17, 2
	s_addc_u32 s25, s11, 0
	s_cmp_lg_u32 s0, 0
	s_cselect_b32 s0, s24, s1
	s_cselect_b32 s1, s25, s23
	s_cmp_lg_u64 vcc, 0
	s_subb_u32 s22, s9, s22
	s_cmp_ge_u32 s22, s21
	v_readfirstlane_b32 s24, v1
	s_cselect_b32 s23, -1, 0
	s_cmp_ge_u32 s24, s20
	s_cselect_b32 s24, -1, 0
	s_cmp_eq_u32 s22, s21
	s_cselect_b32 s22, s24, s23
	s_cmp_lg_u32 s22, 0
	s_cselect_b32 s79, s1, s11
	s_cselect_b32 s78, s0, s17
	s_cbranch_execnz .LBB153_22
.LBB153_21:                             ;   in Loop: Header=BB153_19 Depth=1
	v_cvt_f32_u32_e32 v1, s20
	s_sub_i32 s0, 0, s20
	s_mov_b32 s79, s16
	v_rcp_iflag_f32_e32 v1, v1
	v_mul_f32_e32 v1, 0x4f7ffffe, v1
	v_cvt_u32_f32_e32 v1, v1
	v_readfirstlane_b32 s1, v1
	s_mul_i32 s0, s0, s1
	s_mul_hi_u32 s0, s1, s0
	s_add_i32 s1, s1, s0
	s_mul_hi_u32 s0, s8, s1
	s_mul_i32 s11, s0, s20
	s_sub_i32 s11, s8, s11
	s_add_i32 s1, s0, 1
	s_sub_i32 s17, s11, s20
	s_cmp_ge_u32 s11, s20
	s_cselect_b32 s0, s1, s0
	s_cselect_b32 s11, s17, s11
	s_add_i32 s1, s0, 1
	s_cmp_ge_u32 s11, s20
	s_cselect_b32 s78, s1, s0
.LBB153_22:                             ;   in Loop: Header=BB153_19 Depth=1
	s_mul_i32 s0, s78, s21
	s_mul_hi_u32 s1, s78, s20
	s_add_i32 s11, s1, s0
	s_load_dwordx2 s[0:1], s[18:19], 0xc8
	s_mul_i32 s17, s79, s20
	s_add_i32 s11, s11, s17
	s_mul_i32 s17, s78, s20
	s_sub_u32 s8, s8, s17
	s_subb_u32 s9, s9, s11
	s_waitcnt lgkmcnt(0)
	s_mul_i32 s9, s0, s9
	s_mul_hi_u32 s11, s0, s8
	s_add_i32 s9, s11, s9
	s_mul_i32 s1, s1, s8
	s_add_i32 s9, s9, s1
	s_mul_i32 s0, s0, s8
	s_add_u32 s74, s0, s74
	s_addc_u32 s75, s9, s75
	s_add_i32 s7, s7, -1
	s_add_u32 s18, s18, -8
	s_addc_u32 s19, s19, -1
	s_cmp_gt_u32 s7, 2
	s_cbranch_scc0 .LBB153_26
; %bb.23:                               ;   in Loop: Header=BB153_19 Depth=1
	s_mov_b64 s[8:9], s[78:79]
	s_branch .LBB153_19
.LBB153_24:                             ;   in Loop: Header=BB153_19 Depth=1
                                        ; implicit-def: $sgpr78_sgpr79
	s_branch .LBB153_21
.LBB153_25:
	s_mov_b64 s[78:79], s[8:9]
.LBB153_26:
	s_load_dwordx4 s[60:63], s[4:5], 0x1a0
	s_load_dwordx2 s[16:17], s[4:5], 0x0
	s_load_dwordx2 s[0:1], s[4:5], 0x1c8
	v_writelane_b32 v56, s28, 2
	v_writelane_b32 v56, s29, 3
	s_mov_b32 s87, 0
	v_cmp_eq_u32_e64 s[8:9], 0, v0
	s_waitcnt lgkmcnt(0)
	v_writelane_b32 v56, s0, 4
	v_writelane_b32 v56, s1, 5
	s_load_dwordx2 s[0:1], s[4:5], 0x440
	s_waitcnt lgkmcnt(0)
	v_writelane_b32 v56, s0, 6
	v_writelane_b32 v56, s1, 7
	s_load_dwordx2 s[0:1], s[4:5], 0x370
	s_waitcnt lgkmcnt(0)
	v_writelane_b32 v56, s0, 8
	v_writelane_b32 v56, s1, 9
	s_mov_b64 s[0:1], exec
	v_writelane_b32 v56, s8, 10
	v_writelane_b32 v56, s9, 11
	s_and_b64 s[8:9], s[0:1], s[8:9]
	s_mov_b64 exec, s[8:9]
	s_cbranch_execz .LBB153_28
; %bb.27:
	v_mov_b32_e32 v2, 0
	v_mov_b32_e32 v4, s60
	;; [unrolled: 1-line block ×4, first 2 shown]
	ds_write_b32 v2, v2 offset:5144
	ds_write_b128 v2, v[2:5] offset:5120
.LBB153_28:
	s_or_b64 exec, exec, s[0:1]
	s_mul_i32 s0, s14, s13
	s_mul_hi_u32 s1, s14, s12
	s_add_i32 s0, s1, s0
	s_mul_i32 s1, s15, s12
	s_add_i32 s1, s0, s1
	s_mul_i32 s0, s14, s12
	s_lshl_b64 s[8:9], s[0:1], 2
	s_lshl_b64 s[72:73], s[2:3], 2
	v_writelane_b32 v56, s4, 12
	s_load_dword s2, s[4:5], 0x1b0
	s_add_u32 s0, s16, s8
	s_addc_u32 s1, s17, s9
	s_add_u32 s93, s0, s72
	s_addc_u32 s12, s1, s73
	s_waitcnt lgkmcnt(0)
	s_bitcmp1_b32 s2, 0
	v_writelane_b32 v56, s5, 13
	s_cselect_b64 s[2:3], -1, 0
	v_writelane_b32 v56, s2, 14
	v_writelane_b32 v56, s3, 15
	s_xor_b64 s[2:3], s[2:3], -1
	v_mbcnt_lo_u32_b32 v1, -1, 0
	v_writelane_b32 v56, s2, 16
	v_mbcnt_hi_u32_b32 v47, -1, v1
	v_writelane_b32 v56, s3, 17
	v_cmp_eq_u32_e64 s[2:3], 0, v47
	v_writelane_b32 v56, s2, 18
	v_writelane_b32 v56, s3, 19
	v_cmp_gt_u32_e32 vcc, 64, v0
	v_cmp_gt_i32_e64 s[2:3], 4, v47
	s_and_b64 s[2:3], vcc, s[2:3]
	v_mov_b32_e32 v2, 0x300
	v_writelane_b32 v56, s2, 20
	v_mov_b32_e32 v3, 0
	v_mov_b32_e32 v15, 0
	v_writelane_b32 v56, s3, 21
	v_cmp_gt_u64_e64 s[2:3], s[60:61], v[2:3]
	v_writelane_b32 v56, s2, 22
	v_mov_b32_e32 v1, v15
	v_writelane_b32 v56, s3, 23
	v_cmp_gt_u64_e64 s[2:3], s[60:61], v[0:1]
	v_writelane_b32 v56, s2, 24
	v_writelane_b32 v56, s3, 25
	v_mad_u64_u32 v[2:3], s[2:3], v0, s58, 0
	v_mov_b32_e32 v4, v3
	v_mad_u64_u32 v[4:5], s[2:3], v0, s59, v[4:5]
	v_cmp_gt_u32_e64 s[2:3], 2, v0
	v_writelane_b32 v56, s2, 26
	s_barrier
	v_writelane_b32 v56, s3, 27
	s_load_dword s2, s[34:35], 0xc
	v_mov_b32_e32 v3, v4
	v_lshlrev_b64 v[4:5], 2, v[2:3]
	v_mov_b32_e32 v6, s12
	v_add_co_u32_e32 v12, vcc, s93, v4
	s_waitcnt lgkmcnt(0)
	s_and_b32 s33, s2, 0xffff
	s_bfe_u32 s3, s2, 0xa0006
	v_cmp_gt_u16_e64 s[4:5], s2, 63
	v_writelane_b32 v56, s4, 28
	s_add_u32 s2, s33, -1
	v_writelane_b32 v56, s5, 29
	s_addc_u32 s4, 0, -1
	v_writelane_b32 v56, s2, 30
	s_add_u32 s2, s2, s60
	v_writelane_b32 v56, s2, 31
	s_addc_u32 s5, s4, s61
	v_writelane_b32 v56, s4, 32
	s_cmp_lt_u32 s6, s10
	v_writelane_b32 v56, s4, 33
	s_cselect_b32 s2, 12, 18
	v_writelane_b32 v56, s5, 34
	s_add_u32 s4, s34, s2
	s_addc_u32 s5, s35, 0
	v_writelane_b32 v56, s4, 35
	v_writelane_b32 v56, s5, 36
	s_add_i32 s2, s3, -1
	s_bfe_u32 s4, s33, 0x30006
	s_cmp_gt_u32 s2, 6
	s_cselect_b64 s[6:7], -1, 0
	v_writelane_b32 v56, s6, 37
	s_and_b32 s13, s3, 0x3f8
	v_writelane_b32 v56, s7, 38
	s_cmp_lg_u32 s4, 0
	v_writelane_b32 v56, s4, 39
	s_cselect_b64 s[2:3], -1, 0
	v_writelane_b32 v56, s2, 40
	v_writelane_b32 v56, s3, 41
	s_add_u32 s2, s8, s72
	s_addc_u32 s3, s9, s73
	s_add_u32 s2, s16, s2
	v_addc_co_u32_e32 v13, vcc, v6, v5, vcc
	v_lshrrev_b32_e32 v6, 4, v0
	s_addc_u32 s3, s17, s3
	v_and_b32_e32 v48, 60, v6
	v_lshlrev_b32_e32 v6, 2, v47
	v_writelane_b32 v56, s2, 42
	v_and_b32_e32 v46, 0x100, v6
	v_lshlrev_b64 v[6:7], v47, -1
	v_writelane_b32 v56, s3, 43
	s_lshl_b64 s[2:3], s[58:59], 2
	v_lshlrev_b32_e32 v50, 4, v0
	v_not_b32_e32 v11, v7
	v_not_b32_e32 v10, v6
	v_writelane_b32 v56, s2, 44
	v_or_b32_e32 v9, 12, v50
	v_pk_mov_b32 v[6:7], s[0:1], s[0:1] op_sel:[0,1]
	v_writelane_b32 v56, s3, 45
	v_mad_u64_u32 v[18:19], s[2:3], s58, v9, v[6:7]
	v_mov_b32_e32 v8, v19
	v_mad_u64_u32 v[8:9], s[2:3], s59, v9, v[8:9]
	s_lshl_b64 s[2:3], s[58:59], 4
	v_writelane_b32 v56, s2, 46
	v_or_b32_e32 v9, 8, v50
	v_writelane_b32 v56, s3, 47
	v_mad_u64_u32 v[20:21], s[2:3], s58, v9, v[6:7]
	v_mov_b32_e32 v19, v8
	v_mov_b32_e32 v8, v21
	v_mad_u64_u32 v[8:9], s[2:3], s59, v9, v[8:9]
	v_mov_b32_e32 v21, v8
	v_or_b32_e32 v8, 4, v50
	v_mad_u64_u32 v[22:23], s[2:3], s58, v8, v[6:7]
	v_mov_b32_e32 v6, v23
	v_mad_u64_u32 v[6:7], s[2:3], s59, v8, v[6:7]
	v_lshlrev_b64 v[2:3], 4, v[2:3]
	s_lshl_b32 s2, s33, 2
	v_add_co_u32_e32 v24, vcc, s0, v2
	s_add_u32 s0, s16, s72
	v_mov_b32_e32 v23, v6
	v_mov_b32_e32 v6, s1
	v_writelane_b32 v56, s16, 48
	s_addc_u32 s1, s17, s73
	v_writelane_b32 v56, s17, 49
	s_add_u32 s0, s0, s8
	v_addc_co_u32_e32 v25, vcc, v6, v3, vcc
	v_mov_b32_e32 v2, 0xc00
	v_writelane_b32 v56, s8, 50
	s_addc_u32 s1, s1, s9
	v_lshl_or_b32 v51, v47, 3, v2
	v_mov_b32_e32 v2, s1
	v_add_co_u32_e32 v26, vcc, s0, v4
	s_mul_i32 s0, s59, s33
	s_mul_hi_u32 s1, s58, s33
	s_add_i32 s1, s1, s0
	s_mul_i32 s0, s58, s33
	v_lshlrev_b32_e32 v16, 2, v0
	v_writelane_b32 v56, s9, 51
	s_lshl_b64 s[64:65], s[0:1], 2
	s_mov_b32 s0, 30
	v_mov_b32_e32 v17, v15
	v_add_u32_e32 v49, 0xc00, v16
	s_mov_b32 s92, s87
	v_addc_co_u32_e32 v27, vcc, v2, v5, vcc
	v_writelane_b32 v56, s0, 52
	s_mov_b64 s[70:71], 0
	v_pk_mov_b32 v[32:33], s[62:63], s[62:63] op_sel:[0,1]
	v_mov_b32_e32 v28, 1
	v_mov_b32_e32 v52, 0x4f800000
	v_mov_b32_e32 v31, 0
	s_mov_b32 s0, 0
	v_mov_b32_e32 v54, 0
	v_mov_b32_e32 v53, 0
                                        ; implicit-def: $sgpr84_sgpr85
                                        ; implicit-def: $sgpr82_sgpr83
                                        ; implicit-def: $sgpr8_sgpr9
                                        ; implicit-def: $sgpr10_sgpr11
                                        ; implicit-def: $sgpr76_sgpr77
	v_writelane_b32 v56, s0, 53
                                        ; implicit-def: $sgpr28_sgpr29
                                        ; implicit-def: $sgpr30_sgpr31
                                        ; implicit-def: $sgpr26_sgpr27
                                        ; implicit-def: $sgpr34_sgpr35
                                        ; implicit-def: $sgpr4_sgpr5
	s_branch .LBB153_31
.LBB153_29:                             ;   in Loop: Header=BB153_31 Depth=1
	s_or_b64 exec, exec, s[16:17]
	s_andn2_b64 s[4:5], s[4:5], exec
	s_and_b64 s[14:15], s[14:15], exec
	s_or_b64 s[4:5], s[4:5], s[14:15]
	s_andn2_b64 s[34:35], s[34:35], exec
	s_andn2_b64 s[26:27], s[26:27], exec
	s_andn2_b64 s[30:31], s[30:31], exec
	s_andn2_b64 s[28:29], s[28:29], exec
	s_orn2_b64 s[6:7], s[6:7], exec
	v_mov_b32_e32 v53, v36
	v_mov_b32_e32 v54, v30
	v_pk_mov_b32 v[32:33], v[4:5], v[4:5] op_sel:[0,1]
	v_mov_b32_e32 v31, v3
.LBB153_30:                             ;   in Loop: Header=BB153_31 Depth=1
	s_or_b64 exec, exec, s[0:1]
	s_and_b64 s[0:1], exec, s[6:7]
	s_or_b64 s[70:71], s[0:1], s[70:71]
	s_andn2_b64 s[0:1], s[76:77], exec
	s_and_b64 s[6:7], s[4:5], exec
	s_or_b64 s[76:77], s[0:1], s[6:7]
	s_andn2_b64 s[0:1], s[10:11], exec
	s_and_b64 s[6:7], s[34:35], exec
	;; [unrolled: 3-line block ×5, first 2 shown]
	s_or_b64 s[84:85], s[0:1], s[6:7]
	s_andn2_b64 exec, exec, s[70:71]
	s_cbranch_execz .LBB153_504
.LBB153_31:                             ; =>This Loop Header: Depth=1
                                        ;     Child Loop BB153_39 Depth 2
                                        ;     Child Loop BB153_54 Depth 2
	;; [unrolled: 1-line block ×24, first 2 shown]
	ds_read_b128 v[2:5], v15 offset:5120
	s_waitcnt lgkmcnt(0)
	v_readfirstlane_b32 s69, v3
	v_readfirstlane_b32 s68, v2
	s_cmp_lg_u64 s[68:69], 0
	s_cbranch_scc1 .LBB153_61
; %bb.32:                               ;   in Loop: Header=BB153_31 Depth=1
	v_readlane_b32 s0, v56, 22
	v_readlane_b32 s1, v56, 23
	s_and_b64 vcc, exec, s[0:1]
	s_cbranch_vccz .LBB153_47
; %bb.33:                               ;   in Loop: Header=BB153_31 Depth=1
	s_mov_b64 s[0:1], 0x301
	v_cmp_gt_u64_e32 vcc, s[0:1], v[4:5]
	s_mov_b64 s[68:69], 0
	s_mov_b64 s[0:1], 0
	s_cbranch_vccz .LBB153_48
; %bb.34:                               ;   in Loop: Header=BB153_31 Depth=1
	v_mov_b32_e32 v6, 0
	s_mov_b64 s[0:1], exec
	v_readlane_b32 s6, v56, 24
	v_readlane_b32 s7, v56, 25
	s_and_b64 s[6:7], s[0:1], s[6:7]
	s_mov_b64 exec, s[6:7]
	s_cbranch_execz .LBB153_36
; %bb.35:                               ;   in Loop: Header=BB153_31 Depth=1
	global_load_dword v6, v[12:13], off
.LBB153_36:                             ;   in Loop: Header=BB153_31 Depth=1
	s_or_b64 exec, exec, s[0:1]
	s_mov_b64 s[0:1], exec
	v_readlane_b32 s6, v56, 24
	v_readlane_b32 s7, v56, 25
	s_and_b64 s[6:7], s[0:1], s[6:7]
	s_mov_b64 exec, s[6:7]
	s_cbranch_execz .LBB153_120
; %bb.37:                               ;   in Loop: Header=BB153_31 Depth=1
	v_readlane_b32 s6, v56, 35
	v_readlane_b32 s7, v56, 36
	;; [unrolled: 1-line block ×4, first 2 shown]
	s_mov_b64 s[16:17], 0
	s_nop 1
	global_load_ushort v7, v15, s[6:7]
	v_readlane_b32 s6, v56, 42
	v_readlane_b32 s7, v56, 43
	v_pk_mov_b32 v[2:3], s[6:7], s[6:7] op_sel:[0,1]
	s_waitcnt vmcnt(0)
	v_readfirstlane_b32 s3, v7
	s_and_b32 s3, 0xffff, s3
	v_add_u32_e32 v5, s3, v0
	v_mad_u64_u32 v[2:3], s[6:7], s18, v5, v[2:3]
	v_mov_b32_e32 v4, v3
	s_mul_i32 s14, s19, s3
	s_mul_hi_u32 s15, s18, s3
	v_mad_u64_u32 v[4:5], s[6:7], s19, v5, v[4:5]
	s_mul_i32 s3, s18, s3
	s_add_i32 s24, s15, s14
	v_mov_b32_e32 v3, v4
	v_pk_mov_b32 v[4:5], v[0:1], v[0:1] op_sel:[0,1]
	s_branch .LBB153_39
.LBB153_38:                             ;   in Loop: Header=BB153_39 Depth=2
	s_or_b64 exec, exec, s[6:7]
	v_mov_b32_e32 v6, s24
	v_add_co_u32_e32 v2, vcc, s3, v2
	v_addc_co_u32_e32 v3, vcc, v3, v6, vcc
	s_waitcnt vmcnt(0)
	v_mov_b32_e32 v6, v8
	s_andn2_b64 exec, exec, s[16:17]
	s_cbranch_execz .LBB153_120
.LBB153_39:                             ;   Parent Loop BB153_31 Depth=1
                                        ; =>  This Inner Loop Header: Depth=2
	v_add_co_u32_sdwa v4, vcc, v4, v7 dst_sel:DWORD dst_unused:UNUSED_PAD src0_sel:DWORD src1_sel:WORD_0
	v_addc_co_u32_e32 v5, vcc, 0, v5, vcc
	v_cmp_gt_u64_e64 s[6:7], s[60:61], v[4:5]
	v_cmp_le_u64_e32 vcc, s[60:61], v[4:5]
	s_waitcnt lgkmcnt(0)
	v_mov_b32_e32 v9, 0
	v_mov_b32_e32 v8, 0
	s_and_saveexec_b64 s[14:15], s[6:7]
	s_cbranch_execz .LBB153_41
; %bb.40:                               ;   in Loop: Header=BB153_39 Depth=2
	global_load_dword v8, v[2:3], off
.LBB153_41:                             ;   in Loop: Header=BB153_39 Depth=2
	s_or_b64 exec, exec, s[14:15]
	v_xor_b32_e32 v14, 0x80000000, v6
	v_and_b32_e32 v14, v14, v53
	v_cmp_eq_u32_e64 s[14:15], v14, v54
	s_cmp_lg_u64 s[14:15], 0
	v_readlane_b32 s18, v56, 18
	s_cselect_b64 s[6:7], -1, 0
	v_readlane_b32 s19, v56, 19
	s_and_b64 s[6:7], s[18:19], s[6:7]
	s_and_saveexec_b64 s[18:19], s[6:7]
	s_cbranch_execz .LBB153_45
; %bb.42:                               ;   in Loop: Header=BB153_39 Depth=2
	s_mov_b64 s[22:23], exec
	v_mbcnt_lo_u32_b32 v9, s22, 0
	v_mbcnt_hi_u32_b32 v9, s23, v9
	s_bcnt1_i32_b64 s25, s[14:15]
	v_cmp_eq_u32_e64 s[6:7], 0, v9
                                        ; implicit-def: $vgpr14
	s_and_saveexec_b64 s[20:21], s[6:7]
	s_cbranch_execz .LBB153_44
; %bb.43:                               ;   in Loop: Header=BB153_39 Depth=2
	s_bcnt1_i32_b64 s6, s[22:23]
	s_mul_i32 s6, s25, s6
	v_mov_b32_e32 v14, s6
	ds_add_rtn_u32 v14, v15, v14 offset:5144
.LBB153_44:                             ;   in Loop: Header=BB153_39 Depth=2
	s_or_b64 exec, exec, s[20:21]
	s_waitcnt lgkmcnt(0)
	v_readfirstlane_b32 s6, v14
	v_mov_b32_e32 v14, s6
	v_mad_u32_u24 v9, s25, v9, v14
.LBB153_45:                             ;   in Loop: Header=BB153_39 Depth=2
	s_or_b64 exec, exec, s[18:19]
	ds_bpermute_b32 v9, v46, v9
	s_and_b64 s[6:7], exec, vcc
	s_or_b64 s[16:17], s[6:7], s[16:17]
	s_and_saveexec_b64 s[6:7], s[14:15]
	s_cbranch_execz .LBB153_38
; %bb.46:                               ;   in Loop: Header=BB153_39 Depth=2
	v_and_b32_e32 v29, s14, v10
	v_and_b32_e32 v14, s15, v11
	v_bcnt_u32_b32 v29, v29, 0
	v_bcnt_u32_b32 v14, v14, v29
	v_lshlrev_b32_e32 v14, 2, v14
	s_waitcnt lgkmcnt(0)
	v_lshl_add_u32 v9, v9, 2, v14
	ds_write_b32 v9, v6
	s_branch .LBB153_38
.LBB153_47:                             ;   in Loop: Header=BB153_31 Depth=1
	s_mov_b64 s[68:69], -1
	s_mov_b64 s[0:1], 0
.LBB153_48:                             ;   in Loop: Header=BB153_31 Depth=1
	s_and_b64 vcc, exec, s[68:69]
	s_cbranch_vccz .LBB153_59
.LBB153_49:                             ;   in Loop: Header=BB153_31 Depth=1
	s_waitcnt vmcnt(0)
	v_mov_b32_e32 v6, 0
	s_mov_b64 s[0:1], exec
	v_readlane_b32 s6, v56, 24
	v_readlane_b32 s7, v56, 25
	s_and_b64 s[6:7], s[0:1], s[6:7]
	s_mov_b64 exec, s[6:7]
	s_cbranch_execz .LBB153_51
; %bb.50:                               ;   in Loop: Header=BB153_31 Depth=1
	global_load_dword v6, v[12:13], off
.LBB153_51:                             ;   in Loop: Header=BB153_31 Depth=1
	s_or_b64 exec, exec, s[0:1]
	s_mov_b64 s[0:1], exec
	v_readlane_b32 s6, v56, 24
	v_readlane_b32 s7, v56, 25
	s_and_b64 s[6:7], s[0:1], s[6:7]
	s_mov_b64 exec, s[6:7]
	s_cbranch_execz .LBB153_56
; %bb.52:                               ;   in Loop: Header=BB153_31 Depth=1
	v_readlane_b32 s6, v56, 35
	v_readlane_b32 s7, v56, 36
	;; [unrolled: 1-line block ×4, first 2 shown]
	s_mov_b64 s[14:15], 0
	v_mov_b32_e32 v8, v16
	s_nop 0
	global_load_ushort v7, v15, s[6:7]
	v_readlane_b32 s6, v56, 42
	v_readlane_b32 s7, v56, 43
	v_pk_mov_b32 v[2:3], s[6:7], s[6:7] op_sel:[0,1]
	s_waitcnt vmcnt(0)
	v_readfirstlane_b32 s3, v7
	s_and_b32 s6, 0xffff, s3
	v_add_u32_e32 v5, s6, v0
	s_lshl_b32 s3, s6, 2
	s_mul_i32 s16, s21, s6
	s_mul_hi_u32 s17, s20, s6
	s_mul_i32 s18, s20, s6
	v_mad_u64_u32 v[2:3], s[6:7], s20, v5, v[2:3]
	v_mov_b32_e32 v4, v3
	v_mad_u64_u32 v[4:5], s[6:7], s21, v5, v[4:5]
	s_add_i32 s19, s17, s16
	v_mov_b32_e32 v3, v4
	v_pk_mov_b32 v[4:5], v[0:1], v[0:1] op_sel:[0,1]
	s_branch .LBB153_54
.LBB153_53:                             ;   in Loop: Header=BB153_54 Depth=2
	s_or_b64 exec, exec, s[16:17]
	s_and_b64 s[6:7], exec, vcc
	ds_write_b32 v8, v6
	v_mov_b32_e32 v6, s19
	v_add_co_u32_e32 v2, vcc, s18, v2
	s_or_b64 s[14:15], s[6:7], s[14:15]
	v_add_u32_e32 v8, s3, v8
	v_addc_co_u32_e32 v3, vcc, v3, v6, vcc
	s_waitcnt vmcnt(0)
	v_mov_b32_e32 v6, v9
	s_andn2_b64 exec, exec, s[14:15]
	s_cbranch_execz .LBB153_56
.LBB153_54:                             ;   Parent Loop BB153_31 Depth=1
                                        ; =>  This Inner Loop Header: Depth=2
	v_add_co_u32_sdwa v4, vcc, v4, v7 dst_sel:DWORD dst_unused:UNUSED_PAD src0_sel:DWORD src1_sel:WORD_0
	v_addc_co_u32_e32 v5, vcc, 0, v5, vcc
	v_cmp_gt_u64_e64 s[6:7], s[60:61], v[4:5]
	v_cmp_le_u64_e32 vcc, s[60:61], v[4:5]
	v_mov_b32_e32 v9, 0
	s_and_saveexec_b64 s[16:17], s[6:7]
	s_cbranch_execz .LBB153_53
; %bb.55:                               ;   in Loop: Header=BB153_54 Depth=2
	global_load_dword v9, v[2:3], off
	s_branch .LBB153_53
.LBB153_56:                             ;   in Loop: Header=BB153_31 Depth=1
	s_or_b64 exec, exec, s[0:1]
	s_waitcnt lgkmcnt(0)
	s_barrier
	s_mov_b64 s[0:1], exec
	v_readlane_b32 s6, v56, 10
	v_readlane_b32 s7, v56, 11
	s_and_b64 s[6:7], s[0:1], s[6:7]
	s_mov_b64 exec, s[6:7]
	s_cbranch_execz .LBB153_58
; %bb.57:                               ;   in Loop: Header=BB153_31 Depth=1
	v_pk_mov_b32 v[2:3], s[60:61], s[60:61] op_sel:[0,1]
	ds_write_b64 v15, v[2:3] offset:5120
.LBB153_58:                             ;   in Loop: Header=BB153_31 Depth=1
	s_or_b64 exec, exec, s[0:1]
	s_mov_b64 s[0:1], -1
	s_waitcnt lgkmcnt(0)
	s_barrier
                                        ; implicit-def: $sgpr68_sgpr69
.LBB153_59:                             ;   in Loop: Header=BB153_31 Depth=1
	s_and_b64 vcc, exec, s[0:1]
	s_cbranch_vccz .LBB153_61
; %bb.60:                               ;   in Loop: Header=BB153_31 Depth=1
	ds_read_b64 v[2:3], v15 offset:5120
	s_waitcnt lgkmcnt(0)
	v_readfirstlane_b32 s68, v2
.LBB153_61:                             ;   in Loop: Header=BB153_31 Depth=1
	v_writelane_b32 v56, s28, 54
	v_writelane_b32 v56, s29, 55
	;; [unrolled: 1-line block ×6, first 2 shown]
	s_cmp_lt_i32 s68, 1
	v_writelane_b32 v56, s34, 60
	v_writelane_b32 v56, s35, 61
	s_cbranch_scc0 .LBB153_76
; %bb.62:                               ;   in Loop: Header=BB153_31 Depth=1
	v_readlane_b32 s0, v56, 35
	v_readlane_b32 s1, v56, 36
	s_nop 4
	global_load_ushort v2, v15, s[0:1]
	s_mov_b32 s0, s87
	s_waitcnt vmcnt(0)
	v_readfirstlane_b32 s1, v2
	s_and_b32 s3, s1, 0xffff
	s_lshl_b32 s69, s3, 2
	s_mov_b32 s1, s61
	s_cmp_lg_u64 s[0:1], 0
	s_cbranch_scc0 .LBB153_96
; %bb.63:                               ;   in Loop: Header=BB153_31 Depth=1
	v_cvt_f32_u32_e32 v2, s69
	s_sub_u32 s0, 0, s69
	s_subb_u32 s1, 0, 0
	v_mac_f32_e32 v2, 0, v52
	v_rcp_f32_e32 v2, v2
	v_mul_f32_e32 v2, 0x5f7ffffc, v2
	v_mul_f32_e32 v3, 0x2f800000, v2
	v_trunc_f32_e32 v3, v3
	v_mac_f32_e32 v2, 0xcf800000, v3
	v_cvt_u32_f32_e32 v3, v3
	v_cvt_u32_f32_e32 v2, v2
	v_readfirstlane_b32 s6, v3
	v_readfirstlane_b32 s7, v2
	s_mul_i32 s14, s0, s6
	s_mul_hi_u32 s16, s0, s7
	s_mul_i32 s15, s1, s7
	s_add_i32 s14, s16, s14
	s_mul_i32 s17, s0, s7
	s_add_i32 s14, s14, s15
	s_mul_hi_u32 s16, s7, s17
	s_mul_hi_u32 s15, s7, s14
	s_mul_i32 s7, s7, s14
	s_add_u32 s7, s16, s7
	s_addc_u32 s15, 0, s15
	s_mul_hi_u32 s18, s6, s17
	s_mul_i32 s17, s6, s17
	s_add_u32 s7, s7, s17
	s_mul_hi_u32 s16, s6, s14
	s_addc_u32 s7, s15, s18
	s_addc_u32 s15, s16, 0
	s_mul_i32 s14, s6, s14
	s_add_u32 s7, s7, s14
	s_addc_u32 s14, 0, s15
	v_add_co_u32_e32 v2, vcc, s7, v2
	s_cmp_lg_u64 vcc, 0
	s_addc_u32 s6, s6, s14
	v_readfirstlane_b32 s14, v2
	s_mul_i32 s7, s0, s6
	s_mul_hi_u32 s15, s0, s14
	s_add_i32 s7, s15, s7
	s_mul_i32 s1, s1, s14
	s_add_i32 s7, s7, s1
	s_mul_i32 s0, s0, s14
	s_mul_hi_u32 s15, s6, s0
	s_mul_i32 s16, s6, s0
	s_mul_i32 s18, s14, s7
	s_mul_hi_u32 s0, s14, s0
	s_mul_hi_u32 s17, s14, s7
	s_add_u32 s0, s0, s18
	s_addc_u32 s14, 0, s17
	s_add_u32 s0, s0, s16
	s_mul_hi_u32 s1, s6, s7
	s_addc_u32 s0, s14, s15
	s_addc_u32 s1, s1, 0
	s_mul_i32 s7, s6, s7
	s_add_u32 s0, s0, s7
	s_addc_u32 s1, 0, s1
	v_add_co_u32_e32 v2, vcc, s0, v2
	s_cmp_lg_u64 vcc, 0
	s_addc_u32 s0, s6, s1
	v_readfirstlane_b32 s7, v2
	s_mul_i32 s6, s60, s0
	s_mul_hi_u32 s14, s60, s7
	s_mul_hi_u32 s1, s60, s0
	s_add_u32 s6, s14, s6
	s_addc_u32 s1, 0, s1
	s_mul_hi_u32 s15, s61, s7
	s_mul_i32 s7, s61, s7
	s_add_u32 s6, s6, s7
	s_mul_hi_u32 s14, s61, s0
	s_addc_u32 s1, s1, s15
	s_addc_u32 s6, s14, 0
	s_mul_i32 s0, s61, s0
	s_add_u32 s0, s1, s0
	s_addc_u32 s1, 0, s6
	s_mul_hi_u32 s6, s69, s0
	s_mul_i32 s0, s69, s0
	s_mul_i32 s1, s69, s1
	v_mov_b32_e32 v2, s0
	s_add_i32 s6, s6, s1
	v_sub_co_u32_e32 v2, vcc, s60, v2
	s_cmp_lg_u64 vcc, 0
	s_subb_u32 s0, s61, s6
	v_subrev_co_u32_e32 v3, vcc, s69, v2
	s_cmp_lg_u64 vcc, 0
	s_subb_u32 s1, s0, 0
	v_subrev_co_u32_e32 v4, vcc, s69, v3
	s_cmp_lg_u64 vcc, 0
	s_subb_u32 s6, s1, 0
	v_cmp_le_u32_e32 vcc, s69, v3
	s_cmp_eq_u32 s1, 0
	v_cndmask_b32_e64 v5, 0, -1, vcc
	s_cselect_b64 vcc, -1, 0
	v_cndmask_b32_e32 v5, -1, v5, vcc
	v_mov_b32_e32 v6, s1
	v_mov_b32_e32 v7, s6
	v_cmp_ne_u32_e32 vcc, 0, v5
	v_cndmask_b32_e32 v5, v6, v7, vcc
	v_cndmask_b32_e32 v4, v3, v4, vcc
	v_cmp_le_u32_e32 vcc, s69, v2
	s_cmp_eq_u32 s0, 0
	v_cndmask_b32_e64 v3, 0, -1, vcc
	s_cselect_b64 vcc, -1, 0
	v_cndmask_b32_e32 v3, -1, v3, vcc
	v_mov_b32_e32 v6, s0
	v_cmp_ne_u32_e32 vcc, 0, v3
	v_cndmask_b32_e32 v3, v6, v5, vcc
	v_cndmask_b32_e32 v2, v2, v4, vcc
	s_cbranch_execnz .LBB153_65
.LBB153_64:                             ;   in Loop: Header=BB153_31 Depth=1
	v_cvt_f32_u32_e32 v2, s69
	s_sub_i32 s0, 0, s69
	v_rcp_iflag_f32_e32 v2, v2
	v_mul_f32_e32 v2, 0x4f7ffffe, v2
	v_cvt_u32_f32_e32 v2, v2
	v_mul_lo_u32 v3, s0, v2
	v_mul_hi_u32 v3, v2, v3
	v_add_u32_e32 v2, v2, v3
	v_mul_hi_u32 v2, s60, v2
	v_mul_lo_u32 v2, v2, s69
	v_sub_u32_e32 v2, s60, v2
	v_subrev_u32_e32 v3, s69, v2
	v_cmp_le_u32_e32 vcc, s69, v2
	v_cndmask_b32_e32 v2, v2, v3, vcc
	v_subrev_u32_e32 v3, s69, v2
	v_cmp_le_u32_e32 vcc, s69, v2
	v_cndmask_b32_e32 v14, v2, v3, vcc
	v_pk_mov_b32 v[2:3], v[14:15], v[14:15] op_sel:[0,1]
.LBB153_65:                             ;   in Loop: Header=BB153_31 Depth=1
	v_mov_b32_e32 v4, s61
	v_sub_co_u32_e32 v34, vcc, s60, v2
	v_subb_co_u32_e32 v35, vcc, v4, v3, vcc
	v_pk_mov_b32 v[2:3], 0, 0
	v_cmp_gt_u64_e32 vcc, v[34:35], v[16:17]
	s_mov_b64 s[90:91], 0
	v_pk_mov_b32 v[4:5], v[2:3], v[2:3] op_sel:[0,1]
	v_pk_mov_b32 v[6:7], v[2:3], v[2:3] op_sel:[0,1]
	v_pk_mov_b32 v[8:9], v[2:3], v[2:3] op_sel:[0,1]
	s_and_saveexec_b64 s[88:89], vcc
	s_cbranch_execz .LBB153_69
; %bb.66:                               ;   in Loop: Header=BB153_31 Depth=1
	v_readlane_b32 s6, v56, 46
	v_readlane_b32 s0, v56, 52
	;; [unrolled: 1-line block ×3, first 2 shown]
	s_and_b32 s86, s0, 0xfe
	s_mul_i32 s0, s7, s3
	s_mul_hi_u32 s1, s6, s3
	s_add_i32 s30, s1, s0
	s_mul_i32 s31, s6, s3
	v_pk_mov_b32 v[36:37], v[24:25], v[24:25] op_sel:[0,1]
	v_pk_mov_b32 v[38:39], v[22:23], v[22:23] op_sel:[0,1]
	v_pk_mov_b32 v[40:41], v[20:21], v[20:21] op_sel:[0,1]
	v_pk_mov_b32 v[42:43], v[18:19], v[18:19] op_sel:[0,1]
	s_mov_b64 s[80:81], 0
	s_mov_b64 s[0:1], 0
	;; [unrolled: 1-line block ×4, first 2 shown]
	v_pk_mov_b32 v[44:45], v[16:17], v[16:17] op_sel:[0,1]
.LBB153_67:                             ;   Parent Loop BB153_31 Depth=1
                                        ; =>  This Inner Loop Header: Depth=2
	v_mov_b32_e32 v7, s73
	v_add_co_u32_e32 v2, vcc, s72, v38
	v_add_co_u32_e64 v8, s[22:23], s72, v36
	v_add_co_u32_e64 v4, s[14:15], s72, v40
	;; [unrolled: 1-line block ×3, first 2 shown]
	v_addc_co_u32_e64 v9, s[22:23], v37, v7, s[22:23]
	v_addc_co_u32_e32 v3, vcc, v39, v7, vcc
	v_addc_co_u32_e64 v5, vcc, v41, v7, s[14:15]
	v_addc_co_u32_e64 v7, vcc, v43, v7, s[16:17]
	global_load_dword v8, v[8:9], off
	s_nop 0
	global_load_dword v2, v[2:3], off
	s_nop 0
	;; [unrolled: 2-line block ×3, first 2 shown]
	global_load_dword v4, v[6:7], off
	v_mov_b32_e32 v14, s30
	v_add_co_u32_e64 v42, s[6:7], s31, v42
	v_add_co_u32_e64 v38, s[20:21], s31, v38
	;; [unrolled: 1-line block ×4, first 2 shown]
	v_addc_co_u32_e64 v43, vcc, v43, v14, s[6:7]
	v_addc_co_u32_e64 v39, vcc, v39, v14, s[20:21]
	v_addc_co_u32_e64 v45, s[26:27], 0, v45, s[26:27]
	v_addc_co_u32_e64 v41, vcc, v41, v14, s[18:19]
	v_add_co_u32_e64 v36, s[24:25], s31, v36
	v_addc_co_u32_e64 v37, vcc, v37, v14, s[24:25]
	v_cmp_ge_u64_e32 vcc, v[44:45], v[34:35]
	s_waitcnt vmcnt(3)
	v_xor_b32_e32 v5, 0x80000000, v8
	s_waitcnt vmcnt(2)
	v_xor_b32_e32 v2, 0x80000000, v2
	v_and_b32_e32 v6, v5, v53
	v_bfe_u32 v5, v5, s86, 2
	s_waitcnt vmcnt(1)
	v_xor_b32_e32 v3, 0x80000000, v3
	v_and_b32_e32 v7, v2, v53
	v_bfe_u32 v2, v2, s86, 2
	v_cmp_eq_u32_e64 s[20:21], v6, v54
	v_cmp_eq_u32_e64 s[6:7], 0, v5
	s_waitcnt vmcnt(0)
	v_xor_b32_e32 v4, 0x80000000, v4
	v_and_b32_e32 v8, v3, v53
	v_bfe_u32 v3, v3, s86, 2
	v_cmp_eq_u32_e64 s[18:19], v7, v54
	v_cmp_eq_u32_e64 s[34:35], 0, v2
	s_and_b64 s[6:7], s[20:21], s[6:7]
	v_and_b32_e32 v9, v4, v53
	v_bfe_u32 v4, v4, s86, 2
	v_cmp_eq_u32_e64 s[16:17], v8, v54
	v_cmp_eq_u32_e64 s[36:37], 0, v3
	;; [unrolled: 1-line block ×5, first 2 shown]
	v_cndmask_b32_e64 v2, 0, 1, s[6:7]
	s_and_b64 s[6:7], s[18:19], s[34:35]
	v_cmp_eq_u32_e64 s[14:15], v9, v54
	v_cmp_eq_u32_e64 s[38:39], 0, v4
	;; [unrolled: 1-line block ×5, first 2 shown]
	v_cndmask_b32_e64 v3, 0, 1, s[6:7]
	s_and_b64 s[6:7], s[16:17], s[36:37]
	v_cmp_eq_u32_e64 s[46:47], 1, v4
	v_cmp_eq_u32_e64 s[54:55], 2, v4
	;; [unrolled: 1-line block ×3, first 2 shown]
	v_cndmask_b32_e64 v4, 0, 1, s[6:7]
	s_and_b64 s[6:7], s[14:15], s[38:39]
	v_cmp_eq_u32_e64 s[40:41], 1, v5
	v_cmp_eq_u32_e64 s[48:49], 2, v5
	;; [unrolled: 1-line block ×3, first 2 shown]
	v_cndmask_b32_e64 v5, 0, 1, s[6:7]
	v_cmp_ne_u32_e64 s[6:7], 0, v2
	v_cmp_ne_u32_e64 s[34:35], 0, v3
	v_cmp_ne_u32_e64 s[36:37], 0, v4
	v_cmp_ne_u32_e64 s[38:39], 0, v5
	s_bcnt1_i32_b64 s6, s[6:7]
	s_bcnt1_i32_b64 s7, s[34:35]
	s_bcnt1_i32_b64 s34, s[36:37]
	s_bcnt1_i32_b64 s35, s[38:39]
	s_add_u32 s6, s6, s66
	s_addc_u32 s36, 0, s67
	s_add_u32 s6, s6, s7
	s_addc_u32 s7, s36, 0
	s_add_u32 s6, s6, s34
	s_addc_u32 s7, s7, 0
	s_add_u32 s66, s6, s35
	s_addc_u32 s67, s7, 0
	s_and_b64 s[6:7], s[20:21], s[40:41]
	v_cndmask_b32_e64 v4, 0, 1, s[6:7]
	s_and_b64 s[6:7], s[18:19], s[42:43]
	v_cndmask_b32_e64 v5, 0, 1, s[6:7]
	s_and_b64 s[6:7], s[16:17], s[44:45]
	v_cndmask_b32_e64 v6, 0, 1, s[6:7]
	s_and_b64 s[6:7], s[14:15], s[46:47]
	v_cndmask_b32_e64 v7, 0, 1, s[6:7]
	v_cmp_ne_u32_e64 s[6:7], 0, v4
	v_cmp_ne_u32_e64 s[34:35], 0, v5
	v_cmp_ne_u32_e64 s[36:37], 0, v6
	v_cmp_ne_u32_e64 s[38:39], 0, v7
	s_bcnt1_i32_b64 s6, s[6:7]
	s_bcnt1_i32_b64 s7, s[34:35]
	s_bcnt1_i32_b64 s34, s[36:37]
	s_bcnt1_i32_b64 s35, s[38:39]
	s_add_u32 s6, s6, s94
	s_addc_u32 s36, 0, s95
	s_add_u32 s6, s6, s7
	s_addc_u32 s7, s36, 0
	s_add_u32 s6, s6, s34
	s_addc_u32 s7, s7, 0
	s_add_u32 s94, s6, s35
	s_addc_u32 s95, s7, 0
	s_and_b64 s[6:7], s[20:21], s[48:49]
	v_cndmask_b32_e64 v6, 0, 1, s[6:7]
	s_and_b64 s[6:7], s[18:19], s[50:51]
	v_cndmask_b32_e64 v7, 0, 1, s[6:7]
	s_and_b64 s[6:7], s[16:17], s[52:53]
	v_cndmask_b32_e64 v8, 0, 1, s[6:7]
	s_and_b64 s[6:7], s[14:15], s[54:55]
	;; [unrolled: 24-line block ×3, first 2 shown]
	v_cndmask_b32_e64 v29, 0, 1, s[6:7]
	v_cmp_ne_u32_e64 s[6:7], 0, v8
	v_cmp_ne_u32_e64 s[14:15], 0, v9
	;; [unrolled: 1-line block ×4, first 2 shown]
	s_bcnt1_i32_b64 s6, s[6:7]
	s_bcnt1_i32_b64 s7, s[14:15]
	;; [unrolled: 1-line block ×4, first 2 shown]
	s_add_u32 s6, s6, s80
	s_addc_u32 s16, 0, s81
	s_add_u32 s6, s6, s7
	s_addc_u32 s7, s16, 0
	;; [unrolled: 2-line block ×4, first 2 shown]
	v_pk_mov_b32 v[2:3], s[66:67], s[66:67] op_sel:[0,1]
	v_pk_mov_b32 v[4:5], s[94:95], s[94:95] op_sel:[0,1]
	;; [unrolled: 1-line block ×3, first 2 shown]
	s_or_b64 s[90:91], vcc, s[90:91]
	v_pk_mov_b32 v[8:9], s[80:81], s[80:81] op_sel:[0,1]
	s_andn2_b64 exec, exec, s[90:91]
	s_cbranch_execnz .LBB153_67
; %bb.68:                               ;   in Loop: Header=BB153_31 Depth=1
	s_or_b64 exec, exec, s[90:91]
.LBB153_69:                             ;   in Loop: Header=BB153_31 Depth=1
	s_or_b64 exec, exec, s[88:89]
	v_add_co_u32_e32 v34, vcc, v34, v0
	v_addc_co_u32_e32 v35, vcc, 0, v35, vcc
	v_cmp_gt_u64_e32 vcc, s[60:61], v[34:35]
	v_mov_b32_e32 v14, 0
	s_and_saveexec_b64 s[0:1], vcc
	s_cbranch_execz .LBB153_71
; %bb.70:                               ;   in Loop: Header=BB153_31 Depth=1
	v_mul_lo_u32 v14, v35, s58
	v_mul_lo_u32 v29, v34, s59
	v_mad_u64_u32 v[36:37], s[6:7], v34, s58, 0
	v_add3_u32 v37, v37, v29, v14
	v_lshlrev_b64 v[36:37], 2, v[36:37]
	v_mov_b32_e32 v14, s12
	v_add_co_u32_e64 v36, s[6:7], s93, v36
	v_addc_co_u32_e64 v37, s[6:7], v14, v37, s[6:7]
	global_load_dword v14, v[36:37], off
.LBB153_71:                             ;   in Loop: Header=BB153_31 Depth=1
	s_or_b64 exec, exec, s[0:1]
	s_and_saveexec_b64 s[0:1], vcc
	s_cbranch_execz .LBB153_78
; %bb.72:                               ;   in Loop: Header=BB153_31 Depth=1
	v_readlane_b32 s6, v56, 52
	s_and_b32 s18, s6, 0xfe
	s_mov_b64 s[14:15], 0
	s_branch .LBB153_74
.LBB153_73:                             ;   in Loop: Header=BB153_74 Depth=2
	s_or_b64 exec, exec, s[16:17]
	s_waitcnt vmcnt(0)
	v_xor_b32_e32 v14, 0x80000000, v14
	s_and_b64 s[6:7], exec, vcc
	v_and_b32_e32 v30, v14, v53
	v_bfe_u32 v14, v14, s18, 2
	s_or_b64 s[14:15], s[6:7], s[14:15]
	v_cmp_eq_u32_e32 vcc, v30, v54
	v_cmp_eq_u32_e64 s[6:7], 0, v14
	s_and_b64 s[6:7], vcc, s[6:7]
	v_cndmask_b32_e64 v30, 0, 1, s[6:7]
	v_cmp_ne_u32_e64 s[6:7], 0, v30
	s_bcnt1_i32_b64 s6, s[6:7]
	v_add_co_u32_e64 v2, s[6:7], s6, v2
	v_addc_co_u32_e64 v3, s[6:7], 0, v3, s[6:7]
	v_cmp_eq_u32_e64 s[6:7], 1, v14
	s_and_b64 s[6:7], vcc, s[6:7]
	v_cndmask_b32_e64 v30, 0, 1, s[6:7]
	v_cmp_ne_u32_e64 s[6:7], 0, v30
	s_bcnt1_i32_b64 s6, s[6:7]
	v_add_co_u32_e64 v4, s[6:7], s6, v4
	v_addc_co_u32_e64 v5, s[6:7], 0, v5, s[6:7]
	v_cmp_eq_u32_e64 s[6:7], 2, v14
	s_and_b64 s[6:7], vcc, s[6:7]
	v_cndmask_b32_e64 v30, 0, 1, s[6:7]
	v_cmp_ne_u32_e64 s[6:7], 0, v30
	s_bcnt1_i32_b64 s6, s[6:7]
	v_add_co_u32_e64 v6, s[6:7], s6, v6
	v_addc_co_u32_e64 v7, s[6:7], 0, v7, s[6:7]
	v_cmp_eq_u32_e64 s[6:7], 3, v14
	s_and_b64 s[6:7], vcc, s[6:7]
	v_cndmask_b32_e64 v14, 0, 1, s[6:7]
	v_cmp_ne_u32_e32 vcc, 0, v14
	s_bcnt1_i32_b64 s6, vcc
	v_add_co_u32_e32 v8, vcc, s6, v8
	v_addc_co_u32_e32 v9, vcc, 0, v9, vcc
	v_mov_b32_e32 v14, v29
	s_andn2_b64 exec, exec, s[14:15]
	s_cbranch_execz .LBB153_77
.LBB153_74:                             ;   Parent Loop BB153_31 Depth=1
                                        ; =>  This Inner Loop Header: Depth=2
	v_mov_b32_e32 v29, s87
	v_add_co_u32_e32 v34, vcc, s3, v34
	v_addc_co_u32_e32 v35, vcc, v35, v29, vcc
	v_cmp_gt_u64_e64 s[6:7], s[60:61], v[34:35]
	v_cmp_le_u64_e32 vcc, s[60:61], v[34:35]
	v_mov_b32_e32 v29, 0
	s_and_saveexec_b64 s[16:17], s[6:7]
	s_cbranch_execz .LBB153_73
; %bb.75:                               ;   in Loop: Header=BB153_74 Depth=2
	v_mul_lo_u32 v29, v35, s58
	v_mul_lo_u32 v30, v34, s59
	v_mad_u64_u32 v[36:37], s[6:7], v34, s58, 0
	v_add3_u32 v37, v37, v30, v29
	v_lshlrev_b64 v[36:37], 2, v[36:37]
	v_mov_b32_e32 v29, s12
	v_add_co_u32_e64 v36, s[6:7], s93, v36
	v_addc_co_u32_e64 v37, s[6:7], v29, v37, s[6:7]
	global_load_dword v29, v[36:37], off
	s_branch .LBB153_73
.LBB153_76:                             ;   in Loop: Header=BB153_31 Depth=1
                                        ; implicit-def: $vgpr8_vgpr9
                                        ; implicit-def: $vgpr4_vgpr5
	s_cbranch_execnz .LBB153_79
	s_branch .LBB153_88
.LBB153_77:                             ;   in Loop: Header=BB153_31 Depth=1
	s_or_b64 exec, exec, s[14:15]
.LBB153_78:                             ;   in Loop: Header=BB153_31 Depth=1
	s_or_b64 exec, exec, s[0:1]
	s_branch .LBB153_88
.LBB153_79:                             ;   in Loop: Header=BB153_31 Depth=1
	v_readlane_b32 s0, v56, 35
	v_readlane_b32 s1, v56, 36
	s_nop 4
	global_load_ushort v8, v15, s[0:1]
	s_waitcnt vmcnt(0)
	v_readfirstlane_b32 s0, v8
	s_and_b32 s0, 0xffff, s0
	s_lshl_b32 s3, s0, 2
	v_cvt_f32_u32_e32 v2, s3
	s_sub_i32 s6, 0, s3
	s_mov_b64 s[0:1], 0
	v_and_b32_e32 v29, 0xffff, v8
	v_rcp_iflag_f32_e32 v6, v2
	v_pk_mov_b32 v[2:3], 0, 0
	v_pk_mov_b32 v[4:5], v[2:3], v[2:3] op_sel:[0,1]
	v_mul_f32_e32 v6, 0x4f7ffffe, v6
	v_cvt_u32_f32_e32 v9, v6
	v_pk_mov_b32 v[6:7], v[2:3], v[2:3] op_sel:[0,1]
	v_readfirstlane_b32 s7, v9
	s_mul_i32 s6, s6, s7
	s_mul_hi_u32 s6, s7, s6
	s_add_i32 s7, s7, s6
	s_mul_hi_u32 s6, s68, s7
	s_mul_i32 s6, s6, s3
	s_sub_i32 s6, s68, s6
	s_sub_i32 s7, s6, s3
	s_cmp_ge_u32 s6, s3
	s_cselect_b32 s6, s7, s6
	s_sub_i32 s7, s6, s3
	s_cmp_ge_u32 s6, s3
	s_cselect_b32 s6, s7, s6
	s_sub_i32 s86, s68, s6
	v_cmp_gt_u32_e32 vcc, s86, v16
	v_pk_mov_b32 v[8:9], v[2:3], v[2:3] op_sel:[0,1]
	s_and_saveexec_b64 s[66:67], vcc
	s_cbranch_execz .LBB153_83
; %bb.80:                               ;   in Loop: Header=BB153_31 Depth=1
	v_readlane_b32 s6, v56, 52
	s_and_b32 s30, s6, 0xfe
	v_lshlrev_b32_e32 v14, 4, v29
	v_mov_b32_e32 v30, v50
	s_mov_b64 s[80:81], 0
	s_mov_b64 s[88:89], 0
	;; [unrolled: 1-line block ×4, first 2 shown]
	v_pk_mov_b32 v[34:35], v[16:17], v[16:17] op_sel:[0,1]
.LBB153_81:                             ;   Parent Loop BB153_31 Depth=1
                                        ; =>  This Inner Loop Header: Depth=2
	ds_read_b128 v[2:5], v30
	v_add_co_u32_e32 v34, vcc, s3, v34
	v_addc_co_u32_e32 v35, vcc, 0, v35, vcc
	s_waitcnt lgkmcnt(0)
	v_xor_b32_e32 v2, 0x80000000, v2
	v_xor_b32_e32 v3, 0x80000000, v3
	v_and_b32_e32 v6, v2, v53
	v_bfe_u32 v2, v2, s30, 2
	v_xor_b32_e32 v4, 0x80000000, v4
	v_and_b32_e32 v7, v3, v53
	v_bfe_u32 v3, v3, s30, 2
	v_cmp_eq_u32_e64 s[20:21], v6, v54
	v_cmp_eq_u32_e64 s[6:7], 0, v2
	v_xor_b32_e32 v5, 0x80000000, v5
	v_and_b32_e32 v8, v4, v53
	v_bfe_u32 v4, v4, s30, 2
	v_cmp_eq_u32_e64 s[18:19], v7, v54
	v_cmp_eq_u32_e64 s[34:35], 0, v3
	s_and_b64 s[6:7], s[20:21], s[6:7]
	v_and_b32_e32 v9, v5, v53
	v_bfe_u32 v5, v5, s30, 2
	v_cmp_eq_u32_e64 s[16:17], v8, v54
	v_cmp_eq_u32_e64 s[36:37], 0, v4
	;; [unrolled: 1-line block ×5, first 2 shown]
	v_cndmask_b32_e64 v2, 0, 1, s[6:7]
	s_and_b64 s[6:7], s[18:19], s[34:35]
	v_cmp_eq_u32_e64 s[14:15], v9, v54
	v_cmp_eq_u32_e64 s[38:39], 0, v5
	;; [unrolled: 1-line block ×5, first 2 shown]
	v_cndmask_b32_e64 v3, 0, 1, s[6:7]
	s_and_b64 s[6:7], s[16:17], s[36:37]
	v_cmp_eq_u32_e64 s[44:45], 1, v4
	v_cmp_eq_u32_e64 s[52:53], 2, v4
	;; [unrolled: 1-line block ×3, first 2 shown]
	v_cndmask_b32_e64 v4, 0, 1, s[6:7]
	s_and_b64 s[6:7], s[14:15], s[38:39]
	v_cmp_eq_u32_e64 s[46:47], 1, v5
	v_cmp_eq_u32_e64 s[54:55], 2, v5
	;; [unrolled: 1-line block ×3, first 2 shown]
	v_cndmask_b32_e64 v5, 0, 1, s[6:7]
	v_cmp_ne_u32_e64 s[6:7], 0, v2
	v_cmp_ne_u32_e64 s[34:35], 0, v3
	v_cmp_ne_u32_e64 s[36:37], 0, v4
	v_cmp_ne_u32_e64 s[38:39], 0, v5
	s_bcnt1_i32_b64 s6, s[6:7]
	s_bcnt1_i32_b64 s7, s[34:35]
	s_bcnt1_i32_b64 s31, s[36:37]
	s_bcnt1_i32_b64 s34, s[38:39]
	s_add_u32 s6, s6, s94
	s_addc_u32 s35, 0, s95
	s_add_u32 s6, s6, s7
	s_addc_u32 s7, s35, 0
	s_add_u32 s6, s6, s31
	s_addc_u32 s7, s7, 0
	s_add_u32 s94, s6, s34
	s_addc_u32 s95, s7, 0
	s_and_b64 s[6:7], s[20:21], s[40:41]
	v_cndmask_b32_e64 v4, 0, 1, s[6:7]
	s_and_b64 s[6:7], s[18:19], s[42:43]
	v_cndmask_b32_e64 v5, 0, 1, s[6:7]
	s_and_b64 s[6:7], s[16:17], s[44:45]
	v_cndmask_b32_e64 v6, 0, 1, s[6:7]
	s_and_b64 s[6:7], s[14:15], s[46:47]
	v_cndmask_b32_e64 v7, 0, 1, s[6:7]
	v_cmp_ne_u32_e64 s[6:7], 0, v4
	v_cmp_ne_u32_e64 s[34:35], 0, v5
	v_cmp_ne_u32_e64 s[36:37], 0, v6
	v_cmp_ne_u32_e64 s[38:39], 0, v7
	s_bcnt1_i32_b64 s6, s[6:7]
	s_bcnt1_i32_b64 s7, s[34:35]
	s_bcnt1_i32_b64 s31, s[36:37]
	s_bcnt1_i32_b64 s34, s[38:39]
	s_add_u32 s6, s6, s90
	s_addc_u32 s35, 0, s91
	s_add_u32 s6, s6, s7
	s_addc_u32 s7, s35, 0
	s_add_u32 s6, s6, s31
	s_addc_u32 s7, s7, 0
	s_add_u32 s90, s6, s34
	s_addc_u32 s91, s7, 0
	s_and_b64 s[6:7], s[20:21], s[48:49]
	v_cndmask_b32_e64 v6, 0, 1, s[6:7]
	s_and_b64 s[6:7], s[18:19], s[50:51]
	v_cndmask_b32_e64 v7, 0, 1, s[6:7]
	s_and_b64 s[6:7], s[16:17], s[52:53]
	v_cndmask_b32_e64 v8, 0, 1, s[6:7]
	s_and_b64 s[6:7], s[14:15], s[54:55]
	;; [unrolled: 24-line block ×3, first 2 shown]
	v_cndmask_b32_e64 v37, 0, 1, s[6:7]
	v_cmp_ne_u32_e64 s[6:7], 0, v8
	v_cmp_ne_u32_e64 s[14:15], 0, v9
	;; [unrolled: 1-line block ×4, first 2 shown]
	s_bcnt1_i32_b64 s6, s[6:7]
	s_bcnt1_i32_b64 s7, s[14:15]
	s_bcnt1_i32_b64 s14, s[16:17]
	s_bcnt1_i32_b64 s15, s[18:19]
	s_add_u32 s6, s6, s80
	s_addc_u32 s16, 0, s81
	s_add_u32 s6, s6, s7
	s_addc_u32 s7, s16, 0
	;; [unrolled: 2-line block ×3, first 2 shown]
	s_add_u32 s80, s6, s15
	v_cmp_le_u64_e32 vcc, s[86:87], v[34:35]
	s_addc_u32 s81, s7, 0
	v_add_u32_e32 v30, v30, v14
	v_pk_mov_b32 v[2:3], s[94:95], s[94:95] op_sel:[0,1]
	v_pk_mov_b32 v[4:5], s[90:91], s[90:91] op_sel:[0,1]
	;; [unrolled: 1-line block ×3, first 2 shown]
	s_or_b64 s[0:1], vcc, s[0:1]
	v_pk_mov_b32 v[8:9], s[80:81], s[80:81] op_sel:[0,1]
	s_andn2_b64 exec, exec, s[0:1]
	s_cbranch_execnz .LBB153_81
; %bb.82:                               ;   in Loop: Header=BB153_31 Depth=1
	s_or_b64 exec, exec, s[0:1]
.LBB153_83:                             ;   in Loop: Header=BB153_31 Depth=1
	s_or_b64 exec, exec, s[66:67]
	v_add_u32_e32 v14, s86, v0
	v_cmp_gt_u32_e32 vcc, s68, v14
	s_and_saveexec_b64 s[0:1], vcc
	s_cbranch_execz .LBB153_87
; %bb.84:                               ;   in Loop: Header=BB153_31 Depth=1
	v_readlane_b32 s6, v56, 52
	s_and_b32 s86, s68, 0x7fffffff
	s_and_b32 s24, s6, 0xfe
	v_lshlrev_b32_e32 v30, 2, v14
	s_mov_b64 s[22:23], 0
	v_pk_mov_b32 v[34:35], v[14:15], v[14:15] op_sel:[0,1]
.LBB153_85:                             ;   Parent Loop BB153_31 Depth=1
                                        ; =>  This Inner Loop Header: Depth=2
	ds_read_b32 v14, v30
	v_add_co_u32_e32 v34, vcc, v34, v29
	v_addc_co_u32_e32 v35, vcc, 0, v35, vcc
	s_waitcnt lgkmcnt(0)
	v_xor_b32_e32 v14, 0x80000000, v14
	v_and_b32_e32 v36, v14, v53
	v_bfe_u32 v14, v14, s24, 2
	v_cmp_eq_u32_e64 s[6:7], v36, v54
	v_cmp_eq_u32_e64 s[14:15], 0, v14
	;; [unrolled: 1-line block ×3, first 2 shown]
	s_and_b64 s[14:15], s[6:7], s[14:15]
	v_cmp_eq_u32_e64 s[18:19], 2, v14
	v_cmp_eq_u32_e64 s[20:21], 3, v14
	v_cndmask_b32_e64 v14, 0, 1, s[14:15]
	s_and_b64 s[14:15], s[6:7], s[16:17]
	v_cndmask_b32_e64 v36, 0, 1, s[14:15]
	s_and_b64 s[14:15], s[6:7], s[18:19]
	s_and_b64 s[6:7], s[6:7], s[20:21]
	v_cndmask_b32_e64 v37, 0, 1, s[14:15]
	v_cndmask_b32_e64 v38, 0, 1, s[6:7]
	v_cmp_ne_u32_e64 s[6:7], 0, v14
	v_cmp_ne_u32_e64 s[14:15], 0, v36
	;; [unrolled: 1-line block ×4, first 2 shown]
	v_cmp_le_u64_e32 vcc, s[86:87], v[34:35]
	s_bcnt1_i32_b64 s6, s[6:7]
	s_bcnt1_i32_b64 s7, s[14:15]
	;; [unrolled: 1-line block ×4, first 2 shown]
	s_or_b64 s[22:23], vcc, s[22:23]
	v_add_co_u32_e32 v2, vcc, s6, v2
	v_addc_co_u32_e32 v3, vcc, 0, v3, vcc
	v_add_co_u32_e32 v4, vcc, s7, v4
	v_addc_co_u32_e32 v5, vcc, 0, v5, vcc
	v_add_co_u32_e32 v6, vcc, s14, v6
	v_addc_co_u32_e32 v7, vcc, 0, v7, vcc
	v_add_co_u32_e32 v8, vcc, s15, v8
	v_add_u32_e32 v30, s3, v30
	v_addc_co_u32_e32 v9, vcc, 0, v9, vcc
	s_andn2_b64 exec, exec, s[22:23]
	s_cbranch_execnz .LBB153_85
; %bb.86:                               ;   in Loop: Header=BB153_31 Depth=1
	s_or_b64 exec, exec, s[22:23]
.LBB153_87:                             ;   in Loop: Header=BB153_31 Depth=1
	s_or_b64 exec, exec, s[0:1]
.LBB153_88:                             ;   in Loop: Header=BB153_31 Depth=1
	v_readlane_b32 s0, v56, 53
	s_lshl_b32 s3, s0, 6
	s_mov_b64 s[0:1], exec
	v_readlane_b32 s6, v56, 18
	v_readlane_b32 s7, v56, 19
	s_and_b64 s[6:7], s[0:1], s[6:7]
	s_mov_b64 exec, s[6:7]
	s_cbranch_execz .LBB153_90
; %bb.89:                               ;   in Loop: Header=BB153_31 Depth=1
	s_waitcnt vmcnt(0)
	v_or_b32_e32 v14, s3, v48
	v_lshlrev_b32_e32 v14, 3, v14
	ds_write_b128 v14, v[2:5] offset:3072
	ds_write_b128 v14, v[6:9] offset:3088
.LBB153_90:                             ;   in Loop: Header=BB153_31 Depth=1
	s_or_b64 exec, exec, s[0:1]
	s_waitcnt lgkmcnt(0)
	s_barrier
	s_mov_b64 s[0:1], exec
	v_readlane_b32 s6, v56, 20
	v_readlane_b32 s7, v56, 21
	s_and_b64 s[6:7], s[0:1], s[6:7]
	s_mov_b64 exec, s[6:7]
	s_cbranch_execz .LBB153_102
; %bb.91:                               ;   in Loop: Header=BB153_31 Depth=1
	v_readlane_b32 s6, v56, 28
	v_readlane_b32 s7, v56, 29
	s_andn2_b64 vcc, exec, s[6:7]
	v_pk_mov_b32 v[2:3], 0, 0
	s_cbranch_vccnz .LBB153_101
; %bb.92:                               ;   in Loop: Header=BB153_31 Depth=1
	v_readlane_b32 s6, v56, 37
	v_readlane_b32 s7, v56, 38
	s_andn2_b64 vcc, exec, s[6:7]
	s_cbranch_vccnz .LBB153_97
; %bb.93:                               ;   in Loop: Header=BB153_31 Depth=1
	v_readlane_b32 s6, v56, 53
	v_lshl_add_u32 v4, s6, 9, v51
	s_mov_b32 s6, 0
	v_pk_mov_b32 v[2:3], 0, 0
.LBB153_94:                             ;   Parent Loop BB153_31 Depth=1
                                        ; =>  This Inner Loop Header: Depth=2
	s_waitcnt vmcnt(0)
	ds_read2_b64 v[6:9], v4 offset1:4
	ds_read2_b64 v[34:37], v4 offset0:8 offset1:12
	ds_read2_b64 v[38:41], v4 offset0:16 offset1:20
	;; [unrolled: 1-line block ×3, first 2 shown]
	s_add_i32 s6, s6, 8
	s_waitcnt lgkmcnt(3)
	v_add_co_u32_e32 v2, vcc, v6, v2
	v_addc_co_u32_e32 v3, vcc, v7, v3, vcc
	v_add_co_u32_e32 v2, vcc, v8, v2
	v_addc_co_u32_e32 v3, vcc, v9, v3, vcc
	s_waitcnt lgkmcnt(2)
	v_add_co_u32_e32 v2, vcc, v34, v2
	v_addc_co_u32_e32 v3, vcc, v35, v3, vcc
	v_add_co_u32_e32 v2, vcc, v36, v2
	v_addc_co_u32_e32 v3, vcc, v37, v3, vcc
	;; [unrolled: 5-line block ×3, first 2 shown]
	s_waitcnt lgkmcnt(0)
	v_add_co_u32_e32 v2, vcc, v42, v2
	v_addc_co_u32_e32 v3, vcc, v43, v3, vcc
	v_add_co_u32_e32 v2, vcc, v44, v2
	v_add_u32_e32 v4, 0x100, v4
	s_cmp_eq_u32 s13, s6
	v_addc_co_u32_e32 v3, vcc, v45, v3, vcc
	s_cbranch_scc0 .LBB153_94
; %bb.95:                               ;   in Loop: Header=BB153_31 Depth=1
	s_mov_b32 s6, s13
	s_branch .LBB153_98
.LBB153_96:                             ;   in Loop: Header=BB153_31 Depth=1
                                        ; implicit-def: $vgpr2_vgpr3
	s_branch .LBB153_64
.LBB153_97:                             ;   in Loop: Header=BB153_31 Depth=1
	s_mov_b32 s6, 0
	v_pk_mov_b32 v[2:3], 0, 0
.LBB153_98:                             ;   in Loop: Header=BB153_31 Depth=1
	v_readlane_b32 s14, v56, 40
	v_readlane_b32 s15, v56, 41
	s_andn2_b64 vcc, exec, s[14:15]
	s_cbranch_vccnz .LBB153_101
; %bb.99:                               ;   in Loop: Header=BB153_31 Depth=1
	v_readlane_b32 s7, v56, 53
	s_lshl_b32 s7, s7, 9
	s_lshl_b32 s6, s6, 5
	s_add_i32 s7, s7, s6
	v_add_u32_e32 v4, s7, v51
	v_readlane_b32 s6, v56, 39
.LBB153_100:                            ;   Parent Loop BB153_31 Depth=1
                                        ; =>  This Inner Loop Header: Depth=2
	s_waitcnt vmcnt(0)
	ds_read_b64 v[6:7], v4
	s_add_i32 s6, s6, -1
	v_add_u32_e32 v4, 32, v4
	s_cmp_lg_u32 s6, 0
	s_waitcnt lgkmcnt(0)
	v_add_co_u32_e32 v2, vcc, v6, v2
	v_addc_co_u32_e32 v3, vcc, v7, v3, vcc
	s_cbranch_scc1 .LBB153_100
.LBB153_101:                            ;   in Loop: Header=BB153_31 Depth=1
	v_add_lshl_u32 v4, s3, v47, 3
	ds_write_b64 v4, v[2:3] offset:3072
.LBB153_102:                            ;   in Loop: Header=BB153_31 Depth=1
	s_or_b64 exec, exec, s[0:1]
	s_lshl_b32 s0, s3, 3
	s_waitcnt vmcnt(0)
	v_mov_b32_e32 v6, s0
	v_readlane_b32 s0, v56, 52
	s_and_b32 s3, s0, 0xfe
	s_waitcnt lgkmcnt(0)
	s_barrier
	ds_read_b128 v[2:5], v6 offset:3072
	ds_read_b128 v[6:9], v6 offset:3088
	s_lshl_b32 s86, 3, s3
	s_not_b32 s0, s86
	v_writelane_b32 v56, s0, 62
	v_readlane_b32 s0, v56, 16
	v_readlane_b32 s1, v56, 17
	s_waitcnt lgkmcnt(1)
	v_readfirstlane_b32 s17, v3
	v_readfirstlane_b32 s16, v2
	;; [unrolled: 1-line block ×4, first 2 shown]
	s_waitcnt lgkmcnt(0)
	v_readfirstlane_b32 s23, v7
	v_readfirstlane_b32 s22, v6
	;; [unrolled: 1-line block ×4, first 2 shown]
	s_andn2_b64 vcc, exec, s[0:1]
	v_cmp_eq_u64_e64 s[14:15], 1, v[32:33]
	s_cbranch_vccnz .LBB153_118
; %bb.103:                              ;   in Loop: Header=BB153_31 Depth=1
	s_cmp_eq_u64 s[16:17], 1
	s_cselect_b64 s[0:1], -1, 0
	s_and_b64 s[6:7], s[0:1], s[14:15]
	s_mov_b64 s[0:1], -1
	v_mov_b32_e32 v30, v54
	v_mov_b32_e32 v36, v53
	;; [unrolled: 1-line block ×3, first 2 shown]
                                        ; implicit-def: $sgpr20_sgpr21
                                        ; implicit-def: $sgpr36_sgpr37
                                        ; implicit-def: $sgpr34_sgpr35
	s_and_saveexec_b64 s[26:27], s[6:7]
	s_cbranch_execz .LBB153_140
; %bb.104:                              ;   in Loop: Header=BB153_31 Depth=1
	ds_read_b64 v[2:3], v15 offset:5120
	s_waitcnt lgkmcnt(0)
	s_barrier
	v_readfirstlane_b32 s0, v2
	v_readfirstlane_b32 s1, v3
	s_mov_b64 s[20:21], exec
	v_readlane_b32 s28, v56, 26
	v_readlane_b32 s29, v56, 27
	s_and_b64 s[28:29], s[20:21], s[28:29]
	s_mov_b64 exec, s[28:29]
	s_cbranch_execz .LBB153_106
; %bb.105:                              ;   in Loop: Header=BB153_31 Depth=1
	ds_write_b32 v49, v15
.LBB153_106:                            ;   in Loop: Header=BB153_31 Depth=1
	s_or_b64 exec, exec, s[20:21]
	v_readlane_b32 s20, v56, 62
	v_and_b32_e32 v30, s20, v54
	v_or_b32_e32 v36, s86, v53
	s_cmp_eq_u64 s[0:1], 0
	s_waitcnt lgkmcnt(0)
	s_barrier
	s_cbranch_scc1 .LBB153_123
; %bb.107:                              ;   in Loop: Header=BB153_31 Depth=1
	v_readlane_b32 s20, v56, 30
	s_add_u32 s30, s20, s0
	v_readlane_b32 s20, v56, 32
	s_addc_u32 s21, s20, s1
	s_mov_b32 s20, s87
	s_cmp_lg_u64 s[20:21], 0
	s_cbranch_scc0 .LBB153_167
; %bb.108:                              ;   in Loop: Header=BB153_31 Depth=1
	v_cvt_f32_u32_e32 v2, s33
	s_sub_u32 s20, 0, s33
	s_subb_u32 s28, 0, 0
	v_mac_f32_e32 v2, 0, v52
	v_rcp_f32_e32 v2, v2
	v_mul_f32_e32 v2, 0x5f7ffffc, v2
	v_mul_f32_e32 v3, 0x2f800000, v2
	v_trunc_f32_e32 v3, v3
	v_mac_f32_e32 v2, 0xcf800000, v3
	v_cvt_u32_f32_e32 v3, v3
	v_cvt_u32_f32_e32 v2, v2
	v_readfirstlane_b32 s29, v3
	v_readfirstlane_b32 s31, v2
	s_mul_i32 s34, s20, s29
	s_mul_hi_u32 s36, s20, s31
	s_mul_i32 s35, s28, s31
	s_add_i32 s34, s36, s34
	s_mul_i32 s37, s20, s31
	s_add_i32 s34, s34, s35
	s_mul_hi_u32 s36, s31, s37
	s_mul_hi_u32 s35, s31, s34
	s_mul_i32 s31, s31, s34
	s_add_u32 s31, s36, s31
	s_addc_u32 s35, 0, s35
	s_mul_hi_u32 s38, s29, s37
	s_mul_i32 s37, s29, s37
	s_add_u32 s31, s31, s37
	s_mul_hi_u32 s36, s29, s34
	s_addc_u32 s31, s35, s38
	s_addc_u32 s35, s36, 0
	s_mul_i32 s34, s29, s34
	s_add_u32 s31, s31, s34
	s_addc_u32 s34, 0, s35
	v_add_co_u32_e32 v2, vcc, s31, v2
	s_cmp_lg_u64 vcc, 0
	s_addc_u32 s29, s29, s34
	v_readfirstlane_b32 s34, v2
	s_mul_i32 s31, s20, s29
	s_mul_hi_u32 s35, s20, s34
	s_add_i32 s31, s35, s31
	s_mul_i32 s28, s28, s34
	s_add_i32 s31, s31, s28
	s_mul_i32 s20, s20, s34
	s_mul_hi_u32 s35, s29, s20
	s_mul_i32 s36, s29, s20
	s_mul_i32 s38, s34, s31
	s_mul_hi_u32 s20, s34, s20
	s_mul_hi_u32 s37, s34, s31
	s_add_u32 s20, s20, s38
	s_addc_u32 s34, 0, s37
	s_add_u32 s20, s20, s36
	s_mul_hi_u32 s28, s29, s31
	s_addc_u32 s20, s34, s35
	s_addc_u32 s28, s28, 0
	s_mul_i32 s31, s29, s31
	s_add_u32 s20, s20, s31
	s_addc_u32 s28, 0, s28
	v_add_co_u32_e32 v2, vcc, s20, v2
	s_cmp_lg_u64 vcc, 0
	s_addc_u32 s20, s29, s28
	v_readfirstlane_b32 s31, v2
	s_mul_i32 s29, s30, s20
	s_mul_hi_u32 s34, s30, s31
	s_mul_hi_u32 s28, s30, s20
	s_add_u32 s29, s34, s29
	s_addc_u32 s28, 0, s28
	s_mul_hi_u32 s35, s21, s31
	s_mul_i32 s31, s21, s31
	s_add_u32 s29, s29, s31
	s_mul_hi_u32 s34, s21, s20
	s_addc_u32 s28, s28, s35
	s_addc_u32 s29, s34, 0
	s_mul_i32 s20, s21, s20
	s_add_u32 s20, s28, s20
	s_addc_u32 s28, 0, s29
	s_mul_hi_u32 s29, s33, s20
	s_mul_i32 s20, s33, s20
	s_mul_i32 s28, s33, s28
	v_mov_b32_e32 v2, s20
	s_add_i32 s29, s29, s28
	v_sub_co_u32_e32 v2, vcc, s30, v2
	s_cmp_lg_u64 vcc, 0
	s_subb_u32 s20, s21, s29
	v_subrev_co_u32_e32 v3, vcc, s33, v2
	s_cmp_lg_u64 vcc, 0
	s_subb_u32 s28, s20, 0
	v_subrev_co_u32_e32 v4, vcc, s33, v3
	s_cmp_lg_u64 vcc, 0
	s_subb_u32 s29, s28, 0
	v_cmp_le_u32_e32 vcc, s33, v3
	s_cmp_eq_u32 s28, 0
	v_cndmask_b32_e64 v5, 0, -1, vcc
	s_cselect_b64 vcc, -1, 0
	v_cndmask_b32_e32 v5, -1, v5, vcc
	v_mov_b32_e32 v6, s28
	v_mov_b32_e32 v7, s29
	v_cmp_ne_u32_e32 vcc, 0, v5
	v_cndmask_b32_e32 v5, v6, v7, vcc
	v_cndmask_b32_e32 v4, v3, v4, vcc
	v_cmp_le_u32_e32 vcc, s33, v2
	s_cmp_eq_u32 s20, 0
	v_cndmask_b32_e64 v3, 0, -1, vcc
	s_cselect_b64 vcc, -1, 0
	v_cndmask_b32_e32 v3, -1, v3, vcc
	v_mov_b32_e32 v6, s20
	v_cmp_ne_u32_e32 vcc, 0, v3
	v_cndmask_b32_e32 v3, v6, v5, vcc
	v_cndmask_b32_e32 v2, v2, v4, vcc
	s_cbranch_execnz .LBB153_110
.LBB153_109:                            ;   in Loop: Header=BB153_31 Depth=1
	v_cvt_f32_u32_e32 v2, s33
	s_sub_i32 s20, 0, s33
	v_rcp_iflag_f32_e32 v2, v2
	v_mul_f32_e32 v2, 0x4f7ffffe, v2
	v_cvt_u32_f32_e32 v2, v2
	v_mul_lo_u32 v3, s20, v2
	v_mul_hi_u32 v3, v2, v3
	v_add_u32_e32 v2, v2, v3
	v_mul_hi_u32 v2, s30, v2
	v_mul_lo_u32 v2, v2, s33
	v_sub_u32_e32 v2, s30, v2
	v_subrev_u32_e32 v3, s33, v2
	v_cmp_le_u32_e32 vcc, s33, v2
	v_cndmask_b32_e32 v2, v2, v3, vcc
	v_subrev_u32_e32 v3, s33, v2
	v_cmp_le_u32_e32 vcc, s33, v2
	v_cndmask_b32_e32 v14, v2, v3, vcc
	v_pk_mov_b32 v[2:3], v[14:15], v[14:15] op_sel:[0,1]
.LBB153_110:                            ;   in Loop: Header=BB153_31 Depth=1
	v_mov_b32_e32 v5, s21
	v_sub_co_u32_e32 v4, vcc, s30, v2
	v_subb_co_u32_e32 v5, vcc, v5, v3, vcc
	v_cmp_gt_u64_e32 vcc, v[4:5], v[0:1]
	s_mov_b64 s[28:29], 0
                                        ; implicit-def: $vgpr3
	s_and_saveexec_b64 s[20:21], vcc
	s_cbranch_execz .LBB153_125
; %bb.111:                              ;   in Loop: Header=BB153_31 Depth=1
	v_mov_b32_e32 v8, v16
	v_pk_mov_b32 v[6:7], v[0:1], v[0:1] op_sel:[0,1]
                                        ; implicit-def: $sgpr34_sgpr35
	s_branch .LBB153_113
.LBB153_112:                            ;   in Loop: Header=BB153_113 Depth=2
	s_or_b64 exec, exec, s[36:37]
	s_waitcnt lgkmcnt(0)
	s_barrier
	ds_read_b64 v[2:3], v15 offset:3072
	v_add_co_u32_e32 v6, vcc, s33, v6
	v_add_u32_e32 v8, s2, v8
	s_waitcnt lgkmcnt(0)
	v_readfirstlane_b32 s30, v2
	v_mov_b32_e32 v2, s92
	s_cmp_lg_u32 s30, 0
	v_addc_co_u32_e32 v7, vcc, v7, v2, vcc
	s_cselect_b64 s[30:31], -1, 0
	v_cmp_ge_u64_e32 vcc, v[6:7], v[4:5]
	s_or_b64 s[36:37], vcc, s[30:31]
	s_and_b64 s[36:37], exec, s[36:37]
	s_or_b64 s[28:29], s[36:37], s[28:29]
	s_andn2_b64 s[34:35], s[34:35], exec
	s_and_b64 s[30:31], s[30:31], exec
	s_or_b64 s[34:35], s[34:35], s[30:31]
	s_barrier
	s_andn2_b64 exec, exec, s[28:29]
	s_cbranch_execz .LBB153_124
.LBB153_113:                            ;   Parent Loop BB153_31 Depth=1
                                        ; =>  This Inner Loop Header: Depth=2
	v_cmp_gt_u64_e32 vcc, s[0:1], v[6:7]
	v_mov_b32_e32 v29, 0
	s_and_saveexec_b64 s[36:37], vcc
	s_cbranch_execz .LBB153_115
; %bb.114:                              ;   in Loop: Header=BB153_113 Depth=2
	ds_read_b32 v29, v8
.LBB153_115:                            ;   in Loop: Header=BB153_113 Depth=2
	s_or_b64 exec, exec, s[36:37]
	s_and_saveexec_b64 s[36:37], vcc
	s_cbranch_execz .LBB153_112
; %bb.116:                              ;   in Loop: Header=BB153_113 Depth=2
	s_waitcnt lgkmcnt(0)
	v_xor_b32_e32 v2, 0x80000000, v29
	v_and_b32_e32 v2, v2, v36
	v_cmp_eq_u32_e32 vcc, v2, v30
	s_and_b64 exec, exec, vcc
	s_cbranch_execz .LBB153_112
; %bb.117:                              ;   in Loop: Header=BB153_113 Depth=2
	ds_write_b64 v15, v[28:29] offset:3072
	s_branch .LBB153_112
.LBB153_118:                            ;   in Loop: Header=BB153_31 Depth=1
	s_mov_b64 s[28:29], 0
	s_mov_b64 s[26:27], 0
                                        ; implicit-def: $sgpr34_sgpr35
                                        ; implicit-def: $sgpr36_sgpr37
                                        ; implicit-def: $sgpr20_sgpr21
                                        ; implicit-def: $vgpr8
                                        ; implicit-def: $vgpr4_vgpr5
                                        ; implicit-def: $vgpr30
                                        ; implicit-def: $vgpr36
                                        ; implicit-def: $vgpr3
	s_cbranch_execnz .LBB153_304
.LBB153_119:                            ;   in Loop: Header=BB153_31 Depth=1
	s_mov_b64 s[14:15], s[20:21]
	s_mov_b64 s[38:39], s[20:21]
	s_and_saveexec_b64 s[0:1], s[28:29]
	s_cbranch_execnz .LBB153_500
	s_branch .LBB153_501
.LBB153_120:                            ;   in Loop: Header=BB153_31 Depth=1
	s_or_b64 exec, exec, s[0:1]
	s_waitcnt lgkmcnt(0)
	s_barrier
	s_mov_b64 s[0:1], exec
	v_readlane_b32 s6, v56, 10
	v_readlane_b32 s7, v56, 11
	s_and_b64 s[6:7], s[0:1], s[6:7]
	s_mov_b64 exec, s[6:7]
	s_cbranch_execz .LBB153_122
; %bb.121:                              ;   in Loop: Header=BB153_31 Depth=1
	ds_read_b32 v2, v15 offset:5144
	s_waitcnt lgkmcnt(0)
	v_ashrrev_i32_e32 v3, 31, v2
	ds_write_b64 v15, v[2:3] offset:5120
.LBB153_122:                            ;   in Loop: Header=BB153_31 Depth=1
	s_or_b64 exec, exec, s[0:1]
	s_waitcnt lgkmcnt(0)
	s_barrier
	s_mov_b64 s[0:1], -1
	s_and_b64 vcc, exec, s[68:69]
	s_cbranch_vccnz .LBB153_49
	s_branch .LBB153_59
.LBB153_123:                            ;   in Loop: Header=BB153_31 Depth=1
	s_mov_b64 s[20:21], -1
	s_mov_b64 s[28:29], 0
                                        ; implicit-def: $sgpr34_sgpr35
                                        ; implicit-def: $vgpr3
	s_mov_b64 s[36:37], s[20:21]
	s_cbranch_execnz .LBB153_126
	s_branch .LBB153_139
.LBB153_124:                            ;   in Loop: Header=BB153_31 Depth=1
	s_or_b64 exec, exec, s[28:29]
	s_and_b64 s[28:29], s[34:35], exec
.LBB153_125:                            ;   in Loop: Header=BB153_31 Depth=1
	s_or_b64 exec, exec, s[20:21]
	s_mov_b64 s[34:35], -1
	s_mov_b64 s[20:21], 0
	s_mov_b64 s[36:37], s[20:21]
	s_branch .LBB153_139
.LBB153_126:                            ;   in Loop: Header=BB153_31 Depth=1
	v_readlane_b32 s34, v56, 33
	v_readlane_b32 s35, v56, 34
	s_mov_b32 s34, s87
	s_cmp_lg_u64 s[34:35], 0
	v_writelane_b32 v56, s34, 33
	v_writelane_b32 v56, s35, 34
	s_cbranch_scc0 .LBB153_168
; %bb.127:                              ;   in Loop: Header=BB153_31 Depth=1
	v_cvt_f32_u32_e32 v2, s33
	s_sub_u32 s0, 0, s33
	s_subb_u32 s1, 0, 0
	v_mac_f32_e32 v2, 0, v52
	v_rcp_f32_e32 v2, v2
	v_mul_f32_e32 v2, 0x5f7ffffc, v2
	v_mul_f32_e32 v3, 0x2f800000, v2
	v_trunc_f32_e32 v3, v3
	v_mac_f32_e32 v2, 0xcf800000, v3
	v_cvt_u32_f32_e32 v3, v3
	v_cvt_u32_f32_e32 v2, v2
	v_readfirstlane_b32 s20, v3
	v_readfirstlane_b32 s21, v2
	s_mul_i32 s28, s0, s20
	s_mul_hi_u32 s30, s0, s21
	s_mul_i32 s29, s1, s21
	s_add_i32 s28, s30, s28
	s_mul_i32 s31, s0, s21
	s_add_i32 s28, s28, s29
	s_mul_hi_u32 s30, s21, s31
	s_mul_hi_u32 s29, s21, s28
	s_mul_i32 s21, s21, s28
	s_add_u32 s21, s30, s21
	s_addc_u32 s29, 0, s29
	s_mul_hi_u32 s34, s20, s31
	s_mul_i32 s31, s20, s31
	s_add_u32 s21, s21, s31
	s_mul_hi_u32 s30, s20, s28
	s_addc_u32 s21, s29, s34
	s_addc_u32 s29, s30, 0
	s_mul_i32 s28, s20, s28
	s_add_u32 s21, s21, s28
	s_addc_u32 s28, 0, s29
	v_add_co_u32_e32 v2, vcc, s21, v2
	s_cmp_lg_u64 vcc, 0
	s_addc_u32 s20, s20, s28
	v_readfirstlane_b32 s28, v2
	s_mul_i32 s21, s0, s20
	s_mul_hi_u32 s29, s0, s28
	s_add_i32 s21, s29, s21
	s_mul_i32 s1, s1, s28
	s_add_i32 s21, s21, s1
	s_mul_i32 s0, s0, s28
	s_mul_hi_u32 s29, s20, s0
	s_mul_i32 s30, s20, s0
	s_mul_i32 s34, s28, s21
	s_mul_hi_u32 s0, s28, s0
	s_mul_hi_u32 s31, s28, s21
	s_add_u32 s0, s0, s34
	s_addc_u32 s28, 0, s31
	s_add_u32 s0, s0, s30
	s_mul_hi_u32 s1, s20, s21
	s_addc_u32 s0, s28, s29
	s_addc_u32 s1, s1, 0
	s_mul_i32 s21, s20, s21
	s_add_u32 s0, s0, s21
	s_addc_u32 s1, 0, s1
	v_add_co_u32_e32 v2, vcc, s0, v2
	s_cmp_lg_u64 vcc, 0
	s_addc_u32 s0, s20, s1
	v_readlane_b32 s30, v56, 31
	v_readfirstlane_b32 s21, v2
	s_mul_i32 s20, s30, s0
	s_mul_hi_u32 s28, s30, s21
	s_mul_hi_u32 s1, s30, s0
	s_add_u32 s20, s28, s20
	s_addc_u32 s1, 0, s1
	s_mul_hi_u32 s29, s35, s21
	s_mul_i32 s21, s35, s21
	s_add_u32 s20, s20, s21
	s_mul_hi_u32 s28, s35, s0
	s_addc_u32 s1, s1, s29
	s_addc_u32 s20, s28, 0
	s_mul_i32 s0, s35, s0
	s_add_u32 s0, s1, s0
	s_addc_u32 s1, 0, s20
	s_mul_hi_u32 s20, s33, s0
	s_mul_i32 s0, s33, s0
	s_mul_i32 s1, s33, s1
	v_mov_b32_e32 v2, s0
	s_add_i32 s20, s20, s1
	v_sub_co_u32_e32 v2, vcc, s30, v2
	s_cmp_lg_u64 vcc, 0
	s_subb_u32 s0, s35, s20
	v_subrev_co_u32_e32 v3, vcc, s33, v2
	s_cmp_lg_u64 vcc, 0
	s_subb_u32 s1, s0, 0
	v_subrev_co_u32_e32 v4, vcc, s33, v3
	s_cmp_lg_u64 vcc, 0
	s_subb_u32 s20, s1, 0
	v_cmp_le_u32_e32 vcc, s33, v3
	s_cmp_eq_u32 s1, 0
	v_cndmask_b32_e64 v5, 0, -1, vcc
	s_cselect_b64 vcc, -1, 0
	v_cndmask_b32_e32 v5, -1, v5, vcc
	v_mov_b32_e32 v6, s1
	v_mov_b32_e32 v7, s20
	v_cmp_ne_u32_e32 vcc, 0, v5
	v_cndmask_b32_e32 v5, v6, v7, vcc
	v_cndmask_b32_e32 v4, v3, v4, vcc
	v_cmp_le_u32_e32 vcc, s33, v2
	s_cmp_eq_u32 s0, 0
	v_cndmask_b32_e64 v3, 0, -1, vcc
	s_cselect_b64 vcc, -1, 0
	v_cndmask_b32_e32 v3, -1, v3, vcc
	v_mov_b32_e32 v6, s0
	v_cmp_ne_u32_e32 vcc, 0, v3
	v_cndmask_b32_e32 v3, v6, v5, vcc
	v_cndmask_b32_e32 v2, v2, v4, vcc
	s_cbranch_execnz .LBB153_129
.LBB153_128:                            ;   in Loop: Header=BB153_31 Depth=1
	v_cvt_f32_u32_e32 v2, s33
	s_sub_i32 s0, 0, s33
	v_rcp_iflag_f32_e32 v2, v2
	v_mul_f32_e32 v2, 0x4f7ffffe, v2
	v_cvt_u32_f32_e32 v2, v2
	v_mul_lo_u32 v3, s0, v2
	v_mul_hi_u32 v3, v2, v3
	v_add_u32_e32 v2, v2, v3
	v_readlane_b32 s0, v56, 31
	v_mul_hi_u32 v2, s0, v2
	v_mul_lo_u32 v2, v2, s33
	v_sub_u32_e32 v2, s0, v2
	v_subrev_u32_e32 v3, s33, v2
	v_cmp_le_u32_e32 vcc, s33, v2
	v_cndmask_b32_e32 v2, v2, v3, vcc
	v_subrev_u32_e32 v3, s33, v2
	v_cmp_le_u32_e32 vcc, s33, v2
	v_cndmask_b32_e32 v14, v2, v3, vcc
	v_pk_mov_b32 v[2:3], v[14:15], v[14:15] op_sel:[0,1]
.LBB153_129:                            ;   in Loop: Header=BB153_31 Depth=1
	v_readlane_b32 s0, v56, 33
	v_readlane_b32 s1, v56, 34
	;; [unrolled: 1-line block ×3, first 2 shown]
	v_mov_b32_e32 v5, s1
	v_sub_co_u32_e32 v4, vcc, s0, v2
	v_subb_co_u32_e32 v5, vcc, v5, v3, vcc
	v_cmp_gt_u64_e32 vcc, v[4:5], v[0:1]
	s_mov_b64 s[28:29], 0
                                        ; implicit-def: $vgpr3
	s_and_saveexec_b64 s[0:1], vcc
	s_cbranch_execz .LBB153_138
; %bb.130:                              ;   in Loop: Header=BB153_31 Depth=1
	s_mov_b64 s[20:21], 0
	v_pk_mov_b32 v[6:7], v[26:27], v[26:27] op_sel:[0,1]
	v_pk_mov_b32 v[8:9], v[0:1], v[0:1] op_sel:[0,1]
                                        ; implicit-def: $sgpr28_sgpr29
	s_branch .LBB153_132
.LBB153_131:                            ;   in Loop: Header=BB153_132 Depth=2
	s_or_b64 exec, exec, s[34:35]
	s_waitcnt lgkmcnt(0)
	s_barrier
	ds_read_b64 v[2:3], v15 offset:3072
	v_add_co_u32_e32 v8, vcc, s33, v8
	s_waitcnt lgkmcnt(0)
	s_barrier
	v_readfirstlane_b32 s30, v2
	v_mov_b32_e32 v2, s92
	s_cmp_lg_u32 s30, 0
	v_addc_co_u32_e32 v9, vcc, v9, v2, vcc
	s_cselect_b64 s[30:31], -1, 0
	v_cmp_ge_u64_e32 vcc, v[8:9], v[4:5]
	s_or_b64 s[34:35], vcc, s[30:31]
	s_and_b64 s[34:35], exec, s[34:35]
	s_or_b64 s[20:21], s[34:35], s[20:21]
	v_mov_b32_e32 v2, s65
	v_add_co_u32_e32 v6, vcc, s64, v6
	s_andn2_b64 s[28:29], s[28:29], exec
	s_and_b64 s[30:31], s[30:31], exec
	v_addc_co_u32_e32 v7, vcc, v7, v2, vcc
	s_or_b64 s[28:29], s[28:29], s[30:31]
	s_andn2_b64 exec, exec, s[20:21]
	s_cbranch_execz .LBB153_137
.LBB153_132:                            ;   Parent Loop BB153_31 Depth=1
                                        ; =>  This Inner Loop Header: Depth=2
	v_cmp_gt_u64_e32 vcc, s[60:61], v[8:9]
	s_waitcnt vmcnt(0)
	v_mov_b32_e32 v29, 0
	s_and_saveexec_b64 s[34:35], vcc
	s_cbranch_execz .LBB153_134
; %bb.133:                              ;   in Loop: Header=BB153_132 Depth=2
	global_load_dword v29, v[6:7], off
.LBB153_134:                            ;   in Loop: Header=BB153_132 Depth=2
	s_or_b64 exec, exec, s[34:35]
	s_and_saveexec_b64 s[34:35], vcc
	s_cbranch_execz .LBB153_131
; %bb.135:                              ;   in Loop: Header=BB153_132 Depth=2
	s_waitcnt vmcnt(0)
	v_xor_b32_e32 v2, 0x80000000, v29
	v_and_b32_e32 v2, v2, v36
	v_cmp_eq_u32_e32 vcc, v2, v30
	s_and_b64 exec, exec, vcc
	s_cbranch_execz .LBB153_131
; %bb.136:                              ;   in Loop: Header=BB153_132 Depth=2
	ds_write_b64 v15, v[28:29] offset:3072
	s_branch .LBB153_131
.LBB153_137:                            ;   in Loop: Header=BB153_31 Depth=1
	s_or_b64 exec, exec, s[20:21]
	s_and_b64 s[28:29], s[28:29], exec
.LBB153_138:                            ;   in Loop: Header=BB153_31 Depth=1
	s_or_b64 exec, exec, s[0:1]
	s_mov_b64 s[36:37], -1
	s_mov_b64 s[20:21], 0
	s_mov_b64 s[34:35], 0
.LBB153_139:                            ;   in Loop: Header=BB153_31 Depth=1
	s_orn2_b64 s[0:1], s[28:29], exec
.LBB153_140:                            ;   in Loop: Header=BB153_31 Depth=1
	s_or_b64 exec, exec, s[26:27]
	s_mov_b64 s[38:39], 0
	s_mov_b64 s[28:29], 0
	;; [unrolled: 1-line block ×3, first 2 shown]
                                        ; implicit-def: $vgpr8
                                        ; implicit-def: $vgpr4_vgpr5
	s_and_saveexec_b64 s[40:41], s[0:1]
	s_cbranch_execz .LBB153_303
; %bb.141:                              ;   in Loop: Header=BB153_31 Depth=1
	v_mov_b32_e32 v4, 1
	s_xor_b64 s[26:27], s[6:7], -1
	s_mov_b64 s[6:7], 0
	v_mov_b32_e32 v5, 0
	v_mov_b32_e32 v8, 1
	s_and_saveexec_b64 s[0:1], s[26:27]
	s_cbranch_execz .LBB153_151
; %bb.142:                              ;   in Loop: Header=BB153_31 Depth=1
	v_cmp_ge_u64_e32 vcc, s[16:17], v[32:33]
                                        ; implicit-def: $sgpr28
                                        ; implicit-def: $sgpr6_sgpr7
	s_and_saveexec_b64 s[26:27], vcc
	s_xor_b64 s[26:27], exec, s[26:27]
	s_cbranch_execz .LBB153_148
; %bb.143:                              ;   in Loop: Header=BB153_31 Depth=1
	ds_read_b64 v[4:5], v15 offset:5120
	s_waitcnt lgkmcnt(0)
	v_cmp_ne_u64_e32 vcc, 0, v[4:5]
	s_cbranch_vccnz .LBB153_147
; %bb.144:                              ;   in Loop: Header=BB153_31 Depth=1
	s_mov_b64 s[6:7], exec
	v_readlane_b32 s28, v56, 10
	v_readlane_b32 s29, v56, 11
	s_and_b64 s[28:29], s[6:7], s[28:29]
	s_mov_b64 exec, s[28:29]
	s_cbranch_execz .LBB153_146
; %bb.145:                              ;   in Loop: Header=BB153_31 Depth=1
	v_pk_mov_b32 v[4:5], s[16:17], s[16:17] op_sel:[0,1]
	ds_write_b64 v15, v[4:5] offset:5128
.LBB153_146:                            ;   in Loop: Header=BB153_31 Depth=1
	s_or_b64 exec, exec, s[6:7]
	s_waitcnt lgkmcnt(0)
	s_barrier
.LBB153_147:                            ;   in Loop: Header=BB153_31 Depth=1
	v_readlane_b32 s6, v56, 62
	v_and_b32_e32 v30, s6, v30
	v_or_b32_e32 v36, s86, v36
	s_mov_b64 s[6:7], 0
	s_mov_b32 s28, 8
.LBB153_148:                            ;   in Loop: Header=BB153_31 Depth=1
	s_or_saveexec_b64 s[26:27], s[26:27]
	v_mov_b32_e32 v8, s28
	v_pk_mov_b32 v[4:5], v[32:33], v[32:33] op_sel:[0,1]
	s_xor_b64 exec, exec, s[26:27]
; %bb.149:                              ;   in Loop: Header=BB153_31 Depth=1
	v_mov_b32_e32 v2, s17
	v_subrev_co_u32_e32 v4, vcc, s16, v32
	v_subb_co_u32_e32 v5, vcc, v33, v2, vcc
	v_mov_b32_e32 v8, 0
	s_or_b64 s[6:7], s[6:7], exec
; %bb.150:                              ;   in Loop: Header=BB153_31 Depth=1
	s_or_b64 exec, exec, s[26:27]
	s_and_b64 s[6:7], s[6:7], exec
.LBB153_151:                            ;   in Loop: Header=BB153_31 Depth=1
	s_or_b64 exec, exec, s[0:1]
	s_mov_b64 s[42:43], -1
                                        ; implicit-def: $sgpr0_sgpr1
                                        ; implicit-def: $sgpr26_sgpr27
                                        ; implicit-def: $sgpr44_sgpr45
	s_and_saveexec_b64 s[28:29], s[6:7]
	s_xor_b64 s[6:7], exec, s[28:29]
	s_cbranch_execz .LBB153_300
; %bb.152:                              ;   in Loop: Header=BB153_31 Depth=1
	s_cmp_eq_u64 s[18:19], 1
	s_cselect_b64 s[0:1], -1, 0
	v_cmp_eq_u64_e32 vcc, 1, v[4:5]
	s_and_b64 s[46:47], s[0:1], vcc
	s_mov_b64 s[0:1], -1
                                        ; implicit-def: $sgpr26_sgpr27
                                        ; implicit-def: $sgpr42_sgpr43
                                        ; implicit-def: $sgpr28_sgpr29
	s_and_saveexec_b64 s[44:45], s[46:47]
	s_cbranch_execz .LBB153_186
; %bb.153:                              ;   in Loop: Header=BB153_31 Depth=1
	ds_read_b64 v[2:3], v15 offset:5120
	s_waitcnt lgkmcnt(0)
	s_barrier
	v_readfirstlane_b32 s0, v2
	v_readfirstlane_b32 s1, v3
	s_mov_b64 s[26:27], exec
	v_readlane_b32 s28, v56, 26
	v_readlane_b32 s29, v56, 27
	s_and_b64 s[28:29], s[26:27], s[28:29]
	s_mov_b64 exec, s[28:29]
	s_cbranch_execz .LBB153_155
; %bb.154:                              ;   in Loop: Header=BB153_31 Depth=1
	ds_write_b32 v49, v15
.LBB153_155:                            ;   in Loop: Header=BB153_31 Depth=1
	s_or_b64 exec, exec, s[26:27]
	v_readlane_b32 s26, v56, 62
	v_and_b32_e32 v2, s26, v30
	v_lshl_or_b32 v30, 1, s3, v2
	v_or_b32_e32 v36, s86, v36
	s_cmp_eq_u64 s[0:1], 0
	s_waitcnt lgkmcnt(0)
	s_barrier
	s_cbranch_scc1 .LBB153_169
; %bb.156:                              ;   in Loop: Header=BB153_31 Depth=1
	v_readlane_b32 s26, v56, 30
	s_add_u32 s30, s26, s0
	v_readlane_b32 s26, v56, 32
	s_addc_u32 s27, s26, s1
	s_mov_b32 s26, s87
	s_cmp_lg_u64 s[26:27], 0
	s_cbranch_scc0 .LBB153_213
; %bb.157:                              ;   in Loop: Header=BB153_31 Depth=1
	v_cvt_f32_u32_e32 v2, s33
	s_sub_u32 s26, 0, s33
	s_subb_u32 s28, 0, 0
	v_mac_f32_e32 v2, 0, v52
	v_rcp_f32_e32 v2, v2
	v_mul_f32_e32 v2, 0x5f7ffffc, v2
	v_mul_f32_e32 v3, 0x2f800000, v2
	v_trunc_f32_e32 v3, v3
	v_mac_f32_e32 v2, 0xcf800000, v3
	v_cvt_u32_f32_e32 v3, v3
	v_cvt_u32_f32_e32 v2, v2
	v_readfirstlane_b32 s29, v3
	v_readfirstlane_b32 s31, v2
	s_mul_i32 s42, s26, s29
	s_mul_hi_u32 s48, s26, s31
	s_mul_i32 s43, s28, s31
	s_add_i32 s42, s48, s42
	s_mul_i32 s49, s26, s31
	s_add_i32 s42, s42, s43
	s_mul_hi_u32 s48, s31, s49
	s_mul_hi_u32 s43, s31, s42
	s_mul_i32 s31, s31, s42
	s_add_u32 s31, s48, s31
	s_addc_u32 s43, 0, s43
	s_mul_hi_u32 s50, s29, s49
	s_mul_i32 s49, s29, s49
	s_add_u32 s31, s31, s49
	s_mul_hi_u32 s48, s29, s42
	s_addc_u32 s31, s43, s50
	s_addc_u32 s43, s48, 0
	s_mul_i32 s42, s29, s42
	s_add_u32 s31, s31, s42
	s_addc_u32 s42, 0, s43
	v_add_co_u32_e32 v2, vcc, s31, v2
	s_cmp_lg_u64 vcc, 0
	s_addc_u32 s29, s29, s42
	v_readfirstlane_b32 s42, v2
	s_mul_i32 s31, s26, s29
	s_mul_hi_u32 s43, s26, s42
	s_add_i32 s31, s43, s31
	s_mul_i32 s28, s28, s42
	s_add_i32 s31, s31, s28
	s_mul_i32 s26, s26, s42
	s_mul_hi_u32 s43, s29, s26
	s_mul_i32 s48, s29, s26
	s_mul_i32 s50, s42, s31
	s_mul_hi_u32 s26, s42, s26
	s_mul_hi_u32 s49, s42, s31
	s_add_u32 s26, s26, s50
	s_addc_u32 s42, 0, s49
	s_add_u32 s26, s26, s48
	s_mul_hi_u32 s28, s29, s31
	s_addc_u32 s26, s42, s43
	s_addc_u32 s28, s28, 0
	s_mul_i32 s31, s29, s31
	s_add_u32 s26, s26, s31
	s_addc_u32 s28, 0, s28
	v_add_co_u32_e32 v2, vcc, s26, v2
	s_cmp_lg_u64 vcc, 0
	s_addc_u32 s26, s29, s28
	v_readfirstlane_b32 s31, v2
	s_mul_i32 s29, s30, s26
	s_mul_hi_u32 s42, s30, s31
	s_mul_hi_u32 s28, s30, s26
	s_add_u32 s29, s42, s29
	s_addc_u32 s28, 0, s28
	s_mul_hi_u32 s43, s27, s31
	s_mul_i32 s31, s27, s31
	s_add_u32 s29, s29, s31
	s_mul_hi_u32 s42, s27, s26
	s_addc_u32 s28, s28, s43
	s_addc_u32 s29, s42, 0
	s_mul_i32 s26, s27, s26
	s_add_u32 s26, s28, s26
	s_addc_u32 s28, 0, s29
	s_mul_hi_u32 s29, s33, s26
	s_mul_i32 s26, s33, s26
	s_mul_i32 s28, s33, s28
	v_mov_b32_e32 v2, s26
	s_add_i32 s29, s29, s28
	v_sub_co_u32_e32 v2, vcc, s30, v2
	s_cmp_lg_u64 vcc, 0
	s_subb_u32 s26, s27, s29
	v_subrev_co_u32_e32 v3, vcc, s33, v2
	s_cmp_lg_u64 vcc, 0
	s_subb_u32 s28, s26, 0
	v_subrev_co_u32_e32 v6, vcc, s33, v3
	s_cmp_lg_u64 vcc, 0
	s_subb_u32 s29, s28, 0
	v_cmp_le_u32_e32 vcc, s33, v3
	s_cmp_eq_u32 s28, 0
	v_cndmask_b32_e64 v7, 0, -1, vcc
	s_cselect_b64 vcc, -1, 0
	v_cndmask_b32_e32 v7, -1, v7, vcc
	v_mov_b32_e32 v8, s28
	v_mov_b32_e32 v9, s29
	v_cmp_ne_u32_e32 vcc, 0, v7
	v_cndmask_b32_e32 v7, v8, v9, vcc
	v_cndmask_b32_e32 v6, v3, v6, vcc
	v_cmp_le_u32_e32 vcc, s33, v2
	s_cmp_eq_u32 s26, 0
	v_cndmask_b32_e64 v3, 0, -1, vcc
	s_cselect_b64 vcc, -1, 0
	v_cndmask_b32_e32 v3, -1, v3, vcc
	v_mov_b32_e32 v8, s26
	v_cmp_ne_u32_e32 vcc, 0, v3
	v_cndmask_b32_e32 v3, v8, v7, vcc
	v_cndmask_b32_e32 v2, v2, v6, vcc
	s_cbranch_execnz .LBB153_159
.LBB153_158:                            ;   in Loop: Header=BB153_31 Depth=1
	v_cvt_f32_u32_e32 v2, s33
	s_sub_i32 s26, 0, s33
	v_rcp_iflag_f32_e32 v2, v2
	v_mul_f32_e32 v2, 0x4f7ffffe, v2
	v_cvt_u32_f32_e32 v2, v2
	v_mul_lo_u32 v3, s26, v2
	v_mul_hi_u32 v3, v2, v3
	v_add_u32_e32 v2, v2, v3
	v_mul_hi_u32 v2, s30, v2
	v_mul_lo_u32 v2, v2, s33
	v_sub_u32_e32 v2, s30, v2
	v_subrev_u32_e32 v3, s33, v2
	v_cmp_le_u32_e32 vcc, s33, v2
	v_cndmask_b32_e32 v2, v2, v3, vcc
	v_subrev_u32_e32 v3, s33, v2
	v_cmp_le_u32_e32 vcc, s33, v2
	v_cndmask_b32_e32 v14, v2, v3, vcc
	v_pk_mov_b32 v[2:3], v[14:15], v[14:15] op_sel:[0,1]
.LBB153_159:                            ;   in Loop: Header=BB153_31 Depth=1
	v_mov_b32_e32 v7, s27
	v_sub_co_u32_e32 v6, vcc, s30, v2
	v_subb_co_u32_e32 v7, vcc, v7, v3, vcc
	v_cmp_gt_u64_e32 vcc, v[6:7], v[0:1]
	s_mov_b64 s[48:49], 0
                                        ; implicit-def: $vgpr3
	s_and_saveexec_b64 s[26:27], vcc
	s_cbranch_execz .LBB153_171
; %bb.160:                              ;   in Loop: Header=BB153_31 Depth=1
	s_mov_b64 s[28:29], 0
	v_mov_b32_e32 v14, v16
	v_pk_mov_b32 v[8:9], v[0:1], v[0:1] op_sel:[0,1]
                                        ; implicit-def: $sgpr42_sgpr43
	s_branch .LBB153_162
.LBB153_161:                            ;   in Loop: Header=BB153_162 Depth=2
	s_or_b64 exec, exec, s[48:49]
	s_waitcnt lgkmcnt(0)
	s_barrier
	ds_read_b64 v[2:3], v15 offset:3072
	v_add_co_u32_e32 v8, vcc, s33, v8
	v_add_u32_e32 v14, s2, v14
	s_waitcnt lgkmcnt(0)
	v_readfirstlane_b32 s30, v2
	v_mov_b32_e32 v2, s92
	s_cmp_lg_u32 s30, 0
	v_addc_co_u32_e32 v9, vcc, v9, v2, vcc
	s_cselect_b64 s[30:31], -1, 0
	v_cmp_ge_u64_e32 vcc, v[8:9], v[6:7]
	s_or_b64 s[48:49], vcc, s[30:31]
	s_and_b64 s[48:49], exec, s[48:49]
	s_or_b64 s[28:29], s[48:49], s[28:29]
	s_andn2_b64 s[42:43], s[42:43], exec
	s_and_b64 s[30:31], s[30:31], exec
	s_or_b64 s[42:43], s[42:43], s[30:31]
	s_barrier
	s_andn2_b64 exec, exec, s[28:29]
	s_cbranch_execz .LBB153_170
.LBB153_162:                            ;   Parent Loop BB153_31 Depth=1
                                        ; =>  This Inner Loop Header: Depth=2
	v_cmp_gt_u64_e32 vcc, s[0:1], v[8:9]
	s_waitcnt vmcnt(0)
	v_mov_b32_e32 v29, 0
	s_and_saveexec_b64 s[48:49], vcc
	s_cbranch_execz .LBB153_164
; %bb.163:                              ;   in Loop: Header=BB153_162 Depth=2
	ds_read_b32 v29, v14
.LBB153_164:                            ;   in Loop: Header=BB153_162 Depth=2
	s_or_b64 exec, exec, s[48:49]
	s_and_saveexec_b64 s[48:49], vcc
	s_cbranch_execz .LBB153_161
; %bb.165:                              ;   in Loop: Header=BB153_162 Depth=2
	s_waitcnt lgkmcnt(0)
	v_xor_b32_e32 v2, 0x80000000, v29
	v_and_b32_e32 v2, v2, v36
	v_cmp_eq_u32_e32 vcc, v2, v30
	s_and_b64 exec, exec, vcc
	s_cbranch_execz .LBB153_161
; %bb.166:                              ;   in Loop: Header=BB153_162 Depth=2
	ds_write_b64 v15, v[28:29] offset:3072
	s_branch .LBB153_161
.LBB153_167:                            ;   in Loop: Header=BB153_31 Depth=1
                                        ; implicit-def: $vgpr2_vgpr3
	s_branch .LBB153_109
.LBB153_168:                            ;   in Loop: Header=BB153_31 Depth=1
                                        ; implicit-def: $vgpr2_vgpr3
	s_branch .LBB153_128
.LBB153_169:                            ;   in Loop: Header=BB153_31 Depth=1
	s_mov_b64 s[26:27], -1
	s_mov_b64 s[48:49], 0
                                        ; implicit-def: $sgpr28_sgpr29
                                        ; implicit-def: $vgpr3
	s_mov_b64 s[42:43], s[26:27]
	s_cbranch_execnz .LBB153_172
	s_branch .LBB153_185
.LBB153_170:                            ;   in Loop: Header=BB153_31 Depth=1
	s_or_b64 exec, exec, s[28:29]
	s_and_b64 s[48:49], s[42:43], exec
.LBB153_171:                            ;   in Loop: Header=BB153_31 Depth=1
	s_or_b64 exec, exec, s[26:27]
	s_mov_b64 s[28:29], -1
	s_mov_b64 s[26:27], 0
	s_mov_b64 s[42:43], s[26:27]
	s_branch .LBB153_185
.LBB153_172:                            ;   in Loop: Header=BB153_31 Depth=1
	v_readlane_b32 s42, v56, 33
	v_readlane_b32 s43, v56, 34
	s_mov_b32 s42, s87
	s_cmp_lg_u64 s[42:43], 0
	v_writelane_b32 v56, s42, 33
	v_writelane_b32 v56, s43, 34
	s_cbranch_scc0 .LBB153_214
; %bb.173:                              ;   in Loop: Header=BB153_31 Depth=1
	v_cvt_f32_u32_e32 v2, s33
	s_sub_u32 s0, 0, s33
	s_subb_u32 s1, 0, 0
	v_mac_f32_e32 v2, 0, v52
	v_rcp_f32_e32 v2, v2
	v_mul_f32_e32 v2, 0x5f7ffffc, v2
	v_mul_f32_e32 v3, 0x2f800000, v2
	v_trunc_f32_e32 v3, v3
	v_mac_f32_e32 v2, 0xcf800000, v3
	v_cvt_u32_f32_e32 v3, v3
	v_cvt_u32_f32_e32 v2, v2
	v_readfirstlane_b32 s26, v3
	v_readfirstlane_b32 s27, v2
	s_mul_i32 s28, s0, s26
	s_mul_hi_u32 s30, s0, s27
	s_mul_i32 s29, s1, s27
	s_add_i32 s28, s30, s28
	s_mul_i32 s31, s0, s27
	s_add_i32 s28, s28, s29
	s_mul_hi_u32 s30, s27, s31
	s_mul_hi_u32 s29, s27, s28
	s_mul_i32 s27, s27, s28
	s_add_u32 s27, s30, s27
	s_addc_u32 s29, 0, s29
	s_mul_hi_u32 s42, s26, s31
	s_mul_i32 s31, s26, s31
	s_add_u32 s27, s27, s31
	s_mul_hi_u32 s30, s26, s28
	s_addc_u32 s27, s29, s42
	s_addc_u32 s29, s30, 0
	s_mul_i32 s28, s26, s28
	s_add_u32 s27, s27, s28
	s_addc_u32 s28, 0, s29
	v_add_co_u32_e32 v2, vcc, s27, v2
	s_cmp_lg_u64 vcc, 0
	s_addc_u32 s26, s26, s28
	v_readfirstlane_b32 s28, v2
	s_mul_i32 s27, s0, s26
	s_mul_hi_u32 s29, s0, s28
	s_add_i32 s27, s29, s27
	s_mul_i32 s1, s1, s28
	s_add_i32 s27, s27, s1
	s_mul_i32 s0, s0, s28
	s_mul_hi_u32 s29, s26, s0
	s_mul_i32 s30, s26, s0
	s_mul_i32 s42, s28, s27
	s_mul_hi_u32 s0, s28, s0
	s_mul_hi_u32 s31, s28, s27
	s_add_u32 s0, s0, s42
	s_addc_u32 s28, 0, s31
	s_add_u32 s0, s0, s30
	s_mul_hi_u32 s1, s26, s27
	s_addc_u32 s0, s28, s29
	s_addc_u32 s1, s1, 0
	s_mul_i32 s27, s26, s27
	s_add_u32 s0, s0, s27
	s_addc_u32 s1, 0, s1
	v_add_co_u32_e32 v2, vcc, s0, v2
	s_cmp_lg_u64 vcc, 0
	s_addc_u32 s0, s26, s1
	v_readlane_b32 s30, v56, 31
	v_readfirstlane_b32 s27, v2
	s_mul_i32 s26, s30, s0
	s_mul_hi_u32 s28, s30, s27
	s_mul_hi_u32 s1, s30, s0
	s_add_u32 s26, s28, s26
	s_addc_u32 s1, 0, s1
	s_mul_hi_u32 s29, s43, s27
	s_mul_i32 s27, s43, s27
	s_add_u32 s26, s26, s27
	s_mul_hi_u32 s28, s43, s0
	s_addc_u32 s1, s1, s29
	s_addc_u32 s26, s28, 0
	s_mul_i32 s0, s43, s0
	s_add_u32 s0, s1, s0
	s_addc_u32 s1, 0, s26
	s_mul_hi_u32 s26, s33, s0
	s_mul_i32 s0, s33, s0
	s_mul_i32 s1, s33, s1
	v_mov_b32_e32 v2, s0
	s_add_i32 s26, s26, s1
	v_sub_co_u32_e32 v2, vcc, s30, v2
	s_cmp_lg_u64 vcc, 0
	s_subb_u32 s0, s43, s26
	v_subrev_co_u32_e32 v3, vcc, s33, v2
	s_cmp_lg_u64 vcc, 0
	s_subb_u32 s1, s0, 0
	v_subrev_co_u32_e32 v6, vcc, s33, v3
	s_cmp_lg_u64 vcc, 0
	s_subb_u32 s26, s1, 0
	v_cmp_le_u32_e32 vcc, s33, v3
	s_cmp_eq_u32 s1, 0
	v_cndmask_b32_e64 v7, 0, -1, vcc
	s_cselect_b64 vcc, -1, 0
	v_cndmask_b32_e32 v7, -1, v7, vcc
	v_mov_b32_e32 v8, s1
	v_mov_b32_e32 v9, s26
	v_cmp_ne_u32_e32 vcc, 0, v7
	v_cndmask_b32_e32 v7, v8, v9, vcc
	v_cndmask_b32_e32 v6, v3, v6, vcc
	v_cmp_le_u32_e32 vcc, s33, v2
	s_cmp_eq_u32 s0, 0
	v_cndmask_b32_e64 v3, 0, -1, vcc
	s_cselect_b64 vcc, -1, 0
	v_cndmask_b32_e32 v3, -1, v3, vcc
	v_mov_b32_e32 v8, s0
	v_cmp_ne_u32_e32 vcc, 0, v3
	v_cndmask_b32_e32 v3, v8, v7, vcc
	v_cndmask_b32_e32 v2, v2, v6, vcc
	s_cbranch_execnz .LBB153_175
.LBB153_174:                            ;   in Loop: Header=BB153_31 Depth=1
	v_cvt_f32_u32_e32 v2, s33
	s_sub_i32 s0, 0, s33
	v_rcp_iflag_f32_e32 v2, v2
	v_mul_f32_e32 v2, 0x4f7ffffe, v2
	v_cvt_u32_f32_e32 v2, v2
	v_mul_lo_u32 v3, s0, v2
	v_mul_hi_u32 v3, v2, v3
	v_add_u32_e32 v2, v2, v3
	v_readlane_b32 s0, v56, 31
	v_mul_hi_u32 v2, s0, v2
	v_mul_lo_u32 v2, v2, s33
	v_sub_u32_e32 v2, s0, v2
	v_subrev_u32_e32 v3, s33, v2
	v_cmp_le_u32_e32 vcc, s33, v2
	v_cndmask_b32_e32 v2, v2, v3, vcc
	v_subrev_u32_e32 v3, s33, v2
	v_cmp_le_u32_e32 vcc, s33, v2
	v_cndmask_b32_e32 v14, v2, v3, vcc
	v_pk_mov_b32 v[2:3], v[14:15], v[14:15] op_sel:[0,1]
.LBB153_175:                            ;   in Loop: Header=BB153_31 Depth=1
	v_readlane_b32 s0, v56, 33
	v_readlane_b32 s1, v56, 34
	;; [unrolled: 1-line block ×3, first 2 shown]
	v_mov_b32_e32 v7, s1
	v_sub_co_u32_e32 v6, vcc, s0, v2
	v_subb_co_u32_e32 v7, vcc, v7, v3, vcc
	v_cmp_gt_u64_e32 vcc, v[6:7], v[0:1]
	s_mov_b64 s[48:49], 0
                                        ; implicit-def: $vgpr3
	s_and_saveexec_b64 s[0:1], vcc
	s_cbranch_execz .LBB153_184
; %bb.176:                              ;   in Loop: Header=BB153_31 Depth=1
	s_mov_b64 s[26:27], 0
	v_pk_mov_b32 v[8:9], v[26:27], v[26:27] op_sel:[0,1]
	v_pk_mov_b32 v[34:35], v[0:1], v[0:1] op_sel:[0,1]
                                        ; implicit-def: $sgpr28_sgpr29
	s_branch .LBB153_178
.LBB153_177:                            ;   in Loop: Header=BB153_178 Depth=2
	s_or_b64 exec, exec, s[42:43]
	s_waitcnt lgkmcnt(0)
	s_barrier
	ds_read_b64 v[2:3], v15 offset:3072
	v_add_co_u32_e32 v34, vcc, s33, v34
	s_waitcnt lgkmcnt(0)
	s_barrier
	v_readfirstlane_b32 s30, v2
	v_mov_b32_e32 v2, s92
	s_cmp_lg_u32 s30, 0
	v_addc_co_u32_e32 v35, vcc, v35, v2, vcc
	s_cselect_b64 s[30:31], -1, 0
	v_cmp_ge_u64_e32 vcc, v[34:35], v[6:7]
	s_or_b64 s[42:43], vcc, s[30:31]
	s_and_b64 s[42:43], exec, s[42:43]
	s_or_b64 s[26:27], s[42:43], s[26:27]
	v_mov_b32_e32 v2, s65
	v_add_co_u32_e32 v8, vcc, s64, v8
	s_andn2_b64 s[28:29], s[28:29], exec
	s_and_b64 s[30:31], s[30:31], exec
	v_addc_co_u32_e32 v9, vcc, v9, v2, vcc
	s_or_b64 s[28:29], s[28:29], s[30:31]
	s_andn2_b64 exec, exec, s[26:27]
	s_cbranch_execz .LBB153_183
.LBB153_178:                            ;   Parent Loop BB153_31 Depth=1
                                        ; =>  This Inner Loop Header: Depth=2
	v_cmp_gt_u64_e32 vcc, s[60:61], v[34:35]
	s_waitcnt vmcnt(0)
	v_mov_b32_e32 v29, 0
	s_and_saveexec_b64 s[42:43], vcc
	s_cbranch_execz .LBB153_180
; %bb.179:                              ;   in Loop: Header=BB153_178 Depth=2
	global_load_dword v29, v[8:9], off
.LBB153_180:                            ;   in Loop: Header=BB153_178 Depth=2
	s_or_b64 exec, exec, s[42:43]
	s_and_saveexec_b64 s[42:43], vcc
	s_cbranch_execz .LBB153_177
; %bb.181:                              ;   in Loop: Header=BB153_178 Depth=2
	s_waitcnt vmcnt(0)
	v_xor_b32_e32 v2, 0x80000000, v29
	v_and_b32_e32 v2, v2, v36
	v_cmp_eq_u32_e32 vcc, v2, v30
	s_and_b64 exec, exec, vcc
	s_cbranch_execz .LBB153_177
; %bb.182:                              ;   in Loop: Header=BB153_178 Depth=2
	ds_write_b64 v15, v[28:29] offset:3072
	s_branch .LBB153_177
.LBB153_183:                            ;   in Loop: Header=BB153_31 Depth=1
	s_or_b64 exec, exec, s[26:27]
	s_and_b64 s[48:49], s[28:29], exec
.LBB153_184:                            ;   in Loop: Header=BB153_31 Depth=1
	s_or_b64 exec, exec, s[0:1]
	s_mov_b64 s[42:43], -1
	s_mov_b64 s[26:27], 0
	s_mov_b64 s[28:29], 0
.LBB153_185:                            ;   in Loop: Header=BB153_31 Depth=1
	s_orn2_b64 s[0:1], s[48:49], exec
.LBB153_186:                            ;   in Loop: Header=BB153_31 Depth=1
	s_or_b64 exec, exec, s[44:45]
	s_mov_b64 s[48:49], 0
                                        ; implicit-def: $vgpr8
	s_and_saveexec_b64 s[44:45], s[0:1]
	s_cbranch_execz .LBB153_299
; %bb.187:                              ;   in Loop: Header=BB153_31 Depth=1
	v_mov_b32_e32 v6, 1
	s_xor_b64 s[30:31], s[46:47], -1
	s_mov_b64 s[50:51], 0
	v_mov_b32_e32 v7, 0
	v_mov_b32_e32 v8, 1
	s_and_saveexec_b64 s[0:1], s[30:31]
	s_cbranch_execz .LBB153_197
; %bb.188:                              ;   in Loop: Header=BB153_31 Depth=1
	v_cmp_ge_u64_e32 vcc, s[18:19], v[4:5]
                                        ; implicit-def: $sgpr30
                                        ; implicit-def: $sgpr46_sgpr47
	s_and_saveexec_b64 s[48:49], vcc
	s_xor_b64 s[48:49], exec, s[48:49]
	s_cbranch_execz .LBB153_194
; %bb.189:                              ;   in Loop: Header=BB153_31 Depth=1
	ds_read_b64 v[6:7], v15 offset:5120
	s_waitcnt lgkmcnt(0)
	v_cmp_ne_u64_e32 vcc, 0, v[6:7]
	s_cbranch_vccnz .LBB153_193
; %bb.190:                              ;   in Loop: Header=BB153_31 Depth=1
	s_mov_b64 s[46:47], exec
	v_readlane_b32 s30, v56, 10
	v_readlane_b32 s31, v56, 11
	s_and_b64 s[30:31], s[46:47], s[30:31]
	s_mov_b64 exec, s[30:31]
	s_cbranch_execz .LBB153_192
; %bb.191:                              ;   in Loop: Header=BB153_31 Depth=1
	v_pk_mov_b32 v[6:7], s[18:19], s[18:19] op_sel:[0,1]
	ds_write_b64 v15, v[6:7] offset:5128
.LBB153_192:                            ;   in Loop: Header=BB153_31 Depth=1
	s_or_b64 exec, exec, s[46:47]
	s_waitcnt lgkmcnt(0)
	s_barrier
.LBB153_193:                            ;   in Loop: Header=BB153_31 Depth=1
	v_readlane_b32 s30, v56, 62
	v_and_b32_e32 v2, s30, v30
	v_lshl_or_b32 v30, 1, s3, v2
	v_or_b32_e32 v36, s86, v36
	s_mov_b64 s[46:47], 0
	s_mov_b32 s30, 8
.LBB153_194:                            ;   in Loop: Header=BB153_31 Depth=1
	s_or_saveexec_b64 s[48:49], s[48:49]
	v_mov_b32_e32 v8, s30
	s_xor_b64 exec, exec, s[48:49]
; %bb.195:                              ;   in Loop: Header=BB153_31 Depth=1
	v_mov_b32_e32 v2, s19
	v_subrev_co_u32_e32 v4, vcc, s18, v4
	v_subb_co_u32_e32 v5, vcc, v5, v2, vcc
	v_mov_b32_e32 v8, 0
	s_or_b64 s[46:47], s[46:47], exec
; %bb.196:                              ;   in Loop: Header=BB153_31 Depth=1
	s_or_b64 exec, exec, s[48:49]
	s_and_b64 s[50:51], s[46:47], exec
	v_pk_mov_b32 v[6:7], v[4:5], v[4:5] op_sel:[0,1]
.LBB153_197:                            ;   in Loop: Header=BB153_31 Depth=1
	s_or_b64 exec, exec, s[0:1]
	s_mov_b64 s[0:1], -1
                                        ; implicit-def: $sgpr48_sgpr49
                                        ; implicit-def: $sgpr52_sgpr53
                                        ; implicit-def: $sgpr54_sgpr55
	s_and_saveexec_b64 s[46:47], s[50:51]
	s_cbranch_execz .LBB153_298
; %bb.198:                              ;   in Loop: Header=BB153_31 Depth=1
	s_cmp_eq_u64 s[22:23], 1
	s_cselect_b64 s[0:1], -1, 0
	v_cmp_eq_u64_e32 vcc, 1, v[6:7]
	s_and_b64 s[68:69], s[0:1], vcc
	s_mov_b64 s[66:67], -1
                                        ; implicit-def: $sgpr48_sgpr49
                                        ; implicit-def: $sgpr52_sgpr53
                                        ; implicit-def: $sgpr50_sgpr51
	s_and_saveexec_b64 s[54:55], s[68:69]
	s_cbranch_execz .LBB153_232
; %bb.199:                              ;   in Loop: Header=BB153_31 Depth=1
	ds_read_b64 v[2:3], v15 offset:5120
	s_waitcnt lgkmcnt(0)
	s_barrier
	v_readfirstlane_b32 s0, v2
	v_readfirstlane_b32 s1, v3
	s_mov_b64 s[48:49], exec
	v_readlane_b32 s30, v56, 26
	v_readlane_b32 s31, v56, 27
	s_and_b64 s[30:31], s[48:49], s[30:31]
	s_mov_b64 exec, s[30:31]
	s_cbranch_execz .LBB153_201
; %bb.200:                              ;   in Loop: Header=BB153_31 Depth=1
	ds_write_b32 v49, v15
.LBB153_201:                            ;   in Loop: Header=BB153_31 Depth=1
	s_or_b64 exec, exec, s[48:49]
	v_readlane_b32 s30, v56, 62
	v_and_b32_e32 v2, s30, v30
	v_lshl_or_b32 v30, 2, s3, v2
	v_or_b32_e32 v36, s86, v36
	s_cmp_eq_u64 s[0:1], 0
	s_waitcnt lgkmcnt(0)
	s_barrier
	s_cbranch_scc1 .LBB153_215
; %bb.202:                              ;   in Loop: Header=BB153_31 Depth=1
	v_readlane_b32 s30, v56, 30
	s_add_u32 s30, s30, s0
	v_readlane_b32 s31, v56, 32
	s_addc_u32 s49, s31, s1
	s_mov_b32 s48, s87
	s_cmp_lg_u64 s[48:49], 0
	s_cbranch_scc0 .LBB153_250
; %bb.203:                              ;   in Loop: Header=BB153_31 Depth=1
	v_cvt_f32_u32_e32 v2, s33
	s_sub_u32 s31, 0, s33
	s_subb_u32 s48, 0, 0
	v_mac_f32_e32 v2, 0, v52
	v_rcp_f32_e32 v2, v2
	v_mul_f32_e32 v2, 0x5f7ffffc, v2
	v_mul_f32_e32 v3, 0x2f800000, v2
	v_trunc_f32_e32 v3, v3
	v_mac_f32_e32 v2, 0xcf800000, v3
	v_cvt_u32_f32_e32 v3, v3
	v_cvt_u32_f32_e32 v2, v2
	v_readfirstlane_b32 s50, v3
	v_readfirstlane_b32 s51, v2
	s_mul_i32 s52, s31, s50
	s_mul_hi_u32 s66, s31, s51
	s_mul_i32 s53, s48, s51
	s_add_i32 s52, s66, s52
	s_mul_i32 s67, s31, s51
	s_add_i32 s52, s52, s53
	s_mul_hi_u32 s66, s51, s67
	s_mul_hi_u32 s53, s51, s52
	s_mul_i32 s51, s51, s52
	s_add_u32 s51, s66, s51
	s_addc_u32 s53, 0, s53
	s_mul_hi_u32 s80, s50, s67
	s_mul_i32 s67, s50, s67
	s_add_u32 s51, s51, s67
	s_mul_hi_u32 s66, s50, s52
	s_addc_u32 s51, s53, s80
	s_addc_u32 s53, s66, 0
	s_mul_i32 s52, s50, s52
	s_add_u32 s51, s51, s52
	s_addc_u32 s52, 0, s53
	v_add_co_u32_e32 v2, vcc, s51, v2
	s_cmp_lg_u64 vcc, 0
	s_addc_u32 s50, s50, s52
	v_readfirstlane_b32 s52, v2
	s_mul_i32 s51, s31, s50
	s_mul_hi_u32 s53, s31, s52
	s_add_i32 s51, s53, s51
	s_mul_i32 s48, s48, s52
	s_add_i32 s51, s51, s48
	s_mul_i32 s31, s31, s52
	s_mul_hi_u32 s53, s50, s31
	s_mul_i32 s66, s50, s31
	s_mul_i32 s80, s52, s51
	s_mul_hi_u32 s31, s52, s31
	s_mul_hi_u32 s67, s52, s51
	s_add_u32 s31, s31, s80
	s_addc_u32 s52, 0, s67
	s_add_u32 s31, s31, s66
	s_mul_hi_u32 s48, s50, s51
	s_addc_u32 s31, s52, s53
	s_addc_u32 s48, s48, 0
	s_mul_i32 s51, s50, s51
	s_add_u32 s31, s31, s51
	s_addc_u32 s48, 0, s48
	v_add_co_u32_e32 v2, vcc, s31, v2
	s_cmp_lg_u64 vcc, 0
	s_addc_u32 s31, s50, s48
	v_readfirstlane_b32 s51, v2
	s_mul_i32 s50, s30, s31
	s_mul_hi_u32 s52, s30, s51
	s_mul_hi_u32 s48, s30, s31
	s_add_u32 s50, s52, s50
	s_addc_u32 s48, 0, s48
	s_mul_hi_u32 s53, s49, s51
	s_mul_i32 s51, s49, s51
	s_add_u32 s50, s50, s51
	s_mul_hi_u32 s52, s49, s31
	s_addc_u32 s48, s48, s53
	s_addc_u32 s50, s52, 0
	s_mul_i32 s31, s49, s31
	s_add_u32 s31, s48, s31
	s_addc_u32 s48, 0, s50
	s_mul_hi_u32 s50, s33, s31
	s_mul_i32 s31, s33, s31
	s_mul_i32 s48, s33, s48
	v_mov_b32_e32 v2, s31
	s_add_i32 s50, s50, s48
	v_sub_co_u32_e32 v2, vcc, s30, v2
	s_cmp_lg_u64 vcc, 0
	s_subb_u32 s31, s49, s50
	v_subrev_co_u32_e32 v3, vcc, s33, v2
	s_cmp_lg_u64 vcc, 0
	s_subb_u32 s48, s31, 0
	v_subrev_co_u32_e32 v4, vcc, s33, v3
	s_cmp_lg_u64 vcc, 0
	s_subb_u32 s50, s48, 0
	v_cmp_le_u32_e32 vcc, s33, v3
	s_cmp_eq_u32 s48, 0
	v_cndmask_b32_e64 v5, 0, -1, vcc
	s_cselect_b64 vcc, -1, 0
	v_cndmask_b32_e32 v5, -1, v5, vcc
	v_mov_b32_e32 v8, s48
	v_mov_b32_e32 v9, s50
	v_cmp_ne_u32_e32 vcc, 0, v5
	v_cndmask_b32_e32 v5, v8, v9, vcc
	v_cndmask_b32_e32 v4, v3, v4, vcc
	v_cmp_le_u32_e32 vcc, s33, v2
	s_cmp_eq_u32 s31, 0
	v_cndmask_b32_e64 v3, 0, -1, vcc
	s_cselect_b64 vcc, -1, 0
	v_cndmask_b32_e32 v3, -1, v3, vcc
	v_mov_b32_e32 v8, s31
	v_cmp_ne_u32_e32 vcc, 0, v3
	v_cndmask_b32_e32 v3, v8, v5, vcc
	v_cndmask_b32_e32 v2, v2, v4, vcc
	s_cbranch_execnz .LBB153_205
.LBB153_204:                            ;   in Loop: Header=BB153_31 Depth=1
	v_cvt_f32_u32_e32 v2, s33
	s_sub_i32 s31, 0, s33
	v_rcp_iflag_f32_e32 v2, v2
	v_mul_f32_e32 v2, 0x4f7ffffe, v2
	v_cvt_u32_f32_e32 v2, v2
	v_mul_lo_u32 v3, s31, v2
	v_mul_hi_u32 v3, v2, v3
	v_add_u32_e32 v2, v2, v3
	v_mul_hi_u32 v2, s30, v2
	v_mul_lo_u32 v2, v2, s33
	v_sub_u32_e32 v2, s30, v2
	v_subrev_u32_e32 v3, s33, v2
	v_cmp_le_u32_e32 vcc, s33, v2
	v_cndmask_b32_e32 v2, v2, v3, vcc
	v_subrev_u32_e32 v3, s33, v2
	v_cmp_le_u32_e32 vcc, s33, v2
	v_cndmask_b32_e32 v14, v2, v3, vcc
	v_pk_mov_b32 v[2:3], v[14:15], v[14:15] op_sel:[0,1]
.LBB153_205:                            ;   in Loop: Header=BB153_31 Depth=1
	v_mov_b32_e32 v5, s49
	v_sub_co_u32_e32 v4, vcc, s30, v2
	v_subb_co_u32_e32 v5, vcc, v5, v3, vcc
	v_cmp_gt_u64_e32 vcc, v[4:5], v[0:1]
	s_mov_b64 s[66:67], 0
                                        ; implicit-def: $vgpr3
	s_and_saveexec_b64 s[48:49], vcc
	s_cbranch_execz .LBB153_217
; %bb.206:                              ;   in Loop: Header=BB153_31 Depth=1
	s_mov_b64 s[50:51], 0
	v_mov_b32_e32 v14, v16
	v_pk_mov_b32 v[8:9], v[0:1], v[0:1] op_sel:[0,1]
                                        ; implicit-def: $sgpr52_sgpr53
	s_branch .LBB153_208
.LBB153_207:                            ;   in Loop: Header=BB153_208 Depth=2
	s_or_b64 exec, exec, s[66:67]
	s_waitcnt lgkmcnt(0)
	s_barrier
	ds_read_b64 v[2:3], v15 offset:3072
	v_add_co_u32_e32 v8, vcc, s33, v8
	v_add_u32_e32 v14, s2, v14
	s_waitcnt lgkmcnt(0)
	v_readfirstlane_b32 s30, v2
	v_mov_b32_e32 v2, s92
	s_cmp_lg_u32 s30, 0
	v_addc_co_u32_e32 v9, vcc, v9, v2, vcc
	s_cselect_b64 s[30:31], -1, 0
	v_cmp_ge_u64_e32 vcc, v[8:9], v[4:5]
	s_or_b64 s[66:67], vcc, s[30:31]
	s_and_b64 s[66:67], exec, s[66:67]
	s_or_b64 s[50:51], s[66:67], s[50:51]
	s_andn2_b64 s[52:53], s[52:53], exec
	s_and_b64 s[30:31], s[30:31], exec
	s_or_b64 s[52:53], s[52:53], s[30:31]
	s_barrier
	s_andn2_b64 exec, exec, s[50:51]
	s_cbranch_execz .LBB153_216
.LBB153_208:                            ;   Parent Loop BB153_31 Depth=1
                                        ; =>  This Inner Loop Header: Depth=2
	v_cmp_gt_u64_e32 vcc, s[0:1], v[8:9]
	s_waitcnt vmcnt(0)
	v_mov_b32_e32 v29, 0
	s_and_saveexec_b64 s[66:67], vcc
	s_cbranch_execz .LBB153_210
; %bb.209:                              ;   in Loop: Header=BB153_208 Depth=2
	ds_read_b32 v29, v14
.LBB153_210:                            ;   in Loop: Header=BB153_208 Depth=2
	s_or_b64 exec, exec, s[66:67]
	s_and_saveexec_b64 s[66:67], vcc
	s_cbranch_execz .LBB153_207
; %bb.211:                              ;   in Loop: Header=BB153_208 Depth=2
	s_waitcnt lgkmcnt(0)
	v_xor_b32_e32 v2, 0x80000000, v29
	v_and_b32_e32 v2, v2, v36
	v_cmp_eq_u32_e32 vcc, v2, v30
	s_and_b64 exec, exec, vcc
	s_cbranch_execz .LBB153_207
; %bb.212:                              ;   in Loop: Header=BB153_208 Depth=2
	ds_write_b64 v15, v[28:29] offset:3072
	s_branch .LBB153_207
.LBB153_213:                            ;   in Loop: Header=BB153_31 Depth=1
                                        ; implicit-def: $vgpr2_vgpr3
	s_branch .LBB153_158
.LBB153_214:                            ;   in Loop: Header=BB153_31 Depth=1
                                        ; implicit-def: $vgpr2_vgpr3
	s_branch .LBB153_174
.LBB153_215:                            ;   in Loop: Header=BB153_31 Depth=1
	s_mov_b64 s[48:49], -1
	s_mov_b64 s[66:67], 0
                                        ; implicit-def: $sgpr50_sgpr51
                                        ; implicit-def: $vgpr3
	s_mov_b64 s[52:53], s[48:49]
	s_cbranch_execnz .LBB153_218
	s_branch .LBB153_231
.LBB153_216:                            ;   in Loop: Header=BB153_31 Depth=1
	s_or_b64 exec, exec, s[50:51]
	s_and_b64 s[66:67], s[52:53], exec
.LBB153_217:                            ;   in Loop: Header=BB153_31 Depth=1
	s_or_b64 exec, exec, s[48:49]
	s_mov_b64 s[50:51], -1
	s_mov_b64 s[48:49], 0
	s_mov_b64 s[52:53], s[48:49]
	s_branch .LBB153_231
.LBB153_218:                            ;   in Loop: Header=BB153_31 Depth=1
	v_readlane_b32 s52, v56, 33
	v_readlane_b32 s53, v56, 34
	s_mov_b32 s52, s87
	s_cmp_lg_u64 s[52:53], 0
	v_writelane_b32 v56, s52, 33
	v_writelane_b32 v56, s53, 34
	s_cbranch_scc0 .LBB153_251
; %bb.219:                              ;   in Loop: Header=BB153_31 Depth=1
	v_cvt_f32_u32_e32 v2, s33
	s_sub_u32 s0, 0, s33
	s_subb_u32 s1, 0, 0
	v_mac_f32_e32 v2, 0, v52
	v_rcp_f32_e32 v2, v2
	v_mul_f32_e32 v2, 0x5f7ffffc, v2
	v_mul_f32_e32 v3, 0x2f800000, v2
	v_trunc_f32_e32 v3, v3
	v_mac_f32_e32 v2, 0xcf800000, v3
	v_cvt_u32_f32_e32 v3, v3
	v_cvt_u32_f32_e32 v2, v2
	v_readfirstlane_b32 s30, v3
	v_readfirstlane_b32 s31, v2
	s_mul_i32 s48, s0, s30
	s_mul_hi_u32 s50, s0, s31
	s_mul_i32 s49, s1, s31
	s_add_i32 s48, s50, s48
	s_mul_i32 s51, s0, s31
	s_add_i32 s48, s48, s49
	s_mul_hi_u32 s50, s31, s51
	s_mul_hi_u32 s49, s31, s48
	s_mul_i32 s31, s31, s48
	s_add_u32 s31, s50, s31
	s_addc_u32 s49, 0, s49
	s_mul_hi_u32 s52, s30, s51
	s_mul_i32 s51, s30, s51
	s_add_u32 s31, s31, s51
	s_mul_hi_u32 s50, s30, s48
	s_addc_u32 s31, s49, s52
	s_addc_u32 s49, s50, 0
	s_mul_i32 s48, s30, s48
	s_add_u32 s31, s31, s48
	s_addc_u32 s48, 0, s49
	v_add_co_u32_e32 v2, vcc, s31, v2
	s_cmp_lg_u64 vcc, 0
	s_addc_u32 s30, s30, s48
	v_readfirstlane_b32 s48, v2
	s_mul_i32 s31, s0, s30
	s_mul_hi_u32 s49, s0, s48
	s_add_i32 s31, s49, s31
	s_mul_i32 s1, s1, s48
	s_add_i32 s31, s31, s1
	s_mul_i32 s0, s0, s48
	s_mul_hi_u32 s49, s30, s0
	s_mul_i32 s50, s30, s0
	s_mul_i32 s52, s48, s31
	s_mul_hi_u32 s0, s48, s0
	s_mul_hi_u32 s51, s48, s31
	s_add_u32 s0, s0, s52
	s_addc_u32 s48, 0, s51
	s_add_u32 s0, s0, s50
	s_mul_hi_u32 s1, s30, s31
	s_addc_u32 s0, s48, s49
	s_addc_u32 s1, s1, 0
	s_mul_i32 s31, s30, s31
	s_add_u32 s0, s0, s31
	s_addc_u32 s1, 0, s1
	v_add_co_u32_e32 v2, vcc, s0, v2
	s_cmp_lg_u64 vcc, 0
	s_addc_u32 s0, s30, s1
	v_readlane_b32 s50, v56, 31
	v_readfirstlane_b32 s31, v2
	s_mul_i32 s30, s50, s0
	s_mul_hi_u32 s48, s50, s31
	s_mul_hi_u32 s1, s50, s0
	s_add_u32 s30, s48, s30
	s_addc_u32 s1, 0, s1
	s_mul_hi_u32 s49, s53, s31
	s_mul_i32 s31, s53, s31
	s_add_u32 s30, s30, s31
	s_mul_hi_u32 s48, s53, s0
	s_addc_u32 s1, s1, s49
	s_addc_u32 s30, s48, 0
	s_mul_i32 s0, s53, s0
	s_add_u32 s0, s1, s0
	s_addc_u32 s1, 0, s30
	s_mul_hi_u32 s30, s33, s0
	s_mul_i32 s0, s33, s0
	s_mul_i32 s1, s33, s1
	v_mov_b32_e32 v2, s0
	s_add_i32 s30, s30, s1
	v_sub_co_u32_e32 v2, vcc, s50, v2
	s_cmp_lg_u64 vcc, 0
	s_subb_u32 s0, s53, s30
	v_subrev_co_u32_e32 v3, vcc, s33, v2
	s_cmp_lg_u64 vcc, 0
	s_subb_u32 s1, s0, 0
	v_subrev_co_u32_e32 v4, vcc, s33, v3
	s_cmp_lg_u64 vcc, 0
	s_subb_u32 s30, s1, 0
	v_cmp_le_u32_e32 vcc, s33, v3
	s_cmp_eq_u32 s1, 0
	v_cndmask_b32_e64 v5, 0, -1, vcc
	s_cselect_b64 vcc, -1, 0
	v_cndmask_b32_e32 v5, -1, v5, vcc
	v_mov_b32_e32 v8, s1
	v_mov_b32_e32 v9, s30
	v_cmp_ne_u32_e32 vcc, 0, v5
	v_cndmask_b32_e32 v5, v8, v9, vcc
	v_cndmask_b32_e32 v4, v3, v4, vcc
	v_cmp_le_u32_e32 vcc, s33, v2
	s_cmp_eq_u32 s0, 0
	v_cndmask_b32_e64 v3, 0, -1, vcc
	s_cselect_b64 vcc, -1, 0
	v_cndmask_b32_e32 v3, -1, v3, vcc
	v_mov_b32_e32 v8, s0
	v_cmp_ne_u32_e32 vcc, 0, v3
	v_cndmask_b32_e32 v3, v8, v5, vcc
	v_cndmask_b32_e32 v2, v2, v4, vcc
	s_cbranch_execnz .LBB153_221
.LBB153_220:                            ;   in Loop: Header=BB153_31 Depth=1
	v_cvt_f32_u32_e32 v2, s33
	s_sub_i32 s0, 0, s33
	v_rcp_iflag_f32_e32 v2, v2
	v_mul_f32_e32 v2, 0x4f7ffffe, v2
	v_cvt_u32_f32_e32 v2, v2
	v_mul_lo_u32 v3, s0, v2
	v_mul_hi_u32 v3, v2, v3
	v_add_u32_e32 v2, v2, v3
	v_readlane_b32 s0, v56, 31
	v_mul_hi_u32 v2, s0, v2
	v_mul_lo_u32 v2, v2, s33
	v_sub_u32_e32 v2, s0, v2
	v_subrev_u32_e32 v3, s33, v2
	v_cmp_le_u32_e32 vcc, s33, v2
	v_cndmask_b32_e32 v2, v2, v3, vcc
	v_subrev_u32_e32 v3, s33, v2
	v_cmp_le_u32_e32 vcc, s33, v2
	v_cndmask_b32_e32 v14, v2, v3, vcc
	v_pk_mov_b32 v[2:3], v[14:15], v[14:15] op_sel:[0,1]
.LBB153_221:                            ;   in Loop: Header=BB153_31 Depth=1
	v_readlane_b32 s0, v56, 33
	v_readlane_b32 s1, v56, 34
	;; [unrolled: 1-line block ×3, first 2 shown]
	v_mov_b32_e32 v5, s1
	v_sub_co_u32_e32 v4, vcc, s0, v2
	v_subb_co_u32_e32 v5, vcc, v5, v3, vcc
	v_cmp_gt_u64_e32 vcc, v[4:5], v[0:1]
	s_mov_b64 s[66:67], 0
                                        ; implicit-def: $vgpr3
	s_and_saveexec_b64 s[0:1], vcc
	s_cbranch_execz .LBB153_230
; %bb.222:                              ;   in Loop: Header=BB153_31 Depth=1
	s_mov_b64 s[48:49], 0
	v_pk_mov_b32 v[8:9], v[26:27], v[26:27] op_sel:[0,1]
	v_pk_mov_b32 v[34:35], v[0:1], v[0:1] op_sel:[0,1]
                                        ; implicit-def: $sgpr50_sgpr51
	s_branch .LBB153_224
.LBB153_223:                            ;   in Loop: Header=BB153_224 Depth=2
	s_or_b64 exec, exec, s[52:53]
	s_waitcnt lgkmcnt(0)
	s_barrier
	ds_read_b64 v[2:3], v15 offset:3072
	v_add_co_u32_e32 v34, vcc, s33, v34
	s_waitcnt lgkmcnt(0)
	s_barrier
	v_readfirstlane_b32 s30, v2
	v_mov_b32_e32 v2, s92
	s_cmp_lg_u32 s30, 0
	v_addc_co_u32_e32 v35, vcc, v35, v2, vcc
	s_cselect_b64 s[30:31], -1, 0
	v_cmp_ge_u64_e32 vcc, v[34:35], v[4:5]
	s_or_b64 s[52:53], vcc, s[30:31]
	s_and_b64 s[52:53], exec, s[52:53]
	s_or_b64 s[48:49], s[52:53], s[48:49]
	v_mov_b32_e32 v2, s65
	v_add_co_u32_e32 v8, vcc, s64, v8
	s_andn2_b64 s[50:51], s[50:51], exec
	s_and_b64 s[30:31], s[30:31], exec
	v_addc_co_u32_e32 v9, vcc, v9, v2, vcc
	s_or_b64 s[50:51], s[50:51], s[30:31]
	s_andn2_b64 exec, exec, s[48:49]
	s_cbranch_execz .LBB153_229
.LBB153_224:                            ;   Parent Loop BB153_31 Depth=1
                                        ; =>  This Inner Loop Header: Depth=2
	v_cmp_gt_u64_e32 vcc, s[60:61], v[34:35]
	s_waitcnt vmcnt(0)
	v_mov_b32_e32 v29, 0
	s_and_saveexec_b64 s[52:53], vcc
	s_cbranch_execz .LBB153_226
; %bb.225:                              ;   in Loop: Header=BB153_224 Depth=2
	global_load_dword v29, v[8:9], off
.LBB153_226:                            ;   in Loop: Header=BB153_224 Depth=2
	s_or_b64 exec, exec, s[52:53]
	s_and_saveexec_b64 s[52:53], vcc
	s_cbranch_execz .LBB153_223
; %bb.227:                              ;   in Loop: Header=BB153_224 Depth=2
	s_waitcnt vmcnt(0)
	v_xor_b32_e32 v2, 0x80000000, v29
	v_and_b32_e32 v2, v2, v36
	v_cmp_eq_u32_e32 vcc, v2, v30
	s_and_b64 exec, exec, vcc
	s_cbranch_execz .LBB153_223
; %bb.228:                              ;   in Loop: Header=BB153_224 Depth=2
	ds_write_b64 v15, v[28:29] offset:3072
	s_branch .LBB153_223
.LBB153_229:                            ;   in Loop: Header=BB153_31 Depth=1
	s_or_b64 exec, exec, s[48:49]
	s_and_b64 s[66:67], s[50:51], exec
.LBB153_230:                            ;   in Loop: Header=BB153_31 Depth=1
	s_or_b64 exec, exec, s[0:1]
	s_mov_b64 s[52:53], -1
	s_mov_b64 s[48:49], 0
	s_mov_b64 s[50:51], 0
.LBB153_231:                            ;   in Loop: Header=BB153_31 Depth=1
	s_orn2_b64 s[66:67], s[66:67], exec
.LBB153_232:                            ;   in Loop: Header=BB153_31 Depth=1
	s_or_b64 exec, exec, s[54:55]
	s_mov_b64 s[0:1], 0
                                        ; implicit-def: $vgpr8
	s_and_saveexec_b64 s[54:55], s[66:67]
	s_cbranch_execz .LBB153_297
; %bb.233:                              ;   in Loop: Header=BB153_31 Depth=1
	v_mov_b32_e32 v4, 1
	s_xor_b64 s[30:31], s[68:69], -1
	s_mov_b64 s[90:91], 0
	v_mov_b32_e32 v5, 0
	v_mov_b32_e32 v8, 1
	s_and_saveexec_b64 s[0:1], s[30:31]
	s_cbranch_execz .LBB153_243
; %bb.234:                              ;   in Loop: Header=BB153_31 Depth=1
	v_cmp_ge_u64_e32 vcc, s[22:23], v[6:7]
                                        ; implicit-def: $sgpr30
                                        ; implicit-def: $sgpr66_sgpr67
	s_and_saveexec_b64 s[68:69], vcc
	s_xor_b64 s[68:69], exec, s[68:69]
	s_cbranch_execz .LBB153_240
; %bb.235:                              ;   in Loop: Header=BB153_31 Depth=1
	ds_read_b64 v[4:5], v15 offset:5120
	s_waitcnt lgkmcnt(0)
	v_cmp_ne_u64_e32 vcc, 0, v[4:5]
	s_cbranch_vccnz .LBB153_239
; %bb.236:                              ;   in Loop: Header=BB153_31 Depth=1
	s_mov_b64 s[66:67], exec
	v_readlane_b32 s30, v56, 10
	v_readlane_b32 s31, v56, 11
	s_and_b64 s[30:31], s[66:67], s[30:31]
	s_mov_b64 exec, s[30:31]
	s_cbranch_execz .LBB153_238
; %bb.237:                              ;   in Loop: Header=BB153_31 Depth=1
	v_pk_mov_b32 v[4:5], s[22:23], s[22:23] op_sel:[0,1]
	ds_write_b64 v15, v[4:5] offset:5128
.LBB153_238:                            ;   in Loop: Header=BB153_31 Depth=1
	s_or_b64 exec, exec, s[66:67]
	s_waitcnt lgkmcnt(0)
	s_barrier
.LBB153_239:                            ;   in Loop: Header=BB153_31 Depth=1
	v_readlane_b32 s30, v56, 62
	v_and_b32_e32 v2, s30, v30
	v_lshl_or_b32 v30, 2, s3, v2
	v_or_b32_e32 v36, s86, v36
	s_mov_b64 s[66:67], 0
	s_mov_b32 s30, 8
.LBB153_240:                            ;   in Loop: Header=BB153_31 Depth=1
	s_or_saveexec_b64 s[68:69], s[68:69]
	v_mov_b32_e32 v8, s30
	s_xor_b64 exec, exec, s[68:69]
; %bb.241:                              ;   in Loop: Header=BB153_31 Depth=1
	v_mov_b32_e32 v2, s23
	v_subrev_co_u32_e32 v6, vcc, s22, v6
	v_subb_co_u32_e32 v7, vcc, v7, v2, vcc
	v_mov_b32_e32 v8, 0
	s_or_b64 s[66:67], s[66:67], exec
; %bb.242:                              ;   in Loop: Header=BB153_31 Depth=1
	s_or_b64 exec, exec, s[68:69]
	s_and_b64 s[90:91], s[66:67], exec
	v_pk_mov_b32 v[4:5], v[6:7], v[6:7] op_sel:[0,1]
.LBB153_243:                            ;   in Loop: Header=BB153_31 Depth=1
	s_or_b64 exec, exec, s[0:1]
	s_mov_b64 s[88:89], -1
                                        ; implicit-def: $sgpr0_sgpr1
                                        ; implicit-def: $sgpr80_sgpr81
                                        ; implicit-def: $sgpr66_sgpr67
	s_and_saveexec_b64 s[68:69], s[90:91]
	s_cbranch_execz .LBB153_296
; %bb.244:                              ;   in Loop: Header=BB153_31 Depth=1
	s_cmp_eq_u64 s[24:25], 1
	s_cselect_b64 s[0:1], -1, 0
	v_cmp_eq_u64_e32 vcc, 1, v[4:5]
	s_and_b64 vcc, s[0:1], vcc
	s_mov_b64 s[90:91], -1
                                        ; implicit-def: $sgpr0_sgpr1
                                        ; implicit-def: $sgpr80_sgpr81
                                        ; implicit-def: $sgpr66_sgpr67
	s_and_saveexec_b64 s[94:95], vcc
	s_cbranch_execz .LBB153_283
; %bb.245:                              ;   in Loop: Header=BB153_31 Depth=1
	ds_read_b64 v[2:3], v15 offset:5120
	s_waitcnt lgkmcnt(0)
	s_barrier
	v_readfirstlane_b32 s0, v2
	v_readfirstlane_b32 s1, v3
	s_mov_b64 s[66:67], exec
	v_readlane_b32 s30, v56, 26
	v_readlane_b32 s31, v56, 27
	s_and_b64 s[30:31], s[66:67], s[30:31]
	s_mov_b64 exec, s[30:31]
	s_cbranch_execz .LBB153_247
; %bb.246:                              ;   in Loop: Header=BB153_31 Depth=1
	ds_write_b32 v49, v15
.LBB153_247:                            ;   in Loop: Header=BB153_31 Depth=1
	s_or_b64 exec, exec, s[66:67]
	v_or_b32_e32 v30, s86, v30
	v_or_b32_e32 v36, s86, v36
	s_cmp_eq_u64 s[0:1], 0
                                        ; implicit-def: $vgpr55 : SGPR spill to VGPR lane
	s_waitcnt lgkmcnt(0)
	s_barrier
	v_writelane_b32 v56, vcc_lo, 63
	v_writelane_b32 v55, vcc_hi, 0
	s_cbranch_scc1 .LBB153_252
; %bb.248:                              ;   in Loop: Header=BB153_31 Depth=1
	v_readlane_b32 s30, v56, 30
	s_add_u32 s30, s30, s0
	v_readlane_b32 s31, v56, 32
	s_addc_u32 s67, s31, s1
	s_mov_b32 s66, s87
	v_writelane_b32 v55, s94, 1
	s_cmp_lg_u64 s[66:67], 0
	v_writelane_b32 v55, s95, 2
	s_cbranch_scc0 .LBB153_253
; %bb.249:                              ;   in Loop: Header=BB153_31 Depth=1
	v_cvt_f32_u32_e32 v2, s33
	s_sub_u32 s31, 0, s33
	s_subb_u32 s66, 0, 0
	v_mac_f32_e32 v2, 0, v52
	v_rcp_f32_e32 v2, v2
	v_mul_f32_e32 v2, 0x5f7ffffc, v2
	v_mul_f32_e32 v3, 0x2f800000, v2
	v_trunc_f32_e32 v3, v3
	v_mac_f32_e32 v2, 0xcf800000, v3
	v_cvt_u32_f32_e32 v3, v3
	v_cvt_u32_f32_e32 v2, v2
	v_readfirstlane_b32 s80, v3
	v_readfirstlane_b32 s81, v2
	s_mul_i32 s88, s31, s80
	s_mul_hi_u32 s90, s31, s81
	s_mul_i32 s89, s66, s81
	s_add_i32 s88, s90, s88
	s_mul_i32 s91, s31, s81
	s_add_i32 s88, s88, s89
	s_mul_hi_u32 s90, s81, s91
	s_mul_hi_u32 s89, s81, s88
	s_mul_i32 s81, s81, s88
	s_add_u32 s81, s90, s81
	s_addc_u32 s89, 0, s89
	s_mul_hi_u32 s94, s80, s91
	s_mul_i32 s91, s80, s91
	s_add_u32 s81, s81, s91
	s_mul_hi_u32 s90, s80, s88
	s_addc_u32 s81, s89, s94
	s_addc_u32 s89, s90, 0
	s_mul_i32 s88, s80, s88
	s_add_u32 s81, s81, s88
	s_addc_u32 s88, 0, s89
	v_add_co_u32_e32 v2, vcc, s81, v2
	s_cmp_lg_u64 vcc, 0
	s_addc_u32 s80, s80, s88
	v_readfirstlane_b32 s88, v2
	s_mul_i32 s81, s31, s80
	s_mul_hi_u32 s89, s31, s88
	s_add_i32 s81, s89, s81
	s_mul_i32 s66, s66, s88
	s_add_i32 s81, s81, s66
	s_mul_i32 s31, s31, s88
	s_mul_hi_u32 s89, s80, s31
	s_mul_i32 s90, s80, s31
	s_mul_i32 s94, s88, s81
	s_mul_hi_u32 s31, s88, s31
	s_mul_hi_u32 s91, s88, s81
	s_add_u32 s31, s31, s94
	s_addc_u32 s88, 0, s91
	s_add_u32 s31, s31, s90
	s_mul_hi_u32 s66, s80, s81
	s_addc_u32 s31, s88, s89
	s_addc_u32 s66, s66, 0
	s_mul_i32 s81, s80, s81
	s_add_u32 s31, s31, s81
	s_addc_u32 s66, 0, s66
	v_add_co_u32_e32 v2, vcc, s31, v2
	s_cmp_lg_u64 vcc, 0
	s_addc_u32 s31, s80, s66
	v_readfirstlane_b32 s81, v2
	s_mul_i32 s80, s30, s31
	s_mul_hi_u32 s88, s30, s81
	s_mul_hi_u32 s66, s30, s31
	s_add_u32 s80, s88, s80
	s_addc_u32 s66, 0, s66
	s_mul_hi_u32 s89, s67, s81
	s_mul_i32 s81, s67, s81
	s_add_u32 s80, s80, s81
	s_mul_hi_u32 s88, s67, s31
	s_addc_u32 s66, s66, s89
	s_addc_u32 s80, s88, 0
	s_mul_i32 s31, s67, s31
	s_add_u32 s31, s66, s31
	s_addc_u32 s66, 0, s80
	s_mul_hi_u32 s80, s33, s31
	s_mul_i32 s31, s33, s31
	s_mul_i32 s66, s33, s66
	v_mov_b32_e32 v2, s31
	s_add_i32 s80, s80, s66
	v_sub_co_u32_e32 v2, vcc, s30, v2
	s_cmp_lg_u64 vcc, 0
	s_subb_u32 s31, s67, s80
	v_subrev_co_u32_e32 v3, vcc, s33, v2
	s_cmp_lg_u64 vcc, 0
	s_subb_u32 s66, s31, 0
	v_subrev_co_u32_e32 v6, vcc, s33, v3
	s_cmp_lg_u64 vcc, 0
	s_subb_u32 s80, s66, 0
	v_cmp_le_u32_e32 vcc, s33, v3
	s_cmp_eq_u32 s66, 0
	v_cndmask_b32_e64 v7, 0, -1, vcc
	s_cselect_b64 vcc, -1, 0
	v_cndmask_b32_e32 v7, -1, v7, vcc
	v_mov_b32_e32 v8, s66
	v_mov_b32_e32 v9, s80
	v_cmp_ne_u32_e32 vcc, 0, v7
	v_cndmask_b32_e32 v7, v8, v9, vcc
	v_cndmask_b32_e32 v6, v3, v6, vcc
	v_cmp_le_u32_e32 vcc, s33, v2
	s_cmp_eq_u32 s31, 0
	v_cndmask_b32_e64 v3, 0, -1, vcc
	s_cselect_b64 vcc, -1, 0
	v_cndmask_b32_e32 v3, -1, v3, vcc
	v_mov_b32_e32 v8, s31
	v_cmp_ne_u32_e32 vcc, 0, v3
	v_cndmask_b32_e32 v3, v8, v7, vcc
	v_cndmask_b32_e32 v2, v2, v6, vcc
	s_mov_b64 s[80:81], 0
	s_branch .LBB153_254
.LBB153_250:                            ;   in Loop: Header=BB153_31 Depth=1
                                        ; implicit-def: $vgpr2_vgpr3
	s_branch .LBB153_204
.LBB153_251:                            ;   in Loop: Header=BB153_31 Depth=1
                                        ; implicit-def: $vgpr2_vgpr3
	s_branch .LBB153_220
.LBB153_252:                            ;   in Loop: Header=BB153_31 Depth=1
	s_mov_b64 s[0:1], -1
	s_mov_b64 s[88:89], 0
                                        ; implicit-def: $sgpr66_sgpr67
                                        ; implicit-def: $vgpr3
	s_branch .LBB153_266
.LBB153_253:                            ;   in Loop: Header=BB153_31 Depth=1
	s_mov_b64 s[80:81], -1
                                        ; implicit-def: $vgpr2_vgpr3
.LBB153_254:                            ;   in Loop: Header=BB153_31 Depth=1
	s_andn2_b64 vcc, exec, s[80:81]
	s_cbranch_vccnz .LBB153_256
; %bb.255:                              ;   in Loop: Header=BB153_31 Depth=1
	v_cvt_f32_u32_e32 v2, s33
	s_sub_i32 s31, 0, s33
	v_rcp_iflag_f32_e32 v2, v2
	v_mul_f32_e32 v2, 0x4f7ffffe, v2
	v_cvt_u32_f32_e32 v2, v2
	v_mul_lo_u32 v3, s31, v2
	v_mul_hi_u32 v3, v2, v3
	v_add_u32_e32 v2, v2, v3
	v_mul_hi_u32 v2, s30, v2
	v_mul_lo_u32 v2, v2, s33
	v_sub_u32_e32 v2, s30, v2
	v_subrev_u32_e32 v3, s33, v2
	v_cmp_le_u32_e32 vcc, s33, v2
	v_cndmask_b32_e32 v2, v2, v3, vcc
	v_subrev_u32_e32 v3, s33, v2
	v_cmp_le_u32_e32 vcc, s33, v2
	v_cndmask_b32_e32 v14, v2, v3, vcc
	v_pk_mov_b32 v[2:3], v[14:15], v[14:15] op_sel:[0,1]
.LBB153_256:                            ;   in Loop: Header=BB153_31 Depth=1
	v_mov_b32_e32 v7, s67
	v_sub_co_u32_e32 v6, vcc, s30, v2
	v_subb_co_u32_e32 v7, vcc, v7, v3, vcc
	v_cmp_gt_u64_e32 vcc, v[6:7], v[0:1]
	s_mov_b64 s[88:89], 0
                                        ; implicit-def: $vgpr3
	s_and_saveexec_b64 s[66:67], vcc
	v_readlane_b32 s94, v55, 1
	v_readlane_b32 s95, v55, 2
	s_cbranch_execz .LBB153_265
; %bb.257:                              ;   in Loop: Header=BB153_31 Depth=1
	s_mov_b64 s[80:81], 0
	v_mov_b32_e32 v14, v16
	v_pk_mov_b32 v[8:9], v[0:1], v[0:1] op_sel:[0,1]
                                        ; implicit-def: $sgpr88_sgpr89
	s_branch .LBB153_259
.LBB153_258:                            ;   in Loop: Header=BB153_259 Depth=2
	s_or_b64 exec, exec, s[90:91]
	s_waitcnt lgkmcnt(0)
	s_barrier
	ds_read_b64 v[2:3], v15 offset:3072
	v_add_co_u32_e32 v8, vcc, s33, v8
	v_add_u32_e32 v14, s2, v14
	s_waitcnt lgkmcnt(0)
	v_readfirstlane_b32 s30, v2
	v_mov_b32_e32 v2, s92
	s_cmp_lg_u32 s30, 0
	v_addc_co_u32_e32 v9, vcc, v9, v2, vcc
	s_cselect_b64 s[30:31], -1, 0
	v_cmp_ge_u64_e32 vcc, v[8:9], v[6:7]
	s_or_b64 s[90:91], vcc, s[30:31]
	s_and_b64 s[90:91], exec, s[90:91]
	s_or_b64 s[80:81], s[90:91], s[80:81]
	s_andn2_b64 s[88:89], s[88:89], exec
	s_and_b64 s[30:31], s[30:31], exec
	s_or_b64 s[88:89], s[88:89], s[30:31]
	s_barrier
	s_andn2_b64 exec, exec, s[80:81]
	s_cbranch_execz .LBB153_264
.LBB153_259:                            ;   Parent Loop BB153_31 Depth=1
                                        ; =>  This Inner Loop Header: Depth=2
	v_cmp_gt_u64_e32 vcc, s[0:1], v[8:9]
	s_waitcnt vmcnt(0)
	v_mov_b32_e32 v29, 0
	s_and_saveexec_b64 s[90:91], vcc
	s_cbranch_execz .LBB153_261
; %bb.260:                              ;   in Loop: Header=BB153_259 Depth=2
	ds_read_b32 v29, v14
.LBB153_261:                            ;   in Loop: Header=BB153_259 Depth=2
	s_or_b64 exec, exec, s[90:91]
	s_and_saveexec_b64 s[90:91], vcc
	s_cbranch_execz .LBB153_258
; %bb.262:                              ;   in Loop: Header=BB153_259 Depth=2
	s_waitcnt lgkmcnt(0)
	v_xor_b32_e32 v2, 0x80000000, v29
	v_and_b32_e32 v2, v2, v36
	v_cmp_eq_u32_e32 vcc, v2, v30
	s_and_b64 exec, exec, vcc
	s_cbranch_execz .LBB153_258
; %bb.263:                              ;   in Loop: Header=BB153_259 Depth=2
	ds_write_b64 v15, v[28:29] offset:3072
	s_branch .LBB153_258
.LBB153_264:                            ;   in Loop: Header=BB153_31 Depth=1
	s_or_b64 exec, exec, s[80:81]
	s_and_b64 s[88:89], s[88:89], exec
.LBB153_265:                            ;   in Loop: Header=BB153_31 Depth=1
	s_or_b64 exec, exec, s[66:67]
	s_mov_b64 s[66:67], -1
	s_mov_b64 s[0:1], 0
.LBB153_266:                            ;   in Loop: Header=BB153_31 Depth=1
	s_and_b64 vcc, exec, s[0:1]
	s_mov_b64 s[80:81], s[0:1]
	s_cbranch_vccz .LBB153_282
; %bb.267:                              ;   in Loop: Header=BB153_31 Depth=1
	v_readlane_b32 s88, v56, 33
	v_readlane_b32 s89, v56, 34
	s_mov_b32 s88, s87
	s_cmp_lg_u64 s[88:89], 0
	v_writelane_b32 v56, s88, 33
	v_writelane_b32 v56, s89, 34
	s_cbranch_scc0 .LBB153_269
; %bb.268:                              ;   in Loop: Header=BB153_31 Depth=1
	v_cvt_f32_u32_e32 v2, s33
	s_sub_u32 s0, 0, s33
	s_subb_u32 s1, 0, 0
	v_mac_f32_e32 v2, 0, v52
	v_rcp_f32_e32 v2, v2
	v_mul_f32_e32 v2, 0x5f7ffffc, v2
	v_mul_f32_e32 v3, 0x2f800000, v2
	v_trunc_f32_e32 v3, v3
	v_mac_f32_e32 v2, 0xcf800000, v3
	v_cvt_u32_f32_e32 v3, v3
	v_cvt_u32_f32_e32 v2, v2
	v_readfirstlane_b32 s30, v3
	v_readfirstlane_b32 s31, v2
	s_mul_i32 s66, s0, s30
	s_mul_hi_u32 s80, s0, s31
	s_mul_i32 s67, s1, s31
	s_add_i32 s66, s80, s66
	s_mul_i32 s81, s0, s31
	s_add_i32 s66, s66, s67
	s_mul_hi_u32 s80, s31, s81
	s_mul_hi_u32 s67, s31, s66
	s_mul_i32 s31, s31, s66
	s_add_u32 s31, s80, s31
	s_addc_u32 s67, 0, s67
	s_mul_hi_u32 s88, s30, s81
	s_mul_i32 s81, s30, s81
	s_add_u32 s31, s31, s81
	s_mul_hi_u32 s80, s30, s66
	s_addc_u32 s31, s67, s88
	s_addc_u32 s67, s80, 0
	s_mul_i32 s66, s30, s66
	s_add_u32 s31, s31, s66
	s_addc_u32 s66, 0, s67
	v_add_co_u32_e32 v2, vcc, s31, v2
	s_cmp_lg_u64 vcc, 0
	s_addc_u32 s30, s30, s66
	v_readfirstlane_b32 s66, v2
	s_mul_i32 s31, s0, s30
	s_mul_hi_u32 s67, s0, s66
	s_add_i32 s31, s67, s31
	s_mul_i32 s1, s1, s66
	s_add_i32 s31, s31, s1
	s_mul_i32 s0, s0, s66
	s_mul_hi_u32 s67, s30, s0
	s_mul_i32 s80, s30, s0
	s_mul_i32 s88, s66, s31
	s_mul_hi_u32 s0, s66, s0
	s_mul_hi_u32 s81, s66, s31
	s_add_u32 s0, s0, s88
	s_addc_u32 s66, 0, s81
	s_add_u32 s0, s0, s80
	s_mul_hi_u32 s1, s30, s31
	s_addc_u32 s0, s66, s67
	s_addc_u32 s1, s1, 0
	s_mul_i32 s31, s30, s31
	s_add_u32 s0, s0, s31
	s_addc_u32 s1, 0, s1
	v_add_co_u32_e32 v2, vcc, s0, v2
	s_cmp_lg_u64 vcc, 0
	s_addc_u32 s0, s30, s1
	v_readlane_b32 s80, v56, 31
	v_readfirstlane_b32 s31, v2
	s_mul_i32 s30, s80, s0
	s_mul_hi_u32 s66, s80, s31
	s_mul_hi_u32 s1, s80, s0
	s_add_u32 s30, s66, s30
	s_addc_u32 s1, 0, s1
	s_mul_hi_u32 s67, s89, s31
	s_mul_i32 s31, s89, s31
	s_add_u32 s30, s30, s31
	s_mul_hi_u32 s66, s89, s0
	s_addc_u32 s1, s1, s67
	s_addc_u32 s30, s66, 0
	s_mul_i32 s0, s89, s0
	s_add_u32 s0, s1, s0
	s_addc_u32 s1, 0, s30
	s_mul_hi_u32 s30, s33, s0
	s_mul_i32 s0, s33, s0
	s_mul_i32 s1, s33, s1
	v_mov_b32_e32 v2, s0
	s_add_i32 s30, s30, s1
	v_sub_co_u32_e32 v2, vcc, s80, v2
	s_cmp_lg_u64 vcc, 0
	s_subb_u32 s0, s89, s30
	v_subrev_co_u32_e32 v3, vcc, s33, v2
	s_cmp_lg_u64 vcc, 0
	s_subb_u32 s1, s0, 0
	v_subrev_co_u32_e32 v6, vcc, s33, v3
	s_cmp_lg_u64 vcc, 0
	s_subb_u32 s30, s1, 0
	v_cmp_le_u32_e32 vcc, s33, v3
	s_cmp_eq_u32 s1, 0
	v_cndmask_b32_e64 v7, 0, -1, vcc
	s_cselect_b64 vcc, -1, 0
	v_cndmask_b32_e32 v7, -1, v7, vcc
	v_mov_b32_e32 v8, s1
	v_mov_b32_e32 v9, s30
	v_cmp_ne_u32_e32 vcc, 0, v7
	v_cndmask_b32_e32 v7, v8, v9, vcc
	v_cndmask_b32_e32 v6, v3, v6, vcc
	v_cmp_le_u32_e32 vcc, s33, v2
	s_cmp_eq_u32 s0, 0
	v_cndmask_b32_e64 v3, 0, -1, vcc
	s_cselect_b64 vcc, -1, 0
	v_cndmask_b32_e32 v3, -1, v3, vcc
	v_mov_b32_e32 v8, s0
	v_cmp_ne_u32_e32 vcc, 0, v3
	v_cndmask_b32_e32 v3, v8, v7, vcc
	v_cndmask_b32_e32 v2, v2, v6, vcc
	s_mov_b64 s[0:1], 0
	s_branch .LBB153_270
.LBB153_269:                            ;   in Loop: Header=BB153_31 Depth=1
	s_mov_b64 s[0:1], -1
                                        ; implicit-def: $vgpr2_vgpr3
.LBB153_270:                            ;   in Loop: Header=BB153_31 Depth=1
	s_andn2_b64 vcc, exec, s[0:1]
	s_cbranch_vccnz .LBB153_272
; %bb.271:                              ;   in Loop: Header=BB153_31 Depth=1
	v_cvt_f32_u32_e32 v2, s33
	s_sub_i32 s0, 0, s33
	v_rcp_iflag_f32_e32 v2, v2
	v_mul_f32_e32 v2, 0x4f7ffffe, v2
	v_cvt_u32_f32_e32 v2, v2
	v_mul_lo_u32 v3, s0, v2
	v_mul_hi_u32 v3, v2, v3
	v_add_u32_e32 v2, v2, v3
	v_readlane_b32 s0, v56, 31
	v_mul_hi_u32 v2, s0, v2
	v_mul_lo_u32 v2, v2, s33
	v_sub_u32_e32 v2, s0, v2
	v_subrev_u32_e32 v3, s33, v2
	v_cmp_le_u32_e32 vcc, s33, v2
	v_cndmask_b32_e32 v2, v2, v3, vcc
	v_subrev_u32_e32 v3, s33, v2
	v_cmp_le_u32_e32 vcc, s33, v2
	v_cndmask_b32_e32 v14, v2, v3, vcc
	v_pk_mov_b32 v[2:3], v[14:15], v[14:15] op_sel:[0,1]
.LBB153_272:                            ;   in Loop: Header=BB153_31 Depth=1
	v_readlane_b32 s0, v56, 33
	v_readlane_b32 s1, v56, 34
	;; [unrolled: 1-line block ×3, first 2 shown]
	v_mov_b32_e32 v7, s1
	v_sub_co_u32_e32 v6, vcc, s0, v2
	v_subb_co_u32_e32 v7, vcc, v7, v3, vcc
	v_cmp_gt_u64_e32 vcc, v[6:7], v[0:1]
	s_mov_b64 s[88:89], 0
                                        ; implicit-def: $vgpr3
	s_and_saveexec_b64 s[0:1], vcc
	s_cbranch_execz .LBB153_281
; %bb.273:                              ;   in Loop: Header=BB153_31 Depth=1
	s_mov_b64 s[66:67], 0
	v_pk_mov_b32 v[8:9], v[26:27], v[26:27] op_sel:[0,1]
	v_pk_mov_b32 v[34:35], v[0:1], v[0:1] op_sel:[0,1]
                                        ; implicit-def: $sgpr80_sgpr81
	s_branch .LBB153_275
.LBB153_274:                            ;   in Loop: Header=BB153_275 Depth=2
	s_or_b64 exec, exec, s[88:89]
	s_waitcnt lgkmcnt(0)
	s_barrier
	ds_read_b64 v[2:3], v15 offset:3072
	v_add_co_u32_e32 v34, vcc, s33, v34
	s_waitcnt lgkmcnt(0)
	s_barrier
	v_readfirstlane_b32 s30, v2
	v_mov_b32_e32 v2, s92
	s_cmp_lg_u32 s30, 0
	v_addc_co_u32_e32 v35, vcc, v35, v2, vcc
	s_cselect_b64 s[30:31], -1, 0
	v_cmp_ge_u64_e32 vcc, v[34:35], v[6:7]
	s_or_b64 s[88:89], vcc, s[30:31]
	s_and_b64 s[88:89], exec, s[88:89]
	s_or_b64 s[66:67], s[88:89], s[66:67]
	v_mov_b32_e32 v2, s65
	v_add_co_u32_e32 v8, vcc, s64, v8
	s_andn2_b64 s[80:81], s[80:81], exec
	s_and_b64 s[30:31], s[30:31], exec
	v_addc_co_u32_e32 v9, vcc, v9, v2, vcc
	s_or_b64 s[80:81], s[80:81], s[30:31]
	s_andn2_b64 exec, exec, s[66:67]
	s_cbranch_execz .LBB153_280
.LBB153_275:                            ;   Parent Loop BB153_31 Depth=1
                                        ; =>  This Inner Loop Header: Depth=2
	v_cmp_gt_u64_e32 vcc, s[60:61], v[34:35]
	s_waitcnt vmcnt(0)
	v_mov_b32_e32 v29, 0
	s_and_saveexec_b64 s[88:89], vcc
	s_cbranch_execz .LBB153_277
; %bb.276:                              ;   in Loop: Header=BB153_275 Depth=2
	global_load_dword v29, v[8:9], off
.LBB153_277:                            ;   in Loop: Header=BB153_275 Depth=2
	s_or_b64 exec, exec, s[88:89]
	s_and_saveexec_b64 s[88:89], vcc
	s_cbranch_execz .LBB153_274
; %bb.278:                              ;   in Loop: Header=BB153_275 Depth=2
	s_waitcnt vmcnt(0)
	v_xor_b32_e32 v2, 0x80000000, v29
	v_and_b32_e32 v2, v2, v36
	v_cmp_eq_u32_e32 vcc, v2, v30
	s_and_b64 exec, exec, vcc
	s_cbranch_execz .LBB153_274
; %bb.279:                              ;   in Loop: Header=BB153_275 Depth=2
	ds_write_b64 v15, v[28:29] offset:3072
	s_branch .LBB153_274
.LBB153_280:                            ;   in Loop: Header=BB153_31 Depth=1
	s_or_b64 exec, exec, s[66:67]
	s_and_b64 s[88:89], s[80:81], exec
.LBB153_281:                            ;   in Loop: Header=BB153_31 Depth=1
	s_or_b64 exec, exec, s[0:1]
	s_mov_b64 s[80:81], -1
	s_mov_b64 s[0:1], 0
	s_mov_b64 s[66:67], 0
.LBB153_282:                            ;   in Loop: Header=BB153_31 Depth=1
	v_readlane_b32 vcc_lo, v56, 63
	s_orn2_b64 s[90:91], s[88:89], exec
	v_readlane_b32 vcc_hi, v55, 0
.LBB153_283:                            ;   in Loop: Header=BB153_31 Depth=1
	s_or_b64 exec, exec, s[94:95]
	s_mov_b64 s[94:95], 0
                                        ; implicit-def: $vgpr8
                                        ; implicit-def: $vgpr6_vgpr7
	s_and_saveexec_b64 s[88:89], s[90:91]
	s_cbranch_execz .LBB153_295
; %bb.284:                              ;   in Loop: Header=BB153_31 Depth=1
	v_mov_b32_e32 v6, 1
	s_xor_b64 s[30:31], vcc, -1
	v_mov_b32_e32 v8, 1
	v_mov_b32_e32 v7, 0
	s_and_saveexec_b64 s[90:91], s[30:31]
	s_cbranch_execz .LBB153_294
; %bb.285:                              ;   in Loop: Header=BB153_31 Depth=1
	v_cmp_ge_u64_e32 vcc, s[24:25], v[4:5]
                                        ; implicit-def: $sgpr30
	s_and_saveexec_b64 s[94:95], vcc
	s_xor_b64 s[94:95], exec, s[94:95]
	s_cbranch_execz .LBB153_291
; %bb.286:                              ;   in Loop: Header=BB153_31 Depth=1
	ds_read_b64 v[6:7], v15 offset:5120
	s_waitcnt lgkmcnt(0)
	v_cmp_ne_u64_e32 vcc, 0, v[6:7]
	s_cbranch_vccnz .LBB153_290
; %bb.287:                              ;   in Loop: Header=BB153_31 Depth=1
	s_mov_b64 vcc, exec
	v_readlane_b32 s30, v56, 10
	v_readlane_b32 s31, v56, 11
	s_and_b64 s[30:31], vcc, s[30:31]
	s_mov_b64 exec, s[30:31]
	s_cbranch_execz .LBB153_289
; %bb.288:                              ;   in Loop: Header=BB153_31 Depth=1
	v_pk_mov_b32 v[6:7], s[24:25], s[24:25] op_sel:[0,1]
	ds_write_b64 v15, v[6:7] offset:5128
.LBB153_289:                            ;   in Loop: Header=BB153_31 Depth=1
	s_or_b64 exec, exec, vcc
	s_waitcnt lgkmcnt(0)
	s_barrier
.LBB153_290:                            ;   in Loop: Header=BB153_31 Depth=1
	v_or_b32_e32 v30, s86, v30
	v_or_b32_e32 v36, s86, v36
	s_mov_b32 s30, 8
.LBB153_291:                            ;   in Loop: Header=BB153_31 Depth=1
	s_or_saveexec_b64 s[94:95], s[94:95]
	v_mov_b32_e32 v8, s30
	s_xor_b64 exec, exec, s[94:95]
; %bb.292:                              ;   in Loop: Header=BB153_31 Depth=1
	v_mov_b32_e32 v2, s25
	v_subrev_co_u32_e32 v4, vcc, s24, v4
	v_subb_co_u32_e32 v5, vcc, v5, v2, vcc
	v_mov_b32_e32 v8, 8
; %bb.293:                              ;   in Loop: Header=BB153_31 Depth=1
	s_or_b64 exec, exec, s[94:95]
	v_pk_mov_b32 v[6:7], v[4:5], v[4:5] op_sel:[0,1]
.LBB153_294:                            ;   in Loop: Header=BB153_31 Depth=1
	s_or_b64 exec, exec, s[90:91]
	s_mov_b64 s[94:95], exec
.LBB153_295:                            ;   in Loop: Header=BB153_31 Depth=1
	s_or_b64 exec, exec, s[88:89]
	s_orn2_b64 s[88:89], s[94:95], exec
	v_pk_mov_b32 v[4:5], v[6:7], v[6:7] op_sel:[0,1]
.LBB153_296:                            ;   in Loop: Header=BB153_31 Depth=1
	s_or_b64 exec, exec, s[68:69]
	s_andn2_b64 s[30:31], s[48:49], exec
	s_and_b64 s[0:1], s[0:1], exec
	s_or_b64 s[48:49], s[30:31], s[0:1]
	s_andn2_b64 s[0:1], s[52:53], exec
	s_and_b64 s[30:31], s[80:81], exec
	s_or_b64 s[52:53], s[0:1], s[30:31]
	;; [unrolled: 3-line block ×3, first 2 shown]
	s_and_b64 s[0:1], s[88:89], exec
	v_pk_mov_b32 v[6:7], v[4:5], v[4:5] op_sel:[0,1]
.LBB153_297:                            ;   in Loop: Header=BB153_31 Depth=1
	s_or_b64 exec, exec, s[54:55]
	s_and_b64 s[54:55], s[48:49], exec
	s_and_b64 s[52:53], s[52:53], exec
	s_and_b64 s[48:49], s[50:51], exec
	s_orn2_b64 s[0:1], s[0:1], exec
.LBB153_298:                            ;   in Loop: Header=BB153_31 Depth=1
	s_or_b64 exec, exec, s[46:47]
	s_andn2_b64 s[26:27], s[26:27], exec
	s_and_b64 s[30:31], s[54:55], exec
	s_or_b64 s[26:27], s[26:27], s[30:31]
	s_andn2_b64 s[30:31], s[42:43], exec
	s_and_b64 s[42:43], s[52:53], exec
	s_or_b64 s[42:43], s[30:31], s[42:43]
	s_andn2_b64 s[28:29], s[28:29], exec
	s_and_b64 s[30:31], s[48:49], exec
	s_or_b64 s[28:29], s[28:29], s[30:31]
	s_and_b64 s[48:49], s[0:1], exec
	v_pk_mov_b32 v[4:5], v[6:7], v[6:7] op_sel:[0,1]
.LBB153_299:                            ;   in Loop: Header=BB153_31 Depth=1
	s_or_b64 exec, exec, s[44:45]
	s_and_b64 s[44:45], s[26:27], exec
	s_and_b64 s[26:27], s[42:43], exec
	;; [unrolled: 1-line block ×3, first 2 shown]
	s_orn2_b64 s[42:43], s[48:49], exec
.LBB153_300:                            ;   in Loop: Header=BB153_31 Depth=1
	s_or_b64 exec, exec, s[6:7]
	s_mov_b64 s[6:7], 0
	s_mov_b64 s[28:29], 0
	s_and_saveexec_b64 s[30:31], s[42:43]
	s_xor_b64 s[42:43], exec, s[30:31]
; %bb.301:                              ;   in Loop: Header=BB153_31 Depth=1
	v_cmp_eq_u32_e32 vcc, 8, v8
	v_cmp_ne_u32_e64 s[6:7], 8, v8
	s_andn2_b64 s[44:45], s[44:45], exec
	s_andn2_b64 s[26:27], s[26:27], exec
	;; [unrolled: 1-line block ×3, first 2 shown]
	s_and_b64 s[28:29], s[6:7], exec
	s_and_b64 s[6:7], vcc, exec
; %bb.302:                              ;   in Loop: Header=BB153_31 Depth=1
	s_or_b64 exec, exec, s[42:43]
	s_andn2_b64 s[20:21], s[20:21], exec
	s_and_b64 s[30:31], s[44:45], exec
	s_or_b64 s[20:21], s[20:21], s[30:31]
	s_andn2_b64 s[30:31], s[36:37], exec
	s_and_b64 s[26:27], s[26:27], exec
	s_or_b64 s[36:37], s[30:31], s[26:27]
	;; [unrolled: 3-line block ×3, first 2 shown]
	s_and_b64 s[26:27], s[28:29], exec
	s_and_b64 s[28:29], s[6:7], exec
.LBB153_303:                            ;   in Loop: Header=BB153_31 Depth=1
	s_or_b64 exec, exec, s[40:41]
	s_and_b64 vcc, exec, s[38:39]
	s_cbranch_vccz .LBB153_119
.LBB153_304:                            ;   in Loop: Header=BB153_31 Depth=1
	s_cmp_eq_u64 s[24:25], 1
	s_cselect_b64 s[0:1], -1, 0
	s_and_b64 s[6:7], s[0:1], s[14:15]
	s_mov_b64 s[0:1], -1
                                        ; implicit-def: $sgpr14_sgpr15
                                        ; implicit-def: $sgpr38_sgpr39
                                        ; implicit-def: $sgpr20_sgpr21
	s_and_saveexec_b64 s[34:35], s[6:7]
	s_cbranch_execz .LBB153_336
; %bb.305:                              ;   in Loop: Header=BB153_31 Depth=1
	ds_read_b64 v[2:3], v15 offset:5120
	s_waitcnt lgkmcnt(0)
	s_barrier
	v_readfirstlane_b32 s0, v2
	v_readfirstlane_b32 s1, v3
	s_mov_b64 s[14:15], exec
	v_readlane_b32 s20, v56, 26
	v_readlane_b32 s21, v56, 27
	s_and_b64 s[20:21], s[14:15], s[20:21]
	s_mov_b64 exec, s[20:21]
	s_cbranch_execz .LBB153_307
; %bb.306:                              ;   in Loop: Header=BB153_31 Depth=1
	ds_write_b32 v49, v15
.LBB153_307:                            ;   in Loop: Header=BB153_31 Depth=1
	s_or_b64 exec, exec, s[14:15]
	v_or_b32_e32 v54, s86, v54
	v_or_b32_e32 v53, s86, v53
	s_cmp_eq_u64 s[0:1], 0
	s_waitcnt lgkmcnt(0)
	s_barrier
	s_cbranch_scc1 .LBB153_319
; %bb.308:                              ;   in Loop: Header=BB153_31 Depth=1
	v_readlane_b32 s14, v56, 30
	s_add_u32 s30, s14, s0
	v_readlane_b32 s14, v56, 32
	s_addc_u32 s15, s14, s1
	s_mov_b32 s14, s87
	s_cmp_lg_u64 s[14:15], 0
	s_cbranch_scc0 .LBB153_363
; %bb.309:                              ;   in Loop: Header=BB153_31 Depth=1
	v_cvt_f32_u32_e32 v2, s33
	s_sub_u32 s14, 0, s33
	s_subb_u32 s20, 0, 0
	v_mac_f32_e32 v2, 0, v52
	v_rcp_f32_e32 v2, v2
	v_mul_f32_e32 v2, 0x5f7ffffc, v2
	v_mul_f32_e32 v3, 0x2f800000, v2
	v_trunc_f32_e32 v3, v3
	v_mac_f32_e32 v2, 0xcf800000, v3
	v_cvt_u32_f32_e32 v3, v3
	v_cvt_u32_f32_e32 v2, v2
	v_readfirstlane_b32 s21, v3
	v_readfirstlane_b32 s31, v2
	s_mul_i32 s36, s14, s21
	s_mul_hi_u32 s38, s14, s31
	s_mul_i32 s37, s20, s31
	s_add_i32 s36, s38, s36
	s_mul_i32 s39, s14, s31
	s_add_i32 s36, s36, s37
	s_mul_hi_u32 s38, s31, s39
	s_mul_hi_u32 s37, s31, s36
	s_mul_i32 s31, s31, s36
	s_add_u32 s31, s38, s31
	s_addc_u32 s37, 0, s37
	s_mul_hi_u32 s40, s21, s39
	s_mul_i32 s39, s21, s39
	s_add_u32 s31, s31, s39
	s_mul_hi_u32 s38, s21, s36
	s_addc_u32 s31, s37, s40
	s_addc_u32 s37, s38, 0
	s_mul_i32 s36, s21, s36
	s_add_u32 s31, s31, s36
	s_addc_u32 s36, 0, s37
	v_add_co_u32_e32 v2, vcc, s31, v2
	s_cmp_lg_u64 vcc, 0
	s_addc_u32 s21, s21, s36
	v_readfirstlane_b32 s36, v2
	s_mul_i32 s31, s14, s21
	s_mul_hi_u32 s37, s14, s36
	s_add_i32 s31, s37, s31
	s_mul_i32 s20, s20, s36
	s_add_i32 s31, s31, s20
	s_mul_i32 s14, s14, s36
	s_mul_hi_u32 s37, s21, s14
	s_mul_i32 s38, s21, s14
	s_mul_i32 s40, s36, s31
	s_mul_hi_u32 s14, s36, s14
	s_mul_hi_u32 s39, s36, s31
	s_add_u32 s14, s14, s40
	s_addc_u32 s36, 0, s39
	s_add_u32 s14, s14, s38
	s_mul_hi_u32 s20, s21, s31
	s_addc_u32 s14, s36, s37
	s_addc_u32 s20, s20, 0
	s_mul_i32 s31, s21, s31
	s_add_u32 s14, s14, s31
	s_addc_u32 s20, 0, s20
	v_add_co_u32_e32 v2, vcc, s14, v2
	s_cmp_lg_u64 vcc, 0
	s_addc_u32 s14, s21, s20
	v_readfirstlane_b32 s31, v2
	s_mul_i32 s21, s30, s14
	s_mul_hi_u32 s36, s30, s31
	s_mul_hi_u32 s20, s30, s14
	s_add_u32 s21, s36, s21
	s_addc_u32 s20, 0, s20
	s_mul_hi_u32 s37, s15, s31
	s_mul_i32 s31, s15, s31
	s_add_u32 s21, s21, s31
	s_mul_hi_u32 s36, s15, s14
	s_addc_u32 s20, s20, s37
	s_addc_u32 s21, s36, 0
	s_mul_i32 s14, s15, s14
	s_add_u32 s14, s20, s14
	s_addc_u32 s20, 0, s21
	s_mul_hi_u32 s21, s33, s14
	s_mul_i32 s14, s33, s14
	s_mul_i32 s20, s33, s20
	v_mov_b32_e32 v2, s14
	s_add_i32 s21, s21, s20
	v_sub_co_u32_e32 v2, vcc, s30, v2
	s_cmp_lg_u64 vcc, 0
	s_subb_u32 s14, s15, s21
	v_subrev_co_u32_e32 v3, vcc, s33, v2
	s_cmp_lg_u64 vcc, 0
	s_subb_u32 s20, s14, 0
	v_subrev_co_u32_e32 v4, vcc, s33, v3
	s_cmp_lg_u64 vcc, 0
	s_subb_u32 s21, s20, 0
	v_cmp_le_u32_e32 vcc, s33, v3
	s_cmp_eq_u32 s20, 0
	v_cndmask_b32_e64 v5, 0, -1, vcc
	s_cselect_b64 vcc, -1, 0
	v_cndmask_b32_e32 v5, -1, v5, vcc
	v_mov_b32_e32 v6, s20
	v_mov_b32_e32 v7, s21
	v_cmp_ne_u32_e32 vcc, 0, v5
	v_cndmask_b32_e32 v5, v6, v7, vcc
	v_cndmask_b32_e32 v4, v3, v4, vcc
	v_cmp_le_u32_e32 vcc, s33, v2
	s_cmp_eq_u32 s14, 0
	v_cndmask_b32_e64 v3, 0, -1, vcc
	s_cselect_b64 vcc, -1, 0
	v_cndmask_b32_e32 v3, -1, v3, vcc
	v_mov_b32_e32 v6, s14
	v_cmp_ne_u32_e32 vcc, 0, v3
	v_cndmask_b32_e32 v3, v6, v5, vcc
	v_cndmask_b32_e32 v2, v2, v4, vcc
	s_cbranch_execnz .LBB153_311
.LBB153_310:                            ;   in Loop: Header=BB153_31 Depth=1
	v_cvt_f32_u32_e32 v2, s33
	s_sub_i32 s14, 0, s33
	v_rcp_iflag_f32_e32 v2, v2
	v_mul_f32_e32 v2, 0x4f7ffffe, v2
	v_cvt_u32_f32_e32 v2, v2
	v_mul_lo_u32 v3, s14, v2
	v_mul_hi_u32 v3, v2, v3
	v_add_u32_e32 v2, v2, v3
	v_mul_hi_u32 v2, s30, v2
	v_mul_lo_u32 v2, v2, s33
	v_sub_u32_e32 v2, s30, v2
	v_subrev_u32_e32 v3, s33, v2
	v_cmp_le_u32_e32 vcc, s33, v2
	v_cndmask_b32_e32 v2, v2, v3, vcc
	v_subrev_u32_e32 v3, s33, v2
	v_cmp_le_u32_e32 vcc, s33, v2
	v_cndmask_b32_e32 v14, v2, v3, vcc
	v_pk_mov_b32 v[2:3], v[14:15], v[14:15] op_sel:[0,1]
.LBB153_311:                            ;   in Loop: Header=BB153_31 Depth=1
	v_mov_b32_e32 v4, s15
	v_sub_co_u32_e32 v2, vcc, s30, v2
	v_subb_co_u32_e32 v3, vcc, v4, v3, vcc
	v_cmp_gt_u64_e32 vcc, v[2:3], v[0:1]
	s_mov_b64 s[36:37], 0
                                        ; implicit-def: $vgpr31
	s_and_saveexec_b64 s[14:15], vcc
	s_cbranch_execz .LBB153_321
; %bb.312:                              ;   in Loop: Header=BB153_31 Depth=1
	s_mov_b64 s[20:21], 0
	v_mov_b32_e32 v6, v16
	v_pk_mov_b32 v[4:5], v[0:1], v[0:1] op_sel:[0,1]
                                        ; implicit-def: $sgpr36_sgpr37
	s_branch .LBB153_314
.LBB153_313:                            ;   in Loop: Header=BB153_314 Depth=2
	s_or_b64 exec, exec, s[38:39]
	s_waitcnt lgkmcnt(0)
	s_barrier
	ds_read_b64 v[30:31], v15 offset:3072
	v_mov_b32_e32 v7, s92
	v_add_co_u32_e32 v4, vcc, s33, v4
	v_addc_co_u32_e32 v5, vcc, v5, v7, vcc
	s_waitcnt lgkmcnt(0)
	v_readfirstlane_b32 s30, v30
	s_cmp_lg_u32 s30, 0
	s_cselect_b64 s[30:31], -1, 0
	v_cmp_ge_u64_e32 vcc, v[4:5], v[2:3]
	s_or_b64 s[38:39], vcc, s[30:31]
	s_and_b64 s[38:39], exec, s[38:39]
	s_or_b64 s[20:21], s[38:39], s[20:21]
	s_andn2_b64 s[36:37], s[36:37], exec
	s_and_b64 s[30:31], s[30:31], exec
	v_add_u32_e32 v6, s2, v6
	s_or_b64 s[36:37], s[36:37], s[30:31]
	s_barrier
	s_andn2_b64 exec, exec, s[20:21]
	s_cbranch_execz .LBB153_320
.LBB153_314:                            ;   Parent Loop BB153_31 Depth=1
                                        ; =>  This Inner Loop Header: Depth=2
	v_cmp_gt_u64_e32 vcc, s[0:1], v[4:5]
	s_waitcnt vmcnt(0)
	v_mov_b32_e32 v29, 0
	s_and_saveexec_b64 s[38:39], vcc
	s_cbranch_execz .LBB153_316
; %bb.315:                              ;   in Loop: Header=BB153_314 Depth=2
	ds_read_b32 v29, v6
.LBB153_316:                            ;   in Loop: Header=BB153_314 Depth=2
	s_or_b64 exec, exec, s[38:39]
	s_and_saveexec_b64 s[38:39], vcc
	s_cbranch_execz .LBB153_313
; %bb.317:                              ;   in Loop: Header=BB153_314 Depth=2
	s_waitcnt lgkmcnt(0)
	v_xor_b32_e32 v7, 0x80000000, v29
	v_and_b32_e32 v7, v7, v53
	v_cmp_eq_u32_e32 vcc, v7, v54
	s_and_b64 exec, exec, vcc
	s_cbranch_execz .LBB153_313
; %bb.318:                              ;   in Loop: Header=BB153_314 Depth=2
	ds_write_b64 v15, v[28:29] offset:3072
	s_branch .LBB153_313
.LBB153_319:                            ;   in Loop: Header=BB153_31 Depth=1
	s_mov_b64 s[14:15], -1
	s_mov_b64 s[36:37], 0
                                        ; implicit-def: $sgpr38_sgpr39
                                        ; implicit-def: $vgpr31
	s_mov_b64 s[20:21], s[14:15]
	s_cbranch_execnz .LBB153_322
	s_branch .LBB153_335
.LBB153_320:                            ;   in Loop: Header=BB153_31 Depth=1
	s_or_b64 exec, exec, s[20:21]
	s_and_b64 s[36:37], s[36:37], exec
.LBB153_321:                            ;   in Loop: Header=BB153_31 Depth=1
	s_or_b64 exec, exec, s[14:15]
	s_mov_b64 s[14:15], 0
	s_mov_b64 s[38:39], -1
	s_mov_b64 s[20:21], s[14:15]
	s_branch .LBB153_335
.LBB153_322:                            ;   in Loop: Header=BB153_31 Depth=1
	v_readlane_b32 s36, v56, 33
	v_readlane_b32 s37, v56, 34
	s_mov_b32 s36, s87
	s_cmp_lg_u64 s[36:37], 0
	v_writelane_b32 v56, s36, 33
	v_writelane_b32 v56, s37, 34
	s_cbranch_scc0 .LBB153_364
; %bb.323:                              ;   in Loop: Header=BB153_31 Depth=1
	v_cvt_f32_u32_e32 v2, s33
	s_sub_u32 s0, 0, s33
	s_subb_u32 s1, 0, 0
	v_mac_f32_e32 v2, 0, v52
	v_rcp_f32_e32 v2, v2
	v_mul_f32_e32 v2, 0x5f7ffffc, v2
	v_mul_f32_e32 v3, 0x2f800000, v2
	v_trunc_f32_e32 v3, v3
	v_mac_f32_e32 v2, 0xcf800000, v3
	v_cvt_u32_f32_e32 v3, v3
	v_cvt_u32_f32_e32 v2, v2
	v_readfirstlane_b32 s14, v3
	v_readfirstlane_b32 s15, v2
	s_mul_i32 s20, s0, s14
	s_mul_hi_u32 s30, s0, s15
	s_mul_i32 s21, s1, s15
	s_add_i32 s20, s30, s20
	s_mul_i32 s31, s0, s15
	s_add_i32 s20, s20, s21
	s_mul_hi_u32 s30, s15, s31
	s_mul_hi_u32 s21, s15, s20
	s_mul_i32 s15, s15, s20
	s_add_u32 s15, s30, s15
	s_addc_u32 s21, 0, s21
	s_mul_hi_u32 s36, s14, s31
	s_mul_i32 s31, s14, s31
	s_add_u32 s15, s15, s31
	s_mul_hi_u32 s30, s14, s20
	s_addc_u32 s15, s21, s36
	s_addc_u32 s21, s30, 0
	s_mul_i32 s20, s14, s20
	s_add_u32 s15, s15, s20
	s_addc_u32 s20, 0, s21
	v_add_co_u32_e32 v2, vcc, s15, v2
	s_cmp_lg_u64 vcc, 0
	s_addc_u32 s14, s14, s20
	v_readfirstlane_b32 s20, v2
	s_mul_i32 s15, s0, s14
	s_mul_hi_u32 s21, s0, s20
	s_add_i32 s15, s21, s15
	s_mul_i32 s1, s1, s20
	s_add_i32 s15, s15, s1
	s_mul_i32 s0, s0, s20
	s_mul_hi_u32 s21, s14, s0
	s_mul_i32 s30, s14, s0
	s_mul_i32 s36, s20, s15
	s_mul_hi_u32 s0, s20, s0
	s_mul_hi_u32 s31, s20, s15
	s_add_u32 s0, s0, s36
	s_addc_u32 s20, 0, s31
	s_add_u32 s0, s0, s30
	s_mul_hi_u32 s1, s14, s15
	s_addc_u32 s0, s20, s21
	s_addc_u32 s1, s1, 0
	s_mul_i32 s15, s14, s15
	s_add_u32 s0, s0, s15
	s_addc_u32 s1, 0, s1
	v_add_co_u32_e32 v2, vcc, s0, v2
	s_cmp_lg_u64 vcc, 0
	s_addc_u32 s0, s14, s1
	v_readlane_b32 s30, v56, 31
	v_readfirstlane_b32 s15, v2
	s_mul_i32 s14, s30, s0
	s_mul_hi_u32 s20, s30, s15
	s_mul_hi_u32 s1, s30, s0
	s_add_u32 s14, s20, s14
	s_addc_u32 s1, 0, s1
	s_mul_hi_u32 s21, s37, s15
	s_mul_i32 s15, s37, s15
	s_add_u32 s14, s14, s15
	s_mul_hi_u32 s20, s37, s0
	s_addc_u32 s1, s1, s21
	s_addc_u32 s14, s20, 0
	s_mul_i32 s0, s37, s0
	s_add_u32 s0, s1, s0
	s_addc_u32 s1, 0, s14
	s_mul_hi_u32 s14, s33, s0
	s_mul_i32 s0, s33, s0
	s_mul_i32 s1, s33, s1
	v_mov_b32_e32 v2, s0
	s_add_i32 s14, s14, s1
	v_sub_co_u32_e32 v2, vcc, s30, v2
	s_cmp_lg_u64 vcc, 0
	s_subb_u32 s0, s37, s14
	v_subrev_co_u32_e32 v3, vcc, s33, v2
	s_cmp_lg_u64 vcc, 0
	s_subb_u32 s1, s0, 0
	v_subrev_co_u32_e32 v4, vcc, s33, v3
	s_cmp_lg_u64 vcc, 0
	s_subb_u32 s14, s1, 0
	v_cmp_le_u32_e32 vcc, s33, v3
	s_cmp_eq_u32 s1, 0
	v_cndmask_b32_e64 v5, 0, -1, vcc
	s_cselect_b64 vcc, -1, 0
	v_cndmask_b32_e32 v5, -1, v5, vcc
	v_mov_b32_e32 v6, s1
	v_mov_b32_e32 v7, s14
	v_cmp_ne_u32_e32 vcc, 0, v5
	v_cndmask_b32_e32 v5, v6, v7, vcc
	v_cndmask_b32_e32 v4, v3, v4, vcc
	v_cmp_le_u32_e32 vcc, s33, v2
	s_cmp_eq_u32 s0, 0
	v_cndmask_b32_e64 v3, 0, -1, vcc
	s_cselect_b64 vcc, -1, 0
	v_cndmask_b32_e32 v3, -1, v3, vcc
	v_mov_b32_e32 v6, s0
	v_cmp_ne_u32_e32 vcc, 0, v3
	v_cndmask_b32_e32 v3, v6, v5, vcc
	v_cndmask_b32_e32 v2, v2, v4, vcc
	s_cbranch_execnz .LBB153_325
.LBB153_324:                            ;   in Loop: Header=BB153_31 Depth=1
	v_cvt_f32_u32_e32 v2, s33
	s_sub_i32 s0, 0, s33
	v_rcp_iflag_f32_e32 v2, v2
	v_mul_f32_e32 v2, 0x4f7ffffe, v2
	v_cvt_u32_f32_e32 v2, v2
	v_mul_lo_u32 v3, s0, v2
	v_mul_hi_u32 v3, v2, v3
	v_add_u32_e32 v2, v2, v3
	v_readlane_b32 s0, v56, 31
	v_mul_hi_u32 v2, s0, v2
	v_mul_lo_u32 v2, v2, s33
	v_sub_u32_e32 v2, s0, v2
	v_subrev_u32_e32 v3, s33, v2
	v_cmp_le_u32_e32 vcc, s33, v2
	v_cndmask_b32_e32 v2, v2, v3, vcc
	v_subrev_u32_e32 v3, s33, v2
	v_cmp_le_u32_e32 vcc, s33, v2
	v_cndmask_b32_e32 v14, v2, v3, vcc
	v_pk_mov_b32 v[2:3], v[14:15], v[14:15] op_sel:[0,1]
.LBB153_325:                            ;   in Loop: Header=BB153_31 Depth=1
	v_readlane_b32 s0, v56, 33
	v_readlane_b32 s1, v56, 34
	;; [unrolled: 1-line block ×3, first 2 shown]
	v_mov_b32_e32 v4, s1
	v_sub_co_u32_e32 v2, vcc, s0, v2
	v_subb_co_u32_e32 v3, vcc, v4, v3, vcc
	v_cmp_gt_u64_e32 vcc, v[2:3], v[0:1]
	s_mov_b64 s[36:37], 0
                                        ; implicit-def: $vgpr31
	s_and_saveexec_b64 s[0:1], vcc
	s_cbranch_execz .LBB153_334
; %bb.326:                              ;   in Loop: Header=BB153_31 Depth=1
	s_mov_b64 s[14:15], 0
	v_pk_mov_b32 v[4:5], v[26:27], v[26:27] op_sel:[0,1]
	v_pk_mov_b32 v[6:7], v[0:1], v[0:1] op_sel:[0,1]
                                        ; implicit-def: $sgpr20_sgpr21
	s_branch .LBB153_328
.LBB153_327:                            ;   in Loop: Header=BB153_328 Depth=2
	s_or_b64 exec, exec, s[36:37]
	s_waitcnt lgkmcnt(0)
	s_barrier
	ds_read_b64 v[30:31], v15 offset:3072
	v_mov_b32_e32 v8, s92
	v_add_co_u32_e32 v6, vcc, s33, v6
	v_addc_co_u32_e32 v7, vcc, v7, v8, vcc
	s_waitcnt lgkmcnt(0)
	v_readfirstlane_b32 s30, v30
	s_cmp_lg_u32 s30, 0
	s_cselect_b64 s[30:31], -1, 0
	v_cmp_ge_u64_e32 vcc, v[6:7], v[2:3]
	s_or_b64 s[36:37], vcc, s[30:31]
	s_and_b64 s[36:37], exec, s[36:37]
	s_or_b64 s[14:15], s[36:37], s[14:15]
	v_mov_b32_e32 v8, s65
	v_add_co_u32_e32 v4, vcc, s64, v4
	s_andn2_b64 s[20:21], s[20:21], exec
	s_and_b64 s[30:31], s[30:31], exec
	v_addc_co_u32_e32 v5, vcc, v5, v8, vcc
	s_or_b64 s[20:21], s[20:21], s[30:31]
	s_barrier
	s_andn2_b64 exec, exec, s[14:15]
	s_cbranch_execz .LBB153_333
.LBB153_328:                            ;   Parent Loop BB153_31 Depth=1
                                        ; =>  This Inner Loop Header: Depth=2
	v_cmp_gt_u64_e32 vcc, s[60:61], v[6:7]
	s_waitcnt vmcnt(0)
	v_mov_b32_e32 v29, 0
	s_and_saveexec_b64 s[36:37], vcc
	s_cbranch_execz .LBB153_330
; %bb.329:                              ;   in Loop: Header=BB153_328 Depth=2
	global_load_dword v29, v[4:5], off
.LBB153_330:                            ;   in Loop: Header=BB153_328 Depth=2
	s_or_b64 exec, exec, s[36:37]
	s_and_saveexec_b64 s[36:37], vcc
	s_cbranch_execz .LBB153_327
; %bb.331:                              ;   in Loop: Header=BB153_328 Depth=2
	s_waitcnt vmcnt(0)
	v_xor_b32_e32 v8, 0x80000000, v29
	v_and_b32_e32 v8, v8, v53
	v_cmp_eq_u32_e32 vcc, v8, v54
	s_and_b64 exec, exec, vcc
	s_cbranch_execz .LBB153_327
; %bb.332:                              ;   in Loop: Header=BB153_328 Depth=2
	ds_write_b64 v15, v[28:29] offset:3072
	s_branch .LBB153_327
.LBB153_333:                            ;   in Loop: Header=BB153_31 Depth=1
	s_or_b64 exec, exec, s[14:15]
	s_and_b64 s[36:37], s[20:21], exec
.LBB153_334:                            ;   in Loop: Header=BB153_31 Depth=1
	s_or_b64 exec, exec, s[0:1]
	s_mov_b64 s[38:39], 0
	s_mov_b64 s[14:15], -1
	s_mov_b64 s[20:21], 0
.LBB153_335:                            ;   in Loop: Header=BB153_31 Depth=1
	s_orn2_b64 s[0:1], s[36:37], exec
.LBB153_336:                            ;   in Loop: Header=BB153_31 Depth=1
	s_or_b64 exec, exec, s[34:35]
                                        ; implicit-def: $vgpr8
                                        ; implicit-def: $vgpr4_vgpr5
                                        ; implicit-def: $vgpr30
                                        ; implicit-def: $vgpr36
                                        ; implicit-def: $vgpr3
	s_and_saveexec_b64 s[34:35], s[0:1]
	s_cbranch_execz .LBB153_499
; %bb.337:                              ;   in Loop: Header=BB153_31 Depth=1
	v_mov_b32_e32 v4, 1
	s_xor_b64 s[30:31], s[6:7], -1
	s_mov_b64 s[6:7], 0
	v_mov_b32_e32 v5, 0
	v_mov_b32_e32 v8, 1
	s_and_saveexec_b64 s[0:1], s[30:31]
	s_cbranch_execz .LBB153_347
; %bb.338:                              ;   in Loop: Header=BB153_31 Depth=1
	v_cmp_ge_u64_e32 vcc, s[24:25], v[32:33]
                                        ; implicit-def: $sgpr30
                                        ; implicit-def: $sgpr6_sgpr7
	s_and_saveexec_b64 s[36:37], vcc
	s_xor_b64 s[36:37], exec, s[36:37]
	s_cbranch_execz .LBB153_344
; %bb.339:                              ;   in Loop: Header=BB153_31 Depth=1
	ds_read_b64 v[2:3], v15 offset:5120
	s_waitcnt lgkmcnt(0)
	v_cmp_ne_u64_e32 vcc, 0, v[2:3]
	s_cbranch_vccnz .LBB153_343
; %bb.340:                              ;   in Loop: Header=BB153_31 Depth=1
	s_mov_b64 s[6:7], exec
	v_readlane_b32 s30, v56, 10
	v_readlane_b32 s31, v56, 11
	s_and_b64 s[30:31], s[6:7], s[30:31]
	s_mov_b64 exec, s[30:31]
	s_cbranch_execz .LBB153_342
; %bb.341:                              ;   in Loop: Header=BB153_31 Depth=1
	v_pk_mov_b32 v[2:3], s[24:25], s[24:25] op_sel:[0,1]
	ds_write_b64 v15, v[2:3] offset:5128
.LBB153_342:                            ;   in Loop: Header=BB153_31 Depth=1
	s_or_b64 exec, exec, s[6:7]
	s_waitcnt lgkmcnt(0)
	s_barrier
.LBB153_343:                            ;   in Loop: Header=BB153_31 Depth=1
	v_or_b32_e32 v54, s86, v54
	v_or_b32_e32 v53, s86, v53
	s_mov_b64 s[6:7], 0
	s_mov_b32 s30, 5
.LBB153_344:                            ;   in Loop: Header=BB153_31 Depth=1
	s_or_saveexec_b64 s[36:37], s[36:37]
	v_mov_b32_e32 v8, s30
	s_xor_b64 exec, exec, s[36:37]
; %bb.345:                              ;   in Loop: Header=BB153_31 Depth=1
	v_mov_b32_e32 v2, s25
	v_subrev_co_u32_e32 v32, vcc, s24, v32
	v_subb_co_u32_e32 v33, vcc, v33, v2, vcc
	v_mov_b32_e32 v8, 0
	s_or_b64 s[6:7], s[6:7], exec
; %bb.346:                              ;   in Loop: Header=BB153_31 Depth=1
	s_or_b64 exec, exec, s[36:37]
	s_and_b64 s[6:7], s[6:7], exec
	v_pk_mov_b32 v[4:5], v[32:33], v[32:33] op_sel:[0,1]
.LBB153_347:                            ;   in Loop: Header=BB153_31 Depth=1
	s_or_b64 exec, exec, s[0:1]
	s_mov_b64 s[36:37], -1
                                        ; implicit-def: $sgpr0_sgpr1
                                        ; implicit-def: $sgpr24_sgpr25
                                        ; implicit-def: $sgpr42_sgpr43
	s_and_saveexec_b64 s[30:31], s[6:7]
	s_xor_b64 s[6:7], exec, s[30:31]
	s_cbranch_execz .LBB153_496
; %bb.348:                              ;   in Loop: Header=BB153_31 Depth=1
	s_cmp_eq_u64 s[22:23], 1
	s_cselect_b64 s[0:1], -1, 0
	v_cmp_eq_u64_e32 vcc, 1, v[4:5]
	s_and_b64 s[44:45], s[0:1], vcc
	s_mov_b64 s[0:1], -1
                                        ; implicit-def: $sgpr24_sgpr25
                                        ; implicit-def: $sgpr36_sgpr37
                                        ; implicit-def: $sgpr40_sgpr41
	s_and_saveexec_b64 s[42:43], s[44:45]
	s_cbranch_execz .LBB153_382
; %bb.349:                              ;   in Loop: Header=BB153_31 Depth=1
	ds_read_b64 v[2:3], v15 offset:5120
	s_waitcnt lgkmcnt(0)
	s_barrier
	v_readfirstlane_b32 s0, v2
	v_readfirstlane_b32 s1, v3
	s_mov_b64 s[24:25], exec
	v_readlane_b32 s30, v56, 26
	v_readlane_b32 s31, v56, 27
	s_and_b64 s[30:31], s[24:25], s[30:31]
	s_mov_b64 exec, s[30:31]
	s_cbranch_execz .LBB153_351
; %bb.350:                              ;   in Loop: Header=BB153_31 Depth=1
	ds_write_b32 v49, v15
.LBB153_351:                            ;   in Loop: Header=BB153_31 Depth=1
	s_or_b64 exec, exec, s[24:25]
	v_readlane_b32 s24, v56, 62
	v_and_b32_e32 v2, s24, v54
	v_lshl_or_b32 v54, 2, s3, v2
	v_or_b32_e32 v53, s86, v53
	s_cmp_eq_u64 s[0:1], 0
	s_waitcnt lgkmcnt(0)
	s_barrier
	s_cbranch_scc1 .LBB153_365
; %bb.352:                              ;   in Loop: Header=BB153_31 Depth=1
	v_readlane_b32 s24, v56, 30
	s_add_u32 s30, s24, s0
	v_readlane_b32 s24, v56, 32
	s_addc_u32 s25, s24, s1
	s_mov_b32 s24, s87
	s_cmp_lg_u64 s[24:25], 0
	s_cbranch_scc0 .LBB153_409
; %bb.353:                              ;   in Loop: Header=BB153_31 Depth=1
	v_cvt_f32_u32_e32 v2, s33
	s_sub_u32 s24, 0, s33
	s_subb_u32 s31, 0, 0
	v_mac_f32_e32 v2, 0, v52
	v_rcp_f32_e32 v2, v2
	v_mul_f32_e32 v2, 0x5f7ffffc, v2
	v_mul_f32_e32 v3, 0x2f800000, v2
	v_trunc_f32_e32 v3, v3
	v_mac_f32_e32 v2, 0xcf800000, v3
	v_cvt_u32_f32_e32 v3, v3
	v_cvt_u32_f32_e32 v2, v2
	v_readfirstlane_b32 s36, v3
	v_readfirstlane_b32 s37, v2
	s_mul_i32 s40, s24, s36
	s_mul_hi_u32 s46, s24, s37
	s_mul_i32 s41, s31, s37
	s_add_i32 s40, s46, s40
	s_mul_i32 s47, s24, s37
	s_add_i32 s40, s40, s41
	s_mul_hi_u32 s46, s37, s47
	s_mul_hi_u32 s41, s37, s40
	s_mul_i32 s37, s37, s40
	s_add_u32 s37, s46, s37
	s_addc_u32 s41, 0, s41
	s_mul_hi_u32 s48, s36, s47
	s_mul_i32 s47, s36, s47
	s_add_u32 s37, s37, s47
	s_mul_hi_u32 s46, s36, s40
	s_addc_u32 s37, s41, s48
	s_addc_u32 s41, s46, 0
	s_mul_i32 s40, s36, s40
	s_add_u32 s37, s37, s40
	s_addc_u32 s40, 0, s41
	v_add_co_u32_e32 v2, vcc, s37, v2
	s_cmp_lg_u64 vcc, 0
	s_addc_u32 s36, s36, s40
	v_readfirstlane_b32 s40, v2
	s_mul_i32 s37, s24, s36
	s_mul_hi_u32 s41, s24, s40
	s_add_i32 s37, s41, s37
	s_mul_i32 s31, s31, s40
	s_add_i32 s37, s37, s31
	s_mul_i32 s24, s24, s40
	s_mul_hi_u32 s41, s36, s24
	s_mul_i32 s46, s36, s24
	s_mul_i32 s48, s40, s37
	s_mul_hi_u32 s24, s40, s24
	s_mul_hi_u32 s47, s40, s37
	s_add_u32 s24, s24, s48
	s_addc_u32 s40, 0, s47
	s_add_u32 s24, s24, s46
	s_mul_hi_u32 s31, s36, s37
	s_addc_u32 s24, s40, s41
	s_addc_u32 s31, s31, 0
	s_mul_i32 s37, s36, s37
	s_add_u32 s24, s24, s37
	s_addc_u32 s31, 0, s31
	v_add_co_u32_e32 v2, vcc, s24, v2
	s_cmp_lg_u64 vcc, 0
	s_addc_u32 s24, s36, s31
	v_readfirstlane_b32 s37, v2
	s_mul_i32 s36, s30, s24
	s_mul_hi_u32 s40, s30, s37
	s_mul_hi_u32 s31, s30, s24
	s_add_u32 s36, s40, s36
	s_addc_u32 s31, 0, s31
	s_mul_hi_u32 s41, s25, s37
	s_mul_i32 s37, s25, s37
	s_add_u32 s36, s36, s37
	s_mul_hi_u32 s40, s25, s24
	s_addc_u32 s31, s31, s41
	s_addc_u32 s36, s40, 0
	s_mul_i32 s24, s25, s24
	s_add_u32 s24, s31, s24
	s_addc_u32 s31, 0, s36
	s_mul_hi_u32 s36, s33, s24
	s_mul_i32 s24, s33, s24
	s_mul_i32 s31, s33, s31
	v_mov_b32_e32 v2, s24
	s_add_i32 s36, s36, s31
	v_sub_co_u32_e32 v2, vcc, s30, v2
	s_cmp_lg_u64 vcc, 0
	s_subb_u32 s24, s25, s36
	v_subrev_co_u32_e32 v3, vcc, s33, v2
	s_cmp_lg_u64 vcc, 0
	s_subb_u32 s31, s24, 0
	v_subrev_co_u32_e32 v6, vcc, s33, v3
	s_cmp_lg_u64 vcc, 0
	s_subb_u32 s36, s31, 0
	v_cmp_le_u32_e32 vcc, s33, v3
	s_cmp_eq_u32 s31, 0
	v_cndmask_b32_e64 v7, 0, -1, vcc
	s_cselect_b64 vcc, -1, 0
	v_cndmask_b32_e32 v7, -1, v7, vcc
	v_mov_b32_e32 v8, s31
	v_mov_b32_e32 v9, s36
	v_cmp_ne_u32_e32 vcc, 0, v7
	v_cndmask_b32_e32 v7, v8, v9, vcc
	v_cndmask_b32_e32 v6, v3, v6, vcc
	v_cmp_le_u32_e32 vcc, s33, v2
	s_cmp_eq_u32 s24, 0
	v_cndmask_b32_e64 v3, 0, -1, vcc
	s_cselect_b64 vcc, -1, 0
	v_cndmask_b32_e32 v3, -1, v3, vcc
	v_mov_b32_e32 v8, s24
	v_cmp_ne_u32_e32 vcc, 0, v3
	v_cndmask_b32_e32 v3, v8, v7, vcc
	v_cndmask_b32_e32 v2, v2, v6, vcc
	s_cbranch_execnz .LBB153_355
.LBB153_354:                            ;   in Loop: Header=BB153_31 Depth=1
	v_cvt_f32_u32_e32 v2, s33
	s_sub_i32 s24, 0, s33
	v_rcp_iflag_f32_e32 v2, v2
	v_mul_f32_e32 v2, 0x4f7ffffe, v2
	v_cvt_u32_f32_e32 v2, v2
	v_mul_lo_u32 v3, s24, v2
	v_mul_hi_u32 v3, v2, v3
	v_add_u32_e32 v2, v2, v3
	v_mul_hi_u32 v2, s30, v2
	v_mul_lo_u32 v2, v2, s33
	v_sub_u32_e32 v2, s30, v2
	v_subrev_u32_e32 v3, s33, v2
	v_cmp_le_u32_e32 vcc, s33, v2
	v_cndmask_b32_e32 v2, v2, v3, vcc
	v_subrev_u32_e32 v3, s33, v2
	v_cmp_le_u32_e32 vcc, s33, v2
	v_cndmask_b32_e32 v14, v2, v3, vcc
	v_pk_mov_b32 v[2:3], v[14:15], v[14:15] op_sel:[0,1]
.LBB153_355:                            ;   in Loop: Header=BB153_31 Depth=1
	v_mov_b32_e32 v6, s25
	v_sub_co_u32_e32 v2, vcc, s30, v2
	v_subb_co_u32_e32 v3, vcc, v6, v3, vcc
	v_cmp_gt_u64_e32 vcc, v[2:3], v[0:1]
	s_mov_b64 s[46:47], 0
                                        ; implicit-def: $vgpr31
	s_and_saveexec_b64 s[24:25], vcc
	s_cbranch_execz .LBB153_367
; %bb.356:                              ;   in Loop: Header=BB153_31 Depth=1
	s_mov_b64 s[36:37], 0
	v_mov_b32_e32 v8, v16
	v_pk_mov_b32 v[6:7], v[0:1], v[0:1] op_sel:[0,1]
                                        ; implicit-def: $sgpr40_sgpr41
	s_branch .LBB153_358
.LBB153_357:                            ;   in Loop: Header=BB153_358 Depth=2
	s_or_b64 exec, exec, s[46:47]
	s_waitcnt lgkmcnt(0)
	s_barrier
	ds_read_b64 v[30:31], v15 offset:3072
	v_mov_b32_e32 v9, s92
	v_add_co_u32_e32 v6, vcc, s33, v6
	v_addc_co_u32_e32 v7, vcc, v7, v9, vcc
	s_waitcnt lgkmcnt(0)
	v_readfirstlane_b32 s30, v30
	s_cmp_lg_u32 s30, 0
	s_cselect_b64 s[30:31], -1, 0
	v_cmp_ge_u64_e32 vcc, v[6:7], v[2:3]
	s_or_b64 s[46:47], vcc, s[30:31]
	s_and_b64 s[46:47], exec, s[46:47]
	s_or_b64 s[36:37], s[46:47], s[36:37]
	s_andn2_b64 s[40:41], s[40:41], exec
	s_and_b64 s[30:31], s[30:31], exec
	v_add_u32_e32 v8, s2, v8
	s_or_b64 s[40:41], s[40:41], s[30:31]
	s_barrier
	s_andn2_b64 exec, exec, s[36:37]
	s_cbranch_execz .LBB153_366
.LBB153_358:                            ;   Parent Loop BB153_31 Depth=1
                                        ; =>  This Inner Loop Header: Depth=2
	v_cmp_gt_u64_e32 vcc, s[0:1], v[6:7]
	s_waitcnt vmcnt(0)
	v_mov_b32_e32 v29, 0
	s_and_saveexec_b64 s[46:47], vcc
	s_cbranch_execz .LBB153_360
; %bb.359:                              ;   in Loop: Header=BB153_358 Depth=2
	ds_read_b32 v29, v8
.LBB153_360:                            ;   in Loop: Header=BB153_358 Depth=2
	s_or_b64 exec, exec, s[46:47]
	s_and_saveexec_b64 s[46:47], vcc
	s_cbranch_execz .LBB153_357
; %bb.361:                              ;   in Loop: Header=BB153_358 Depth=2
	s_waitcnt lgkmcnt(0)
	v_xor_b32_e32 v9, 0x80000000, v29
	v_and_b32_e32 v9, v9, v53
	v_cmp_eq_u32_e32 vcc, v9, v54
	s_and_b64 exec, exec, vcc
	s_cbranch_execz .LBB153_357
; %bb.362:                              ;   in Loop: Header=BB153_358 Depth=2
	ds_write_b64 v15, v[28:29] offset:3072
	s_branch .LBB153_357
.LBB153_363:                            ;   in Loop: Header=BB153_31 Depth=1
                                        ; implicit-def: $vgpr2_vgpr3
	s_branch .LBB153_310
.LBB153_364:                            ;   in Loop: Header=BB153_31 Depth=1
                                        ; implicit-def: $vgpr2_vgpr3
	s_branch .LBB153_324
.LBB153_365:                            ;   in Loop: Header=BB153_31 Depth=1
	s_mov_b64 s[24:25], -1
	s_mov_b64 s[46:47], 0
                                        ; implicit-def: $sgpr36_sgpr37
                                        ; implicit-def: $vgpr31
	s_mov_b64 s[40:41], s[24:25]
	s_cbranch_execnz .LBB153_368
	s_branch .LBB153_381
.LBB153_366:                            ;   in Loop: Header=BB153_31 Depth=1
	s_or_b64 exec, exec, s[36:37]
	s_and_b64 s[46:47], s[40:41], exec
.LBB153_367:                            ;   in Loop: Header=BB153_31 Depth=1
	s_or_b64 exec, exec, s[24:25]
	s_mov_b64 s[24:25], 0
	s_mov_b64 s[36:37], -1
	s_mov_b64 s[40:41], s[24:25]
	s_branch .LBB153_381
.LBB153_368:                            ;   in Loop: Header=BB153_31 Depth=1
	v_readlane_b32 s40, v56, 33
	v_readlane_b32 s41, v56, 34
	s_mov_b32 s40, s87
	s_cmp_lg_u64 s[40:41], 0
	v_writelane_b32 v56, s40, 33
	v_writelane_b32 v56, s41, 34
	s_cbranch_scc0 .LBB153_410
; %bb.369:                              ;   in Loop: Header=BB153_31 Depth=1
	v_cvt_f32_u32_e32 v2, s33
	s_sub_u32 s0, 0, s33
	s_subb_u32 s1, 0, 0
	v_mac_f32_e32 v2, 0, v52
	v_rcp_f32_e32 v2, v2
	v_mul_f32_e32 v2, 0x5f7ffffc, v2
	v_mul_f32_e32 v3, 0x2f800000, v2
	v_trunc_f32_e32 v3, v3
	v_mac_f32_e32 v2, 0xcf800000, v3
	v_cvt_u32_f32_e32 v3, v3
	v_cvt_u32_f32_e32 v2, v2
	v_readfirstlane_b32 s24, v3
	v_readfirstlane_b32 s25, v2
	s_mul_i32 s30, s0, s24
	s_mul_hi_u32 s36, s0, s25
	s_mul_i32 s31, s1, s25
	s_add_i32 s30, s36, s30
	s_mul_i32 s37, s0, s25
	s_add_i32 s30, s30, s31
	s_mul_hi_u32 s36, s25, s37
	s_mul_hi_u32 s31, s25, s30
	s_mul_i32 s25, s25, s30
	s_add_u32 s25, s36, s25
	s_addc_u32 s31, 0, s31
	s_mul_hi_u32 s40, s24, s37
	s_mul_i32 s37, s24, s37
	s_add_u32 s25, s25, s37
	s_mul_hi_u32 s36, s24, s30
	s_addc_u32 s25, s31, s40
	s_addc_u32 s31, s36, 0
	s_mul_i32 s30, s24, s30
	s_add_u32 s25, s25, s30
	s_addc_u32 s30, 0, s31
	v_add_co_u32_e32 v2, vcc, s25, v2
	s_cmp_lg_u64 vcc, 0
	s_addc_u32 s24, s24, s30
	v_readfirstlane_b32 s30, v2
	s_mul_i32 s25, s0, s24
	s_mul_hi_u32 s31, s0, s30
	s_add_i32 s25, s31, s25
	s_mul_i32 s1, s1, s30
	s_add_i32 s25, s25, s1
	s_mul_i32 s0, s0, s30
	s_mul_hi_u32 s31, s24, s0
	s_mul_i32 s36, s24, s0
	s_mul_i32 s40, s30, s25
	s_mul_hi_u32 s0, s30, s0
	s_mul_hi_u32 s37, s30, s25
	s_add_u32 s0, s0, s40
	s_addc_u32 s30, 0, s37
	s_add_u32 s0, s0, s36
	s_mul_hi_u32 s1, s24, s25
	s_addc_u32 s0, s30, s31
	s_addc_u32 s1, s1, 0
	s_mul_i32 s25, s24, s25
	s_add_u32 s0, s0, s25
	s_addc_u32 s1, 0, s1
	v_add_co_u32_e32 v2, vcc, s0, v2
	s_cmp_lg_u64 vcc, 0
	s_addc_u32 s0, s24, s1
	v_readlane_b32 s36, v56, 31
	v_readfirstlane_b32 s25, v2
	s_mul_i32 s24, s36, s0
	s_mul_hi_u32 s30, s36, s25
	s_mul_hi_u32 s1, s36, s0
	s_add_u32 s24, s30, s24
	s_addc_u32 s1, 0, s1
	s_mul_hi_u32 s31, s41, s25
	s_mul_i32 s25, s41, s25
	s_add_u32 s24, s24, s25
	s_mul_hi_u32 s30, s41, s0
	s_addc_u32 s1, s1, s31
	s_addc_u32 s24, s30, 0
	s_mul_i32 s0, s41, s0
	s_add_u32 s0, s1, s0
	s_addc_u32 s1, 0, s24
	s_mul_hi_u32 s24, s33, s0
	s_mul_i32 s0, s33, s0
	s_mul_i32 s1, s33, s1
	v_mov_b32_e32 v2, s0
	s_add_i32 s24, s24, s1
	v_sub_co_u32_e32 v2, vcc, s36, v2
	s_cmp_lg_u64 vcc, 0
	s_subb_u32 s0, s41, s24
	v_subrev_co_u32_e32 v3, vcc, s33, v2
	s_cmp_lg_u64 vcc, 0
	s_subb_u32 s1, s0, 0
	v_subrev_co_u32_e32 v6, vcc, s33, v3
	s_cmp_lg_u64 vcc, 0
	s_subb_u32 s24, s1, 0
	v_cmp_le_u32_e32 vcc, s33, v3
	s_cmp_eq_u32 s1, 0
	v_cndmask_b32_e64 v7, 0, -1, vcc
	s_cselect_b64 vcc, -1, 0
	v_cndmask_b32_e32 v7, -1, v7, vcc
	v_mov_b32_e32 v8, s1
	v_mov_b32_e32 v9, s24
	v_cmp_ne_u32_e32 vcc, 0, v7
	v_cndmask_b32_e32 v7, v8, v9, vcc
	v_cndmask_b32_e32 v6, v3, v6, vcc
	v_cmp_le_u32_e32 vcc, s33, v2
	s_cmp_eq_u32 s0, 0
	v_cndmask_b32_e64 v3, 0, -1, vcc
	s_cselect_b64 vcc, -1, 0
	v_cndmask_b32_e32 v3, -1, v3, vcc
	v_mov_b32_e32 v8, s0
	v_cmp_ne_u32_e32 vcc, 0, v3
	v_cndmask_b32_e32 v3, v8, v7, vcc
	v_cndmask_b32_e32 v2, v2, v6, vcc
	s_cbranch_execnz .LBB153_371
.LBB153_370:                            ;   in Loop: Header=BB153_31 Depth=1
	v_cvt_f32_u32_e32 v2, s33
	s_sub_i32 s0, 0, s33
	v_rcp_iflag_f32_e32 v2, v2
	v_mul_f32_e32 v2, 0x4f7ffffe, v2
	v_cvt_u32_f32_e32 v2, v2
	v_mul_lo_u32 v3, s0, v2
	v_mul_hi_u32 v3, v2, v3
	v_add_u32_e32 v2, v2, v3
	v_readlane_b32 s0, v56, 31
	v_mul_hi_u32 v2, s0, v2
	v_mul_lo_u32 v2, v2, s33
	v_sub_u32_e32 v2, s0, v2
	v_subrev_u32_e32 v3, s33, v2
	v_cmp_le_u32_e32 vcc, s33, v2
	v_cndmask_b32_e32 v2, v2, v3, vcc
	v_subrev_u32_e32 v3, s33, v2
	v_cmp_le_u32_e32 vcc, s33, v2
	v_cndmask_b32_e32 v14, v2, v3, vcc
	v_pk_mov_b32 v[2:3], v[14:15], v[14:15] op_sel:[0,1]
.LBB153_371:                            ;   in Loop: Header=BB153_31 Depth=1
	v_readlane_b32 s0, v56, 33
	v_readlane_b32 s1, v56, 34
	v_readlane_b32 s0, v56, 31
	v_mov_b32_e32 v6, s1
	v_sub_co_u32_e32 v2, vcc, s0, v2
	v_subb_co_u32_e32 v3, vcc, v6, v3, vcc
	v_cmp_gt_u64_e32 vcc, v[2:3], v[0:1]
	s_mov_b64 s[46:47], 0
                                        ; implicit-def: $vgpr31
	s_and_saveexec_b64 s[0:1], vcc
	s_cbranch_execz .LBB153_380
; %bb.372:                              ;   in Loop: Header=BB153_31 Depth=1
	s_mov_b64 s[24:25], 0
	v_pk_mov_b32 v[6:7], v[26:27], v[26:27] op_sel:[0,1]
	v_pk_mov_b32 v[8:9], v[0:1], v[0:1] op_sel:[0,1]
                                        ; implicit-def: $sgpr36_sgpr37
	s_branch .LBB153_374
.LBB153_373:                            ;   in Loop: Header=BB153_374 Depth=2
	s_or_b64 exec, exec, s[40:41]
	s_waitcnt lgkmcnt(0)
	s_barrier
	ds_read_b64 v[30:31], v15 offset:3072
	v_mov_b32_e32 v14, s92
	v_add_co_u32_e32 v8, vcc, s33, v8
	v_addc_co_u32_e32 v9, vcc, v9, v14, vcc
	s_waitcnt lgkmcnt(0)
	v_readfirstlane_b32 s30, v30
	s_cmp_lg_u32 s30, 0
	s_cselect_b64 s[30:31], -1, 0
	v_cmp_ge_u64_e32 vcc, v[8:9], v[2:3]
	s_or_b64 s[40:41], vcc, s[30:31]
	s_and_b64 s[40:41], exec, s[40:41]
	s_or_b64 s[24:25], s[40:41], s[24:25]
	v_mov_b32_e32 v14, s65
	v_add_co_u32_e32 v6, vcc, s64, v6
	s_andn2_b64 s[36:37], s[36:37], exec
	s_and_b64 s[30:31], s[30:31], exec
	v_addc_co_u32_e32 v7, vcc, v7, v14, vcc
	s_or_b64 s[36:37], s[36:37], s[30:31]
	s_barrier
	s_andn2_b64 exec, exec, s[24:25]
	s_cbranch_execz .LBB153_379
.LBB153_374:                            ;   Parent Loop BB153_31 Depth=1
                                        ; =>  This Inner Loop Header: Depth=2
	v_cmp_gt_u64_e32 vcc, s[60:61], v[8:9]
	s_waitcnt vmcnt(0)
	v_mov_b32_e32 v29, 0
	s_and_saveexec_b64 s[40:41], vcc
	s_cbranch_execz .LBB153_376
; %bb.375:                              ;   in Loop: Header=BB153_374 Depth=2
	global_load_dword v29, v[6:7], off
.LBB153_376:                            ;   in Loop: Header=BB153_374 Depth=2
	s_or_b64 exec, exec, s[40:41]
	s_and_saveexec_b64 s[40:41], vcc
	s_cbranch_execz .LBB153_373
; %bb.377:                              ;   in Loop: Header=BB153_374 Depth=2
	s_waitcnt vmcnt(0)
	v_xor_b32_e32 v14, 0x80000000, v29
	v_and_b32_e32 v14, v14, v53
	v_cmp_eq_u32_e32 vcc, v14, v54
	s_and_b64 exec, exec, vcc
	s_cbranch_execz .LBB153_373
; %bb.378:                              ;   in Loop: Header=BB153_374 Depth=2
	ds_write_b64 v15, v[28:29] offset:3072
	s_branch .LBB153_373
.LBB153_379:                            ;   in Loop: Header=BB153_31 Depth=1
	s_or_b64 exec, exec, s[24:25]
	s_and_b64 s[46:47], s[36:37], exec
.LBB153_380:                            ;   in Loop: Header=BB153_31 Depth=1
	s_or_b64 exec, exec, s[0:1]
	s_mov_b64 s[36:37], 0
	s_mov_b64 s[24:25], -1
	s_mov_b64 s[40:41], 0
.LBB153_381:                            ;   in Loop: Header=BB153_31 Depth=1
	s_orn2_b64 s[0:1], s[46:47], exec
.LBB153_382:                            ;   in Loop: Header=BB153_31 Depth=1
	s_or_b64 exec, exec, s[42:43]
	s_mov_b64 s[46:47], 0
                                        ; implicit-def: $vgpr8
	s_and_saveexec_b64 s[42:43], s[0:1]
	s_cbranch_execz .LBB153_495
; %bb.383:                              ;   in Loop: Header=BB153_31 Depth=1
	v_mov_b32_e32 v2, 1
	s_xor_b64 s[30:31], s[44:45], -1
	s_mov_b64 s[48:49], 0
	v_mov_b32_e32 v3, 0
	v_mov_b32_e32 v8, 1
	s_and_saveexec_b64 s[0:1], s[30:31]
	s_cbranch_execz .LBB153_393
; %bb.384:                              ;   in Loop: Header=BB153_31 Depth=1
	v_cmp_ge_u64_e32 vcc, s[22:23], v[4:5]
                                        ; implicit-def: $sgpr30
                                        ; implicit-def: $sgpr44_sgpr45
	s_and_saveexec_b64 s[46:47], vcc
	s_xor_b64 s[46:47], exec, s[46:47]
	s_cbranch_execz .LBB153_390
; %bb.385:                              ;   in Loop: Header=BB153_31 Depth=1
	ds_read_b64 v[2:3], v15 offset:5120
	s_waitcnt lgkmcnt(0)
	v_cmp_ne_u64_e32 vcc, 0, v[2:3]
	s_cbranch_vccnz .LBB153_389
; %bb.386:                              ;   in Loop: Header=BB153_31 Depth=1
	s_mov_b64 s[44:45], exec
	v_readlane_b32 s30, v56, 10
	v_readlane_b32 s31, v56, 11
	s_and_b64 s[30:31], s[44:45], s[30:31]
	s_mov_b64 exec, s[30:31]
	s_cbranch_execz .LBB153_388
; %bb.387:                              ;   in Loop: Header=BB153_31 Depth=1
	v_pk_mov_b32 v[2:3], s[22:23], s[22:23] op_sel:[0,1]
	ds_write_b64 v15, v[2:3] offset:5128
.LBB153_388:                            ;   in Loop: Header=BB153_31 Depth=1
	s_or_b64 exec, exec, s[44:45]
	s_waitcnt lgkmcnt(0)
	s_barrier
.LBB153_389:                            ;   in Loop: Header=BB153_31 Depth=1
	v_readlane_b32 s30, v56, 62
	v_and_b32_e32 v2, s30, v54
	v_lshl_or_b32 v54, 2, s3, v2
	v_or_b32_e32 v53, s86, v53
	s_mov_b64 s[44:45], 0
	s_mov_b32 s30, 5
.LBB153_390:                            ;   in Loop: Header=BB153_31 Depth=1
	s_or_saveexec_b64 s[46:47], s[46:47]
	v_mov_b32_e32 v8, s30
	s_xor_b64 exec, exec, s[46:47]
; %bb.391:                              ;   in Loop: Header=BB153_31 Depth=1
	v_mov_b32_e32 v2, s23
	v_subrev_co_u32_e32 v4, vcc, s22, v4
	v_subb_co_u32_e32 v5, vcc, v5, v2, vcc
	v_mov_b32_e32 v8, 0
	s_or_b64 s[44:45], s[44:45], exec
; %bb.392:                              ;   in Loop: Header=BB153_31 Depth=1
	s_or_b64 exec, exec, s[46:47]
	s_and_b64 s[48:49], s[44:45], exec
	v_pk_mov_b32 v[2:3], v[4:5], v[4:5] op_sel:[0,1]
.LBB153_393:                            ;   in Loop: Header=BB153_31 Depth=1
	s_or_b64 exec, exec, s[0:1]
	s_mov_b64 s[0:1], -1
                                        ; implicit-def: $sgpr44_sgpr45
                                        ; implicit-def: $sgpr46_sgpr47
                                        ; implicit-def: $sgpr50_sgpr51
	s_and_saveexec_b64 s[22:23], s[48:49]
	s_cbranch_execz .LBB153_494
; %bb.394:                              ;   in Loop: Header=BB153_31 Depth=1
	s_cmp_eq_u64 s[18:19], 1
	s_cselect_b64 s[0:1], -1, 0
	v_cmp_eq_u64_e32 vcc, 1, v[2:3]
	s_and_b64 s[52:53], s[0:1], vcc
	s_mov_b64 s[54:55], -1
                                        ; implicit-def: $sgpr44_sgpr45
                                        ; implicit-def: $sgpr46_sgpr47
                                        ; implicit-def: $sgpr48_sgpr49
	s_and_saveexec_b64 s[50:51], s[52:53]
	s_cbranch_execz .LBB153_428
; %bb.395:                              ;   in Loop: Header=BB153_31 Depth=1
	ds_read_b64 v[4:5], v15 offset:5120
	s_waitcnt lgkmcnt(0)
	s_barrier
	v_readfirstlane_b32 s0, v4
	v_readfirstlane_b32 s1, v5
	s_mov_b64 s[44:45], exec
	v_readlane_b32 s30, v56, 26
	v_readlane_b32 s31, v56, 27
	s_and_b64 s[30:31], s[44:45], s[30:31]
	s_mov_b64 exec, s[30:31]
	s_cbranch_execz .LBB153_397
; %bb.396:                              ;   in Loop: Header=BB153_31 Depth=1
	ds_write_b32 v49, v15
.LBB153_397:                            ;   in Loop: Header=BB153_31 Depth=1
	s_or_b64 exec, exec, s[44:45]
	v_readlane_b32 s30, v56, 62
	v_and_b32_e32 v4, s30, v54
	v_lshl_or_b32 v54, 1, s3, v4
	v_or_b32_e32 v53, s86, v53
	s_cmp_eq_u64 s[0:1], 0
	s_waitcnt lgkmcnt(0)
	s_barrier
	s_cbranch_scc1 .LBB153_411
; %bb.398:                              ;   in Loop: Header=BB153_31 Depth=1
	v_readlane_b32 s30, v56, 30
	s_add_u32 s30, s30, s0
	v_readlane_b32 s31, v56, 32
	s_addc_u32 s45, s31, s1
	s_mov_b32 s44, s87
	s_cmp_lg_u64 s[44:45], 0
	s_cbranch_scc0 .LBB153_446
; %bb.399:                              ;   in Loop: Header=BB153_31 Depth=1
	v_cvt_f32_u32_e32 v4, s33
	s_sub_u32 s31, 0, s33
	s_subb_u32 s44, 0, 0
	v_mac_f32_e32 v4, 0, v52
	v_rcp_f32_e32 v4, v4
	v_mul_f32_e32 v4, 0x5f7ffffc, v4
	v_mul_f32_e32 v5, 0x2f800000, v4
	v_trunc_f32_e32 v5, v5
	v_mac_f32_e32 v4, 0xcf800000, v5
	v_cvt_u32_f32_e32 v5, v5
	v_cvt_u32_f32_e32 v4, v4
	v_readfirstlane_b32 s46, v5
	v_readfirstlane_b32 s47, v4
	s_mul_i32 s48, s31, s46
	s_mul_hi_u32 s54, s31, s47
	s_mul_i32 s49, s44, s47
	s_add_i32 s48, s54, s48
	s_mul_i32 s55, s31, s47
	s_add_i32 s48, s48, s49
	s_mul_hi_u32 s54, s47, s55
	s_mul_hi_u32 s49, s47, s48
	s_mul_i32 s47, s47, s48
	s_add_u32 s47, s54, s47
	s_addc_u32 s49, 0, s49
	s_mul_hi_u32 s66, s46, s55
	s_mul_i32 s55, s46, s55
	s_add_u32 s47, s47, s55
	s_mul_hi_u32 s54, s46, s48
	s_addc_u32 s47, s49, s66
	s_addc_u32 s49, s54, 0
	s_mul_i32 s48, s46, s48
	s_add_u32 s47, s47, s48
	s_addc_u32 s48, 0, s49
	v_add_co_u32_e32 v4, vcc, s47, v4
	s_cmp_lg_u64 vcc, 0
	s_addc_u32 s46, s46, s48
	v_readfirstlane_b32 s48, v4
	s_mul_i32 s47, s31, s46
	s_mul_hi_u32 s49, s31, s48
	s_add_i32 s47, s49, s47
	s_mul_i32 s44, s44, s48
	s_add_i32 s47, s47, s44
	s_mul_i32 s31, s31, s48
	s_mul_hi_u32 s49, s46, s31
	s_mul_i32 s54, s46, s31
	s_mul_i32 s66, s48, s47
	s_mul_hi_u32 s31, s48, s31
	s_mul_hi_u32 s55, s48, s47
	s_add_u32 s31, s31, s66
	s_addc_u32 s48, 0, s55
	s_add_u32 s31, s31, s54
	s_mul_hi_u32 s44, s46, s47
	s_addc_u32 s31, s48, s49
	s_addc_u32 s44, s44, 0
	s_mul_i32 s47, s46, s47
	s_add_u32 s31, s31, s47
	s_addc_u32 s44, 0, s44
	v_add_co_u32_e32 v4, vcc, s31, v4
	s_cmp_lg_u64 vcc, 0
	s_addc_u32 s31, s46, s44
	v_readfirstlane_b32 s47, v4
	s_mul_i32 s46, s30, s31
	s_mul_hi_u32 s48, s30, s47
	s_mul_hi_u32 s44, s30, s31
	s_add_u32 s46, s48, s46
	s_addc_u32 s44, 0, s44
	s_mul_hi_u32 s49, s45, s47
	s_mul_i32 s47, s45, s47
	s_add_u32 s46, s46, s47
	s_mul_hi_u32 s48, s45, s31
	s_addc_u32 s44, s44, s49
	s_addc_u32 s46, s48, 0
	s_mul_i32 s31, s45, s31
	s_add_u32 s31, s44, s31
	s_addc_u32 s44, 0, s46
	s_mul_hi_u32 s46, s33, s31
	s_mul_i32 s31, s33, s31
	s_mul_i32 s44, s33, s44
	v_mov_b32_e32 v4, s31
	s_add_i32 s46, s46, s44
	v_sub_co_u32_e32 v4, vcc, s30, v4
	s_cmp_lg_u64 vcc, 0
	s_subb_u32 s31, s45, s46
	v_subrev_co_u32_e32 v5, vcc, s33, v4
	s_cmp_lg_u64 vcc, 0
	s_subb_u32 s44, s31, 0
	v_subrev_co_u32_e32 v6, vcc, s33, v5
	s_cmp_lg_u64 vcc, 0
	s_subb_u32 s46, s44, 0
	v_cmp_le_u32_e32 vcc, s33, v5
	s_cmp_eq_u32 s44, 0
	v_cndmask_b32_e64 v7, 0, -1, vcc
	s_cselect_b64 vcc, -1, 0
	v_cndmask_b32_e32 v7, -1, v7, vcc
	v_mov_b32_e32 v8, s44
	v_mov_b32_e32 v9, s46
	v_cmp_ne_u32_e32 vcc, 0, v7
	v_cndmask_b32_e32 v7, v8, v9, vcc
	v_cndmask_b32_e32 v6, v5, v6, vcc
	v_cmp_le_u32_e32 vcc, s33, v4
	s_cmp_eq_u32 s31, 0
	v_cndmask_b32_e64 v5, 0, -1, vcc
	s_cselect_b64 vcc, -1, 0
	v_cndmask_b32_e32 v5, -1, v5, vcc
	v_mov_b32_e32 v8, s31
	v_cmp_ne_u32_e32 vcc, 0, v5
	v_cndmask_b32_e32 v5, v8, v7, vcc
	v_cndmask_b32_e32 v4, v4, v6, vcc
	s_cbranch_execnz .LBB153_401
.LBB153_400:                            ;   in Loop: Header=BB153_31 Depth=1
	v_cvt_f32_u32_e32 v4, s33
	s_sub_i32 s31, 0, s33
	v_rcp_iflag_f32_e32 v4, v4
	v_mul_f32_e32 v4, 0x4f7ffffe, v4
	v_cvt_u32_f32_e32 v4, v4
	v_mul_lo_u32 v5, s31, v4
	v_mul_hi_u32 v5, v4, v5
	v_add_u32_e32 v4, v4, v5
	v_mul_hi_u32 v4, s30, v4
	v_mul_lo_u32 v4, v4, s33
	v_sub_u32_e32 v4, s30, v4
	v_subrev_u32_e32 v5, s33, v4
	v_cmp_le_u32_e32 vcc, s33, v4
	v_cndmask_b32_e32 v4, v4, v5, vcc
	v_subrev_u32_e32 v5, s33, v4
	v_cmp_le_u32_e32 vcc, s33, v4
	v_cndmask_b32_e32 v14, v4, v5, vcc
	v_pk_mov_b32 v[4:5], v[14:15], v[14:15] op_sel:[0,1]
.LBB153_401:                            ;   in Loop: Header=BB153_31 Depth=1
	v_mov_b32_e32 v6, s45
	v_sub_co_u32_e32 v4, vcc, s30, v4
	v_subb_co_u32_e32 v5, vcc, v6, v5, vcc
	v_cmp_gt_u64_e32 vcc, v[4:5], v[0:1]
	s_mov_b64 s[54:55], 0
                                        ; implicit-def: $vgpr31
	s_and_saveexec_b64 s[44:45], vcc
	s_cbranch_execz .LBB153_413
; %bb.402:                              ;   in Loop: Header=BB153_31 Depth=1
	s_mov_b64 s[46:47], 0
	v_mov_b32_e32 v8, v16
	v_pk_mov_b32 v[6:7], v[0:1], v[0:1] op_sel:[0,1]
                                        ; implicit-def: $sgpr48_sgpr49
	s_branch .LBB153_404
.LBB153_403:                            ;   in Loop: Header=BB153_404 Depth=2
	s_or_b64 exec, exec, s[54:55]
	s_waitcnt lgkmcnt(0)
	s_barrier
	ds_read_b64 v[30:31], v15 offset:3072
	v_mov_b32_e32 v9, s92
	v_add_co_u32_e32 v6, vcc, s33, v6
	v_addc_co_u32_e32 v7, vcc, v7, v9, vcc
	s_waitcnt lgkmcnt(0)
	v_readfirstlane_b32 s30, v30
	s_cmp_lg_u32 s30, 0
	s_cselect_b64 s[30:31], -1, 0
	v_cmp_ge_u64_e32 vcc, v[6:7], v[4:5]
	s_or_b64 s[54:55], vcc, s[30:31]
	s_and_b64 s[54:55], exec, s[54:55]
	s_or_b64 s[46:47], s[54:55], s[46:47]
	s_andn2_b64 s[48:49], s[48:49], exec
	s_and_b64 s[30:31], s[30:31], exec
	v_add_u32_e32 v8, s2, v8
	s_or_b64 s[48:49], s[48:49], s[30:31]
	s_barrier
	s_andn2_b64 exec, exec, s[46:47]
	s_cbranch_execz .LBB153_412
.LBB153_404:                            ;   Parent Loop BB153_31 Depth=1
                                        ; =>  This Inner Loop Header: Depth=2
	v_cmp_gt_u64_e32 vcc, s[0:1], v[6:7]
	s_waitcnt vmcnt(0)
	v_mov_b32_e32 v29, 0
	s_and_saveexec_b64 s[54:55], vcc
	s_cbranch_execz .LBB153_406
; %bb.405:                              ;   in Loop: Header=BB153_404 Depth=2
	ds_read_b32 v29, v8
.LBB153_406:                            ;   in Loop: Header=BB153_404 Depth=2
	s_or_b64 exec, exec, s[54:55]
	s_and_saveexec_b64 s[54:55], vcc
	s_cbranch_execz .LBB153_403
; %bb.407:                              ;   in Loop: Header=BB153_404 Depth=2
	s_waitcnt lgkmcnt(0)
	v_xor_b32_e32 v9, 0x80000000, v29
	v_and_b32_e32 v9, v9, v53
	v_cmp_eq_u32_e32 vcc, v9, v54
	s_and_b64 exec, exec, vcc
	s_cbranch_execz .LBB153_403
; %bb.408:                              ;   in Loop: Header=BB153_404 Depth=2
	ds_write_b64 v15, v[28:29] offset:3072
	s_branch .LBB153_403
.LBB153_409:                            ;   in Loop: Header=BB153_31 Depth=1
                                        ; implicit-def: $vgpr2_vgpr3
	s_branch .LBB153_354
.LBB153_410:                            ;   in Loop: Header=BB153_31 Depth=1
                                        ; implicit-def: $vgpr2_vgpr3
	s_branch .LBB153_370
.LBB153_411:                            ;   in Loop: Header=BB153_31 Depth=1
	s_mov_b64 s[44:45], -1
	s_mov_b64 s[54:55], 0
                                        ; implicit-def: $sgpr46_sgpr47
                                        ; implicit-def: $vgpr31
	s_mov_b64 s[48:49], s[44:45]
	s_cbranch_execnz .LBB153_414
	s_branch .LBB153_427
.LBB153_412:                            ;   in Loop: Header=BB153_31 Depth=1
	s_or_b64 exec, exec, s[46:47]
	s_and_b64 s[54:55], s[48:49], exec
.LBB153_413:                            ;   in Loop: Header=BB153_31 Depth=1
	s_or_b64 exec, exec, s[44:45]
	s_mov_b64 s[44:45], 0
	s_mov_b64 s[46:47], -1
	s_mov_b64 s[48:49], s[44:45]
	s_branch .LBB153_427
.LBB153_414:                            ;   in Loop: Header=BB153_31 Depth=1
	v_readlane_b32 s48, v56, 33
	v_readlane_b32 s49, v56, 34
	s_mov_b32 s48, s87
	s_cmp_lg_u64 s[48:49], 0
	v_writelane_b32 v56, s48, 33
	v_writelane_b32 v56, s49, 34
	s_cbranch_scc0 .LBB153_447
; %bb.415:                              ;   in Loop: Header=BB153_31 Depth=1
	v_cvt_f32_u32_e32 v4, s33
	s_sub_u32 s0, 0, s33
	s_subb_u32 s1, 0, 0
	v_mac_f32_e32 v4, 0, v52
	v_rcp_f32_e32 v4, v4
	v_mul_f32_e32 v4, 0x5f7ffffc, v4
	v_mul_f32_e32 v5, 0x2f800000, v4
	v_trunc_f32_e32 v5, v5
	v_mac_f32_e32 v4, 0xcf800000, v5
	v_cvt_u32_f32_e32 v5, v5
	v_cvt_u32_f32_e32 v4, v4
	v_readfirstlane_b32 s30, v5
	v_readfirstlane_b32 s31, v4
	s_mul_i32 s44, s0, s30
	s_mul_hi_u32 s46, s0, s31
	s_mul_i32 s45, s1, s31
	s_add_i32 s44, s46, s44
	s_mul_i32 s47, s0, s31
	s_add_i32 s44, s44, s45
	s_mul_hi_u32 s46, s31, s47
	s_mul_hi_u32 s45, s31, s44
	s_mul_i32 s31, s31, s44
	s_add_u32 s31, s46, s31
	s_addc_u32 s45, 0, s45
	s_mul_hi_u32 s48, s30, s47
	s_mul_i32 s47, s30, s47
	s_add_u32 s31, s31, s47
	s_mul_hi_u32 s46, s30, s44
	s_addc_u32 s31, s45, s48
	s_addc_u32 s45, s46, 0
	s_mul_i32 s44, s30, s44
	s_add_u32 s31, s31, s44
	s_addc_u32 s44, 0, s45
	v_add_co_u32_e32 v4, vcc, s31, v4
	s_cmp_lg_u64 vcc, 0
	s_addc_u32 s30, s30, s44
	v_readfirstlane_b32 s44, v4
	s_mul_i32 s31, s0, s30
	s_mul_hi_u32 s45, s0, s44
	s_add_i32 s31, s45, s31
	s_mul_i32 s1, s1, s44
	s_add_i32 s31, s31, s1
	s_mul_i32 s0, s0, s44
	s_mul_hi_u32 s45, s30, s0
	s_mul_i32 s46, s30, s0
	s_mul_i32 s48, s44, s31
	s_mul_hi_u32 s0, s44, s0
	s_mul_hi_u32 s47, s44, s31
	s_add_u32 s0, s0, s48
	s_addc_u32 s44, 0, s47
	s_add_u32 s0, s0, s46
	s_mul_hi_u32 s1, s30, s31
	s_addc_u32 s0, s44, s45
	s_addc_u32 s1, s1, 0
	s_mul_i32 s31, s30, s31
	s_add_u32 s0, s0, s31
	s_addc_u32 s1, 0, s1
	v_add_co_u32_e32 v4, vcc, s0, v4
	s_cmp_lg_u64 vcc, 0
	s_addc_u32 s0, s30, s1
	v_readlane_b32 s46, v56, 31
	v_readfirstlane_b32 s31, v4
	s_mul_i32 s30, s46, s0
	s_mul_hi_u32 s44, s46, s31
	s_mul_hi_u32 s1, s46, s0
	s_add_u32 s30, s44, s30
	s_addc_u32 s1, 0, s1
	s_mul_hi_u32 s45, s49, s31
	s_mul_i32 s31, s49, s31
	s_add_u32 s30, s30, s31
	s_mul_hi_u32 s44, s49, s0
	s_addc_u32 s1, s1, s45
	s_addc_u32 s30, s44, 0
	s_mul_i32 s0, s49, s0
	s_add_u32 s0, s1, s0
	s_addc_u32 s1, 0, s30
	s_mul_hi_u32 s30, s33, s0
	s_mul_i32 s0, s33, s0
	s_mul_i32 s1, s33, s1
	v_mov_b32_e32 v4, s0
	s_add_i32 s30, s30, s1
	v_sub_co_u32_e32 v4, vcc, s46, v4
	s_cmp_lg_u64 vcc, 0
	s_subb_u32 s0, s49, s30
	v_subrev_co_u32_e32 v5, vcc, s33, v4
	s_cmp_lg_u64 vcc, 0
	s_subb_u32 s1, s0, 0
	v_subrev_co_u32_e32 v6, vcc, s33, v5
	s_cmp_lg_u64 vcc, 0
	s_subb_u32 s30, s1, 0
	v_cmp_le_u32_e32 vcc, s33, v5
	s_cmp_eq_u32 s1, 0
	v_cndmask_b32_e64 v7, 0, -1, vcc
	s_cselect_b64 vcc, -1, 0
	v_cndmask_b32_e32 v7, -1, v7, vcc
	v_mov_b32_e32 v8, s1
	v_mov_b32_e32 v9, s30
	v_cmp_ne_u32_e32 vcc, 0, v7
	v_cndmask_b32_e32 v7, v8, v9, vcc
	v_cndmask_b32_e32 v6, v5, v6, vcc
	v_cmp_le_u32_e32 vcc, s33, v4
	s_cmp_eq_u32 s0, 0
	v_cndmask_b32_e64 v5, 0, -1, vcc
	s_cselect_b64 vcc, -1, 0
	v_cndmask_b32_e32 v5, -1, v5, vcc
	v_mov_b32_e32 v8, s0
	v_cmp_ne_u32_e32 vcc, 0, v5
	v_cndmask_b32_e32 v5, v8, v7, vcc
	v_cndmask_b32_e32 v4, v4, v6, vcc
	s_cbranch_execnz .LBB153_417
.LBB153_416:                            ;   in Loop: Header=BB153_31 Depth=1
	v_cvt_f32_u32_e32 v4, s33
	s_sub_i32 s0, 0, s33
	v_rcp_iflag_f32_e32 v4, v4
	v_mul_f32_e32 v4, 0x4f7ffffe, v4
	v_cvt_u32_f32_e32 v4, v4
	v_mul_lo_u32 v5, s0, v4
	v_mul_hi_u32 v5, v4, v5
	v_add_u32_e32 v4, v4, v5
	v_readlane_b32 s0, v56, 31
	v_mul_hi_u32 v4, s0, v4
	v_mul_lo_u32 v4, v4, s33
	v_sub_u32_e32 v4, s0, v4
	v_subrev_u32_e32 v5, s33, v4
	v_cmp_le_u32_e32 vcc, s33, v4
	v_cndmask_b32_e32 v4, v4, v5, vcc
	v_subrev_u32_e32 v5, s33, v4
	v_cmp_le_u32_e32 vcc, s33, v4
	v_cndmask_b32_e32 v14, v4, v5, vcc
	v_pk_mov_b32 v[4:5], v[14:15], v[14:15] op_sel:[0,1]
.LBB153_417:                            ;   in Loop: Header=BB153_31 Depth=1
	v_readlane_b32 s0, v56, 33
	v_readlane_b32 s1, v56, 34
	;; [unrolled: 1-line block ×3, first 2 shown]
	v_mov_b32_e32 v6, s1
	v_sub_co_u32_e32 v4, vcc, s0, v4
	v_subb_co_u32_e32 v5, vcc, v6, v5, vcc
	v_cmp_gt_u64_e32 vcc, v[4:5], v[0:1]
	s_mov_b64 s[54:55], 0
                                        ; implicit-def: $vgpr31
	s_and_saveexec_b64 s[0:1], vcc
	s_cbranch_execz .LBB153_426
; %bb.418:                              ;   in Loop: Header=BB153_31 Depth=1
	s_mov_b64 s[44:45], 0
	v_pk_mov_b32 v[6:7], v[26:27], v[26:27] op_sel:[0,1]
	v_pk_mov_b32 v[8:9], v[0:1], v[0:1] op_sel:[0,1]
                                        ; implicit-def: $sgpr46_sgpr47
	s_branch .LBB153_420
.LBB153_419:                            ;   in Loop: Header=BB153_420 Depth=2
	s_or_b64 exec, exec, s[48:49]
	s_waitcnt lgkmcnt(0)
	s_barrier
	ds_read_b64 v[30:31], v15 offset:3072
	v_mov_b32_e32 v14, s92
	v_add_co_u32_e32 v8, vcc, s33, v8
	v_addc_co_u32_e32 v9, vcc, v9, v14, vcc
	s_waitcnt lgkmcnt(0)
	v_readfirstlane_b32 s30, v30
	s_cmp_lg_u32 s30, 0
	s_cselect_b64 s[30:31], -1, 0
	v_cmp_ge_u64_e32 vcc, v[8:9], v[4:5]
	s_or_b64 s[48:49], vcc, s[30:31]
	s_and_b64 s[48:49], exec, s[48:49]
	s_or_b64 s[44:45], s[48:49], s[44:45]
	v_mov_b32_e32 v14, s65
	v_add_co_u32_e32 v6, vcc, s64, v6
	s_andn2_b64 s[46:47], s[46:47], exec
	s_and_b64 s[30:31], s[30:31], exec
	v_addc_co_u32_e32 v7, vcc, v7, v14, vcc
	s_or_b64 s[46:47], s[46:47], s[30:31]
	s_barrier
	s_andn2_b64 exec, exec, s[44:45]
	s_cbranch_execz .LBB153_425
.LBB153_420:                            ;   Parent Loop BB153_31 Depth=1
                                        ; =>  This Inner Loop Header: Depth=2
	v_cmp_gt_u64_e32 vcc, s[60:61], v[8:9]
	s_waitcnt vmcnt(0)
	v_mov_b32_e32 v29, 0
	s_and_saveexec_b64 s[48:49], vcc
	s_cbranch_execz .LBB153_422
; %bb.421:                              ;   in Loop: Header=BB153_420 Depth=2
	global_load_dword v29, v[6:7], off
.LBB153_422:                            ;   in Loop: Header=BB153_420 Depth=2
	s_or_b64 exec, exec, s[48:49]
	s_and_saveexec_b64 s[48:49], vcc
	s_cbranch_execz .LBB153_419
; %bb.423:                              ;   in Loop: Header=BB153_420 Depth=2
	s_waitcnt vmcnt(0)
	v_xor_b32_e32 v14, 0x80000000, v29
	v_and_b32_e32 v14, v14, v53
	v_cmp_eq_u32_e32 vcc, v14, v54
	s_and_b64 exec, exec, vcc
	s_cbranch_execz .LBB153_419
; %bb.424:                              ;   in Loop: Header=BB153_420 Depth=2
	ds_write_b64 v15, v[28:29] offset:3072
	s_branch .LBB153_419
.LBB153_425:                            ;   in Loop: Header=BB153_31 Depth=1
	s_or_b64 exec, exec, s[44:45]
	s_and_b64 s[54:55], s[46:47], exec
.LBB153_426:                            ;   in Loop: Header=BB153_31 Depth=1
	s_or_b64 exec, exec, s[0:1]
	s_mov_b64 s[46:47], 0
	s_mov_b64 s[44:45], -1
	s_mov_b64 s[48:49], 0
.LBB153_427:                            ;   in Loop: Header=BB153_31 Depth=1
	s_orn2_b64 s[54:55], s[54:55], exec
.LBB153_428:                            ;   in Loop: Header=BB153_31 Depth=1
	s_or_b64 exec, exec, s[50:51]
	s_mov_b64 s[0:1], 0
                                        ; implicit-def: $vgpr8
	s_and_saveexec_b64 s[50:51], s[54:55]
	s_cbranch_execz .LBB153_493
; %bb.429:                              ;   in Loop: Header=BB153_31 Depth=1
	v_mov_b32_e32 v4, 1
	s_xor_b64 s[30:31], s[52:53], -1
	s_mov_b64 s[54:55], 0
	v_mov_b32_e32 v5, 0
	v_mov_b32_e32 v8, 1
	s_and_saveexec_b64 s[0:1], s[30:31]
	s_cbranch_execz .LBB153_439
; %bb.430:                              ;   in Loop: Header=BB153_31 Depth=1
	v_cmp_ge_u64_e32 vcc, s[18:19], v[2:3]
                                        ; implicit-def: $sgpr30
                                        ; implicit-def: $sgpr52_sgpr53
	s_and_saveexec_b64 s[54:55], vcc
	s_xor_b64 s[54:55], exec, s[54:55]
	s_cbranch_execz .LBB153_436
; %bb.431:                              ;   in Loop: Header=BB153_31 Depth=1
	ds_read_b64 v[4:5], v15 offset:5120
	s_waitcnt lgkmcnt(0)
	v_cmp_ne_u64_e32 vcc, 0, v[4:5]
	s_cbranch_vccnz .LBB153_435
; %bb.432:                              ;   in Loop: Header=BB153_31 Depth=1
	s_mov_b64 s[52:53], exec
	v_readlane_b32 s30, v56, 10
	v_readlane_b32 s31, v56, 11
	s_and_b64 s[30:31], s[52:53], s[30:31]
	s_mov_b64 exec, s[30:31]
	s_cbranch_execz .LBB153_434
; %bb.433:                              ;   in Loop: Header=BB153_31 Depth=1
	v_pk_mov_b32 v[4:5], s[18:19], s[18:19] op_sel:[0,1]
	ds_write_b64 v15, v[4:5] offset:5128
.LBB153_434:                            ;   in Loop: Header=BB153_31 Depth=1
	s_or_b64 exec, exec, s[52:53]
	s_waitcnt lgkmcnt(0)
	s_barrier
.LBB153_435:                            ;   in Loop: Header=BB153_31 Depth=1
	v_readlane_b32 s30, v56, 62
	v_and_b32_e32 v4, s30, v54
	v_lshl_or_b32 v54, 1, s3, v4
	v_or_b32_e32 v53, s86, v53
	s_mov_b64 s[52:53], 0
	s_mov_b32 s30, 5
.LBB153_436:                            ;   in Loop: Header=BB153_31 Depth=1
	s_or_saveexec_b64 s[54:55], s[54:55]
	v_mov_b32_e32 v8, s30
	s_xor_b64 exec, exec, s[54:55]
; %bb.437:                              ;   in Loop: Header=BB153_31 Depth=1
	v_mov_b32_e32 v4, s19
	v_subrev_co_u32_e32 v2, vcc, s18, v2
	v_subb_co_u32_e32 v3, vcc, v3, v4, vcc
	v_mov_b32_e32 v8, 0
	s_or_b64 s[52:53], s[52:53], exec
; %bb.438:                              ;   in Loop: Header=BB153_31 Depth=1
	s_or_b64 exec, exec, s[54:55]
	s_and_b64 s[54:55], s[52:53], exec
	v_pk_mov_b32 v[4:5], v[2:3], v[2:3] op_sel:[0,1]
.LBB153_439:                            ;   in Loop: Header=BB153_31 Depth=1
	s_or_b64 exec, exec, s[0:1]
	s_mov_b64 s[52:53], -1
                                        ; implicit-def: $sgpr0_sgpr1
                                        ; implicit-def: $sgpr66_sgpr67
                                        ; implicit-def: $sgpr68_sgpr69
	s_and_saveexec_b64 s[18:19], s[54:55]
	s_cbranch_execz .LBB153_492
; %bb.440:                              ;   in Loop: Header=BB153_31 Depth=1
	s_cmp_eq_u64 s[16:17], 1
	s_cselect_b64 s[0:1], -1, 0
	v_cmp_eq_u64_e32 vcc, 1, v[4:5]
	s_and_b64 s[52:53], s[0:1], vcc
	s_mov_b64 s[80:81], -1
                                        ; implicit-def: $sgpr0_sgpr1
                                        ; implicit-def: $sgpr66_sgpr67
                                        ; implicit-def: $sgpr68_sgpr69
	s_and_saveexec_b64 s[54:55], s[52:53]
	s_cbranch_execz .LBB153_479
; %bb.441:                              ;   in Loop: Header=BB153_31 Depth=1
	ds_read_b64 v[2:3], v15 offset:5120
	s_waitcnt lgkmcnt(0)
	s_barrier
	v_readfirstlane_b32 s0, v2
	v_readfirstlane_b32 s1, v3
	s_mov_b64 s[66:67], exec
	v_readlane_b32 s30, v56, 26
	v_readlane_b32 s31, v56, 27
	s_and_b64 s[30:31], s[66:67], s[30:31]
	s_mov_b64 exec, s[30:31]
	s_cbranch_execz .LBB153_443
; %bb.442:                              ;   in Loop: Header=BB153_31 Depth=1
	ds_write_b32 v49, v15
.LBB153_443:                            ;   in Loop: Header=BB153_31 Depth=1
	s_or_b64 exec, exec, s[66:67]
	v_readlane_b32 s3, v56, 62
	v_and_b32_e32 v54, s3, v54
	v_or_b32_e32 v53, s86, v53
	s_cmp_eq_u64 s[0:1], 0
	s_waitcnt lgkmcnt(0)
	s_barrier
	s_cbranch_scc1 .LBB153_448
; %bb.444:                              ;   in Loop: Header=BB153_31 Depth=1
	v_readlane_b32 s3, v56, 30
	s_add_u32 s3, s3, s0
	v_readlane_b32 s30, v56, 32
	s_addc_u32 s67, s30, s1
	s_mov_b32 s66, s87
	s_cmp_lg_u64 s[66:67], 0
	s_cbranch_scc0 .LBB153_449
; %bb.445:                              ;   in Loop: Header=BB153_31 Depth=1
	v_cvt_f32_u32_e32 v2, s33
	s_sub_u32 s30, 0, s33
	s_subb_u32 s31, 0, 0
	v_mac_f32_e32 v2, 0, v52
	v_rcp_f32_e32 v2, v2
	v_mul_f32_e32 v2, 0x5f7ffffc, v2
	v_mul_f32_e32 v3, 0x2f800000, v2
	v_trunc_f32_e32 v3, v3
	v_mac_f32_e32 v2, 0xcf800000, v3
	v_cvt_u32_f32_e32 v3, v3
	v_cvt_u32_f32_e32 v2, v2
	v_readfirstlane_b32 s66, v3
	v_readfirstlane_b32 s68, v2
	s_mul_i32 s69, s30, s66
	s_mul_hi_u32 s81, s30, s68
	s_mul_i32 s80, s31, s68
	s_add_i32 s69, s81, s69
	s_mul_i32 s88, s30, s68
	s_add_i32 s69, s69, s80
	s_mul_hi_u32 s81, s68, s88
	s_mul_hi_u32 s80, s68, s69
	s_mul_i32 s68, s68, s69
	s_add_u32 s68, s81, s68
	s_addc_u32 s80, 0, s80
	s_mul_hi_u32 s89, s66, s88
	s_mul_i32 s88, s66, s88
	s_add_u32 s68, s68, s88
	s_mul_hi_u32 s81, s66, s69
	s_addc_u32 s68, s80, s89
	s_addc_u32 s80, s81, 0
	s_mul_i32 s69, s66, s69
	s_add_u32 s68, s68, s69
	s_addc_u32 s69, 0, s80
	v_add_co_u32_e32 v2, vcc, s68, v2
	s_cmp_lg_u64 vcc, 0
	s_addc_u32 s66, s66, s69
	v_readfirstlane_b32 s69, v2
	s_mul_i32 s68, s30, s66
	s_mul_hi_u32 s80, s30, s69
	s_add_i32 s68, s80, s68
	s_mul_i32 s31, s31, s69
	s_add_i32 s68, s68, s31
	s_mul_i32 s30, s30, s69
	s_mul_hi_u32 s80, s66, s30
	s_mul_i32 s81, s66, s30
	s_mul_i32 s89, s69, s68
	s_mul_hi_u32 s30, s69, s30
	s_mul_hi_u32 s88, s69, s68
	s_add_u32 s30, s30, s89
	s_addc_u32 s69, 0, s88
	s_add_u32 s30, s30, s81
	s_mul_hi_u32 s31, s66, s68
	s_addc_u32 s30, s69, s80
	s_addc_u32 s31, s31, 0
	s_mul_i32 s68, s66, s68
	s_add_u32 s30, s30, s68
	s_addc_u32 s31, 0, s31
	v_add_co_u32_e32 v2, vcc, s30, v2
	s_cmp_lg_u64 vcc, 0
	s_addc_u32 s30, s66, s31
	v_readfirstlane_b32 s68, v2
	s_mul_i32 s66, s3, s30
	s_mul_hi_u32 s69, s3, s68
	s_mul_hi_u32 s31, s3, s30
	s_add_u32 s66, s69, s66
	s_addc_u32 s31, 0, s31
	s_mul_hi_u32 s80, s67, s68
	s_mul_i32 s68, s67, s68
	s_add_u32 s66, s66, s68
	s_mul_hi_u32 s69, s67, s30
	s_addc_u32 s31, s31, s80
	s_addc_u32 s66, s69, 0
	s_mul_i32 s30, s67, s30
	s_add_u32 s30, s31, s30
	s_addc_u32 s31, 0, s66
	s_mul_hi_u32 s66, s33, s30
	s_mul_i32 s30, s33, s30
	s_mul_i32 s31, s33, s31
	v_mov_b32_e32 v2, s30
	s_add_i32 s66, s66, s31
	v_sub_co_u32_e32 v2, vcc, s3, v2
	s_cmp_lg_u64 vcc, 0
	s_subb_u32 s30, s67, s66
	v_subrev_co_u32_e32 v3, vcc, s33, v2
	s_cmp_lg_u64 vcc, 0
	s_subb_u32 s31, s30, 0
	v_subrev_co_u32_e32 v6, vcc, s33, v3
	s_cmp_lg_u64 vcc, 0
	s_subb_u32 s66, s31, 0
	v_cmp_le_u32_e32 vcc, s33, v3
	s_cmp_eq_u32 s31, 0
	v_cndmask_b32_e64 v7, 0, -1, vcc
	s_cselect_b64 vcc, -1, 0
	v_cndmask_b32_e32 v7, -1, v7, vcc
	v_mov_b32_e32 v8, s31
	v_mov_b32_e32 v9, s66
	v_cmp_ne_u32_e32 vcc, 0, v7
	v_cndmask_b32_e32 v7, v8, v9, vcc
	v_cndmask_b32_e32 v6, v3, v6, vcc
	v_cmp_le_u32_e32 vcc, s33, v2
	s_cmp_eq_u32 s30, 0
	v_cndmask_b32_e64 v3, 0, -1, vcc
	s_cselect_b64 vcc, -1, 0
	v_cndmask_b32_e32 v3, -1, v3, vcc
	v_mov_b32_e32 v8, s30
	v_cmp_ne_u32_e32 vcc, 0, v3
	v_cndmask_b32_e32 v3, v8, v7, vcc
	v_cndmask_b32_e32 v2, v2, v6, vcc
	s_mov_b64 s[68:69], 0
	s_branch .LBB153_450
.LBB153_446:                            ;   in Loop: Header=BB153_31 Depth=1
                                        ; implicit-def: $vgpr4_vgpr5
	s_branch .LBB153_400
.LBB153_447:                            ;   in Loop: Header=BB153_31 Depth=1
                                        ; implicit-def: $vgpr4_vgpr5
	s_branch .LBB153_416
.LBB153_448:                            ;   in Loop: Header=BB153_31 Depth=1
	s_mov_b64 s[0:1], -1
	s_mov_b64 s[80:81], 0
                                        ; implicit-def: $sgpr66_sgpr67
                                        ; implicit-def: $vgpr31
	s_branch .LBB153_462
.LBB153_449:                            ;   in Loop: Header=BB153_31 Depth=1
	s_mov_b64 s[68:69], -1
                                        ; implicit-def: $vgpr2_vgpr3
.LBB153_450:                            ;   in Loop: Header=BB153_31 Depth=1
	s_andn2_b64 vcc, exec, s[68:69]
	s_cbranch_vccnz .LBB153_452
; %bb.451:                              ;   in Loop: Header=BB153_31 Depth=1
	v_cvt_f32_u32_e32 v2, s33
	s_sub_i32 s30, 0, s33
	v_rcp_iflag_f32_e32 v2, v2
	v_mul_f32_e32 v2, 0x4f7ffffe, v2
	v_cvt_u32_f32_e32 v2, v2
	v_mul_lo_u32 v3, s30, v2
	v_mul_hi_u32 v3, v2, v3
	v_add_u32_e32 v2, v2, v3
	v_mul_hi_u32 v2, s3, v2
	v_mul_lo_u32 v2, v2, s33
	v_sub_u32_e32 v2, s3, v2
	v_subrev_u32_e32 v3, s33, v2
	v_cmp_le_u32_e32 vcc, s33, v2
	v_cndmask_b32_e32 v2, v2, v3, vcc
	v_subrev_u32_e32 v3, s33, v2
	v_cmp_le_u32_e32 vcc, s33, v2
	v_cndmask_b32_e32 v14, v2, v3, vcc
	v_pk_mov_b32 v[2:3], v[14:15], v[14:15] op_sel:[0,1]
.LBB153_452:                            ;   in Loop: Header=BB153_31 Depth=1
	v_mov_b32_e32 v6, s67
	v_sub_co_u32_e32 v2, vcc, s3, v2
	v_subb_co_u32_e32 v3, vcc, v6, v3, vcc
	v_cmp_gt_u64_e32 vcc, v[2:3], v[0:1]
	s_mov_b64 s[80:81], 0
                                        ; implicit-def: $vgpr31
	s_and_saveexec_b64 s[66:67], vcc
	s_cbranch_execz .LBB153_461
; %bb.453:                              ;   in Loop: Header=BB153_31 Depth=1
	s_mov_b64 s[68:69], 0
	v_mov_b32_e32 v8, v16
	v_pk_mov_b32 v[6:7], v[0:1], v[0:1] op_sel:[0,1]
                                        ; implicit-def: $sgpr80_sgpr81
	s_branch .LBB153_455
.LBB153_454:                            ;   in Loop: Header=BB153_455 Depth=2
	s_or_b64 exec, exec, s[88:89]
	s_waitcnt lgkmcnt(0)
	s_barrier
	ds_read_b64 v[30:31], v15 offset:3072
	v_mov_b32_e32 v9, s92
	v_add_co_u32_e32 v6, vcc, s33, v6
	v_addc_co_u32_e32 v7, vcc, v7, v9, vcc
	s_waitcnt lgkmcnt(0)
	v_readfirstlane_b32 s3, v30
	s_cmp_lg_u32 s3, 0
	s_cselect_b64 s[30:31], -1, 0
	v_cmp_ge_u64_e32 vcc, v[6:7], v[2:3]
	s_or_b64 s[88:89], vcc, s[30:31]
	s_and_b64 s[88:89], exec, s[88:89]
	s_or_b64 s[68:69], s[88:89], s[68:69]
	s_andn2_b64 s[80:81], s[80:81], exec
	s_and_b64 s[30:31], s[30:31], exec
	v_add_u32_e32 v8, s2, v8
	s_or_b64 s[80:81], s[80:81], s[30:31]
	s_barrier
	s_andn2_b64 exec, exec, s[68:69]
	s_cbranch_execz .LBB153_460
.LBB153_455:                            ;   Parent Loop BB153_31 Depth=1
                                        ; =>  This Inner Loop Header: Depth=2
	v_cmp_gt_u64_e32 vcc, s[0:1], v[6:7]
	s_waitcnt vmcnt(0)
	v_mov_b32_e32 v29, 0
	s_and_saveexec_b64 s[88:89], vcc
	s_cbranch_execz .LBB153_457
; %bb.456:                              ;   in Loop: Header=BB153_455 Depth=2
	ds_read_b32 v29, v8
.LBB153_457:                            ;   in Loop: Header=BB153_455 Depth=2
	s_or_b64 exec, exec, s[88:89]
	s_and_saveexec_b64 s[88:89], vcc
	s_cbranch_execz .LBB153_454
; %bb.458:                              ;   in Loop: Header=BB153_455 Depth=2
	s_waitcnt lgkmcnt(0)
	v_xor_b32_e32 v9, 0x80000000, v29
	v_and_b32_e32 v9, v9, v53
	v_cmp_eq_u32_e32 vcc, v9, v54
	s_and_b64 exec, exec, vcc
	s_cbranch_execz .LBB153_454
; %bb.459:                              ;   in Loop: Header=BB153_455 Depth=2
	ds_write_b64 v15, v[28:29] offset:3072
	s_branch .LBB153_454
.LBB153_460:                            ;   in Loop: Header=BB153_31 Depth=1
	s_or_b64 exec, exec, s[68:69]
	s_and_b64 s[80:81], s[80:81], exec
.LBB153_461:                            ;   in Loop: Header=BB153_31 Depth=1
	s_or_b64 exec, exec, s[66:67]
	s_mov_b64 s[0:1], 0
	s_mov_b64 s[66:67], -1
.LBB153_462:                            ;   in Loop: Header=BB153_31 Depth=1
	s_and_b64 vcc, exec, s[0:1]
	s_mov_b64 s[68:69], s[0:1]
	s_cbranch_vccz .LBB153_478
; %bb.463:                              ;   in Loop: Header=BB153_31 Depth=1
	v_readlane_b32 s80, v56, 33
	v_readlane_b32 s81, v56, 34
	s_mov_b32 s80, s87
	s_cmp_lg_u64 s[80:81], 0
	v_writelane_b32 v56, s80, 33
	v_writelane_b32 v56, s81, 34
	s_cbranch_scc0 .LBB153_465
; %bb.464:                              ;   in Loop: Header=BB153_31 Depth=1
	v_cvt_f32_u32_e32 v2, s33
	s_sub_u32 s0, 0, s33
	s_subb_u32 s1, 0, 0
	v_mac_f32_e32 v2, 0, v52
	v_rcp_f32_e32 v2, v2
	v_mul_f32_e32 v2, 0x5f7ffffc, v2
	v_mul_f32_e32 v3, 0x2f800000, v2
	v_trunc_f32_e32 v3, v3
	v_mac_f32_e32 v2, 0xcf800000, v3
	v_cvt_u32_f32_e32 v3, v3
	v_cvt_u32_f32_e32 v2, v2
	v_readfirstlane_b32 s3, v3
	v_readfirstlane_b32 s30, v2
	s_mul_i32 s31, s0, s3
	s_mul_hi_u32 s67, s0, s30
	s_mul_i32 s66, s1, s30
	s_add_i32 s31, s67, s31
	s_mul_i32 s68, s0, s30
	s_add_i32 s31, s31, s66
	s_mul_hi_u32 s67, s30, s68
	s_mul_hi_u32 s66, s30, s31
	s_mul_i32 s30, s30, s31
	s_add_u32 s30, s67, s30
	s_addc_u32 s66, 0, s66
	s_mul_hi_u32 s69, s3, s68
	s_mul_i32 s68, s3, s68
	s_add_u32 s30, s30, s68
	s_mul_hi_u32 s67, s3, s31
	s_addc_u32 s30, s66, s69
	s_addc_u32 s66, s67, 0
	s_mul_i32 s31, s3, s31
	s_add_u32 s30, s30, s31
	s_addc_u32 s31, 0, s66
	v_add_co_u32_e32 v2, vcc, s30, v2
	s_cmp_lg_u64 vcc, 0
	s_addc_u32 s3, s3, s31
	v_readfirstlane_b32 s31, v2
	s_mul_i32 s30, s0, s3
	s_mul_hi_u32 s66, s0, s31
	s_add_i32 s30, s66, s30
	s_mul_i32 s1, s1, s31
	s_add_i32 s30, s30, s1
	s_mul_i32 s0, s0, s31
	s_mul_hi_u32 s66, s3, s0
	s_mul_i32 s67, s3, s0
	s_mul_i32 s69, s31, s30
	s_mul_hi_u32 s0, s31, s0
	s_mul_hi_u32 s68, s31, s30
	s_add_u32 s0, s0, s69
	s_addc_u32 s31, 0, s68
	s_add_u32 s0, s0, s67
	s_mul_hi_u32 s1, s3, s30
	s_addc_u32 s0, s31, s66
	s_addc_u32 s1, s1, 0
	s_mul_i32 s30, s3, s30
	s_add_u32 s0, s0, s30
	s_addc_u32 s1, 0, s1
	v_add_co_u32_e32 v2, vcc, s0, v2
	s_cmp_lg_u64 vcc, 0
	s_addc_u32 s0, s3, s1
	v_readlane_b32 s67, v56, 31
	v_readfirstlane_b32 s30, v2
	s_mul_i32 s3, s67, s0
	s_mul_hi_u32 s31, s67, s30
	s_mul_hi_u32 s1, s67, s0
	s_add_u32 s3, s31, s3
	s_addc_u32 s1, 0, s1
	s_mul_hi_u32 s66, s81, s30
	s_mul_i32 s30, s81, s30
	s_add_u32 s3, s3, s30
	s_mul_hi_u32 s31, s81, s0
	s_addc_u32 s1, s1, s66
	s_addc_u32 s3, s31, 0
	s_mul_i32 s0, s81, s0
	s_add_u32 s0, s1, s0
	s_addc_u32 s1, 0, s3
	s_mul_hi_u32 s3, s33, s0
	s_mul_i32 s0, s33, s0
	s_mul_i32 s1, s33, s1
	v_mov_b32_e32 v2, s0
	s_add_i32 s3, s3, s1
	v_sub_co_u32_e32 v2, vcc, s67, v2
	s_cmp_lg_u64 vcc, 0
	s_subb_u32 s0, s81, s3
	v_subrev_co_u32_e32 v3, vcc, s33, v2
	s_cmp_lg_u64 vcc, 0
	s_subb_u32 s1, s0, 0
	v_subrev_co_u32_e32 v6, vcc, s33, v3
	s_cmp_lg_u64 vcc, 0
	s_subb_u32 s3, s1, 0
	v_cmp_le_u32_e32 vcc, s33, v3
	s_cmp_eq_u32 s1, 0
	v_cndmask_b32_e64 v7, 0, -1, vcc
	s_cselect_b64 vcc, -1, 0
	v_cndmask_b32_e32 v7, -1, v7, vcc
	v_mov_b32_e32 v8, s1
	v_mov_b32_e32 v9, s3
	v_cmp_ne_u32_e32 vcc, 0, v7
	v_cndmask_b32_e32 v7, v8, v9, vcc
	v_cndmask_b32_e32 v6, v3, v6, vcc
	v_cmp_le_u32_e32 vcc, s33, v2
	s_cmp_eq_u32 s0, 0
	v_cndmask_b32_e64 v3, 0, -1, vcc
	s_cselect_b64 vcc, -1, 0
	v_cndmask_b32_e32 v3, -1, v3, vcc
	v_mov_b32_e32 v8, s0
	v_cmp_ne_u32_e32 vcc, 0, v3
	v_cndmask_b32_e32 v3, v8, v7, vcc
	v_cndmask_b32_e32 v2, v2, v6, vcc
	s_mov_b64 s[0:1], 0
	s_branch .LBB153_466
.LBB153_465:                            ;   in Loop: Header=BB153_31 Depth=1
	s_mov_b64 s[0:1], -1
                                        ; implicit-def: $vgpr2_vgpr3
.LBB153_466:                            ;   in Loop: Header=BB153_31 Depth=1
	s_andn2_b64 vcc, exec, s[0:1]
	s_cbranch_vccnz .LBB153_468
; %bb.467:                              ;   in Loop: Header=BB153_31 Depth=1
	v_cvt_f32_u32_e32 v2, s33
	s_sub_i32 s0, 0, s33
	v_rcp_iflag_f32_e32 v2, v2
	v_mul_f32_e32 v2, 0x4f7ffffe, v2
	v_cvt_u32_f32_e32 v2, v2
	v_mul_lo_u32 v3, s0, v2
	v_mul_hi_u32 v3, v2, v3
	v_add_u32_e32 v2, v2, v3
	v_readlane_b32 s0, v56, 31
	v_mul_hi_u32 v2, s0, v2
	v_mul_lo_u32 v2, v2, s33
	v_sub_u32_e32 v2, s0, v2
	v_subrev_u32_e32 v3, s33, v2
	v_cmp_le_u32_e32 vcc, s33, v2
	v_cndmask_b32_e32 v2, v2, v3, vcc
	v_subrev_u32_e32 v3, s33, v2
	v_cmp_le_u32_e32 vcc, s33, v2
	v_cndmask_b32_e32 v14, v2, v3, vcc
	v_pk_mov_b32 v[2:3], v[14:15], v[14:15] op_sel:[0,1]
.LBB153_468:                            ;   in Loop: Header=BB153_31 Depth=1
	v_readlane_b32 s0, v56, 33
	v_readlane_b32 s1, v56, 34
	;; [unrolled: 1-line block ×3, first 2 shown]
	v_mov_b32_e32 v6, s1
	v_sub_co_u32_e32 v2, vcc, s0, v2
	v_subb_co_u32_e32 v3, vcc, v6, v3, vcc
	v_cmp_gt_u64_e32 vcc, v[2:3], v[0:1]
	s_mov_b64 s[80:81], 0
                                        ; implicit-def: $vgpr31
	s_and_saveexec_b64 s[0:1], vcc
	s_cbranch_execz .LBB153_477
; %bb.469:                              ;   in Loop: Header=BB153_31 Depth=1
	s_mov_b64 s[66:67], 0
	v_pk_mov_b32 v[6:7], v[26:27], v[26:27] op_sel:[0,1]
	v_pk_mov_b32 v[8:9], v[0:1], v[0:1] op_sel:[0,1]
                                        ; implicit-def: $sgpr68_sgpr69
	s_branch .LBB153_471
.LBB153_470:                            ;   in Loop: Header=BB153_471 Depth=2
	s_or_b64 exec, exec, s[80:81]
	s_waitcnt lgkmcnt(0)
	s_barrier
	ds_read_b64 v[30:31], v15 offset:3072
	v_mov_b32_e32 v14, s92
	v_add_co_u32_e32 v8, vcc, s33, v8
	v_addc_co_u32_e32 v9, vcc, v9, v14, vcc
	s_waitcnt lgkmcnt(0)
	v_readfirstlane_b32 s3, v30
	s_cmp_lg_u32 s3, 0
	s_cselect_b64 s[30:31], -1, 0
	v_cmp_ge_u64_e32 vcc, v[8:9], v[2:3]
	s_or_b64 s[80:81], vcc, s[30:31]
	s_and_b64 s[80:81], exec, s[80:81]
	s_or_b64 s[66:67], s[80:81], s[66:67]
	v_mov_b32_e32 v14, s65
	v_add_co_u32_e32 v6, vcc, s64, v6
	s_andn2_b64 s[68:69], s[68:69], exec
	s_and_b64 s[30:31], s[30:31], exec
	v_addc_co_u32_e32 v7, vcc, v7, v14, vcc
	s_or_b64 s[68:69], s[68:69], s[30:31]
	s_barrier
	s_andn2_b64 exec, exec, s[66:67]
	s_cbranch_execz .LBB153_476
.LBB153_471:                            ;   Parent Loop BB153_31 Depth=1
                                        ; =>  This Inner Loop Header: Depth=2
	v_cmp_gt_u64_e32 vcc, s[60:61], v[8:9]
	s_waitcnt vmcnt(0)
	v_mov_b32_e32 v29, 0
	s_and_saveexec_b64 s[80:81], vcc
	s_cbranch_execz .LBB153_473
; %bb.472:                              ;   in Loop: Header=BB153_471 Depth=2
	global_load_dword v29, v[6:7], off
.LBB153_473:                            ;   in Loop: Header=BB153_471 Depth=2
	s_or_b64 exec, exec, s[80:81]
	s_and_saveexec_b64 s[80:81], vcc
	s_cbranch_execz .LBB153_470
; %bb.474:                              ;   in Loop: Header=BB153_471 Depth=2
	s_waitcnt vmcnt(0)
	v_xor_b32_e32 v14, 0x80000000, v29
	v_and_b32_e32 v14, v14, v53
	v_cmp_eq_u32_e32 vcc, v14, v54
	s_and_b64 exec, exec, vcc
	s_cbranch_execz .LBB153_470
; %bb.475:                              ;   in Loop: Header=BB153_471 Depth=2
	ds_write_b64 v15, v[28:29] offset:3072
	s_branch .LBB153_470
.LBB153_476:                            ;   in Loop: Header=BB153_31 Depth=1
	s_or_b64 exec, exec, s[66:67]
	s_and_b64 s[80:81], s[68:69], exec
.LBB153_477:                            ;   in Loop: Header=BB153_31 Depth=1
	s_or_b64 exec, exec, s[0:1]
	s_mov_b64 s[66:67], 0
	s_mov_b64 s[0:1], -1
	s_mov_b64 s[68:69], 0
.LBB153_478:                            ;   in Loop: Header=BB153_31 Depth=1
	s_orn2_b64 s[80:81], s[80:81], exec
.LBB153_479:                            ;   in Loop: Header=BB153_31 Depth=1
	s_or_b64 exec, exec, s[54:55]
	s_mov_b64 s[88:89], 0
                                        ; implicit-def: $vgpr8
                                        ; implicit-def: $vgpr2_vgpr3
	s_and_saveexec_b64 s[54:55], s[80:81]
	s_cbranch_execz .LBB153_491
; %bb.480:                              ;   in Loop: Header=BB153_31 Depth=1
	v_mov_b32_e32 v2, 1
	s_xor_b64 s[30:31], s[52:53], -1
	v_mov_b32_e32 v8, 1
	v_mov_b32_e32 v3, 0
	s_and_saveexec_b64 s[52:53], s[30:31]
	s_cbranch_execz .LBB153_490
; %bb.481:                              ;   in Loop: Header=BB153_31 Depth=1
	v_cmp_ge_u64_e32 vcc, s[16:17], v[4:5]
                                        ; implicit-def: $sgpr3
	s_and_saveexec_b64 s[30:31], vcc
	s_xor_b64 s[80:81], exec, s[30:31]
	s_cbranch_execz .LBB153_487
; %bb.482:                              ;   in Loop: Header=BB153_31 Depth=1
	ds_read_b64 v[2:3], v15 offset:5120
	s_waitcnt lgkmcnt(0)
	v_cmp_ne_u64_e32 vcc, 0, v[2:3]
	s_cbranch_vccnz .LBB153_486
; %bb.483:                              ;   in Loop: Header=BB153_31 Depth=1
	s_mov_b64 s[88:89], exec
	v_readlane_b32 s30, v56, 10
	v_readlane_b32 s31, v56, 11
	s_and_b64 s[30:31], s[88:89], s[30:31]
	s_mov_b64 exec, s[30:31]
	s_cbranch_execz .LBB153_485
; %bb.484:                              ;   in Loop: Header=BB153_31 Depth=1
	v_pk_mov_b32 v[2:3], s[16:17], s[16:17] op_sel:[0,1]
	ds_write_b64 v15, v[2:3] offset:5128
.LBB153_485:                            ;   in Loop: Header=BB153_31 Depth=1
	s_or_b64 exec, exec, s[88:89]
	s_waitcnt lgkmcnt(0)
	s_barrier
.LBB153_486:                            ;   in Loop: Header=BB153_31 Depth=1
	v_readlane_b32 s3, v56, 62
	v_and_b32_e32 v54, s3, v54
	v_or_b32_e32 v53, s86, v53
	s_mov_b32 s3, 5
.LBB153_487:                            ;   in Loop: Header=BB153_31 Depth=1
	s_or_saveexec_b64 s[80:81], s[80:81]
	v_mov_b32_e32 v8, s3
	s_xor_b64 exec, exec, s[80:81]
; %bb.488:                              ;   in Loop: Header=BB153_31 Depth=1
	v_mov_b32_e32 v2, s17
	v_subrev_co_u32_e32 v4, vcc, s16, v4
	v_subb_co_u32_e32 v5, vcc, v5, v2, vcc
	v_mov_b32_e32 v8, 5
; %bb.489:                              ;   in Loop: Header=BB153_31 Depth=1
	s_or_b64 exec, exec, s[80:81]
	v_pk_mov_b32 v[2:3], v[4:5], v[4:5] op_sel:[0,1]
.LBB153_490:                            ;   in Loop: Header=BB153_31 Depth=1
	s_or_b64 exec, exec, s[52:53]
	s_mov_b64 s[88:89], exec
.LBB153_491:                            ;   in Loop: Header=BB153_31 Depth=1
	s_or_b64 exec, exec, s[54:55]
	s_orn2_b64 s[52:53], s[88:89], exec
	v_pk_mov_b32 v[4:5], v[2:3], v[2:3] op_sel:[0,1]
.LBB153_492:                            ;   in Loop: Header=BB153_31 Depth=1
	s_or_b64 exec, exec, s[18:19]
	s_andn2_b64 s[16:17], s[44:45], exec
	s_and_b64 s[0:1], s[0:1], exec
	s_or_b64 s[44:45], s[16:17], s[0:1]
	s_andn2_b64 s[0:1], s[46:47], exec
	s_and_b64 s[16:17], s[66:67], exec
	s_or_b64 s[46:47], s[0:1], s[16:17]
	;; [unrolled: 3-line block ×3, first 2 shown]
	s_and_b64 s[0:1], s[52:53], exec
	v_pk_mov_b32 v[2:3], v[4:5], v[4:5] op_sel:[0,1]
.LBB153_493:                            ;   in Loop: Header=BB153_31 Depth=1
	s_or_b64 exec, exec, s[50:51]
	s_and_b64 s[50:51], s[44:45], exec
	s_and_b64 s[46:47], s[46:47], exec
	;; [unrolled: 1-line block ×3, first 2 shown]
	s_orn2_b64 s[0:1], s[0:1], exec
.LBB153_494:                            ;   in Loop: Header=BB153_31 Depth=1
	s_or_b64 exec, exec, s[22:23]
	s_andn2_b64 s[16:17], s[24:25], exec
	s_and_b64 s[18:19], s[50:51], exec
	s_or_b64 s[24:25], s[16:17], s[18:19]
	s_andn2_b64 s[16:17], s[36:37], exec
	s_and_b64 s[18:19], s[46:47], exec
	s_or_b64 s[36:37], s[16:17], s[18:19]
	;; [unrolled: 3-line block ×3, first 2 shown]
	s_and_b64 s[46:47], s[0:1], exec
	v_pk_mov_b32 v[4:5], v[2:3], v[2:3] op_sel:[0,1]
.LBB153_495:                            ;   in Loop: Header=BB153_31 Depth=1
	s_or_b64 exec, exec, s[42:43]
	s_and_b64 s[42:43], s[24:25], exec
	s_and_b64 s[24:25], s[36:37], exec
	;; [unrolled: 1-line block ×3, first 2 shown]
	s_orn2_b64 s[36:37], s[46:47], exec
.LBB153_496:                            ;   in Loop: Header=BB153_31 Depth=1
	s_or_b64 exec, exec, s[6:7]
	s_mov_b64 s[6:7], s[28:29]
	s_mov_b64 s[16:17], s[26:27]
	s_and_saveexec_b64 s[18:19], s[36:37]
; %bb.497:                              ;   in Loop: Header=BB153_31 Depth=1
	v_cmp_ne_u32_e64 s[6:7], 5, v8
	v_cmp_eq_u32_e32 vcc, 5, v8
	s_andn2_b64 s[16:17], s[26:27], exec
	s_and_b64 s[6:7], s[6:7], exec
	s_or_b64 s[16:17], s[16:17], s[6:7]
	s_andn2_b64 s[6:7], s[28:29], exec
	s_and_b64 s[22:23], vcc, exec
	s_andn2_b64 s[42:43], s[42:43], exec
	s_andn2_b64 s[24:25], s[24:25], exec
	;; [unrolled: 1-line block ×3, first 2 shown]
	s_or_b64 s[6:7], s[6:7], s[22:23]
; %bb.498:                              ;   in Loop: Header=BB153_31 Depth=1
	s_or_b64 exec, exec, s[18:19]
	s_andn2_b64 s[14:15], s[14:15], exec
	s_and_b64 s[18:19], s[42:43], exec
	s_or_b64 s[14:15], s[14:15], s[18:19]
	s_andn2_b64 s[18:19], s[38:39], exec
	s_and_b64 s[22:23], s[24:25], exec
	s_or_b64 s[38:39], s[18:19], s[22:23]
	;; [unrolled: 3-line block ×5, first 2 shown]
	v_mov_b32_e32 v30, v54
	v_mov_b32_e32 v36, v53
	;; [unrolled: 1-line block ×3, first 2 shown]
.LBB153_499:                            ;   in Loop: Header=BB153_31 Depth=1
	s_or_b64 exec, exec, s[34:35]
	s_mov_b64 s[36:37], s[20:21]
	s_mov_b64 s[34:35], s[20:21]
	s_and_saveexec_b64 s[0:1], s[28:29]
.LBB153_500:                            ;   in Loop: Header=BB153_31 Depth=1
	v_mov_b32_e32 v8, 0
	s_andn2_b64 s[20:21], s[20:21], exec
	s_andn2_b64 s[14:15], s[14:15], exec
	;; [unrolled: 1-line block ×5, first 2 shown]
	s_or_b64 s[26:27], s[26:27], exec
.LBB153_501:                            ;   in Loop: Header=BB153_31 Depth=1
	s_or_b64 exec, exec, s[0:1]
	s_andn2_b64 s[0:1], s[4:5], exec
	s_and_b64 s[4:5], s[20:21], exec
	s_or_b64 s[4:5], s[0:1], s[4:5]
	v_readlane_b32 s0, v56, 60
	v_readlane_b32 s1, v56, 61
	s_andn2_b64 s[0:1], s[0:1], exec
	s_and_b64 s[14:15], s[14:15], exec
	s_or_b64 s[18:19], s[0:1], s[14:15]
	v_readlane_b32 s0, v56, 58
	v_readlane_b32 s1, v56, 59
	;; [unrolled: 5-line block ×4, first 2 shown]
	s_andn2_b64 s[0:1], s[0:1], exec
	s_and_b64 s[14:15], s[34:35], exec
	s_mov_b64 s[6:7], -1
	s_mov_b64 s[34:35], s[18:19]
	s_or_b64 s[28:29], s[0:1], s[14:15]
                                        ; implicit-def: $vgpr53
                                        ; implicit-def: $vgpr54
                                        ; implicit-def: $vgpr32_vgpr33
                                        ; implicit-def: $vgpr31
	s_and_saveexec_b64 s[0:1], s[26:27]
	s_mov_b64 s[26:27], s[16:17]
	s_xor_b64 s[0:1], exec, s[0:1]
	s_cbranch_execz .LBB153_30
; %bb.502:                              ;   in Loop: Header=BB153_31 Depth=1
	v_cmp_eq_u32_e32 vcc, 0, v8
	s_mov_b64 s[14:15], -1
	s_and_saveexec_b64 s[16:17], vcc
	s_cbranch_execz .LBB153_29
; %bb.503:                              ;   in Loop: Header=BB153_31 Depth=1
	v_readlane_b32 s3, v56, 53
	s_xor_b32 s3, s3, 1
	v_writelane_b32 v56, s3, 53
	v_readlane_b32 s6, v56, 52
	s_add_i32 s3, s6, -2
	s_cmp_eq_u32 s6, 0
	s_cselect_b64 s[6:7], -1, 0
	s_xor_b64 s[14:15], exec, -1
	s_orn2_b64 s[6:7], s[6:7], exec
	v_writelane_b32 v56, s3, 52
	s_branch .LBB153_29
.LBB153_504:
	s_or_b64 exec, exec, s[70:71]
	s_xor_b64 s[2:3], s[10:11], -1
	s_xor_b64 s[10:11], s[8:9], -1
	;; [unrolled: 1-line block ×5, first 2 shown]
	s_mov_b64 s[4:5], 0
	s_and_saveexec_b64 s[12:13], s[6:7]
	s_xor_b64 s[6:7], exec, s[12:13]
	s_cbranch_execnz .LBB153_509
; %bb.505:
	s_andn2_saveexec_b64 s[0:1], s[6:7]
	s_cbranch_execnz .LBB153_528
.LBB153_506:
	s_or_b64 exec, exec, s[0:1]
	s_and_saveexec_b64 s[0:1], s[4:5]
.LBB153_507:
	; divergent unreachable
.LBB153_508:
	s_endpgm
.LBB153_509:
	s_and_saveexec_b64 s[12:13], s[8:9]
	s_xor_b64 s[8:9], exec, s[12:13]
	s_cbranch_execz .LBB153_526
; %bb.510:
	s_and_saveexec_b64 s[12:13], s[10:11]
	s_xor_b64 s[10:11], exec, s[12:13]
	s_cbranch_execz .LBB153_524
; %bb.511:
	;; [unrolled: 4-line block ×3, first 2 shown]
	s_and_saveexec_b64 s[2:3], s[0:1]
	s_xor_b64 s[0:1], exec, s[2:3]
; %bb.513:
	v_xor_b32_e32 v3, 0x80000000, v30
; %bb.514:
	s_or_b64 exec, exec, s[0:1]
	s_mov_b64 s[0:1], exec
	v_readlane_b32 s2, v56, 10
	v_readlane_b32 s3, v56, 11
	;; [unrolled: 1-line block ×3, first 2 shown]
	s_and_b64 s[2:3], s[0:1], s[2:3]
	v_readlane_b32 s37, v56, 15
	s_mov_b64 exec, s[2:3]
	s_cbranch_execz .LBB153_516
; %bb.515:
	v_mov_b32_e32 v4, 0
	v_mov_b32_e32 v5, v4
	ds_write_b64 v4, v[4:5] offset:5136
.LBB153_516:
	s_or_b64 exec, exec, s[0:1]
	v_mov_b32_e32 v20, 0
	s_waitcnt lgkmcnt(0)
	s_barrier
	s_mov_b64 s[0:1], exec
	v_readlane_b32 s2, v56, 24
	v_readlane_b32 s3, v56, 25
	s_and_b64 s[2:3], s[0:1], s[2:3]
	s_mov_b64 exec, s[2:3]
	s_cbranch_execz .LBB153_518
; %bb.517:
	global_load_dword v20, v[12:13], off
.LBB153_518:
	s_or_b64 exec, exec, s[0:1]
	v_readlane_b32 s2, v56, 2
	s_add_u32 s0, s60, 63
	v_readlane_b32 s3, v56, 3
	v_readlane_b32 s4, v56, 0
	s_addc_u32 s15, s61, 0
	s_and_b32 s14, s0, 0xffffffc0
	v_readlane_b32 s5, v56, 1
	s_mul_i32 s0, s4, s3
	s_mul_hi_u32 s1, s4, s2
	s_add_i32 s0, s1, s0
	s_mul_i32 s1, s5, s2
	s_add_i32 s1, s0, s1
	s_mul_i32 s0, s4, s2
	v_readlane_b32 s4, v56, 6
	v_readlane_b32 s5, v56, 7
	s_mul_i32 s2, s4, s79
	s_mul_hi_u32 s3, s4, s78
	s_add_i32 s2, s3, s2
	s_mul_i32 s3, s5, s78
	s_add_i32 s3, s2, s3
	s_mul_i32 s2, s4, s78
	s_lshl_b64 s[0:1], s[0:1], 2
	v_readlane_b32 s4, v56, 4
	v_readlane_b32 s5, v56, 5
	s_add_u32 s4, s4, s0
	s_addc_u32 s5, s5, s1
	s_lshl_b64 s[0:1], s[56:57], 2
	s_add_u32 s44, s4, s0
	s_addc_u32 s45, s5, s1
	s_lshl_b64 s[0:1], s[2:3], 3
	v_readlane_b32 s2, v56, 8
	v_readlane_b32 s3, v56, 9
	s_add_u32 s2, s2, s0
	s_addc_u32 s3, s3, s1
	s_lshl_b64 s[0:1], s[74:75], 3
	s_add_u32 s46, s2, s0
	s_addc_u32 s47, s3, s1
	v_readlane_b32 s0, v56, 12
	v_readlane_b32 s1, v56, 13
	s_load_dwordx2 s[16:17], s[0:1], 0x368
	s_load_dwordx2 s[18:19], s[0:1], 0x510
	v_cmp_gt_u64_e32 vcc, s[14:15], v[0:1]
	s_mov_b64 s[22:23], -1
	s_mov_b64 s[2:3], 0
	v_add_u32_e32 v2, s33, v0
	s_mov_b64 s[0:1], 0
	s_and_saveexec_b64 s[20:21], vcc
	s_cbranch_execnz .LBB153_529
; %bb.519:
	s_or_b64 exec, exec, s[20:21]
	s_and_saveexec_b64 s[4:5], s[22:23]
	s_cbranch_execnz .LBB153_544
.LBB153_520:
	s_or_b64 exec, exec, s[4:5]
	s_and_saveexec_b64 s[4:5], s[0:1]
	s_xor_b64 s[0:1], exec, s[4:5]
	s_cbranch_execnz .LBB153_566
.LBB153_521:
	s_or_b64 exec, exec, s[0:1]
	s_and_b64 s[4:5], s[2:3], exec
.LBB153_522:
	s_andn2_saveexec_b64 s[0:1], s[12:13]
	s_cbranch_execnz .LBB153_569
.LBB153_523:
	s_or_b64 exec, exec, s[0:1]
	s_and_b64 s[4:5], s[4:5], exec
.LBB153_524:
	s_andn2_saveexec_b64 s[0:1], s[10:11]
	s_cbranch_execnz .LBB153_568
.LBB153_525:
	s_or_b64 exec, exec, s[0:1]
	s_and_b64 s[4:5], s[4:5], exec
.LBB153_526:
	s_andn2_saveexec_b64 s[0:1], s[8:9]
	s_cbranch_execnz .LBB153_567
.LBB153_527:
	s_or_b64 exec, exec, s[0:1]
	s_and_b64 s[4:5], s[4:5], exec
	s_andn2_saveexec_b64 s[0:1], s[6:7]
	s_cbranch_execz .LBB153_506
.LBB153_528:
	s_or_b64 s[4:5], s[4:5], exec
	s_trap 2
	s_or_b64 exec, exec, s[0:1]
	s_and_saveexec_b64 s[0:1], s[4:5]
	s_cbranch_execnz .LBB153_507
	s_branch .LBB153_508
.LBB153_529:
	v_mad_u64_u32 v[4:5], s[0:1], s58, v2, 0
	v_mov_b32_e32 v6, v5
	v_mad_u64_u32 v[6:7], s[0:1], s59, v2, v[6:7]
	v_readlane_b32 s0, v56, 48
	v_readlane_b32 s1, v56, 49
	s_add_u32 s0, s0, s72
	s_addc_u32 s1, s1, s73
	v_readlane_b32 s4, v56, 50
	v_mov_b32_e32 v5, v6
	v_readlane_b32 s5, v56, 51
	s_add_u32 s0, s0, s4
	v_lshlrev_b64 v[4:5], 2, v[4:5]
	s_addc_u32 s1, s1, s5
	v_mov_b32_e32 v6, s1
	v_add_co_u32_e32 v4, vcc, s0, v4
	v_xor_b32_e32 v21, 0x80000000, v3
	v_addc_co_u32_e32 v5, vcc, v6, v5, vcc
	s_mov_b64 s[0:1], 0
	v_mov_b32_e32 v22, s92
	v_mov_b32_e32 v7, 0
	v_pk_mov_b32 v[16:17], v[0:1], v[0:1] op_sel:[0,1]
                                        ; implicit-def: $sgpr22_sgpr23
                                        ; implicit-def: $vgpr14_vgpr15
	s_branch .LBB153_531
.LBB153_530:                            ;   in Loop: Header=BB153_531 Depth=1
	s_or_b64 exec, exec, s[24:25]
	s_xor_b64 s[24:25], s[28:29], -1
	s_and_b64 s[4:5], exec, s[4:5]
	s_or_b64 s[0:1], s[4:5], s[0:1]
	s_andn2_b64 s[4:5], s[22:23], exec
	s_and_b64 s[22:23], s[24:25], exec
	s_or_b64 s[22:23], s[4:5], s[22:23]
	v_mov_b32_e32 v20, v23
	v_pk_mov_b32 v[16:17], v[8:9], v[8:9] op_sel:[0,1]
	s_andn2_b64 exec, exec, s[0:1]
	s_cbranch_execz .LBB153_543
.LBB153_531:                            ; =>This Inner Loop Header: Depth=1
	v_add_co_u32_e32 v8, vcc, s33, v16
	v_addc_co_u32_e32 v9, vcc, v17, v22, vcc
	v_cmp_gt_u64_e32 vcc, s[60:61], v[8:9]
	v_mov_b32_e32 v23, 0
	s_and_saveexec_b64 s[4:5], vcc
	s_cbranch_execz .LBB153_533
; %bb.532:                              ;   in Loop: Header=BB153_531 Depth=1
	global_load_dword v23, v[4:5], off
.LBB153_533:                            ;   in Loop: Header=BB153_531 Depth=1
	s_or_b64 exec, exec, s[4:5]
	s_waitcnt vmcnt(0)
	v_xor_b32_e32 v6, 0x80000000, v20
	v_cmp_gt_u32_e64 s[4:5], v6, v21
	v_cndmask_b32_e64 v18, 0, 1, s[4:5]
	v_cmp_lt_u32_e64 s[4:5], v6, v21
	v_cndmask_b32_e64 v6, 0, 1, s[4:5]
	v_cndmask_b32_e64 v6, v6, v18, s[36:37]
	v_and_b32_e32 v6, 1, v6
	v_cmp_gt_u64_e32 vcc, s[60:61], v[16:17]
	v_cmp_eq_u32_e64 s[4:5], 1, v6
	s_and_b64 s[26:27], vcc, s[4:5]
	v_cndmask_b32_e64 v6, 0, 1, s[26:27]
	v_cmp_ne_u32_e32 vcc, 0, v6
	s_cmp_lg_u64 vcc, 0
	v_readlane_b32 s24, v56, 18
	s_cselect_b64 s[4:5], -1, 0
	v_readlane_b32 s25, v56, 19
	s_and_b64 s[4:5], s[24:25], s[4:5]
	s_and_saveexec_b64 s[24:25], s[4:5]
	s_cbranch_execz .LBB153_537
; %bb.534:                              ;   in Loop: Header=BB153_531 Depth=1
	s_mov_b64 s[30:31], exec
	v_mbcnt_lo_u32_b32 v6, s30, 0
	v_mbcnt_hi_u32_b32 v18, s31, v6
	s_bcnt1_i32_b64 s34, vcc
	v_cmp_eq_u32_e64 s[4:5], 0, v18
                                        ; implicit-def: $vgpr14_vgpr15
	s_and_saveexec_b64 s[28:29], s[4:5]
	s_cbranch_execz .LBB153_536
; %bb.535:                              ;   in Loop: Header=BB153_531 Depth=1
	s_bcnt1_i32_b64 s4, s[30:31]
	s_mul_i32 s4, s34, s4
	v_mov_b32_e32 v6, s4
	s_waitcnt lgkmcnt(0)
	ds_add_rtn_u64 v[14:15], v7, v[6:7] offset:5136
.LBB153_536:                            ;   in Loop: Header=BB153_531 Depth=1
	s_or_b64 exec, exec, s[28:29]
	s_waitcnt lgkmcnt(0)
	v_readfirstlane_b32 s4, v15
	v_readfirstlane_b32 s5, v14
	v_mov_b32_e32 v14, s5
	v_mov_b32_e32 v15, s4
	v_mad_u64_u32 v[14:15], s[4:5], s34, v18, v[14:15]
.LBB153_537:                            ;   in Loop: Header=BB153_531 Depth=1
	s_or_b64 exec, exec, s[24:25]
	s_waitcnt lgkmcnt(0)
	ds_bpermute_b32 v14, v46, v14
	ds_bpermute_b32 v15, v46, v15
	s_mov_b64 s[4:5], -1
	s_mov_b64 s[30:31], -1
                                        ; implicit-def: $sgpr28_sgpr29
	s_and_saveexec_b64 s[24:25], s[26:27]
	s_cbranch_execz .LBB153_541
; %bb.538:                              ;   in Loop: Header=BB153_531 Depth=1
	v_and_b32_e32 v18, vcc_lo, v10
	v_and_b32_e32 v6, vcc_hi, v11
	v_bcnt_u32_b32 v18, v18, 0
	v_bcnt_u32_b32 v6, v6, v18
	s_waitcnt lgkmcnt(0)
	v_add_co_u32_e32 v18, vcc, v14, v6
	v_addc_co_u32_e32 v19, vcc, 0, v15, vcc
	v_cmp_gt_u64_e32 vcc, s[62:63], v[18:19]
	s_mov_b64 s[26:27], 0
	s_and_saveexec_b64 s[28:29], vcc
	s_cbranch_execz .LBB153_540
; %bb.539:                              ;   in Loop: Header=BB153_531 Depth=1
	v_mul_lo_u32 v6, v19, s16
	v_mul_lo_u32 v26, v18, s17
	v_mad_u64_u32 v[24:25], s[30:31], v18, s16, 0
	v_add3_u32 v25, v25, v26, v6
	v_mul_lo_u32 v6, v19, s18
	v_mul_lo_u32 v26, v18, s19
	v_mad_u64_u32 v[18:19], s[30:31], v18, s18, 0
	v_lshlrev_b64 v[24:25], 2, v[24:25]
	v_add3_u32 v19, v19, v26, v6
	v_mov_b32_e32 v6, s45
	v_add_co_u32_e32 v24, vcc, s44, v24
	v_addc_co_u32_e32 v25, vcc, v6, v25, vcc
	v_lshlrev_b64 v[18:19], 3, v[18:19]
	v_mov_b32_e32 v6, s47
	v_add_co_u32_e32 v18, vcc, s46, v18
	s_mov_b64 s[26:27], exec
	v_addc_co_u32_e32 v19, vcc, v6, v19, vcc
	global_store_dword v[24:25], v20, off
	global_store_dwordx2 v[18:19], v[16:17], off
.LBB153_540:                            ;   in Loop: Header=BB153_531 Depth=1
	s_or_b64 exec, exec, s[28:29]
	s_mov_b64 s[28:29], -1
	s_orn2_b64 s[30:31], s[26:27], exec
.LBB153_541:                            ;   in Loop: Header=BB153_531 Depth=1
	s_or_b64 exec, exec, s[24:25]
	s_and_saveexec_b64 s[24:25], s[30:31]
	s_cbranch_execz .LBB153_530
; %bb.542:                              ;   in Loop: Header=BB153_531 Depth=1
	v_mov_b32_e32 v6, s65
	v_add_co_u32_e32 v4, vcc, s64, v4
	v_addc_co_u32_e32 v5, vcc, v5, v6, vcc
	v_cmp_le_u64_e32 vcc, s[14:15], v[8:9]
	s_andn2_b64 s[28:29], s[28:29], exec
	s_orn2_b64 s[4:5], vcc, exec
	s_branch .LBB153_530
.LBB153_543:
	s_or_b64 exec, exec, s[0:1]
	s_mov_b64 s[0:1], exec
	s_orn2_b64 s[22:23], s[22:23], exec
	s_or_b64 exec, exec, s[20:21]
	s_and_saveexec_b64 s[4:5], s[22:23]
	s_cbranch_execz .LBB153_520
.LBB153_544:
	v_mov_b32_e32 v5, 0
	s_waitcnt lgkmcnt(0)
	v_mov_b32_e32 v14, 0
	s_barrier
	s_mov_b64 s[2:3], exec
	v_readlane_b32 s20, v56, 24
	v_readlane_b32 s21, v56, 25
	s_and_b64 s[20:21], s[2:3], s[20:21]
	s_mov_b64 exec, s[20:21]
	s_cbranch_execz .LBB153_546
; %bb.545:
	global_load_dword v14, v[12:13], off
.LBB153_546:
	s_or_b64 exec, exec, s[2:3]
	v_mad_u64_u32 v[6:7], s[2:3], s58, v2, 0
	v_mov_b32_e32 v4, v7
	v_mad_u64_u32 v[8:9], s[2:3], s59, v2, v[4:5]
	v_readlane_b32 s2, v56, 48
	v_readlane_b32 s3, v56, 49
	s_add_u32 s2, s2, s72
	s_addc_u32 s3, s3, s73
	v_readlane_b32 s20, v56, 50
	v_mov_b32_e32 v7, v8
	v_readlane_b32 s21, v56, 51
	s_add_u32 s2, s2, s20
	v_lshlrev_b64 v[6:7], 2, v[6:7]
	s_addc_u32 s3, s3, s21
	v_mov_b32_e32 v2, s3
	v_add_co_u32_e32 v6, vcc, s2, v6
	v_addc_co_u32_e32 v7, vcc, v2, v7, vcc
	s_mov_b64 s[22:23], 0
                                        ; implicit-def: $sgpr20_sgpr21
                                        ; implicit-def: $sgpr24_sgpr25
                                        ; implicit-def: $sgpr26_sgpr27
                                        ; implicit-def: $vgpr8_vgpr9
	s_branch .LBB153_549
.LBB153_547:                            ;   in Loop: Header=BB153_549 Depth=1
	s_or_b64 exec, exec, s[34:35]
	s_andn2_b64 s[26:27], s[26:27], exec
	s_and_b64 s[30:31], s[38:39], exec
	s_andn2_b64 s[24:25], s[24:25], exec
	s_and_b64 s[2:3], s[2:3], exec
	s_or_b64 s[26:27], s[26:27], s[30:31]
	s_or_b64 s[24:25], s[24:25], s[2:3]
	v_pk_mov_b32 v[0:1], v[12:13], v[12:13] op_sel:[0,1]
.LBB153_548:                            ;   in Loop: Header=BB153_549 Depth=1
	s_or_b64 exec, exec, s[28:29]
	s_xor_b64 s[2:3], s[26:27], -1
	s_and_b64 s[28:29], exec, s[24:25]
	s_or_b64 s[22:23], s[28:29], s[22:23]
	s_andn2_b64 s[20:21], s[20:21], exec
	s_and_b64 s[2:3], s[2:3], exec
	s_or_b64 s[20:21], s[20:21], s[2:3]
	s_andn2_b64 exec, exec, s[22:23]
	s_cbranch_execz .LBB153_564
.LBB153_549:                            ; =>This Inner Loop Header: Depth=1
	v_cmp_gt_u64_e32 vcc, s[14:15], v[0:1]
	s_or_b64 s[26:27], s[26:27], exec
	s_or_b64 s[24:25], s[24:25], exec
	s_and_saveexec_b64 s[28:29], vcc
	s_cbranch_execz .LBB153_548
; %bb.550:                              ;   in Loop: Header=BB153_549 Depth=1
	v_mov_b32_e32 v2, s92
	v_add_co_u32_e32 v12, vcc, s33, v0
	v_addc_co_u32_e32 v13, vcc, v1, v2, vcc
	v_cmp_gt_u64_e32 vcc, s[60:61], v[12:13]
	v_mov_b32_e32 v2, 0
	s_and_saveexec_b64 s[2:3], vcc
	s_cbranch_execz .LBB153_552
; %bb.551:                              ;   in Loop: Header=BB153_549 Depth=1
	global_load_dword v2, v[6:7], off
.LBB153_552:                            ;   in Loop: Header=BB153_549 Depth=1
	s_or_b64 exec, exec, s[2:3]
	v_cmp_gt_u64_e32 vcc, s[60:61], v[0:1]
	s_waitcnt vmcnt(0)
	v_cmp_eq_u32_e64 s[2:3], v14, v3
	s_and_b64 s[34:35], vcc, s[2:3]
	v_cndmask_b32_e64 v4, 0, 1, s[34:35]
	v_cmp_ne_u32_e32 vcc, 0, v4
	s_cmp_lg_u64 vcc, 0
	v_readlane_b32 s30, v56, 18
	s_cselect_b64 s[2:3], -1, 0
	v_readlane_b32 s31, v56, 19
	s_and_b64 s[2:3], s[30:31], s[2:3]
	s_and_saveexec_b64 s[30:31], s[2:3]
	s_cbranch_execz .LBB153_556
; %bb.553:                              ;   in Loop: Header=BB153_549 Depth=1
	s_mov_b64 s[38:39], exec
	v_mbcnt_lo_u32_b32 v4, s38, 0
	v_mbcnt_hi_u32_b32 v15, s39, v4
	s_bcnt1_i32_b64 s40, vcc
	v_cmp_eq_u32_e64 s[2:3], 0, v15
                                        ; implicit-def: $vgpr8_vgpr9
	s_and_saveexec_b64 s[36:37], s[2:3]
	s_cbranch_execz .LBB153_555
; %bb.554:                              ;   in Loop: Header=BB153_549 Depth=1
	s_bcnt1_i32_b64 s2, s[38:39]
	s_mul_i32 s2, s40, s2
	v_mov_b32_e32 v4, s2
	ds_add_rtn_u64 v[8:9], v5, v[4:5] offset:5136
.LBB153_555:                            ;   in Loop: Header=BB153_549 Depth=1
	s_or_b64 exec, exec, s[36:37]
	s_waitcnt lgkmcnt(0)
	v_readfirstlane_b32 s2, v9
	v_readfirstlane_b32 s3, v8
	v_mov_b32_e32 v8, s3
	v_mov_b32_e32 v9, s2
	v_mad_u64_u32 v[8:9], s[2:3], s40, v15, v[8:9]
.LBB153_556:                            ;   in Loop: Header=BB153_549 Depth=1
	s_or_b64 exec, exec, s[30:31]
	ds_bpermute_b32 v8, v46, v8
	ds_bpermute_b32 v9, v46, v9
	s_cmp_eq_u64 vcc, 0
	s_cselect_b64 s[30:31], -1, 0
	s_mov_b64 s[36:37], -1
	s_mov_b64 s[38:39], -1
	s_waitcnt lgkmcnt(0)
	v_cmp_gt_u64_e64 s[2:3], s[62:63], v[8:9]
	s_or_b64 s[30:31], s[30:31], s[2:3]
	v_cndmask_b32_e64 v14, v14, v2, s[30:31]
	s_and_b64 s[40:41], s[34:35], s[30:31]
	s_mov_b64 s[2:3], -1
	s_and_saveexec_b64 s[34:35], s[40:41]
	s_cbranch_execz .LBB153_562
; %bb.557:                              ;   in Loop: Header=BB153_549 Depth=1
	v_and_b32_e32 v14, vcc_lo, v10
	v_and_b32_e32 v4, vcc_hi, v11
	v_bcnt_u32_b32 v14, v14, 0
	v_bcnt_u32_b32 v4, v4, v14
	v_mov_b32_e32 v15, s63
	v_sub_co_u32_e32 v14, vcc, s62, v8
	v_subb_co_u32_e32 v15, vcc, v15, v9, vcc
	v_cmp_le_u64_e64 s[36:37], v[14:15], v[4:5]
	v_cmp_gt_u64_e32 vcc, v[14:15], v[4:5]
	s_mov_b64 s[40:41], -1
	s_and_saveexec_b64 s[38:39], vcc
	s_cbranch_execz .LBB153_561
; %bb.558:                              ;   in Loop: Header=BB153_549 Depth=1
	v_add_co_u32_e32 v14, vcc, v8, v4
	v_addc_co_u32_e32 v15, vcc, 0, v9, vcc
	v_cmp_gt_u64_e32 vcc, s[62:63], v[14:15]
	s_mov_b64 s[42:43], s[36:37]
	s_and_saveexec_b64 s[40:41], vcc
	s_cbranch_execz .LBB153_560
; %bb.559:                              ;   in Loop: Header=BB153_549 Depth=1
	v_mul_lo_u32 v4, v15, s16
	v_mul_lo_u32 v18, v14, s17
	v_mad_u64_u32 v[16:17], s[42:43], v14, s16, 0
	v_add3_u32 v17, v17, v18, v4
	v_mul_lo_u32 v4, v15, s18
	v_mul_lo_u32 v18, v14, s19
	v_mad_u64_u32 v[14:15], s[42:43], v14, s18, 0
	v_lshlrev_b64 v[16:17], 2, v[16:17]
	v_add3_u32 v15, v15, v18, v4
	v_mov_b32_e32 v4, s45
	v_add_co_u32_e32 v16, vcc, s44, v16
	v_addc_co_u32_e32 v17, vcc, v4, v17, vcc
	v_lshlrev_b64 v[14:15], 3, v[14:15]
	v_mov_b32_e32 v4, s47
	v_add_co_u32_e32 v14, vcc, s46, v14
	v_addc_co_u32_e32 v15, vcc, v4, v15, vcc
	s_or_b64 s[42:43], s[36:37], exec
	global_store_dword v[16:17], v3, off
	global_store_dwordx2 v[14:15], v[0:1], off
.LBB153_560:                            ;   in Loop: Header=BB153_549 Depth=1
	s_or_b64 exec, exec, s[40:41]
	s_andn2_b64 s[36:37], s[36:37], exec
	s_and_b64 s[42:43], s[42:43], exec
	s_xor_b64 s[40:41], exec, -1
	s_or_b64 s[36:37], s[36:37], s[42:43]
.LBB153_561:                            ;   in Loop: Header=BB153_549 Depth=1
	s_or_b64 exec, exec, s[38:39]
	s_orn2_b64 s[38:39], s[40:41], exec
	s_or_b64 s[30:31], s[30:31], exec
	s_orn2_b64 s[36:37], s[36:37], exec
	v_mov_b32_e32 v14, v2
.LBB153_562:                            ;   in Loop: Header=BB153_549 Depth=1
	s_or_b64 exec, exec, s[34:35]
	s_and_saveexec_b64 s[34:35], s[36:37]
	s_cbranch_execz .LBB153_547
; %bb.563:                              ;   in Loop: Header=BB153_549 Depth=1
	s_xor_b64 s[2:3], s[30:31], -1
	v_mov_b32_e32 v0, s65
	v_add_co_u32_e32 v6, vcc, s64, v6
	v_addc_co_u32_e32 v7, vcc, v7, v0, vcc
	s_or_b64 s[38:39], s[38:39], exec
	s_orn2_b64 s[2:3], s[2:3], exec
	s_branch .LBB153_547
.LBB153_564:
	s_or_b64 exec, exec, s[22:23]
	s_mov_b64 s[2:3], 0
	s_and_saveexec_b64 s[14:15], s[20:21]
	s_xor_b64 s[14:15], exec, s[14:15]
	s_cbranch_execnz .LBB153_570
.LBB153_565:
	s_or_b64 exec, exec, s[14:15]
	s_and_b64 s[2:3], s[2:3], exec
	s_andn2_b64 s[0:1], s[0:1], exec
	s_or_b64 exec, exec, s[4:5]
	s_and_saveexec_b64 s[4:5], s[0:1]
	s_xor_b64 s[0:1], exec, s[4:5]
	s_cbranch_execz .LBB153_521
.LBB153_566:
	s_or_b64 s[2:3], s[2:3], exec
	s_trap 2
	s_branch .LBB153_521
.LBB153_567:
	s_or_b64 s[4:5], s[4:5], exec
	s_trap 2
	s_branch .LBB153_527
.LBB153_568:
	s_or_b64 s[4:5], s[4:5], exec
	s_trap 2
	s_branch .LBB153_525
.LBB153_569:
	s_trap 2
	s_or_b64 s[4:5], s[4:5], exec
	s_branch .LBB153_523
.LBB153_570:
	s_mov_b64 s[2:3], exec
	s_trap 2
	s_branch .LBB153_565
	.section	.rodata,"a",@progbits
	.p2align	6, 0x0
	.amdhsa_kernel _ZN2at6native6sbtopk10gatherTopKIimLin1ELb0EEEvNS_4cuda6detail10TensorInfoIKT_T0_EES8_S8_bS8_S8_NS5_IS6_S8_EES8_NS5_IlS8_EES8_PS6_
		.amdhsa_group_segment_fixed_size 5152
		.amdhsa_private_segment_fixed_size 0
		.amdhsa_kernarg_size 1568
		.amdhsa_user_sgpr_count 6
		.amdhsa_user_sgpr_private_segment_buffer 1
		.amdhsa_user_sgpr_dispatch_ptr 0
		.amdhsa_user_sgpr_queue_ptr 0
		.amdhsa_user_sgpr_kernarg_segment_ptr 1
		.amdhsa_user_sgpr_dispatch_id 0
		.amdhsa_user_sgpr_flat_scratch_init 0
		.amdhsa_user_sgpr_kernarg_preload_length 0
		.amdhsa_user_sgpr_kernarg_preload_offset 0
		.amdhsa_user_sgpr_private_segment_size 0
		.amdhsa_uses_dynamic_stack 0
		.amdhsa_system_sgpr_private_segment_wavefront_offset 0
		.amdhsa_system_sgpr_workgroup_id_x 1
		.amdhsa_system_sgpr_workgroup_id_y 1
		.amdhsa_system_sgpr_workgroup_id_z 1
		.amdhsa_system_sgpr_workgroup_info 0
		.amdhsa_system_vgpr_workitem_id 0
		.amdhsa_next_free_vgpr 57
		.amdhsa_next_free_sgpr 96
		.amdhsa_accum_offset 60
		.amdhsa_reserve_vcc 1
		.amdhsa_reserve_flat_scratch 0
		.amdhsa_float_round_mode_32 0
		.amdhsa_float_round_mode_16_64 0
		.amdhsa_float_denorm_mode_32 3
		.amdhsa_float_denorm_mode_16_64 3
		.amdhsa_dx10_clamp 1
		.amdhsa_ieee_mode 1
		.amdhsa_fp16_overflow 0
		.amdhsa_tg_split 0
		.amdhsa_exception_fp_ieee_invalid_op 0
		.amdhsa_exception_fp_denorm_src 0
		.amdhsa_exception_fp_ieee_div_zero 0
		.amdhsa_exception_fp_ieee_overflow 0
		.amdhsa_exception_fp_ieee_underflow 0
		.amdhsa_exception_fp_ieee_inexact 0
		.amdhsa_exception_int_div_zero 0
	.end_amdhsa_kernel
	.section	.text._ZN2at6native6sbtopk10gatherTopKIimLin1ELb0EEEvNS_4cuda6detail10TensorInfoIKT_T0_EES8_S8_bS8_S8_NS5_IS6_S8_EES8_NS5_IlS8_EES8_PS6_,"axG",@progbits,_ZN2at6native6sbtopk10gatherTopKIimLin1ELb0EEEvNS_4cuda6detail10TensorInfoIKT_T0_EES8_S8_bS8_S8_NS5_IS6_S8_EES8_NS5_IlS8_EES8_PS6_,comdat
.Lfunc_end153:
	.size	_ZN2at6native6sbtopk10gatherTopKIimLin1ELb0EEEvNS_4cuda6detail10TensorInfoIKT_T0_EES8_S8_bS8_S8_NS5_IS6_S8_EES8_NS5_IlS8_EES8_PS6_, .Lfunc_end153-_ZN2at6native6sbtopk10gatherTopKIimLin1ELb0EEEvNS_4cuda6detail10TensorInfoIKT_T0_EES8_S8_bS8_S8_NS5_IS6_S8_EES8_NS5_IlS8_EES8_PS6_
                                        ; -- End function
	.section	.AMDGPU.csdata,"",@progbits
; Kernel info:
; codeLenInByte = 29376
; NumSgprs: 100
; NumVgprs: 57
; NumAgprs: 0
; TotalNumVgprs: 57
; ScratchSize: 0
; MemoryBound: 0
; FloatMode: 240
; IeeeMode: 1
; LDSByteSize: 5152 bytes/workgroup (compile time only)
; SGPRBlocks: 12
; VGPRBlocks: 7
; NumSGPRsForWavesPerEU: 100
; NumVGPRsForWavesPerEU: 57
; AccumOffset: 60
; Occupancy: 8
; WaveLimiterHint : 1
; COMPUTE_PGM_RSRC2:SCRATCH_EN: 0
; COMPUTE_PGM_RSRC2:USER_SGPR: 6
; COMPUTE_PGM_RSRC2:TRAP_HANDLER: 0
; COMPUTE_PGM_RSRC2:TGID_X_EN: 1
; COMPUTE_PGM_RSRC2:TGID_Y_EN: 1
; COMPUTE_PGM_RSRC2:TGID_Z_EN: 1
; COMPUTE_PGM_RSRC2:TIDIG_COMP_CNT: 0
; COMPUTE_PGM_RSRC3_GFX90A:ACCUM_OFFSET: 14
; COMPUTE_PGM_RSRC3_GFX90A:TG_SPLIT: 0
	.section	.text._ZN2at6native6mbtopk23computeBlockDigitCountsIlmmLi1EEEvNS_4cuda6detail10TensorInfoIKT_T0_EEjPjjS8_iijT1_PSB_Ps,"axG",@progbits,_ZN2at6native6mbtopk23computeBlockDigitCountsIlmmLi1EEEvNS_4cuda6detail10TensorInfoIKT_T0_EEjPjjS8_iijT1_PSB_Ps,comdat
	.protected	_ZN2at6native6mbtopk23computeBlockDigitCountsIlmmLi1EEEvNS_4cuda6detail10TensorInfoIKT_T0_EEjPjjS8_iijT1_PSB_Ps ; -- Begin function _ZN2at6native6mbtopk23computeBlockDigitCountsIlmmLi1EEEvNS_4cuda6detail10TensorInfoIKT_T0_EEjPjjS8_iijT1_PSB_Ps
	.globl	_ZN2at6native6mbtopk23computeBlockDigitCountsIlmmLi1EEEvNS_4cuda6detail10TensorInfoIKT_T0_EEjPjjS8_iijT1_PSB_Ps
	.p2align	8
	.type	_ZN2at6native6mbtopk23computeBlockDigitCountsIlmmLi1EEEvNS_4cuda6detail10TensorInfoIKT_T0_EEjPjjS8_iijT1_PSB_Ps,@function
_ZN2at6native6mbtopk23computeBlockDigitCountsIlmmLi1EEEvNS_4cuda6detail10TensorInfoIKT_T0_EEjPjjS8_iijT1_PSB_Ps: ; @_ZN2at6native6mbtopk23computeBlockDigitCountsIlmmLi1EEEvNS_4cuda6detail10TensorInfoIKT_T0_EEjPjjS8_iijT1_PSB_Ps
; %bb.0:
	s_load_dwordx4 s[0:3], s[4:5], 0x1c0
	s_load_dwordx2 s[10:11], s[4:5], 0x1e8
	s_waitcnt lgkmcnt(0)
	s_load_dword s3, s[4:5], 0x1b0
	s_mov_b32 s13, 0
	v_cvt_f32_u32_e32 v1, s2
	s_mul_i32 s8, s11, s8
	s_add_i32 s7, s8, s7
	s_mul_i32 s16, s7, s10
	v_rcp_iflag_f32_e32 v1, v1
	s_sub_i32 s9, 0, s2
	s_add_i32 s16, s16, s6
	v_mul_f32_e32 v1, 0x4f7ffffe, v1
	v_cvt_u32_f32_e32 v1, v1
	v_readfirstlane_b32 s6, v1
	s_mul_i32 s9, s9, s6
	s_mul_hi_u32 s7, s6, s9
	s_add_i32 s6, s6, s7
	s_mul_hi_u32 s6, s16, s6
	s_mul_i32 s7, s6, s2
	s_sub_i32 s7, s16, s7
	s_add_i32 s8, s6, 1
	s_sub_i32 s9, s7, s2
	s_cmp_ge_u32 s7, s2
	s_cselect_b32 s6, s8, s6
	s_cselect_b32 s7, s9, s7
	s_add_i32 s8, s6, 1
	s_cmp_ge_u32 s7, s2
	s_cselect_b32 s12, s8, s6
	s_waitcnt lgkmcnt(0)
	s_cmp_ge_u32 s12, s3
	s_cbranch_scc1 .LBB154_23
; %bb.1:
	s_load_dwordx4 s[8:11], s[4:5], 0x1d0
	s_load_dwordx2 s[6:7], s[4:5], 0x1e0
	s_lshl_b64 s[14:15], s[12:13], 3
	s_movk_i32 s3, 0x100
	v_cmp_gt_u32_e32 vcc, s3, v0
	s_waitcnt lgkmcnt(0)
	s_add_u32 s14, s10, s14
	s_addc_u32 s15, s11, s15
	v_lshlrev_b32_e32 v1, 2, v0
	s_and_saveexec_b64 s[10:11], vcc
	s_cbranch_execz .LBB154_3
; %bb.2:
	v_mov_b32_e32 v2, 0
	ds_write_b32 v1, v2
.LBB154_3:
	s_or_b64 exec, exec, s[10:11]
	s_load_dword s13, s[4:5], 0x1a0
	s_mul_i32 s3, s12, s2
	s_sub_i32 s3, s16, s3
	s_add_i32 s10, s3, 1
	s_mul_i32 s3, s1, s3
	s_lshl_b32 s18, s3, 8
	s_waitcnt lgkmcnt(0)
	s_sub_i32 s3, s13, s18
	s_add_u32 s3, s3, 0xff
	s_addc_u32 s11, 0, 0
	v_mov_b32_e32 v2, s3
	v_alignbit_b32 v2, s11, v2, 8
	s_cmp_lt_u32 s10, s2
	v_readfirstlane_b32 s2, v2
	s_cselect_b32 s17, s1, s2
	s_cmp_lt_i32 s17, 1
	s_mov_b32 s1, 0
	s_barrier
	s_cbranch_scc1 .LBB154_19
; %bb.4:
	s_load_dwordx2 s[20:21], s[4:5], 0xd0
	s_load_dwordx2 s[10:11], s[4:5], 0x1b8
	;; [unrolled: 1-line block ×4, first 2 shown]
	v_add_u32_e32 v4, s18, v0
	s_waitcnt lgkmcnt(0)
	s_mul_i32 s4, s21, s12
	s_mul_hi_u32 s5, s20, s12
	s_add_i32 s5, s5, s4
	s_mul_i32 s4, s20, s12
	s_lshl_b64 s[4:5], s[4:5], 3
	s_add_u32 s14, s22, s4
	s_addc_u32 s15, s23, s5
	s_and_b32 s12, s0, 0xff
	s_cmp_eq_u32 s17, 1
	s_cbranch_scc1 .LBB154_14
; %bb.5:
	s_and_b32 s18, s17, 0x7ffffffe
	s_mov_b32 s19, 0
	v_mov_b32_e32 v5, 1
	v_mov_b32_e32 v6, 2
	;; [unrolled: 1-line block ×3, first 2 shown]
	s_branch .LBB154_7
.LBB154_6:                              ;   in Loop: Header=BB154_7 Depth=1
	s_or_b64 exec, exec, s[4:5]
	s_add_i32 s19, s19, 2
	s_cmp_eq_u32 s18, s19
	v_add_u32_e32 v7, 0x200, v7
	s_cbranch_scc1 .LBB154_13
.LBB154_7:                              ; =>This Inner Loop Header: Depth=1
	v_cmp_gt_u32_e64 s[0:1], s13, v7
	s_and_saveexec_b64 s[4:5], s[0:1]
	s_cbranch_execz .LBB154_10
; %bb.8:                                ;   in Loop: Header=BB154_7 Depth=1
	v_mad_u64_u32 v[2:3], s[0:1], v7, s10, 0
	v_mov_b32_e32 v8, v3
	v_mad_u64_u32 v[8:9], s[0:1], v7, s11, v[8:9]
	v_mov_b32_e32 v3, v8
	v_lshlrev_b64 v[2:3], 3, v[2:3]
	v_mov_b32_e32 v8, s15
	v_add_co_u32_e64 v2, s[0:1], s14, v2
	v_addc_co_u32_e64 v3, s[0:1], v8, v3, s[0:1]
	global_load_dwordx2 v[2:3], v[2:3], off
	s_waitcnt vmcnt(0)
	v_xor_b32_e32 v3, 0x80000000, v3
	v_xor_b32_e32 v8, s2, v2
	;; [unrolled: 1-line block ×3, first 2 shown]
	v_and_b32_e32 v9, s9, v9
	v_and_b32_e32 v8, s8, v8
	v_cmp_eq_u64_e64 s[0:1], 0, v[8:9]
	s_and_b64 exec, exec, s[0:1]
	s_cbranch_execz .LBB154_10
; %bb.9:                                ;   in Loop: Header=BB154_7 Depth=1
	v_lshrrev_b64 v[2:3], s12, v[2:3]
	v_lshlrev_b32_sdwa v2, v6, v2 dst_sel:DWORD dst_unused:UNUSED_PAD src0_sel:DWORD src1_sel:BYTE_0
	ds_add_u32 v2, v5
.LBB154_10:                             ;   in Loop: Header=BB154_7 Depth=1
	s_or_b64 exec, exec, s[4:5]
	v_add_u32_e32 v2, 0x100, v7
	v_cmp_gt_u32_e64 s[0:1], s13, v2
	s_and_saveexec_b64 s[4:5], s[0:1]
	s_cbranch_execz .LBB154_6
; %bb.11:                               ;   in Loop: Header=BB154_7 Depth=1
	v_mad_u64_u32 v[8:9], s[0:1], v2, s10, 0
	v_mov_b32_e32 v10, v9
	v_mad_u64_u32 v[2:3], s[0:1], v2, s11, v[10:11]
	v_mov_b32_e32 v9, v2
	v_lshlrev_b64 v[2:3], 3, v[8:9]
	v_mov_b32_e32 v8, s15
	v_add_co_u32_e64 v2, s[0:1], s14, v2
	v_addc_co_u32_e64 v3, s[0:1], v8, v3, s[0:1]
	global_load_dwordx2 v[2:3], v[2:3], off
	s_waitcnt vmcnt(0)
	v_xor_b32_e32 v3, 0x80000000, v3
	v_xor_b32_e32 v8, s2, v2
	v_xor_b32_e32 v9, s3, v3
	v_and_b32_e32 v9, s9, v9
	v_and_b32_e32 v8, s8, v8
	v_cmp_eq_u64_e64 s[0:1], 0, v[8:9]
	s_and_b64 exec, exec, s[0:1]
	s_cbranch_execz .LBB154_6
; %bb.12:                               ;   in Loop: Header=BB154_7 Depth=1
	v_lshrrev_b64 v[2:3], s12, v[2:3]
	v_lshlrev_b32_sdwa v2, v6, v2 dst_sel:DWORD dst_unused:UNUSED_PAD src0_sel:DWORD src1_sel:BYTE_0
	ds_add_u32 v2, v5
	s_branch .LBB154_6
.LBB154_13:
	s_lshl_b32 s1, s18, 8
.LBB154_14:
	s_bitcmp0_b32 s17, 0
	s_cbranch_scc1 .LBB154_19
; %bb.15:
	v_add_u32_e32 v2, s1, v4
	v_cmp_gt_u32_e64 s[0:1], s13, v2
	s_and_saveexec_b64 s[4:5], s[0:1]
	s_cbranch_execz .LBB154_18
; %bb.16:
	v_mad_u64_u32 v[4:5], s[0:1], v2, s10, 0
	v_mov_b32_e32 v6, v5
	v_mad_u64_u32 v[2:3], s[0:1], v2, s11, v[6:7]
	v_mov_b32_e32 v5, v2
	v_lshlrev_b64 v[2:3], 3, v[4:5]
	v_mov_b32_e32 v4, s15
	v_add_co_u32_e64 v2, s[0:1], s14, v2
	v_addc_co_u32_e64 v3, s[0:1], v4, v3, s[0:1]
	global_load_dwordx2 v[2:3], v[2:3], off
	s_waitcnt vmcnt(0)
	v_xor_b32_e32 v3, 0x80000000, v3
	v_xor_b32_e32 v4, s2, v2
	;; [unrolled: 1-line block ×3, first 2 shown]
	v_and_b32_e32 v5, s9, v5
	v_and_b32_e32 v4, s8, v4
	v_cmp_eq_u64_e64 s[0:1], 0, v[4:5]
	s_and_b64 exec, exec, s[0:1]
	s_cbranch_execz .LBB154_18
; %bb.17:
	v_lshrrev_b64 v[2:3], s12, v[2:3]
	v_mov_b32_e32 v3, 2
	v_lshlrev_b32_sdwa v2, v3, v2 dst_sel:DWORD dst_unused:UNUSED_PAD src0_sel:DWORD src1_sel:BYTE_0
	v_mov_b32_e32 v3, 1
	ds_add_u32 v2, v3
.LBB154_18:
	s_or_b64 exec, exec, s[4:5]
.LBB154_19:
	v_mov_b32_e32 v2, 0
	s_waitcnt lgkmcnt(0)
	s_barrier
	s_and_saveexec_b64 s[0:1], vcc
	s_cbranch_execz .LBB154_21
; %bb.20:
	ds_read_b32 v2, v1
.LBB154_21:
	s_or_b64 exec, exec, s[0:1]
	s_and_saveexec_b64 s[0:1], vcc
	s_cbranch_execz .LBB154_23
; %bb.22:
	v_lshl_or_b32 v0, s16, 8, v0
	v_mov_b32_e32 v1, 0
	v_lshlrev_b64 v[0:1], 1, v[0:1]
	v_mov_b32_e32 v3, s7
	v_add_co_u32_e32 v0, vcc, s6, v0
	v_addc_co_u32_e32 v1, vcc, v3, v1, vcc
	s_waitcnt lgkmcnt(0)
	global_store_short v[0:1], v2, off
.LBB154_23:
	s_endpgm
	.section	.rodata,"a",@progbits
	.p2align	6, 0x0
	.amdhsa_kernel _ZN2at6native6mbtopk23computeBlockDigitCountsIlmmLi1EEEvNS_4cuda6detail10TensorInfoIKT_T0_EEjPjjS8_iijT1_PSB_Ps
		.amdhsa_group_segment_fixed_size 1024
		.amdhsa_private_segment_fixed_size 0
		.amdhsa_kernarg_size 744
		.amdhsa_user_sgpr_count 6
		.amdhsa_user_sgpr_private_segment_buffer 1
		.amdhsa_user_sgpr_dispatch_ptr 0
		.amdhsa_user_sgpr_queue_ptr 0
		.amdhsa_user_sgpr_kernarg_segment_ptr 1
		.amdhsa_user_sgpr_dispatch_id 0
		.amdhsa_user_sgpr_flat_scratch_init 0
		.amdhsa_user_sgpr_kernarg_preload_length 0
		.amdhsa_user_sgpr_kernarg_preload_offset 0
		.amdhsa_user_sgpr_private_segment_size 0
		.amdhsa_uses_dynamic_stack 0
		.amdhsa_system_sgpr_private_segment_wavefront_offset 0
		.amdhsa_system_sgpr_workgroup_id_x 1
		.amdhsa_system_sgpr_workgroup_id_y 1
		.amdhsa_system_sgpr_workgroup_id_z 1
		.amdhsa_system_sgpr_workgroup_info 0
		.amdhsa_system_vgpr_workitem_id 0
		.amdhsa_next_free_vgpr 12
		.amdhsa_next_free_sgpr 24
		.amdhsa_accum_offset 12
		.amdhsa_reserve_vcc 1
		.amdhsa_reserve_flat_scratch 0
		.amdhsa_float_round_mode_32 0
		.amdhsa_float_round_mode_16_64 0
		.amdhsa_float_denorm_mode_32 3
		.amdhsa_float_denorm_mode_16_64 3
		.amdhsa_dx10_clamp 1
		.amdhsa_ieee_mode 1
		.amdhsa_fp16_overflow 0
		.amdhsa_tg_split 0
		.amdhsa_exception_fp_ieee_invalid_op 0
		.amdhsa_exception_fp_denorm_src 0
		.amdhsa_exception_fp_ieee_div_zero 0
		.amdhsa_exception_fp_ieee_overflow 0
		.amdhsa_exception_fp_ieee_underflow 0
		.amdhsa_exception_fp_ieee_inexact 0
		.amdhsa_exception_int_div_zero 0
	.end_amdhsa_kernel
	.section	.text._ZN2at6native6mbtopk23computeBlockDigitCountsIlmmLi1EEEvNS_4cuda6detail10TensorInfoIKT_T0_EEjPjjS8_iijT1_PSB_Ps,"axG",@progbits,_ZN2at6native6mbtopk23computeBlockDigitCountsIlmmLi1EEEvNS_4cuda6detail10TensorInfoIKT_T0_EEjPjjS8_iijT1_PSB_Ps,comdat
.Lfunc_end154:
	.size	_ZN2at6native6mbtopk23computeBlockDigitCountsIlmmLi1EEEvNS_4cuda6detail10TensorInfoIKT_T0_EEjPjjS8_iijT1_PSB_Ps, .Lfunc_end154-_ZN2at6native6mbtopk23computeBlockDigitCountsIlmmLi1EEEvNS_4cuda6detail10TensorInfoIKT_T0_EEjPjjS8_iijT1_PSB_Ps
                                        ; -- End function
	.section	.AMDGPU.csdata,"",@progbits
; Kernel info:
; codeLenInByte = 1000
; NumSgprs: 28
; NumVgprs: 12
; NumAgprs: 0
; TotalNumVgprs: 12
; ScratchSize: 0
; MemoryBound: 0
; FloatMode: 240
; IeeeMode: 1
; LDSByteSize: 1024 bytes/workgroup (compile time only)
; SGPRBlocks: 3
; VGPRBlocks: 1
; NumSGPRsForWavesPerEU: 28
; NumVGPRsForWavesPerEU: 12
; AccumOffset: 12
; Occupancy: 8
; WaveLimiterHint : 1
; COMPUTE_PGM_RSRC2:SCRATCH_EN: 0
; COMPUTE_PGM_RSRC2:USER_SGPR: 6
; COMPUTE_PGM_RSRC2:TRAP_HANDLER: 0
; COMPUTE_PGM_RSRC2:TGID_X_EN: 1
; COMPUTE_PGM_RSRC2:TGID_Y_EN: 1
; COMPUTE_PGM_RSRC2:TGID_Z_EN: 1
; COMPUTE_PGM_RSRC2:TIDIG_COMP_CNT: 0
; COMPUTE_PGM_RSRC3_GFX90A:ACCUM_OFFSET: 2
; COMPUTE_PGM_RSRC3_GFX90A:TG_SPLIT: 0
	.section	.text._ZN2at6native6mbtopk10gatherTopKIlmLi1EEEvNS_4cuda6detail10TensorInfoIKT_T0_EES8_S8_bjS8_NS5_IS6_S8_EES8_NS5_IlS8_EES8_jjPS6_PjSD_j,"axG",@progbits,_ZN2at6native6mbtopk10gatherTopKIlmLi1EEEvNS_4cuda6detail10TensorInfoIKT_T0_EES8_S8_bjS8_NS5_IS6_S8_EES8_NS5_IlS8_EES8_jjPS6_PjSD_j,comdat
	.protected	_ZN2at6native6mbtopk10gatherTopKIlmLi1EEEvNS_4cuda6detail10TensorInfoIKT_T0_EES8_S8_bjS8_NS5_IS6_S8_EES8_NS5_IlS8_EES8_jjPS6_PjSD_j ; -- Begin function _ZN2at6native6mbtopk10gatherTopKIlmLi1EEEvNS_4cuda6detail10TensorInfoIKT_T0_EES8_S8_bjS8_NS5_IS6_S8_EES8_NS5_IlS8_EES8_jjPS6_PjSD_j
	.globl	_ZN2at6native6mbtopk10gatherTopKIlmLi1EEEvNS_4cuda6detail10TensorInfoIKT_T0_EES8_S8_bjS8_NS5_IS6_S8_EES8_NS5_IlS8_EES8_jjPS6_PjSD_j
	.p2align	8
	.type	_ZN2at6native6mbtopk10gatherTopKIlmLi1EEEvNS_4cuda6detail10TensorInfoIKT_T0_EES8_S8_bjS8_NS5_IS6_S8_EES8_NS5_IlS8_EES8_jjPS6_PjSD_j,@function
_ZN2at6native6mbtopk10gatherTopKIlmLi1EEEvNS_4cuda6detail10TensorInfoIKT_T0_EES8_S8_bjS8_NS5_IS6_S8_EES8_NS5_IlS8_EES8_jjPS6_PjSD_j: ; @_ZN2at6native6mbtopk10gatherTopKIlmLi1EEEvNS_4cuda6detail10TensorInfoIKT_T0_EES8_S8_bjS8_NS5_IS6_S8_EES8_NS5_IlS8_EES8_jjPS6_PjSD_j
; %bb.0:
	s_load_dwordx2 s[0:1], s[4:5], 0x538
	s_load_dword s2, s[4:5], 0x530
	s_waitcnt lgkmcnt(0)
	s_mul_i32 s1, s1, s8
	s_add_i32 s1, s1, s7
	s_mul_i32 s0, s1, s0
	s_add_i32 s0, s0, s6
	s_cmp_ge_u32 s0, s2
	s_cbranch_scc1 .LBB155_42
; %bb.1:
	s_load_dwordx2 s[20:21], s[4:5], 0x510
	s_load_dwordx4 s[8:11], s[4:5], 0x1a0
	s_mov_b32 s7, 0
	s_waitcnt lgkmcnt(0)
	v_cvt_f32_u32_e32 v1, s21
	s_sub_i32 s2, 0, s21
	s_lshl_b32 s1, s20, 8
	v_rcp_iflag_f32_e32 v1, v1
	v_mul_f32_e32 v1, 0x4f7ffffe, v1
	v_cvt_u32_f32_e32 v1, v1
	v_readfirstlane_b32 s3, v1
	s_mul_i32 s2, s2, s3
	s_mul_hi_u32 s2, s3, s2
	s_add_i32 s3, s3, s2
	s_mul_hi_u32 s2, s0, s3
	s_mul_i32 s3, s2, s21
	s_sub_i32 s3, s0, s3
	s_add_i32 s6, s2, 1
	s_sub_i32 s12, s3, s21
	s_cmp_ge_u32 s3, s21
	s_cselect_b32 s2, s6, s2
	s_cselect_b32 s3, s12, s3
	s_add_i32 s6, s2, 1
	s_cmp_ge_u32 s3, s21
	s_cselect_b32 s6, s6, s2
	s_mul_i32 s30, s6, s21
	s_sub_i32 s42, s0, s30
	s_add_i32 s0, s42, 1
	s_cmp_lt_u32 s0, s21
	s_mul_i32 s33, s42, s1
	s_cbranch_scc1 .LBB155_3
; %bb.2:
	s_sub_u32 s0, s8, s33
	s_subb_u32 s1, s9, 0
	s_add_u32 s0, s0, 0xff
	s_addc_u32 s1, s1, 0
	s_ashr_i32 s2, s1, 31
	s_lshr_b32 s2, s2, 24
	s_add_u32 s0, s0, s2
	s_addc_u32 s1, s1, 0
	v_mov_b32_e32 v1, s0
	v_alignbit_b32 v1, s1, v1, 8
	v_readfirstlane_b32 s20, v1
.LBB155_3:
	s_load_dwordx4 s[12:15], s[4:5], 0x518
	s_load_dwordx2 s[24:25], s[4:5], 0x0
	s_load_dwordx2 s[34:35], s[4:5], 0xd0
	;; [unrolled: 1-line block ×4, first 2 shown]
	s_lshl_b64 s[0:1], s[6:7], 3
	s_waitcnt lgkmcnt(0)
	s_add_u32 s0, s12, s0
	s_addc_u32 s1, s13, s1
	s_load_dwordx2 s[22:23], s[0:1], 0x0
	v_cmp_ne_u32_e64 s[0:1], 0, v0
	v_cmp_eq_u32_e64 s[2:3], 0, v0
	s_and_saveexec_b64 s[12:13], s[2:3]
	s_cbranch_execz .LBB155_19
; %bb.4:
	s_load_dwordx2 s[36:37], s[4:5], 0x528
	s_mov_b32 s31, 0
	s_lshl_b64 s[38:39], s[30:31], 2
	s_add_u32 s16, s14, s38
	s_addc_u32 s17, s15, s39
	s_waitcnt lgkmcnt(0)
	s_add_u32 s18, s36, s38
	s_addc_u32 s19, s37, s39
	s_mov_b32 s30, 0
	s_cmp_lt_u32 s21, 4
	s_cbranch_scc1 .LBB155_16
; %bb.5:
	s_mov_b32 s43, 0
.LBB155_6:                              ; =>This Inner Loop Header: Depth=1
	s_add_u32 s16, s14, s38
	s_addc_u32 s17, s15, s39
	s_load_dwordx4 s[16:19], s[16:17], 0x0
	s_add_u32 s40, s36, s38
	s_addc_u32 s41, s37, s39
	s_cmp_ge_u32 s43, s42
	s_cbranch_scc0 .LBB155_13
; %bb.7:                                ;   in Loop: Header=BB155_6 Depth=1
	s_add_i32 s44, s43, 1
	s_cmp_ge_u32 s44, s42
	s_cbranch_scc0 .LBB155_14
.LBB155_8:                              ;   in Loop: Header=BB155_6 Depth=1
	s_add_i32 s44, s44, 1
	s_cmp_ge_u32 s44, s42
	s_cbranch_scc0 .LBB155_15
.LBB155_9:                              ;   in Loop: Header=BB155_6 Depth=1
	s_add_i32 s44, s44, 1
	s_cmp_ge_u32 s44, s42
	s_cbranch_scc1 .LBB155_11
.LBB155_10:                             ;   in Loop: Header=BB155_6 Depth=1
	s_load_dword s40, s[40:41], 0xc
	s_waitcnt lgkmcnt(0)
	s_add_i32 s31, s31, s19
	s_add_i32 s7, s40, s7
.LBB155_11:                             ;   in Loop: Header=BB155_6 Depth=1
	s_waitcnt lgkmcnt(0)
	s_add_i32 s16, s16, s30
	s_add_i32 s16, s16, s17
	;; [unrolled: 1-line block ×4, first 2 shown]
	s_add_u32 s14, s14, 16
	s_addc_u32 s15, s15, 0
	s_add_u32 s36, s36, 16
	s_addc_u32 s37, s37, 0
	s_add_i32 s41, s44, 4
	s_add_u32 s18, s36, s38
	s_addc_u32 s19, s37, s39
	s_add_u32 s16, s14, s38
	s_addc_u32 s17, s15, s39
	s_add_i32 s40, s44, 1
	s_cmp_ge_u32 s41, s21
	s_cbranch_scc1 .LBB155_17
; %bb.12:                               ;   in Loop: Header=BB155_6 Depth=1
	s_mov_b32 s43, s40
	s_branch .LBB155_6
.LBB155_13:                             ;   in Loop: Header=BB155_6 Depth=1
	s_load_dword s44, s[40:41], 0x0
	s_waitcnt lgkmcnt(0)
	s_add_i32 s31, s16, s31
	s_add_i32 s7, s44, s7
	;; [unrolled: 1-line block ×3, first 2 shown]
	s_cmp_ge_u32 s44, s42
	s_cbranch_scc1 .LBB155_8
.LBB155_14:                             ;   in Loop: Header=BB155_6 Depth=1
	s_load_dword s45, s[40:41], 0x4
	s_waitcnt lgkmcnt(0)
	s_add_i32 s31, s31, s17
	s_add_i32 s7, s45, s7
	;; [unrolled: 1-line block ×3, first 2 shown]
	s_cmp_ge_u32 s44, s42
	s_cbranch_scc1 .LBB155_9
.LBB155_15:                             ;   in Loop: Header=BB155_6 Depth=1
	s_load_dword s45, s[40:41], 0x8
	s_waitcnt lgkmcnt(0)
	s_add_i32 s31, s31, s18
	s_add_i32 s7, s45, s7
	;; [unrolled: 1-line block ×3, first 2 shown]
	s_cmp_ge_u32 s44, s42
	s_cbranch_scc0 .LBB155_10
	s_branch .LBB155_11
.LBB155_16:
	s_mov_b32 s14, 0
	s_cmp_ge_u32 s14, s21
	s_cbranch_scc0 .LBB155_40
	s_branch .LBB155_18
.LBB155_17:
	s_add_i32 s14, s43, 4
	s_cmp_ge_u32 s14, s21
	s_cbranch_scc0 .LBB155_40
.LBB155_18:
	v_mov_b32_e32 v2, s7
	v_mov_b32_e32 v3, s30
	;; [unrolled: 1-line block ×4, first 2 shown]
	ds_write_b96 v1, v[2:4] offset:1056
.LBB155_19:
	s_or_b64 exec, exec, s[12:13]
	s_load_dwordx4 s[12:15], s[4:5], 0x1b8
	s_load_dwordx4 s[16:19], s[4:5], 0x360
	s_cmp_eq_u32 s20, 0
	s_waitcnt lgkmcnt(0)
	s_barrier
	s_cbranch_scc1 .LBB155_42
; %bb.20:
	s_mul_i32 s7, s35, s6
	s_mul_hi_u32 s21, s34, s6
	s_add_i32 s31, s21, s7
	s_mul_i32 s7, s29, s6
	s_mul_hi_u32 s21, s28, s6
	s_mul_i32 s30, s34, s6
	s_add_i32 s29, s21, s7
	s_mul_i32 s7, s27, s6
	s_mul_hi_u32 s21, s26, s6
	v_mov_b32_e32 v1, 0
	s_mul_i32 s28, s28, s6
	s_add_i32 s7, s21, s7
	s_mul_i32 s6, s26, s6
	s_lshl_b64 s[26:27], s[30:31], 3
	ds_read_b96 v[2:4], v1 offset:1056
	s_add_u32 s21, s24, s26
	s_addc_u32 s26, s25, s27
	s_lshl_b64 s[24:25], s[28:29], 3
	s_add_u32 s27, s14, s24
	s_addc_u32 s28, s15, s25
	s_lshl_b64 s[6:7], s[6:7], 3
	s_add_u32 s29, s18, s6
	s_load_dword s6, s[4:5], 0x1b0
	s_waitcnt lgkmcnt(0)
	v_add_u32_e32 v2, v2, v3
	v_lshrrev_b32_e32 v3, 5, v0
	v_add_lshl_u32 v5, v3, v0, 2
	v_lshlrev_b32_e32 v3, 2, v0
	v_lshrrev_b32_e32 v6, 3, v0
	s_addc_u32 s30, s19, s7
	s_load_dwordx2 s[18:19], s[4:5], 0x508
	v_add_lshl_u32 v10, v6, v3, 2
	v_add_u32_e32 v3, -1, v0
	v_lshrrev_b32_e32 v6, 5, v3
	s_xor_b32 s15, s23, 0x80000000
	v_add_lshl_u32 v11, v6, v3, 2
	v_mbcnt_lo_u32_b32 v3, -1, 0
	s_bitcmp1_b32 s6, 0
	v_mbcnt_hi_u32_b32 v12, -1, v3
	s_mov_b32 s14, s22
	s_cselect_b64 s[4:5], -1, 0
	v_cmp_gt_u32_e64 s[6:7], 64, v0
	v_add_u32_e32 v0, s33, v0
	v_and_b32_e32 v13, 15, v12
	v_bfe_i32 v14, v12, 4, 1
	v_add_u32_e32 v15, -1, v12
	v_and_b32_e32 v16, 64, v12
                                        ; implicit-def: $vgpr6_vgpr7
	s_branch .LBB155_23
.LBB155_21:                             ;   in Loop: Header=BB155_23 Depth=1
	s_or_b64 exec, exec, s[24:25]
	v_add_u32_e32 v2, v3, v2
.LBB155_22:                             ;   in Loop: Header=BB155_23 Depth=1
	s_add_i32 s20, s20, -1
	v_add_u32_e32 v4, v17, v4
	s_cmp_lg_u32 s20, 0
	v_add_u32_e32 v0, 0x100, v0
	s_cbranch_scc0 .LBB155_42
.LBB155_23:                             ; =>This Inner Loop Header: Depth=1
	v_cmp_gt_u64_e32 vcc, s[8:9], v[0:1]
	v_mov_b32_e32 v3, v1
	v_mov_b32_e32 v8, v1
	s_and_saveexec_b64 s[24:25], vcc
	s_cbranch_execz .LBB155_25
; %bb.24:                               ;   in Loop: Header=BB155_23 Depth=1
	v_mad_u64_u32 v[6:7], s[34:35], v0, s12, 0
	v_mov_b32_e32 v8, v7
	v_mad_u64_u32 v[8:9], s[34:35], v0, s13, v[8:9]
	v_mov_b32_e32 v7, v8
	v_lshlrev_b64 v[6:7], 3, v[6:7]
	v_mov_b32_e32 v3, s26
	v_add_co_u32_e32 v6, vcc, s21, v6
	v_addc_co_u32_e32 v7, vcc, v3, v7, vcc
	global_load_dwordx2 v[6:7], v[6:7], off
	s_waitcnt vmcnt(0)
	v_xor_b32_e32 v9, 0x80000000, v7
	v_mov_b32_e32 v8, v6
	v_cmp_lt_u64_e32 vcc, s[14:15], v[8:9]
	v_cndmask_b32_e64 v3, 0, 1, vcc
	v_cmp_gt_u64_e32 vcc, s[14:15], v[8:9]
	v_cndmask_b32_e64 v8, 0, 1, vcc
	v_cndmask_b32_e64 v3, v8, v3, s[4:5]
	v_cmp_eq_u64_e32 vcc, s[22:23], v[6:7]
	v_and_b32_e32 v3, 1, v3
	v_cndmask_b32_e64 v8, 0, 1, vcc
.LBB155_25:                             ;   in Loop: Header=BB155_23 Depth=1
	s_or_b64 exec, exec, s[24:25]
	ds_write_b32 v5, v3
	s_waitcnt lgkmcnt(0)
	s_barrier
	s_and_saveexec_b64 s[24:25], s[6:7]
	s_cbranch_execz .LBB155_27
; %bb.26:                               ;   in Loop: Header=BB155_23 Depth=1
	ds_read2_b32 v[18:19], v10 offset1:1
	ds_read2_b32 v[20:21], v10 offset0:2 offset1:3
	v_cmp_ne_u32_e32 vcc, 0, v13
	; wave barrier
	s_waitcnt lgkmcnt(1)
	v_add_u32_e32 v9, v19, v18
	s_waitcnt lgkmcnt(0)
	v_add3_u32 v9, v9, v20, v21
	s_nop 1
	v_mov_b32_dpp v17, v9 row_shr:1 row_mask:0xf bank_mask:0xf
	v_cndmask_b32_e32 v17, 0, v17, vcc
	v_add_u32_e32 v9, v17, v9
	v_cmp_lt_u32_e32 vcc, 1, v13
	s_nop 0
	v_mov_b32_dpp v17, v9 row_shr:2 row_mask:0xf bank_mask:0xf
	v_cndmask_b32_e32 v17, 0, v17, vcc
	v_add_u32_e32 v9, v9, v17
	v_cmp_lt_u32_e32 vcc, 3, v13
	;; [unrolled: 5-line block ×4, first 2 shown]
	s_nop 0
	v_mov_b32_dpp v17, v9 row_bcast:15 row_mask:0xf bank_mask:0xf
	v_and_b32_e32 v17, v14, v17
	v_add_u32_e32 v9, v9, v17
	s_nop 1
	v_mov_b32_dpp v17, v9 row_bcast:31 row_mask:0xf bank_mask:0xf
	v_cndmask_b32_e32 v17, 0, v17, vcc
	v_cmp_lt_i32_e32 vcc, v15, v16
	v_add_u32_e32 v9, v9, v17
	v_cndmask_b32_e32 v17, v15, v12, vcc
	v_lshlrev_b32_e32 v17, 2, v17
	ds_bpermute_b32 v9, v17, v9
	s_waitcnt lgkmcnt(0)
	v_add_u32_e32 v9, v9, v18
	v_cndmask_b32_e64 v9, v9, v3, s[2:3]
	ds_write_b32 v10, v9
	; wave barrier
	ds_read2_b32 v[18:19], v10 offset0:1 offset1:2
	ds_read_b32 v17, v10 offset:12
	s_waitcnt lgkmcnt(1)
	v_add_u32_e32 v9, v18, v9
	v_add_u32_e32 v18, v19, v9
	ds_write2_b32 v10, v9, v18 offset0:1 offset1:2
	s_waitcnt lgkmcnt(1)
	v_add_u32_e32 v9, v17, v18
	ds_write_b32 v10, v9 offset:12
.LBB155_27:                             ;   in Loop: Header=BB155_23 Depth=1
	s_or_b64 exec, exec, s[24:25]
	v_mov_b32_e32 v9, 0
	s_waitcnt lgkmcnt(0)
	s_barrier
	s_and_saveexec_b64 s[24:25], s[0:1]
	s_cbranch_execz .LBB155_29
; %bb.28:                               ;   in Loop: Header=BB155_23 Depth=1
	ds_read_b32 v9, v11
.LBB155_29:                             ;   in Loop: Header=BB155_23 Depth=1
	s_or_b64 exec, exec, s[24:25]
	ds_read_b32 v17, v1 offset:1048
	v_cmp_ne_u32_e32 vcc, 0, v3
	s_waitcnt lgkmcnt(0)
	s_barrier
	s_and_saveexec_b64 s[24:25], vcc
	s_cbranch_execz .LBB155_31
; %bb.30:                               ;   in Loop: Header=BB155_23 Depth=1
	v_add_u32_e32 v3, v9, v4
	v_mad_u64_u32 v[18:19], s[34:35], v3, s16, 0
	v_mov_b32_e32 v20, v19
	v_mad_u64_u32 v[20:21], s[34:35], v3, s17, v[20:21]
	v_mov_b32_e32 v19, v20
	v_lshlrev_b64 v[18:19], 3, v[18:19]
	v_mov_b32_e32 v9, s28
	v_add_co_u32_e32 v18, vcc, s27, v18
	v_addc_co_u32_e32 v19, vcc, v9, v19, vcc
	global_store_dwordx2 v[18:19], v[6:7], off
	v_mad_u64_u32 v[18:19], s[34:35], v3, s18, 0
	v_mov_b32_e32 v20, v19
	v_mad_u64_u32 v[20:21], s[34:35], v3, s19, v[20:21]
	v_mov_b32_e32 v19, v20
	v_lshlrev_b64 v[18:19], 3, v[18:19]
	v_mov_b32_e32 v3, s30
	v_add_co_u32_e32 v18, vcc, s29, v18
	v_addc_co_u32_e32 v19, vcc, v3, v19, vcc
	global_store_dwordx2 v[18:19], v[0:1], off
.LBB155_31:                             ;   in Loop: Header=BB155_23 Depth=1
	s_or_b64 exec, exec, s[24:25]
	v_mov_b32_e32 v3, v1
	v_cmp_le_u64_e32 vcc, s[10:11], v[2:3]
	s_cbranch_vccnz .LBB155_22
; %bb.32:                               ;   in Loop: Header=BB155_23 Depth=1
	ds_write_b32 v5, v8
	s_waitcnt lgkmcnt(0)
	s_barrier
	s_and_saveexec_b64 s[24:25], s[6:7]
	s_cbranch_execz .LBB155_34
; %bb.33:                               ;   in Loop: Header=BB155_23 Depth=1
	ds_read2_b32 v[18:19], v10 offset1:1
	ds_read2_b32 v[20:21], v10 offset0:2 offset1:3
	v_cmp_ne_u32_e32 vcc, 0, v13
	; wave barrier
	s_waitcnt lgkmcnt(1)
	v_add_u32_e32 v3, v19, v18
	s_waitcnt lgkmcnt(0)
	v_add3_u32 v3, v3, v20, v21
	s_nop 1
	v_mov_b32_dpp v9, v3 row_shr:1 row_mask:0xf bank_mask:0xf
	v_cndmask_b32_e32 v9, 0, v9, vcc
	v_add_u32_e32 v3, v9, v3
	v_cmp_lt_u32_e32 vcc, 1, v13
	s_nop 0
	v_mov_b32_dpp v9, v3 row_shr:2 row_mask:0xf bank_mask:0xf
	v_cndmask_b32_e32 v9, 0, v9, vcc
	v_add_u32_e32 v3, v3, v9
	v_cmp_lt_u32_e32 vcc, 3, v13
	;; [unrolled: 5-line block ×4, first 2 shown]
	s_nop 0
	v_mov_b32_dpp v9, v3 row_bcast:15 row_mask:0xf bank_mask:0xf
	v_and_b32_e32 v9, v14, v9
	v_add_u32_e32 v3, v3, v9
	s_nop 1
	v_mov_b32_dpp v9, v3 row_bcast:31 row_mask:0xf bank_mask:0xf
	v_cndmask_b32_e32 v9, 0, v9, vcc
	v_cmp_lt_i32_e32 vcc, v15, v16
	v_add_u32_e32 v3, v3, v9
	v_cndmask_b32_e32 v9, v15, v12, vcc
	v_lshlrev_b32_e32 v9, 2, v9
	ds_bpermute_b32 v3, v9, v3
	s_waitcnt lgkmcnt(0)
	v_add_u32_e32 v3, v3, v18
	v_cndmask_b32_e64 v3, v3, v8, s[2:3]
	ds_write_b32 v10, v3
	; wave barrier
	ds_read2_b32 v[18:19], v10 offset0:1 offset1:2
	ds_read_b32 v9, v10 offset:12
	s_waitcnt lgkmcnt(1)
	v_add_u32_e32 v3, v18, v3
	v_add_u32_e32 v18, v19, v3
	ds_write2_b32 v10, v3, v18 offset0:1 offset1:2
	s_waitcnt lgkmcnt(1)
	v_add_u32_e32 v3, v9, v18
	ds_write_b32 v10, v3 offset:12
.LBB155_34:                             ;   in Loop: Header=BB155_23 Depth=1
	s_or_b64 exec, exec, s[24:25]
	v_mov_b32_e32 v9, 0
	s_waitcnt lgkmcnt(0)
	s_barrier
	s_and_saveexec_b64 s[24:25], s[0:1]
	s_cbranch_execz .LBB155_36
; %bb.35:                               ;   in Loop: Header=BB155_23 Depth=1
	ds_read_b32 v9, v11
.LBB155_36:                             ;   in Loop: Header=BB155_23 Depth=1
	s_or_b64 exec, exec, s[24:25]
	ds_read_b32 v3, v1 offset:1048
	v_cmp_ne_u32_e32 vcc, 0, v8
	s_waitcnt lgkmcnt(0)
	s_barrier
	s_and_saveexec_b64 s[24:25], vcc
	s_cbranch_execz .LBB155_21
; %bb.37:                               ;   in Loop: Header=BB155_23 Depth=1
	v_add_u32_e32 v8, v9, v2
	v_mov_b32_e32 v9, v1
	v_cmp_gt_u64_e32 vcc, s[10:11], v[8:9]
	s_and_b64 exec, exec, vcc
	s_cbranch_execz .LBB155_21
; %bb.38:                               ;   in Loop: Header=BB155_23 Depth=1
	v_mad_u64_u32 v[18:19], s[34:35], v8, s16, 0
	v_mov_b32_e32 v20, v19
	v_mad_u64_u32 v[20:21], s[34:35], v8, s17, v[20:21]
	v_mov_b32_e32 v19, v20
	v_lshlrev_b64 v[18:19], 3, v[18:19]
	v_mov_b32_e32 v9, s28
	v_add_co_u32_e32 v18, vcc, s27, v18
	v_addc_co_u32_e32 v19, vcc, v9, v19, vcc
	global_store_dwordx2 v[18:19], v[6:7], off
	v_mad_u64_u32 v[18:19], s[34:35], v8, s18, 0
	v_mov_b32_e32 v20, v19
	v_mad_u64_u32 v[8:9], s[34:35], v8, s19, v[20:21]
	v_mov_b32_e32 v19, v8
	v_lshlrev_b64 v[8:9], 3, v[18:19]
	v_mov_b32_e32 v18, s30
	v_add_co_u32_e32 v8, vcc, s29, v8
	v_addc_co_u32_e32 v9, vcc, v18, v9, vcc
	global_store_dwordx2 v[8:9], v[0:1], off
	s_branch .LBB155_21
.LBB155_39:                             ;   in Loop: Header=BB155_40 Depth=1
	s_add_u32 s16, s16, 4
	s_addc_u32 s17, s17, 0
	s_waitcnt lgkmcnt(0)
	s_add_i32 s30, s15, s30
	s_add_u32 s18, s18, 4
	s_addc_u32 s19, s19, 0
	s_add_i32 s14, s14, 1
	s_cmp_lt_u32 s14, s21
	s_cbranch_scc0 .LBB155_18
.LBB155_40:                             ; =>This Inner Loop Header: Depth=1
	s_load_dword s15, s[16:17], 0x0
	s_cmp_ge_u32 s14, s42
	s_cbranch_scc1 .LBB155_39
; %bb.41:                               ;   in Loop: Header=BB155_40 Depth=1
	s_load_dword s36, s[18:19], 0x0
	s_waitcnt lgkmcnt(0)
	s_add_i32 s31, s15, s31
	s_add_i32 s7, s36, s7
	s_branch .LBB155_39
.LBB155_42:
	s_endpgm
	.section	.rodata,"a",@progbits
	.p2align	6, 0x0
	.amdhsa_kernel _ZN2at6native6mbtopk10gatherTopKIlmLi1EEEvNS_4cuda6detail10TensorInfoIKT_T0_EES8_S8_bjS8_NS5_IS6_S8_EES8_NS5_IlS8_EES8_jjPS6_PjSD_j
		.amdhsa_group_segment_fixed_size 1068
		.amdhsa_private_segment_fixed_size 0
		.amdhsa_kernarg_size 1592
		.amdhsa_user_sgpr_count 6
		.amdhsa_user_sgpr_private_segment_buffer 1
		.amdhsa_user_sgpr_dispatch_ptr 0
		.amdhsa_user_sgpr_queue_ptr 0
		.amdhsa_user_sgpr_kernarg_segment_ptr 1
		.amdhsa_user_sgpr_dispatch_id 0
		.amdhsa_user_sgpr_flat_scratch_init 0
		.amdhsa_user_sgpr_kernarg_preload_length 0
		.amdhsa_user_sgpr_kernarg_preload_offset 0
		.amdhsa_user_sgpr_private_segment_size 0
		.amdhsa_uses_dynamic_stack 0
		.amdhsa_system_sgpr_private_segment_wavefront_offset 0
		.amdhsa_system_sgpr_workgroup_id_x 1
		.amdhsa_system_sgpr_workgroup_id_y 1
		.amdhsa_system_sgpr_workgroup_id_z 1
		.amdhsa_system_sgpr_workgroup_info 0
		.amdhsa_system_vgpr_workitem_id 0
		.amdhsa_next_free_vgpr 22
		.amdhsa_next_free_sgpr 46
		.amdhsa_accum_offset 24
		.amdhsa_reserve_vcc 1
		.amdhsa_reserve_flat_scratch 0
		.amdhsa_float_round_mode_32 0
		.amdhsa_float_round_mode_16_64 0
		.amdhsa_float_denorm_mode_32 3
		.amdhsa_float_denorm_mode_16_64 3
		.amdhsa_dx10_clamp 1
		.amdhsa_ieee_mode 1
		.amdhsa_fp16_overflow 0
		.amdhsa_tg_split 0
		.amdhsa_exception_fp_ieee_invalid_op 0
		.amdhsa_exception_fp_denorm_src 0
		.amdhsa_exception_fp_ieee_div_zero 0
		.amdhsa_exception_fp_ieee_overflow 0
		.amdhsa_exception_fp_ieee_underflow 0
		.amdhsa_exception_fp_ieee_inexact 0
		.amdhsa_exception_int_div_zero 0
	.end_amdhsa_kernel
	.section	.text._ZN2at6native6mbtopk10gatherTopKIlmLi1EEEvNS_4cuda6detail10TensorInfoIKT_T0_EES8_S8_bjS8_NS5_IS6_S8_EES8_NS5_IlS8_EES8_jjPS6_PjSD_j,"axG",@progbits,_ZN2at6native6mbtopk10gatherTopKIlmLi1EEEvNS_4cuda6detail10TensorInfoIKT_T0_EES8_S8_bjS8_NS5_IS6_S8_EES8_NS5_IlS8_EES8_jjPS6_PjSD_j,comdat
.Lfunc_end155:
	.size	_ZN2at6native6mbtopk10gatherTopKIlmLi1EEEvNS_4cuda6detail10TensorInfoIKT_T0_EES8_S8_bjS8_NS5_IS6_S8_EES8_NS5_IlS8_EES8_jjPS6_PjSD_j, .Lfunc_end155-_ZN2at6native6mbtopk10gatherTopKIlmLi1EEEvNS_4cuda6detail10TensorInfoIKT_T0_EES8_S8_bjS8_NS5_IS6_S8_EES8_NS5_IlS8_EES8_jjPS6_PjSD_j
                                        ; -- End function
	.section	.AMDGPU.csdata,"",@progbits
; Kernel info:
; codeLenInByte = 2184
; NumSgprs: 50
; NumVgprs: 22
; NumAgprs: 0
; TotalNumVgprs: 22
; ScratchSize: 0
; MemoryBound: 0
; FloatMode: 240
; IeeeMode: 1
; LDSByteSize: 1068 bytes/workgroup (compile time only)
; SGPRBlocks: 6
; VGPRBlocks: 2
; NumSGPRsForWavesPerEU: 50
; NumVGPRsForWavesPerEU: 22
; AccumOffset: 24
; Occupancy: 8
; WaveLimiterHint : 1
; COMPUTE_PGM_RSRC2:SCRATCH_EN: 0
; COMPUTE_PGM_RSRC2:USER_SGPR: 6
; COMPUTE_PGM_RSRC2:TRAP_HANDLER: 0
; COMPUTE_PGM_RSRC2:TGID_X_EN: 1
; COMPUTE_PGM_RSRC2:TGID_Y_EN: 1
; COMPUTE_PGM_RSRC2:TGID_Z_EN: 1
; COMPUTE_PGM_RSRC2:TIDIG_COMP_CNT: 0
; COMPUTE_PGM_RSRC3_GFX90A:ACCUM_OFFSET: 5
; COMPUTE_PGM_RSRC3_GFX90A:TG_SPLIT: 0
	.section	.text._ZN2at6native6sbtopk10gatherTopKIlmLi1ELb0EEEvNS_4cuda6detail10TensorInfoIKT_T0_EES8_S8_bS8_S8_NS5_IS6_S8_EES8_NS5_IlS8_EES8_PS6_,"axG",@progbits,_ZN2at6native6sbtopk10gatherTopKIlmLi1ELb0EEEvNS_4cuda6detail10TensorInfoIKT_T0_EES8_S8_bS8_S8_NS5_IS6_S8_EES8_NS5_IlS8_EES8_PS6_,comdat
	.protected	_ZN2at6native6sbtopk10gatherTopKIlmLi1ELb0EEEvNS_4cuda6detail10TensorInfoIKT_T0_EES8_S8_bS8_S8_NS5_IS6_S8_EES8_NS5_IlS8_EES8_PS6_ ; -- Begin function _ZN2at6native6sbtopk10gatherTopKIlmLi1ELb0EEEvNS_4cuda6detail10TensorInfoIKT_T0_EES8_S8_bS8_S8_NS5_IS6_S8_EES8_NS5_IlS8_EES8_PS6_
	.globl	_ZN2at6native6sbtopk10gatherTopKIlmLi1ELb0EEEvNS_4cuda6detail10TensorInfoIKT_T0_EES8_S8_bS8_S8_NS5_IS6_S8_EES8_NS5_IlS8_EES8_PS6_
	.p2align	8
	.type	_ZN2at6native6sbtopk10gatherTopKIlmLi1ELb0EEEvNS_4cuda6detail10TensorInfoIKT_T0_EES8_S8_bS8_S8_NS5_IS6_S8_EES8_NS5_IlS8_EES8_PS6_,@function
_ZN2at6native6sbtopk10gatherTopKIlmLi1ELb0EEEvNS_4cuda6detail10TensorInfoIKT_T0_EES8_S8_bS8_S8_NS5_IS6_S8_EES8_NS5_IlS8_EES8_PS6_: ; @_ZN2at6native6sbtopk10gatherTopKIlmLi1ELb0EEEvNS_4cuda6detail10TensorInfoIKT_T0_EES8_S8_bS8_S8_NS5_IS6_S8_EES8_NS5_IlS8_EES8_PS6_
; %bb.0:
	s_load_dwordx4 s[60:63], s[4:5], 0x1b8
	s_load_dwordx2 s[10:11], s[4:5], 0x520
	s_add_u32 s14, s4, 0x520
	s_addc_u32 s15, s5, 0
	s_mov_b32 s17, 0
	s_waitcnt lgkmcnt(0)
	v_mov_b32_e32 v2, s60
	s_mul_i32 s0, s11, s8
	s_add_i32 s0, s0, s7
	s_mul_i32 s0, s0, s10
	v_mov_b32_e32 v3, s61
	s_add_i32 s16, s0, s6
	v_cmp_ge_u64_e32 vcc, s[16:17], v[2:3]
	s_cbranch_vccnz .LBB156_483
; %bb.1:
	s_load_dwordx2 s[0:1], s[4:5], 0x440
                                        ; implicit-def: $vgpr62 : SGPR spill to VGPR lane
	v_cmp_eq_u32_e64 s[8:9], 0, v0
	s_waitcnt lgkmcnt(0)
	v_writelane_b32 v62, s0, 0
	v_writelane_b32 v62, s1, 1
	s_load_dwordx2 s[0:1], s[4:5], 0x370
	s_waitcnt lgkmcnt(0)
	v_writelane_b32 v62, s0, 2
	v_writelane_b32 v62, s1, 3
	s_load_dwordx2 s[0:1], s[4:5], 0x298
	s_waitcnt lgkmcnt(0)
	v_writelane_b32 v62, s0, 4
	v_writelane_b32 v62, s1, 5
	s_load_dwordx4 s[56:59], s[4:5], 0x1a0
	s_load_dwordx2 s[0:1], s[4:5], 0x1c8
	s_waitcnt lgkmcnt(0)
	v_writelane_b32 v62, s0, 6
	v_writelane_b32 v62, s1, 7
	s_load_dwordx2 s[0:1], s[4:5], 0xd0
	s_load_dwordx2 s[12:13], s[4:5], 0x0
	s_mov_b64 s[2:3], exec
	v_writelane_b32 v62, s8, 8
	v_writelane_b32 v62, s9, 9
	s_and_b64 s[8:9], s[2:3], s[8:9]
	s_mov_b64 exec, s[8:9]
	s_cbranch_execz .LBB156_3
; %bb.2:
	v_mov_b32_e32 v2, 0
	v_mov_b32_e32 v4, s56
	;; [unrolled: 1-line block ×4, first 2 shown]
	ds_write_b32 v2, v2 offset:5144
	ds_write_b128 v2, v[2:5] offset:5120
.LBB156_3:
	s_or_b64 exec, exec, s[2:3]
	s_waitcnt lgkmcnt(0)
	s_mul_i32 s1, s1, s16
	s_mul_hi_u32 s2, s0, s16
	s_add_i32 s1, s2, s1
	v_writelane_b32 v62, s4, 10
	s_load_dword s2, s[4:5], 0x1b0
	v_writelane_b32 v62, s5, 11
	s_mov_b32 s4, s16
	s_mul_i32 s0, s0, s16
	v_writelane_b32 v62, s4, 12
	s_lshl_b64 s[0:1], s[0:1], 3
	v_writelane_b32 v62, s5, 13
	s_add_u32 s70, s12, s0
	v_writelane_b32 v62, s0, 14
	s_addc_u32 s71, s13, s1
	s_waitcnt lgkmcnt(0)
	s_bitcmp1_b32 s2, 0
	v_writelane_b32 v62, s1, 15
	s_cselect_b64 s[0:1], -1, 0
	v_writelane_b32 v62, s0, 16
	v_mbcnt_lo_u32_b32 v1, -1, 0
	v_writelane_b32 v62, s1, 17
	s_xor_b64 s[0:1], s[0:1], -1
	v_mbcnt_hi_u32_b32 v47, -1, v1
	v_writelane_b32 v62, s0, 18
	v_cmp_gt_u32_e32 vcc, 64, v0
	v_cmp_gt_i32_e64 s[2:3], 4, v47
	v_writelane_b32 v62, s1, 19
	s_and_b64 s[0:1], vcc, s[2:3]
	v_mov_b32_e32 v2, 0x180
	v_writelane_b32 v62, s0, 20
	v_mov_b32_e32 v3, 0
	v_mov_b32_e32 v21, 0
	v_writelane_b32 v62, s1, 21
	v_cmp_gt_u64_e64 s[0:1], s[56:57], v[2:3]
	v_writelane_b32 v62, s0, 22
	v_mov_b32_e32 v1, v21
	v_writelane_b32 v62, s1, 23
	v_cmp_gt_u64_e64 s[0:1], s[56:57], v[0:1]
	v_writelane_b32 v62, s0, 24
	v_writelane_b32 v62, s1, 25
	v_mad_u64_u32 v[2:3], s[0:1], v0, s62, 0
	v_mov_b32_e32 v4, v3
	v_mad_u64_u32 v[4:5], s[0:1], v0, s63, v[4:5]
	v_cmp_gt_u32_e64 s[0:1], 2, v0
	v_writelane_b32 v62, s0, 26
	s_barrier
	v_writelane_b32 v62, s1, 27
	s_load_dword s0, s[14:15], 0xc
	v_mov_b32_e32 v3, v4
	v_lshlrev_b64 v[4:5], 3, v[2:3]
	v_add_co_u32_e32 v18, vcc, s70, v4
	s_waitcnt lgkmcnt(0)
	v_cmp_gt_u16_e64 s[2:3], s0, 63
	s_and_b32 s33, s0, 0xffff
	s_bfe_u32 s1, s0, 0xa0006
	v_writelane_b32 v62, s2, 28
	v_writelane_b32 v62, s3, 29
	s_add_u32 s2, s33, -1
	s_addc_u32 s3, 0, -1
	v_writelane_b32 v62, s2, 30
	s_add_u32 s2, s2, s56
	v_writelane_b32 v62, s2, 31
	v_writelane_b32 v62, s3, 32
	s_addc_u32 s3, s3, s57
	v_writelane_b32 v62, s2, 33
	s_cmp_lt_u32 s6, s10
	v_writelane_b32 v62, s3, 34
	s_cselect_b32 s2, 12, 18
	s_add_u32 s2, s14, s2
	s_addc_u32 s3, s15, 0
	v_writelane_b32 v62, s2, 35
	v_writelane_b32 v62, s3, 36
	s_add_i32 s2, s1, -1
	s_bfe_u32 s3, s33, 0x30006
	s_cmp_gt_u32 s2, 6
	s_cselect_b64 s[4:5], -1, 0
	v_writelane_b32 v62, s4, 37
	s_and_b32 s1, s1, 0x3f8
	v_writelane_b32 v62, s5, 38
	s_cmp_lg_u32 s3, 0
	v_lshrrev_b32_e32 v4, 4, v0
	v_writelane_b32 v62, s3, 39
	s_cselect_b64 s[2:3], -1, 0
	v_mov_b32_e32 v6, s71
	v_and_b32_e32 v48, 60, v4
	v_lshlrev_b32_e32 v4, 2, v47
	v_writelane_b32 v62, s2, 40
	v_addc_co_u32_e32 v19, vcc, v6, v5, vcc
	v_and_b32_e32 v46, 0x100, v4
	v_lshlrev_b64 v[4:5], v47, -1
	v_writelane_b32 v62, s3, 41
	s_lshl_b64 s[2:3], s[62:63], 3
	v_lshlrev_b32_e32 v51, 5, v0
	v_not_b32_e32 v17, v5
	v_writelane_b32 v62, s2, 42
	v_or_b32_e32 v5, 24, v51
	v_writelane_b32 v62, s3, 43
	v_mad_u64_u32 v[24:25], s[2:3], s62, v5, 0
	v_not_b32_e32 v16, v4
	v_mov_b32_e32 v4, v25
	v_mad_u64_u32 v[4:5], s[2:3], s63, v5, v[4:5]
	s_lshl_b64 s[2:3], s[62:63], 5
	v_writelane_b32 v62, s2, 44
	v_or_b32_e32 v5, 16, v51
	v_writelane_b32 v62, s3, 45
	v_mad_u64_u32 v[26:27], s[2:3], s62, v5, 0
	v_mov_b32_e32 v25, v4
	v_mov_b32_e32 v4, v27
	v_mad_u64_u32 v[4:5], s[2:3], s63, v5, v[4:5]
	v_or_b32_e32 v5, 8, v51
	v_mad_u64_u32 v[28:29], s[2:3], s62, v5, 0
	v_mov_b32_e32 v27, v4
	v_mov_b32_e32 v4, v29
	v_mad_u64_u32 v[4:5], s[2:3], s63, v5, v[4:5]
	s_mul_i32 s2, s63, s33
	s_mul_hi_u32 s3, s62, s33
	s_add_i32 s3, s3, s2
	s_mul_i32 s2, s62, s33
	s_mov_b32 s83, 0
	v_lshlrev_b32_e32 v49, 3, v0
	v_lshlrev_b64 v[30:31], 5, v[2:3]
	v_mov_b32_e32 v2, 0xc00
	s_lshl_b64 s[60:61], s[2:3], 3
	s_mov_b32 s2, 62
	v_pk_mov_b32 v[6:7], 0, 0
	v_cmp_eq_u32_e64 s[94:95], 0, v47
	v_lshlrev_b32_e32 v22, 2, v0
	v_mov_b32_e32 v23, v21
	v_add_u32_e32 v50, 0xc00, v49
	s_mov_b32 s0, s83
	v_mov_b32_e32 v29, v4
	v_lshl_or_b32 v52, v47, 3, v2
	s_lshl_b32 s88, s33, 3
	v_writelane_b32 v62, s2, 46
	s_mov_b64 s[74:75], 0
	v_pk_mov_b32 v[36:37], s[58:59], s[58:59] op_sel:[0,1]
	v_mov_b32_e32 v2, 1
	v_mov_b32_e32 v53, 0x4f800000
	s_mov_b32 s2, 0
	v_pk_mov_b32 v[34:35], v[6:7], v[6:7] op_sel:[0,1]
	v_pk_mov_b32 v[32:33], v[6:7], v[6:7] op_sel:[0,1]
                                        ; implicit-def: $sgpr76_sgpr77
                                        ; implicit-def: $sgpr30_sgpr31
                                        ; implicit-def: $sgpr64_sgpr65
                                        ; implicit-def: $sgpr92_sgpr93
                                        ; implicit-def: $sgpr66_sgpr67
                                        ; implicit-def: $sgpr26_sgpr27
	v_writelane_b32 v62, s2, 47
                                        ; implicit-def: $sgpr28_sgpr29
                                        ; implicit-def: $sgpr8_sgpr9
                                        ; implicit-def: $sgpr10_sgpr11
                                        ; implicit-def: $sgpr86_sgpr87
	s_branch .LBB156_6
.LBB156_4:                              ;   in Loop: Header=BB156_6 Depth=1
	s_or_b64 exec, exec, s[12:13]
	s_andn2_b64 s[12:13], s[86:87], exec
	s_and_b64 s[6:7], s[6:7], exec
	s_or_b64 s[86:87], s[12:13], s[6:7]
	s_andn2_b64 s[10:11], s[10:11], exec
	s_andn2_b64 s[8:9], s[8:9], exec
	;; [unrolled: 1-line block ×4, first 2 shown]
	s_orn2_b64 s[4:5], s[4:5], exec
	v_pk_mov_b32 v[32:33], v[14:15], v[14:15] op_sel:[0,1]
	v_pk_mov_b32 v[34:35], v[12:13], v[12:13] op_sel:[0,1]
	s_waitcnt vmcnt(0)
	v_pk_mov_b32 v[36:37], v[38:39], v[38:39] op_sel:[0,1]
	v_pk_mov_b32 v[6:7], v[10:11], v[10:11] op_sel:[0,1]
.LBB156_5:                              ;   in Loop: Header=BB156_6 Depth=1
	s_or_b64 exec, exec, s[2:3]
	s_and_b64 s[2:3], exec, s[4:5]
	s_or_b64 s[74:75], s[2:3], s[74:75]
	s_andn2_b64 s[2:3], s[66:67], exec
	s_and_b64 s[4:5], s[86:87], exec
	s_or_b64 s[66:67], s[2:3], s[4:5]
	s_andn2_b64 s[2:3], s[92:93], exec
	s_and_b64 s[4:5], s[10:11], exec
	;; [unrolled: 3-line block ×5, first 2 shown]
	s_or_b64 s[76:77], s[2:3], s[4:5]
	s_andn2_b64 exec, exec, s[74:75]
	s_cbranch_execz .LBB156_479
.LBB156_6:                              ; =>This Loop Header: Depth=1
                                        ;     Child Loop BB156_14 Depth 2
                                        ;     Child Loop BB156_29 Depth 2
	;; [unrolled: 1-line block ×24, first 2 shown]
	ds_read_b128 v[8:11], v21 offset:5120
	s_waitcnt lgkmcnt(0)
	v_readfirstlane_b32 s3, v9
	v_readfirstlane_b32 s2, v8
	s_cmp_lg_u64 s[2:3], 0
	s_cbranch_scc1 .LBB156_36
; %bb.7:                                ;   in Loop: Header=BB156_6 Depth=1
	v_readlane_b32 s2, v62, 22
	v_readlane_b32 s3, v62, 23
	s_and_b64 vcc, exec, s[2:3]
	s_cbranch_vccz .LBB156_22
; %bb.8:                                ;   in Loop: Header=BB156_6 Depth=1
	s_mov_b64 s[2:3], 0x181
	v_cmp_gt_u64_e32 vcc, s[2:3], v[10:11]
	s_mov_b64 s[2:3], 0
	s_mov_b64 s[4:5], 0
	s_cbranch_vccz .LBB156_23
; %bb.9:                                ;   in Loop: Header=BB156_6 Depth=1
	s_waitcnt vmcnt(0)
	v_pk_mov_b32 v[4:5], 0, 0
	s_mov_b64 s[4:5], exec
	v_readlane_b32 s6, v62, 24
	v_readlane_b32 s7, v62, 25
	s_and_b64 s[6:7], s[4:5], s[6:7]
	s_mov_b64 exec, s[6:7]
	s_cbranch_execz .LBB156_11
; %bb.10:                               ;   in Loop: Header=BB156_6 Depth=1
	global_load_dwordx2 v[4:5], v[18:19], off
.LBB156_11:                             ;   in Loop: Header=BB156_6 Depth=1
	s_or_b64 exec, exec, s[4:5]
	s_mov_b64 s[4:5], exec
	v_readlane_b32 s6, v62, 24
	v_readlane_b32 s7, v62, 25
	s_and_b64 s[6:7], s[4:5], s[6:7]
	s_mov_b64 exec, s[6:7]
	s_cbranch_execz .LBB156_95
; %bb.12:                               ;   in Loop: Header=BB156_6 Depth=1
	v_readlane_b32 s6, v62, 35
	v_readlane_b32 s7, v62, 36
	;; [unrolled: 1-line block ×3, first 2 shown]
	v_pk_mov_b32 v[8:9], s[70:71], s[70:71] op_sel:[0,1]
	v_readlane_b32 s17, v62, 43
	s_mov_b64 s[12:13], 0
	s_nop 0
	global_load_ushort v3, v21, s[6:7]
	s_waitcnt vmcnt(0)
	v_readfirstlane_b32 s6, v3
	s_and_b32 s6, 0xffff, s6
	v_add_u32_e32 v11, s6, v0
	s_mul_i32 s14, s17, s6
	s_mul_hi_u32 s15, s16, s6
	s_mul_i32 s22, s16, s6
	v_mad_u64_u32 v[8:9], s[6:7], s16, v11, v[8:9]
	v_mov_b32_e32 v10, v9
	v_mad_u64_u32 v[10:11], s[6:7], s17, v11, v[10:11]
	s_add_i32 s23, s15, s14
	v_mov_b32_e32 v9, v10
	v_pk_mov_b32 v[10:11], v[0:1], v[0:1] op_sel:[0,1]
	s_branch .LBB156_14
.LBB156_13:                             ;   in Loop: Header=BB156_14 Depth=2
	s_or_b64 exec, exec, s[6:7]
	v_mov_b32_e32 v4, s23
	v_add_co_u32_e32 v8, vcc, s22, v8
	v_addc_co_u32_e32 v9, vcc, v9, v4, vcc
	s_waitcnt vmcnt(0)
	v_pk_mov_b32 v[4:5], v[12:13], v[12:13] op_sel:[0,1]
	s_andn2_b64 exec, exec, s[12:13]
	s_cbranch_execz .LBB156_95
.LBB156_14:                             ;   Parent Loop BB156_6 Depth=1
                                        ; =>  This Inner Loop Header: Depth=2
	v_add_co_u32_sdwa v10, vcc, v10, v3 dst_sel:DWORD dst_unused:UNUSED_PAD src0_sel:DWORD src1_sel:WORD_0
	v_addc_co_u32_e32 v11, vcc, 0, v11, vcc
	v_cmp_gt_u64_e64 s[6:7], s[56:57], v[10:11]
	v_cmp_le_u64_e32 vcc, s[56:57], v[10:11]
	v_pk_mov_b32 v[12:13], 0, 0
	s_and_saveexec_b64 s[14:15], s[6:7]
	s_cbranch_execz .LBB156_16
; %bb.15:                               ;   in Loop: Header=BB156_14 Depth=2
	global_load_dwordx2 v[12:13], v[8:9], off
.LBB156_16:                             ;   in Loop: Header=BB156_14 Depth=2
	s_or_b64 exec, exec, s[14:15]
	s_waitcnt lgkmcnt(0)
	v_xor_b32_e32 v14, 0x80000000, v5
	v_and_b32_e32 v15, v14, v33
	v_and_b32_e32 v14, v4, v32
	v_cmp_eq_u64_e64 s[14:15], v[14:15], v[34:35]
	s_cmp_lg_u64 s[14:15], 0
	s_cselect_b64 s[6:7], -1, 0
	s_and_b64 s[6:7], s[94:95], s[6:7]
	v_mov_b32_e32 v14, 0
	s_and_saveexec_b64 s[16:17], s[6:7]
	s_cbranch_execz .LBB156_20
; %bb.17:                               ;   in Loop: Header=BB156_14 Depth=2
	s_mov_b64 s[20:21], exec
	v_mbcnt_lo_u32_b32 v14, s20, 0
	v_mbcnt_hi_u32_b32 v14, s21, v14
	s_bcnt1_i32_b64 s24, s[14:15]
	v_cmp_eq_u32_e64 s[6:7], 0, v14
                                        ; implicit-def: $vgpr15
	s_and_saveexec_b64 s[18:19], s[6:7]
	s_cbranch_execz .LBB156_19
; %bb.18:                               ;   in Loop: Header=BB156_14 Depth=2
	s_bcnt1_i32_b64 s6, s[20:21]
	s_mul_i32 s6, s24, s6
	v_mov_b32_e32 v15, s6
	ds_add_rtn_u32 v15, v21, v15 offset:5144
.LBB156_19:                             ;   in Loop: Header=BB156_14 Depth=2
	s_or_b64 exec, exec, s[18:19]
	s_waitcnt lgkmcnt(0)
	v_readfirstlane_b32 s6, v15
	v_mov_b32_e32 v15, s6
	v_mad_u32_u24 v14, s24, v14, v15
.LBB156_20:                             ;   in Loop: Header=BB156_14 Depth=2
	s_or_b64 exec, exec, s[16:17]
	ds_bpermute_b32 v14, v46, v14
	s_and_b64 s[6:7], exec, vcc
	s_or_b64 s[12:13], s[6:7], s[12:13]
	s_and_saveexec_b64 s[6:7], s[14:15]
	s_cbranch_execz .LBB156_13
; %bb.21:                               ;   in Loop: Header=BB156_14 Depth=2
	v_and_b32_e32 v20, s14, v16
	v_and_b32_e32 v15, s15, v17
	v_bcnt_u32_b32 v20, v20, 0
	v_bcnt_u32_b32 v15, v15, v20
	v_lshlrev_b32_e32 v15, 3, v15
	s_waitcnt lgkmcnt(0)
	v_lshl_add_u32 v14, v14, 3, v15
	ds_write_b64 v14, v[4:5]
	s_branch .LBB156_13
.LBB156_22:                             ;   in Loop: Header=BB156_6 Depth=1
	s_mov_b64 s[2:3], -1
	s_mov_b64 s[4:5], 0
.LBB156_23:                             ;   in Loop: Header=BB156_6 Depth=1
	s_and_b64 vcc, exec, s[2:3]
	s_cbranch_vccz .LBB156_34
.LBB156_24:                             ;   in Loop: Header=BB156_6 Depth=1
	s_waitcnt vmcnt(0)
	v_pk_mov_b32 v[4:5], 0, 0
	s_mov_b64 s[2:3], exec
	v_readlane_b32 s4, v62, 24
	v_readlane_b32 s5, v62, 25
	s_and_b64 s[4:5], s[2:3], s[4:5]
	s_mov_b64 exec, s[4:5]
	s_cbranch_execz .LBB156_26
; %bb.25:                               ;   in Loop: Header=BB156_6 Depth=1
	global_load_dwordx2 v[4:5], v[18:19], off
.LBB156_26:                             ;   in Loop: Header=BB156_6 Depth=1
	s_or_b64 exec, exec, s[2:3]
	s_mov_b64 s[2:3], exec
	v_readlane_b32 s4, v62, 24
	v_readlane_b32 s5, v62, 25
	s_and_b64 s[4:5], s[2:3], s[4:5]
	s_mov_b64 exec, s[4:5]
	s_cbranch_execz .LBB156_31
; %bb.27:                               ;   in Loop: Header=BB156_6 Depth=1
	v_readlane_b32 s4, v62, 35
	v_readlane_b32 s5, v62, 36
	;; [unrolled: 1-line block ×3, first 2 shown]
	v_pk_mov_b32 v[8:9], s[70:71], s[70:71] op_sel:[0,1]
	v_readlane_b32 s17, v62, 43
	v_mov_b32_e32 v14, v49
	s_nop 0
	global_load_ushort v3, v21, s[4:5]
	s_mov_b64 s[4:5], 0
	s_waitcnt vmcnt(0)
	v_readfirstlane_b32 s6, v3
	s_and_b32 s6, 0xffff, s6
	v_add_u32_e32 v11, s6, v0
	s_lshl_b32 s14, s6, 3
	s_mul_i32 s12, s17, s6
	s_mul_hi_u32 s13, s16, s6
	s_mul_i32 s15, s16, s6
	v_mad_u64_u32 v[8:9], s[6:7], s16, v11, v[8:9]
	v_mov_b32_e32 v10, v9
	v_mad_u64_u32 v[10:11], s[6:7], s17, v11, v[10:11]
	s_add_i32 s16, s13, s12
	v_mov_b32_e32 v9, v10
	v_pk_mov_b32 v[10:11], v[0:1], v[0:1] op_sel:[0,1]
	s_branch .LBB156_29
.LBB156_28:                             ;   in Loop: Header=BB156_29 Depth=2
	s_or_b64 exec, exec, s[12:13]
	s_and_b64 s[6:7], exec, vcc
	ds_write_b64 v14, v[4:5]
	v_mov_b32_e32 v4, s16
	v_add_co_u32_e32 v8, vcc, s15, v8
	s_or_b64 s[4:5], s[6:7], s[4:5]
	v_add_u32_e32 v14, s14, v14
	v_addc_co_u32_e32 v9, vcc, v9, v4, vcc
	s_waitcnt vmcnt(0)
	v_pk_mov_b32 v[4:5], v[12:13], v[12:13] op_sel:[0,1]
	s_andn2_b64 exec, exec, s[4:5]
	s_cbranch_execz .LBB156_31
.LBB156_29:                             ;   Parent Loop BB156_6 Depth=1
                                        ; =>  This Inner Loop Header: Depth=2
	v_add_co_u32_sdwa v10, vcc, v10, v3 dst_sel:DWORD dst_unused:UNUSED_PAD src0_sel:DWORD src1_sel:WORD_0
	v_addc_co_u32_e32 v11, vcc, 0, v11, vcc
	v_cmp_gt_u64_e64 s[6:7], s[56:57], v[10:11]
	v_cmp_le_u64_e32 vcc, s[56:57], v[10:11]
	v_pk_mov_b32 v[12:13], 0, 0
	s_and_saveexec_b64 s[12:13], s[6:7]
	s_cbranch_execz .LBB156_28
; %bb.30:                               ;   in Loop: Header=BB156_29 Depth=2
	global_load_dwordx2 v[12:13], v[8:9], off
	s_branch .LBB156_28
.LBB156_31:                             ;   in Loop: Header=BB156_6 Depth=1
	s_or_b64 exec, exec, s[2:3]
	s_waitcnt lgkmcnt(0)
	s_barrier
	s_mov_b64 s[2:3], exec
	v_readlane_b32 s4, v62, 8
	v_readlane_b32 s5, v62, 9
	s_and_b64 s[4:5], s[2:3], s[4:5]
	s_mov_b64 exec, s[4:5]
	s_cbranch_execz .LBB156_33
; %bb.32:                               ;   in Loop: Header=BB156_6 Depth=1
	s_waitcnt vmcnt(0)
	v_pk_mov_b32 v[4:5], s[56:57], s[56:57] op_sel:[0,1]
	ds_write_b64 v21, v[4:5] offset:5120
.LBB156_33:                             ;   in Loop: Header=BB156_6 Depth=1
	s_or_b64 exec, exec, s[2:3]
	s_mov_b64 s[4:5], -1
	s_waitcnt lgkmcnt(0)
	s_barrier
                                        ; implicit-def: $sgpr2_sgpr3
.LBB156_34:                             ;   in Loop: Header=BB156_6 Depth=1
	s_and_b64 vcc, exec, s[4:5]
	s_cbranch_vccz .LBB156_36
; %bb.35:                               ;   in Loop: Header=BB156_6 Depth=1
	s_waitcnt vmcnt(0)
	ds_read_b64 v[4:5], v21 offset:5120
	s_waitcnt lgkmcnt(0)
	v_readfirstlane_b32 s2, v4
.LBB156_36:                             ;   in Loop: Header=BB156_6 Depth=1
	v_writelane_b32 v62, s26, 48
	v_writelane_b32 v62, s27, 49
	s_cmp_lt_i32 s2, 1
	v_writelane_b32 v62, s28, 50
	v_writelane_b32 v62, s29, 51
	s_cbranch_scc0 .LBB156_51
; %bb.37:                               ;   in Loop: Header=BB156_6 Depth=1
	v_readlane_b32 s4, v62, 35
	v_readlane_b32 s5, v62, 36
	s_nop 4
	global_load_ushort v3, v21, s[4:5]
	s_mov_b32 s4, s83
	s_mov_b32 s5, s57
	s_waitcnt vmcnt(0)
	v_readfirstlane_b32 s3, v3
	s_and_b32 s3, s3, 0xffff
	s_lshl_b32 s82, s3, 2
	s_cmp_lg_u64 s[4:5], 0
	s_cbranch_scc0 .LBB156_71
; %bb.38:                               ;   in Loop: Header=BB156_6 Depth=1
	v_cvt_f32_u32_e32 v3, s82
	s_sub_u32 s4, 0, s82
	s_subb_u32 s5, 0, 0
	v_mac_f32_e32 v3, 0, v53
	v_rcp_f32_e32 v3, v3
	v_mul_f32_e32 v3, 0x5f7ffffc, v3
	v_mul_f32_e32 v4, 0x2f800000, v3
	v_trunc_f32_e32 v4, v4
	v_mac_f32_e32 v3, 0xcf800000, v4
	v_cvt_u32_f32_e32 v4, v4
	v_cvt_u32_f32_e32 v3, v3
	v_readfirstlane_b32 s6, v4
	v_readfirstlane_b32 s7, v3
	s_mul_i32 s12, s4, s6
	s_mul_hi_u32 s14, s4, s7
	s_mul_i32 s13, s5, s7
	s_add_i32 s12, s14, s12
	s_mul_i32 s15, s4, s7
	s_add_i32 s12, s12, s13
	s_mul_hi_u32 s14, s7, s15
	s_mul_hi_u32 s13, s7, s12
	s_mul_i32 s7, s7, s12
	s_add_u32 s7, s14, s7
	s_addc_u32 s13, 0, s13
	s_mul_hi_u32 s16, s6, s15
	s_mul_i32 s15, s6, s15
	s_add_u32 s7, s7, s15
	s_mul_hi_u32 s14, s6, s12
	s_addc_u32 s7, s13, s16
	s_addc_u32 s13, s14, 0
	s_mul_i32 s12, s6, s12
	s_add_u32 s7, s7, s12
	s_addc_u32 s12, 0, s13
	v_add_co_u32_e32 v3, vcc, s7, v3
	s_cmp_lg_u64 vcc, 0
	s_addc_u32 s6, s6, s12
	v_readfirstlane_b32 s12, v3
	s_mul_i32 s7, s4, s6
	s_mul_hi_u32 s13, s4, s12
	s_add_i32 s7, s13, s7
	s_mul_i32 s5, s5, s12
	s_add_i32 s7, s7, s5
	s_mul_i32 s4, s4, s12
	s_mul_hi_u32 s13, s6, s4
	s_mul_i32 s14, s6, s4
	s_mul_i32 s16, s12, s7
	s_mul_hi_u32 s4, s12, s4
	s_mul_hi_u32 s15, s12, s7
	s_add_u32 s4, s4, s16
	s_addc_u32 s12, 0, s15
	s_add_u32 s4, s4, s14
	s_mul_hi_u32 s5, s6, s7
	s_addc_u32 s4, s12, s13
	s_addc_u32 s5, s5, 0
	s_mul_i32 s7, s6, s7
	s_add_u32 s4, s4, s7
	s_addc_u32 s5, 0, s5
	v_add_co_u32_e32 v3, vcc, s4, v3
	s_cmp_lg_u64 vcc, 0
	s_addc_u32 s4, s6, s5
	v_readfirstlane_b32 s7, v3
	s_mul_i32 s6, s56, s4
	s_mul_hi_u32 s12, s56, s7
	s_mul_hi_u32 s5, s56, s4
	s_add_u32 s6, s12, s6
	s_addc_u32 s5, 0, s5
	s_mul_hi_u32 s13, s57, s7
	s_mul_i32 s7, s57, s7
	s_add_u32 s6, s6, s7
	s_mul_hi_u32 s12, s57, s4
	s_addc_u32 s5, s5, s13
	s_addc_u32 s6, s12, 0
	s_mul_i32 s4, s57, s4
	s_add_u32 s4, s5, s4
	s_addc_u32 s5, 0, s6
	s_mul_hi_u32 s6, s82, s4
	s_mul_i32 s4, s82, s4
	s_mul_i32 s5, s82, s5
	v_mov_b32_e32 v3, s4
	s_add_i32 s6, s6, s5
	v_sub_co_u32_e32 v3, vcc, s56, v3
	s_cmp_lg_u64 vcc, 0
	s_subb_u32 s4, s57, s6
	v_subrev_co_u32_e32 v4, vcc, s82, v3
	s_cmp_lg_u64 vcc, 0
	s_subb_u32 s5, s4, 0
	v_subrev_co_u32_e32 v5, vcc, s82, v4
	s_cmp_lg_u64 vcc, 0
	s_subb_u32 s6, s5, 0
	v_cmp_le_u32_e32 vcc, s82, v4
	s_cmp_eq_u32 s5, 0
	v_cndmask_b32_e64 v8, 0, -1, vcc
	s_cselect_b64 vcc, -1, 0
	v_cndmask_b32_e32 v8, -1, v8, vcc
	v_mov_b32_e32 v9, s5
	v_mov_b32_e32 v10, s6
	v_cmp_ne_u32_e32 vcc, 0, v8
	v_cndmask_b32_e32 v8, v9, v10, vcc
	v_cndmask_b32_e32 v4, v4, v5, vcc
	v_cmp_le_u32_e32 vcc, s82, v3
	s_cmp_eq_u32 s4, 0
	v_cndmask_b32_e64 v5, 0, -1, vcc
	s_cselect_b64 vcc, -1, 0
	v_cndmask_b32_e32 v5, -1, v5, vcc
	v_mov_b32_e32 v9, s4
	v_cmp_ne_u32_e32 vcc, 0, v5
	v_cndmask_b32_e32 v5, v9, v8, vcc
	v_cndmask_b32_e32 v4, v3, v4, vcc
	s_cbranch_execnz .LBB156_40
.LBB156_39:                             ;   in Loop: Header=BB156_6 Depth=1
	v_cvt_f32_u32_e32 v3, s82
	s_sub_i32 s4, 0, s82
	v_rcp_iflag_f32_e32 v3, v3
	v_mul_f32_e32 v3, 0x4f7ffffe, v3
	v_cvt_u32_f32_e32 v3, v3
	v_mul_lo_u32 v4, s4, v3
	v_mul_hi_u32 v4, v3, v4
	v_add_u32_e32 v3, v3, v4
	v_mul_hi_u32 v3, s56, v3
	v_mul_lo_u32 v3, v3, s82
	v_sub_u32_e32 v3, s56, v3
	v_subrev_u32_e32 v4, s82, v3
	v_cmp_le_u32_e32 vcc, s82, v3
	v_cndmask_b32_e32 v3, v3, v4, vcc
	v_subrev_u32_e32 v4, s82, v3
	v_cmp_le_u32_e32 vcc, s82, v3
	v_cndmask_b32_e32 v20, v3, v4, vcc
	v_pk_mov_b32 v[4:5], v[20:21], v[20:21] op_sel:[0,1]
.LBB156_40:                             ;   in Loop: Header=BB156_6 Depth=1
	v_mov_b32_e32 v3, s57
	v_sub_co_u32_e32 v4, vcc, s56, v4
	v_subb_co_u32_e32 v5, vcc, v3, v5, vcc
	v_pk_mov_b32 v[8:9], 0, 0
	v_cmp_gt_u64_e32 vcc, v[4:5], v[22:23]
	s_mov_b64 s[12:13], 0
	v_pk_mov_b32 v[10:11], v[8:9], v[8:9] op_sel:[0,1]
	v_pk_mov_b32 v[12:13], v[8:9], v[8:9] op_sel:[0,1]
	v_pk_mov_b32 v[14:15], v[8:9], v[8:9] op_sel:[0,1]
	s_and_saveexec_b64 s[4:5], vcc
	s_cbranch_execz .LBB156_44
; %bb.41:                               ;   in Loop: Header=BB156_6 Depth=1
	v_readlane_b32 s14, v62, 44
	v_readlane_b32 s6, v62, 46
	v_readlane_b32 s15, v62, 45
	s_and_b32 s89, s6, 0xfe
	s_mul_i32 s6, s15, s3
	s_mul_hi_u32 s7, s14, s3
	s_mov_b64 s[68:69], s[94:95]
	s_add_i32 s94, s7, s6
	s_mul_i32 s95, s14, s3
	s_mov_b64 s[78:79], s[70:71]
	s_mov_b64 s[72:73], 0
	;; [unrolled: 1-line block ×5, first 2 shown]
	v_pk_mov_b32 v[38:39], v[22:23], v[22:23] op_sel:[0,1]
.LBB156_42:                             ;   Parent Loop BB156_6 Depth=1
                                        ; =>  This Inner Loop Header: Depth=2
	v_add_co_u32_e64 v38, s[6:7], s82, v38
	v_addc_co_u32_e64 v39, s[6:7], 0, v39, s[6:7]
	v_mov_b32_e32 v3, s79
	v_add_co_u32_e32 v8, vcc, s78, v28
	v_add_co_u32_e64 v10, s[14:15], s78, v26
	v_add_co_u32_e64 v12, s[16:17], s78, v24
	;; [unrolled: 1-line block ×3, first 2 shown]
	v_addc_co_u32_e64 v45, s[6:7], v3, v31, s[6:7]
	v_addc_co_u32_e32 v9, vcc, v3, v29, vcc
	v_addc_co_u32_e64 v11, vcc, v3, v27, s[14:15]
	v_addc_co_u32_e64 v13, vcc, v3, v25, s[16:17]
	global_load_dwordx2 v[44:45], v[44:45], off
	s_nop 0
	global_load_dwordx2 v[8:9], v[8:9], off
	s_nop 0
	;; [unrolled: 2-line block ×3, first 2 shown]
	global_load_dwordx2 v[12:13], v[12:13], off
	v_mov_b32_e32 v15, v21
	v_mov_b32_e32 v41, v21
	;; [unrolled: 1-line block ×3, first 2 shown]
	v_cmp_ge_u64_e32 vcc, v[38:39], v[4:5]
	s_waitcnt vmcnt(3)
	v_xor_b32_e32 v45, 0x80000000, v45
	s_waitcnt vmcnt(2)
	v_xor_b32_e32 v9, 0x80000000, v9
	v_and_b32_e32 v54, v44, v32
	v_and_b32_e32 v55, v45, v33
	v_lshrrev_b64 v[44:45], s89, v[44:45]
	s_waitcnt vmcnt(1)
	v_xor_b32_e32 v11, 0x80000000, v11
	v_and_b32_e32 v56, v8, v32
	v_and_b32_e32 v57, v9, v33
	v_lshrrev_b64 v[8:9], s89, v[8:9]
	v_and_b32_e32 v20, 3, v44
	s_waitcnt vmcnt(0)
	v_xor_b32_e32 v13, 0x80000000, v13
	v_and_b32_e32 v58, v10, v32
	v_and_b32_e32 v59, v11, v33
	v_lshrrev_b64 v[10:11], s89, v[10:11]
	v_cmp_eq_u64_e64 s[20:21], v[54:55], v[34:35]
	v_and_b32_e32 v14, 3, v8
	v_cmp_eq_u64_e64 s[6:7], 0, v[20:21]
	v_and_b32_e32 v60, v12, v32
	v_and_b32_e32 v61, v13, v33
	v_lshrrev_b64 v[12:13], s89, v[12:13]
	v_cmp_eq_u64_e64 s[18:19], v[56:57], v[34:35]
	v_and_b32_e32 v40, 3, v10
	v_cmp_eq_u64_e64 s[34:35], 0, v[14:15]
	s_and_b64 s[6:7], s[20:21], s[6:7]
	v_cmp_eq_u64_e64 s[16:17], v[58:59], v[34:35]
	v_and_b32_e32 v42, 3, v12
	v_cmp_eq_u64_e64 s[36:37], 0, v[40:41]
	v_cndmask_b32_e64 v3, 0, 1, s[6:7]
	s_and_b64 s[6:7], s[18:19], s[34:35]
	v_cmp_eq_u64_e64 s[14:15], v[60:61], v[34:35]
	v_cmp_eq_u64_e64 s[38:39], 0, v[42:43]
	v_cndmask_b32_e64 v8, 0, 1, s[6:7]
	s_and_b64 s[6:7], s[16:17], s[36:37]
	v_cndmask_b32_e64 v9, 0, 1, s[6:7]
	s_and_b64 s[6:7], s[14:15], s[38:39]
	v_cndmask_b32_e64 v10, 0, 1, s[6:7]
	v_cmp_ne_u32_e64 s[6:7], 0, v3
	v_cmp_ne_u32_e64 s[34:35], 0, v8
	;; [unrolled: 1-line block ×4, first 2 shown]
	s_bcnt1_i32_b64 s6, s[6:7]
	s_bcnt1_i32_b64 s7, s[34:35]
	;; [unrolled: 1-line block ×4, first 2 shown]
	s_add_u32 s6, s6, s90
	s_addc_u32 s36, 0, s91
	s_add_u32 s6, s6, s7
	s_addc_u32 s7, s36, 0
	s_add_u32 s6, s6, s34
	s_addc_u32 s7, s7, 0
	v_cmp_eq_u64_e64 s[40:41], 1, v[20:21]
	s_add_u32 s90, s6, s35
	v_cmp_eq_u64_e64 s[42:43], 1, v[14:15]
	s_addc_u32 s91, s7, 0
	s_and_b64 s[6:7], s[20:21], s[40:41]
	v_cmp_eq_u64_e64 s[44:45], 1, v[40:41]
	v_cndmask_b32_e64 v3, 0, 1, s[6:7]
	s_and_b64 s[6:7], s[18:19], s[42:43]
	v_cmp_eq_u64_e64 s[46:47], 1, v[42:43]
	v_cndmask_b32_e64 v10, 0, 1, s[6:7]
	s_and_b64 s[6:7], s[16:17], s[44:45]
	v_cndmask_b32_e64 v11, 0, 1, s[6:7]
	s_and_b64 s[6:7], s[14:15], s[46:47]
	v_cndmask_b32_e64 v12, 0, 1, s[6:7]
	v_cmp_ne_u32_e64 s[6:7], 0, v3
	v_cmp_ne_u32_e64 s[34:35], 0, v10
	;; [unrolled: 1-line block ×4, first 2 shown]
	s_bcnt1_i32_b64 s6, s[6:7]
	s_bcnt1_i32_b64 s7, s[34:35]
	;; [unrolled: 1-line block ×4, first 2 shown]
	s_add_u32 s6, s6, s84
	s_addc_u32 s36, 0, s85
	s_add_u32 s6, s6, s7
	s_addc_u32 s7, s36, 0
	;; [unrolled: 2-line block ×3, first 2 shown]
	v_cmp_eq_u64_e64 s[48:49], 2, v[20:21]
	s_add_u32 s84, s6, s35
	v_cmp_eq_u64_e64 s[50:51], 2, v[14:15]
	s_addc_u32 s85, s7, 0
	s_and_b64 s[6:7], s[20:21], s[48:49]
	v_cmp_eq_u64_e64 s[52:53], 2, v[40:41]
	v_cndmask_b32_e64 v3, 0, 1, s[6:7]
	s_and_b64 s[6:7], s[18:19], s[50:51]
	v_cmp_eq_u64_e64 s[54:55], 2, v[42:43]
	v_cndmask_b32_e64 v12, 0, 1, s[6:7]
	s_and_b64 s[6:7], s[16:17], s[52:53]
	v_cndmask_b32_e64 v13, 0, 1, s[6:7]
	s_and_b64 s[6:7], s[14:15], s[54:55]
	v_cmp_eq_u64_e64 s[26:27], 3, v[14:15]
	v_cndmask_b32_e64 v14, 0, 1, s[6:7]
	v_cmp_ne_u32_e64 s[6:7], 0, v3
	v_cmp_ne_u32_e64 s[34:35], 0, v12
	;; [unrolled: 1-line block ×4, first 2 shown]
	s_bcnt1_i32_b64 s6, s[6:7]
	s_bcnt1_i32_b64 s7, s[34:35]
	;; [unrolled: 1-line block ×4, first 2 shown]
	s_add_u32 s6, s6, s80
	s_addc_u32 s36, 0, s81
	s_add_u32 s6, s6, s7
	s_addc_u32 s7, s36, 0
	;; [unrolled: 2-line block ×3, first 2 shown]
	v_cmp_eq_u64_e64 s[28:29], 3, v[20:21]
	s_add_u32 s80, s6, s35
	s_addc_u32 s81, s7, 0
	s_and_b64 s[6:7], s[20:21], s[28:29]
	v_cmp_eq_u64_e64 s[24:25], 3, v[40:41]
	v_cndmask_b32_e64 v3, 0, 1, s[6:7]
	s_and_b64 s[6:7], s[18:19], s[26:27]
	v_cmp_eq_u64_e64 s[22:23], 3, v[42:43]
	v_cndmask_b32_e64 v14, 0, 1, s[6:7]
	s_and_b64 s[6:7], s[16:17], s[24:25]
	v_cndmask_b32_e64 v15, 0, 1, s[6:7]
	s_and_b64 s[6:7], s[14:15], s[22:23]
	v_cndmask_b32_e64 v20, 0, 1, s[6:7]
	v_cmp_ne_u32_e64 s[6:7], 0, v3
	v_cmp_ne_u32_e64 s[14:15], 0, v14
	;; [unrolled: 1-line block ×4, first 2 shown]
	s_bcnt1_i32_b64 s6, s[6:7]
	s_bcnt1_i32_b64 s7, s[14:15]
	;; [unrolled: 1-line block ×4, first 2 shown]
	s_add_u32 s6, s6, s72
	s_addc_u32 s16, 0, s73
	s_add_u32 s6, s6, s7
	s_addc_u32 s7, s16, 0
	;; [unrolled: 2-line block ×5, first 2 shown]
	v_pk_mov_b32 v[8:9], s[90:91], s[90:91] op_sel:[0,1]
	v_pk_mov_b32 v[10:11], s[84:85], s[84:85] op_sel:[0,1]
	;; [unrolled: 1-line block ×3, first 2 shown]
	s_or_b64 s[12:13], vcc, s[12:13]
	v_pk_mov_b32 v[14:15], s[72:73], s[72:73] op_sel:[0,1]
	s_andn2_b64 exec, exec, s[12:13]
	s_cbranch_execnz .LBB156_42
; %bb.43:                               ;   in Loop: Header=BB156_6 Depth=1
	s_or_b64 exec, exec, s[12:13]
	s_mov_b64 s[94:95], s[68:69]
.LBB156_44:                             ;   in Loop: Header=BB156_6 Depth=1
	s_or_b64 exec, exec, s[4:5]
	v_add_co_u32_e32 v4, vcc, v4, v0
	v_addc_co_u32_e32 v5, vcc, 0, v5, vcc
	v_cmp_gt_u64_e32 vcc, s[56:57], v[4:5]
	v_pk_mov_b32 v[38:39], 0, 0
	s_and_saveexec_b64 s[4:5], vcc
	s_cbranch_execz .LBB156_46
; %bb.45:                               ;   in Loop: Header=BB156_6 Depth=1
	v_mul_lo_u32 v3, v5, s62
	v_mul_lo_u32 v20, v4, s63
	v_mad_u64_u32 v[38:39], s[6:7], v4, s62, 0
	v_add3_u32 v39, v39, v20, v3
	v_lshlrev_b64 v[38:39], 3, v[38:39]
	v_mov_b32_e32 v3, s71
	v_add_co_u32_e64 v38, s[6:7], s70, v38
	v_addc_co_u32_e64 v39, s[6:7], v3, v39, s[6:7]
	global_load_dwordx2 v[38:39], v[38:39], off
.LBB156_46:                             ;   in Loop: Header=BB156_6 Depth=1
	s_or_b64 exec, exec, s[4:5]
	s_and_saveexec_b64 s[4:5], vcc
	s_cbranch_execz .LBB156_53
; %bb.47:                               ;   in Loop: Header=BB156_6 Depth=1
	v_readlane_b32 s6, v62, 46
	s_and_b32 s16, s6, 0xfe
	s_mov_b64 s[12:13], 0
	s_branch .LBB156_49
.LBB156_48:                             ;   in Loop: Header=BB156_49 Depth=2
	s_or_b64 exec, exec, s[14:15]
	s_waitcnt vmcnt(0)
	v_xor_b32_e32 v39, 0x80000000, v39
	v_and_b32_e32 v43, v39, v33
	v_and_b32_e32 v42, v38, v32
	v_lshrrev_b64 v[38:39], s16, v[38:39]
	s_and_b64 s[6:7], exec, vcc
	v_and_b32_e32 v20, 3, v38
	s_or_b64 s[12:13], s[6:7], s[12:13]
	v_cmp_eq_u64_e32 vcc, v[42:43], v[34:35]
	v_cmp_eq_u64_e64 s[6:7], 0, v[20:21]
	s_and_b64 s[6:7], vcc, s[6:7]
	v_cndmask_b32_e64 v3, 0, 1, s[6:7]
	v_cmp_ne_u32_e64 s[6:7], 0, v3
	s_bcnt1_i32_b64 s6, s[6:7]
	v_add_co_u32_e64 v8, s[6:7], s6, v8
	v_addc_co_u32_e64 v9, s[6:7], 0, v9, s[6:7]
	v_cmp_eq_u64_e64 s[6:7], 1, v[20:21]
	s_and_b64 s[6:7], vcc, s[6:7]
	v_cndmask_b32_e64 v3, 0, 1, s[6:7]
	v_cmp_ne_u32_e64 s[6:7], 0, v3
	s_bcnt1_i32_b64 s6, s[6:7]
	v_add_co_u32_e64 v10, s[6:7], s6, v10
	v_addc_co_u32_e64 v11, s[6:7], 0, v11, s[6:7]
	;; [unrolled: 7-line block ×3, first 2 shown]
	v_cmp_eq_u64_e64 s[6:7], 3, v[20:21]
	s_and_b64 s[6:7], vcc, s[6:7]
	v_cndmask_b32_e64 v3, 0, 1, s[6:7]
	v_cmp_ne_u32_e32 vcc, 0, v3
	s_bcnt1_i32_b64 s6, vcc
	v_add_co_u32_e32 v14, vcc, s6, v14
	v_addc_co_u32_e32 v15, vcc, 0, v15, vcc
	v_pk_mov_b32 v[38:39], v[40:41], v[40:41] op_sel:[0,1]
	s_andn2_b64 exec, exec, s[12:13]
	s_cbranch_execz .LBB156_52
.LBB156_49:                             ;   Parent Loop BB156_6 Depth=1
                                        ; =>  This Inner Loop Header: Depth=2
	v_mov_b32_e32 v3, s83
	v_add_co_u32_e32 v4, vcc, s3, v4
	v_addc_co_u32_e32 v5, vcc, v5, v3, vcc
	v_cmp_gt_u64_e64 s[6:7], s[56:57], v[4:5]
	v_cmp_le_u64_e32 vcc, s[56:57], v[4:5]
	v_pk_mov_b32 v[40:41], 0, 0
	s_and_saveexec_b64 s[14:15], s[6:7]
	s_cbranch_execz .LBB156_48
; %bb.50:                               ;   in Loop: Header=BB156_49 Depth=2
	v_mul_lo_u32 v3, v5, s62
	v_mul_lo_u32 v20, v4, s63
	v_mad_u64_u32 v[40:41], s[6:7], v4, s62, 0
	v_add3_u32 v41, v41, v20, v3
	v_lshlrev_b64 v[40:41], 3, v[40:41]
	v_mov_b32_e32 v3, s71
	v_add_co_u32_e64 v40, s[6:7], s70, v40
	v_addc_co_u32_e64 v41, s[6:7], v3, v41, s[6:7]
	global_load_dwordx2 v[40:41], v[40:41], off
	s_branch .LBB156_48
.LBB156_51:                             ;   in Loop: Header=BB156_6 Depth=1
                                        ; implicit-def: $vgpr14_vgpr15
                                        ; implicit-def: $vgpr10_vgpr11
	s_cbranch_execnz .LBB156_54
	s_branch .LBB156_63
.LBB156_52:                             ;   in Loop: Header=BB156_6 Depth=1
	s_or_b64 exec, exec, s[12:13]
.LBB156_53:                             ;   in Loop: Header=BB156_6 Depth=1
	s_or_b64 exec, exec, s[4:5]
	s_branch .LBB156_63
.LBB156_54:                             ;   in Loop: Header=BB156_6 Depth=1
	v_readlane_b32 s4, v62, 35
	v_readlane_b32 s5, v62, 36
	v_pk_mov_b32 v[8:9], 0, 0
	v_pk_mov_b32 v[10:11], v[8:9], v[8:9] op_sel:[0,1]
	v_pk_mov_b32 v[12:13], v[8:9], v[8:9] op_sel:[0,1]
	;; [unrolled: 1-line block ×3, first 2 shown]
	s_nop 0
	global_load_ushort v3, v21, s[4:5]
	s_mov_b64 s[4:5], 0
	s_waitcnt vmcnt(0)
	v_readfirstlane_b32 s3, v3
	s_and_b32 s3, 0xffff, s3
	s_lshl_b32 s3, s3, 2
	v_cvt_f32_u32_e32 v4, s3
	s_sub_i32 s6, 0, s3
	v_and_b32_e32 v3, 0xffff, v3
	v_rcp_iflag_f32_e32 v4, v4
	v_mul_f32_e32 v4, 0x4f7ffffe, v4
	v_cvt_u32_f32_e32 v4, v4
	v_readfirstlane_b32 s7, v4
	s_mul_i32 s6, s6, s7
	s_mul_hi_u32 s6, s7, s6
	s_add_i32 s7, s7, s6
	s_mul_hi_u32 s6, s2, s7
	s_mul_i32 s6, s6, s3
	s_sub_i32 s6, s2, s6
	s_sub_i32 s7, s6, s3
	s_cmp_ge_u32 s6, s3
	s_cselect_b32 s6, s7, s6
	s_sub_i32 s7, s6, s3
	s_cmp_ge_u32 s6, s3
	s_cselect_b32 s6, s7, s6
	s_sub_i32 s82, s2, s6
	v_cmp_gt_u32_e32 vcc, s82, v22
	s_and_saveexec_b64 s[12:13], vcc
	s_cbranch_execz .LBB156_58
; %bb.55:                               ;   in Loop: Header=BB156_6 Depth=1
	v_readlane_b32 s6, v62, 46
	s_and_b32 s89, s6, 0xfe
	v_lshlrev_b32_e32 v44, 5, v3
	v_mov_b32_e32 v45, v51
	s_mov_b64 s[72:73], 0
	s_mov_b64 s[78:79], 0
	;; [unrolled: 1-line block ×4, first 2 shown]
	v_pk_mov_b32 v[4:5], v[22:23], v[22:23] op_sel:[0,1]
.LBB156_56:                             ;   Parent Loop BB156_6 Depth=1
                                        ; =>  This Inner Loop Header: Depth=2
	ds_read_b128 v[12:15], v45
	ds_read_b128 v[8:11], v45 offset:16
	v_mov_b32_e32 v39, v21
	v_mov_b32_e32 v41, v21
	;; [unrolled: 1-line block ×3, first 2 shown]
	s_waitcnt lgkmcnt(1)
	v_xor_b32_e32 v13, 0x80000000, v13
	v_xor_b32_e32 v15, 0x80000000, v15
	v_and_b32_e32 v54, v12, v32
	v_and_b32_e32 v55, v13, v33
	v_lshrrev_b64 v[12:13], s89, v[12:13]
	s_waitcnt lgkmcnt(0)
	v_xor_b32_e32 v9, 0x80000000, v9
	v_and_b32_e32 v56, v14, v32
	v_and_b32_e32 v57, v15, v33
	v_lshrrev_b64 v[14:15], s89, v[14:15]
	v_and_b32_e32 v20, 3, v12
	v_xor_b32_e32 v11, 0x80000000, v11
	v_and_b32_e32 v58, v8, v32
	v_and_b32_e32 v59, v9, v33
	v_lshrrev_b64 v[8:9], s89, v[8:9]
	v_cmp_eq_u64_e64 s[20:21], v[54:55], v[34:35]
	v_and_b32_e32 v38, 3, v14
	v_cmp_eq_u64_e64 s[6:7], 0, v[20:21]
	v_and_b32_e32 v60, v10, v32
	v_and_b32_e32 v61, v11, v33
	v_lshrrev_b64 v[10:11], s89, v[10:11]
	v_cmp_eq_u64_e64 s[18:19], v[56:57], v[34:35]
	v_and_b32_e32 v40, 3, v8
	v_cmp_eq_u64_e64 s[34:35], 0, v[38:39]
	s_and_b64 s[6:7], s[20:21], s[6:7]
	v_cmp_eq_u64_e64 s[16:17], v[58:59], v[34:35]
	v_and_b32_e32 v42, 3, v10
	v_cmp_eq_u64_e64 s[36:37], 0, v[40:41]
	v_cndmask_b32_e64 v8, 0, 1, s[6:7]
	s_and_b64 s[6:7], s[18:19], s[34:35]
	v_cmp_eq_u64_e64 s[14:15], v[60:61], v[34:35]
	v_cmp_eq_u64_e64 s[38:39], 0, v[42:43]
	v_cndmask_b32_e64 v9, 0, 1, s[6:7]
	s_and_b64 s[6:7], s[16:17], s[36:37]
	v_cndmask_b32_e64 v10, 0, 1, s[6:7]
	s_and_b64 s[6:7], s[14:15], s[38:39]
	v_cndmask_b32_e64 v11, 0, 1, s[6:7]
	v_cmp_ne_u32_e64 s[6:7], 0, v8
	v_cmp_ne_u32_e64 s[34:35], 0, v9
	v_cmp_ne_u32_e64 s[36:37], 0, v10
	v_cmp_ne_u32_e64 s[38:39], 0, v11
	s_bcnt1_i32_b64 s6, s[6:7]
	s_bcnt1_i32_b64 s7, s[34:35]
	s_bcnt1_i32_b64 s34, s[36:37]
	s_bcnt1_i32_b64 s35, s[38:39]
	s_add_u32 s6, s6, s84
	s_addc_u32 s36, 0, s85
	s_add_u32 s6, s6, s7
	s_addc_u32 s7, s36, 0
	s_add_u32 s6, s6, s34
	s_addc_u32 s7, s7, 0
	v_cmp_eq_u64_e64 s[40:41], 1, v[20:21]
	s_add_u32 s84, s6, s35
	v_cmp_eq_u64_e64 s[42:43], 1, v[38:39]
	s_addc_u32 s85, s7, 0
	s_and_b64 s[6:7], s[20:21], s[40:41]
	v_cmp_eq_u64_e64 s[44:45], 1, v[40:41]
	v_cndmask_b32_e64 v10, 0, 1, s[6:7]
	s_and_b64 s[6:7], s[18:19], s[42:43]
	v_cmp_eq_u64_e64 s[46:47], 1, v[42:43]
	v_cndmask_b32_e64 v11, 0, 1, s[6:7]
	s_and_b64 s[6:7], s[16:17], s[44:45]
	v_cndmask_b32_e64 v12, 0, 1, s[6:7]
	s_and_b64 s[6:7], s[14:15], s[46:47]
	v_cndmask_b32_e64 v13, 0, 1, s[6:7]
	v_cmp_ne_u32_e64 s[6:7], 0, v10
	v_cmp_ne_u32_e64 s[34:35], 0, v11
	v_cmp_ne_u32_e64 s[36:37], 0, v12
	v_cmp_ne_u32_e64 s[38:39], 0, v13
	s_bcnt1_i32_b64 s6, s[6:7]
	s_bcnt1_i32_b64 s7, s[34:35]
	s_bcnt1_i32_b64 s34, s[36:37]
	s_bcnt1_i32_b64 s35, s[38:39]
	s_add_u32 s6, s6, s80
	s_addc_u32 s36, 0, s81
	s_add_u32 s6, s6, s7
	s_addc_u32 s7, s36, 0
	s_add_u32 s6, s6, s34
	s_addc_u32 s7, s7, 0
	v_cmp_eq_u64_e64 s[48:49], 2, v[20:21]
	s_add_u32 s80, s6, s35
	v_cmp_eq_u64_e64 s[50:51], 2, v[38:39]
	s_addc_u32 s81, s7, 0
	s_and_b64 s[6:7], s[20:21], s[48:49]
	v_cmp_eq_u64_e64 s[52:53], 2, v[40:41]
	v_cndmask_b32_e64 v12, 0, 1, s[6:7]
	s_and_b64 s[6:7], s[18:19], s[50:51]
	;; [unrolled: 28-line block ×3, first 2 shown]
	v_cmp_eq_u64_e64 s[22:23], 3, v[42:43]
	v_cndmask_b32_e64 v15, 0, 1, s[6:7]
	s_and_b64 s[6:7], s[16:17], s[24:25]
	v_cndmask_b32_e64 v20, 0, 1, s[6:7]
	s_and_b64 s[6:7], s[14:15], s[22:23]
	v_cndmask_b32_e64 v38, 0, 1, s[6:7]
	v_cmp_ne_u32_e64 s[6:7], 0, v14
	v_cmp_ne_u32_e64 s[14:15], 0, v15
	;; [unrolled: 1-line block ×4, first 2 shown]
	s_bcnt1_i32_b64 s6, s[6:7]
	s_bcnt1_i32_b64 s7, s[14:15]
	;; [unrolled: 1-line block ×4, first 2 shown]
	s_add_u32 s6, s6, s72
	s_addc_u32 s16, 0, s73
	s_add_u32 s6, s6, s7
	s_addc_u32 s7, s16, 0
	s_add_u32 s6, s6, s14
	v_add_co_u32_e32 v4, vcc, s3, v4
	s_addc_u32 s7, s7, 0
	v_addc_co_u32_e32 v5, vcc, 0, v5, vcc
	s_add_u32 s72, s6, s15
	v_cmp_le_u64_e32 vcc, s[82:83], v[4:5]
	s_addc_u32 s73, s7, 0
	v_add_u32_e32 v45, v45, v44
	v_pk_mov_b32 v[8:9], s[84:85], s[84:85] op_sel:[0,1]
	v_pk_mov_b32 v[10:11], s[80:81], s[80:81] op_sel:[0,1]
	;; [unrolled: 1-line block ×3, first 2 shown]
	s_or_b64 s[4:5], vcc, s[4:5]
	v_pk_mov_b32 v[14:15], s[72:73], s[72:73] op_sel:[0,1]
	s_andn2_b64 exec, exec, s[4:5]
	s_cbranch_execnz .LBB156_56
; %bb.57:                               ;   in Loop: Header=BB156_6 Depth=1
	s_or_b64 exec, exec, s[4:5]
.LBB156_58:                             ;   in Loop: Header=BB156_6 Depth=1
	s_or_b64 exec, exec, s[12:13]
	v_add_u32_e32 v20, s82, v0
	v_cmp_gt_u32_e32 vcc, s2, v20
	s_and_saveexec_b64 s[4:5], vcc
	s_cbranch_execz .LBB156_62
; %bb.59:                               ;   in Loop: Header=BB156_6 Depth=1
	s_and_b32 s82, s2, 0x7fffffff
	v_readlane_b32 s2, v62, 46
	s_and_b32 s12, s2, 0xfe
	v_lshlrev_b32_e32 v38, 3, v20
	v_lshlrev_b32_e32 v39, 3, v3
	s_mov_b64 s[2:3], 0
	v_pk_mov_b32 v[4:5], v[20:21], v[20:21] op_sel:[0,1]
.LBB156_60:                             ;   Parent Loop BB156_6 Depth=1
                                        ; =>  This Inner Loop Header: Depth=2
	ds_read_b64 v[40:41], v38
	v_add_co_u32_e32 v4, vcc, v4, v3
	v_addc_co_u32_e32 v5, vcc, 0, v5, vcc
	s_waitcnt lgkmcnt(0)
	v_xor_b32_e32 v41, 0x80000000, v41
	v_and_b32_e32 v42, v40, v32
	v_and_b32_e32 v43, v41, v33
	v_lshrrev_b64 v[40:41], s12, v[40:41]
	v_and_b32_e32 v20, 3, v40
	v_cmp_eq_u64_e64 s[6:7], v[42:43], v[34:35]
	v_cmp_eq_u64_e64 s[14:15], 0, v[20:21]
	;; [unrolled: 1-line block ×3, first 2 shown]
	s_and_b64 s[14:15], s[6:7], s[14:15]
	v_cmp_eq_u64_e64 s[18:19], 2, v[20:21]
	v_cmp_eq_u64_e64 s[20:21], 3, v[20:21]
	v_cndmask_b32_e64 v20, 0, 1, s[14:15]
	s_and_b64 s[14:15], s[6:7], s[16:17]
	v_cndmask_b32_e64 v40, 0, 1, s[14:15]
	s_and_b64 s[14:15], s[6:7], s[18:19]
	s_and_b64 s[6:7], s[6:7], s[20:21]
	v_cndmask_b32_e64 v41, 0, 1, s[14:15]
	v_cndmask_b32_e64 v42, 0, 1, s[6:7]
	v_cmp_ne_u32_e64 s[6:7], 0, v20
	v_cmp_ne_u32_e64 s[14:15], 0, v40
	v_cmp_ne_u32_e64 s[16:17], 0, v41
	v_cmp_ne_u32_e64 s[18:19], 0, v42
	v_cmp_le_u64_e32 vcc, s[82:83], v[4:5]
	s_bcnt1_i32_b64 s6, s[6:7]
	s_bcnt1_i32_b64 s7, s[14:15]
	;; [unrolled: 1-line block ×4, first 2 shown]
	s_or_b64 s[2:3], vcc, s[2:3]
	v_add_co_u32_e32 v8, vcc, s6, v8
	v_addc_co_u32_e32 v9, vcc, 0, v9, vcc
	v_add_co_u32_e32 v10, vcc, s7, v10
	v_addc_co_u32_e32 v11, vcc, 0, v11, vcc
	;; [unrolled: 2-line block ×3, first 2 shown]
	v_add_co_u32_e32 v14, vcc, s14, v14
	v_add_u32_e32 v38, v38, v39
	v_addc_co_u32_e32 v15, vcc, 0, v15, vcc
	s_andn2_b64 exec, exec, s[2:3]
	s_cbranch_execnz .LBB156_60
; %bb.61:                               ;   in Loop: Header=BB156_6 Depth=1
	s_or_b64 exec, exec, s[2:3]
.LBB156_62:                             ;   in Loop: Header=BB156_6 Depth=1
	s_or_b64 exec, exec, s[4:5]
.LBB156_63:                             ;   in Loop: Header=BB156_6 Depth=1
	v_readlane_b32 s2, v62, 47
	s_lshl_b32 s4, s2, 6
	s_and_saveexec_b64 s[2:3], s[94:95]
	s_cbranch_execz .LBB156_65
; %bb.64:                               ;   in Loop: Header=BB156_6 Depth=1
	v_or_b32_e32 v3, s4, v48
	v_lshlrev_b32_e32 v3, 3, v3
	ds_write_b128 v3, v[8:11] offset:3072
	ds_write_b128 v3, v[12:15] offset:3088
.LBB156_65:                             ;   in Loop: Header=BB156_6 Depth=1
	s_or_b64 exec, exec, s[2:3]
	s_waitcnt lgkmcnt(0)
	s_barrier
	s_mov_b64 s[2:3], exec
	v_readlane_b32 s6, v62, 20
	v_readlane_b32 s7, v62, 21
	s_and_b64 s[6:7], s[2:3], s[6:7]
	s_mov_b64 exec, s[6:7]
	s_cbranch_execz .LBB156_77
; %bb.66:                               ;   in Loop: Header=BB156_6 Depth=1
	v_readlane_b32 s6, v62, 28
	v_readlane_b32 s7, v62, 29
	s_andn2_b64 vcc, exec, s[6:7]
	s_waitcnt vmcnt(0)
	v_pk_mov_b32 v[4:5], 0, 0
	s_cbranch_vccnz .LBB156_76
; %bb.67:                               ;   in Loop: Header=BB156_6 Depth=1
	v_readlane_b32 s6, v62, 37
	v_readlane_b32 s7, v62, 38
	s_andn2_b64 vcc, exec, s[6:7]
	s_cbranch_vccnz .LBB156_72
; %bb.68:                               ;   in Loop: Header=BB156_6 Depth=1
	v_readlane_b32 s5, v62, 47
	v_lshl_add_u32 v3, s5, 9, v52
	s_mov_b32 s5, 0
	v_pk_mov_b32 v[4:5], 0, 0
.LBB156_69:                             ;   Parent Loop BB156_6 Depth=1
                                        ; =>  This Inner Loop Header: Depth=2
	ds_read2_b64 v[8:11], v3 offset1:4
	ds_read2_b64 v[12:15], v3 offset0:8 offset1:12
	ds_read2_b64 v[38:41], v3 offset0:16 offset1:20
	;; [unrolled: 1-line block ×3, first 2 shown]
	s_add_i32 s5, s5, 8
	s_waitcnt lgkmcnt(3)
	v_add_co_u32_e32 v4, vcc, v8, v4
	v_addc_co_u32_e32 v5, vcc, v9, v5, vcc
	v_add_co_u32_e32 v4, vcc, v10, v4
	v_addc_co_u32_e32 v5, vcc, v11, v5, vcc
	s_waitcnt lgkmcnt(2)
	v_add_co_u32_e32 v4, vcc, v12, v4
	v_addc_co_u32_e32 v5, vcc, v13, v5, vcc
	v_add_co_u32_e32 v4, vcc, v14, v4
	v_addc_co_u32_e32 v5, vcc, v15, v5, vcc
	;; [unrolled: 5-line block ×3, first 2 shown]
	s_waitcnt lgkmcnt(0)
	v_add_co_u32_e32 v4, vcc, v42, v4
	v_addc_co_u32_e32 v5, vcc, v43, v5, vcc
	v_add_co_u32_e32 v4, vcc, v44, v4
	v_add_u32_e32 v3, 0x100, v3
	s_cmp_eq_u32 s1, s5
	v_addc_co_u32_e32 v5, vcc, v45, v5, vcc
	s_cbranch_scc0 .LBB156_69
; %bb.70:                               ;   in Loop: Header=BB156_6 Depth=1
	s_mov_b32 s5, s1
	s_branch .LBB156_73
.LBB156_71:                             ;   in Loop: Header=BB156_6 Depth=1
                                        ; implicit-def: $vgpr4_vgpr5
	s_branch .LBB156_39
.LBB156_72:                             ;   in Loop: Header=BB156_6 Depth=1
	s_mov_b32 s5, 0
	v_pk_mov_b32 v[4:5], 0, 0
.LBB156_73:                             ;   in Loop: Header=BB156_6 Depth=1
	v_readlane_b32 s6, v62, 40
	v_readlane_b32 s7, v62, 41
	s_andn2_b64 vcc, exec, s[6:7]
	s_cbranch_vccnz .LBB156_76
; %bb.74:                               ;   in Loop: Header=BB156_6 Depth=1
	v_readlane_b32 s6, v62, 47
	s_lshl_b32 s6, s6, 9
	s_lshl_b32 s5, s5, 5
	s_add_i32 s6, s6, s5
	v_add_u32_e32 v3, s6, v52
	v_readlane_b32 s5, v62, 39
.LBB156_75:                             ;   Parent Loop BB156_6 Depth=1
                                        ; =>  This Inner Loop Header: Depth=2
	ds_read_b64 v[8:9], v3
	s_add_i32 s5, s5, -1
	v_add_u32_e32 v3, 32, v3
	s_cmp_lg_u32 s5, 0
	s_waitcnt lgkmcnt(0)
	v_add_co_u32_e32 v4, vcc, v8, v4
	v_addc_co_u32_e32 v5, vcc, v9, v5, vcc
	s_cbranch_scc1 .LBB156_75
.LBB156_76:                             ;   in Loop: Header=BB156_6 Depth=1
	v_add_lshl_u32 v3, s4, v47, 3
	ds_write_b64 v3, v[4:5] offset:3072
.LBB156_77:                             ;   in Loop: Header=BB156_6 Depth=1
	s_or_b64 exec, exec, s[2:3]
	s_lshl_b32 s2, s4, 3
	v_mov_b32_e32 v3, s2
	s_waitcnt lgkmcnt(0)
	s_barrier
	ds_read_b128 v[8:11], v3 offset:3072
	ds_read_b128 v[12:15], v3 offset:3088
	v_readlane_b32 s2, v62, 46
	s_and_b32 s82, s2, 0xfe
	v_readlane_b32 s2, v62, 18
	s_lshl_b64 s[18:19], 3, s82
	v_readlane_b32 s3, v62, 19
	s_waitcnt lgkmcnt(1)
	v_readfirstlane_b32 s17, v9
	v_readfirstlane_b32 s16, v8
	;; [unrolled: 1-line block ×4, first 2 shown]
	s_waitcnt lgkmcnt(0)
	v_readfirstlane_b32 s27, v13
	v_readfirstlane_b32 s26, v12
	;; [unrolled: 1-line block ×4, first 2 shown]
	s_not_b64 s[20:21], s[18:19]
	s_andn2_b64 vcc, exec, s[2:3]
	v_cmp_eq_u64_e64 s[14:15], 1, v[36:37]
	s_cbranch_vccnz .LBB156_93
; %bb.78:                               ;   in Loop: Header=BB156_6 Depth=1
	s_cmp_eq_u64 s[16:17], 1
	s_cselect_b64 s[2:3], -1, 0
	s_and_b64 s[2:3], s[2:3], s[14:15]
	s_mov_b64 s[6:7], -1
	v_pk_mov_b32 v[12:13], v[34:35], v[34:35] op_sel:[0,1]
	v_pk_mov_b32 v[14:15], v[32:33], v[32:33] op_sel:[0,1]
	;; [unrolled: 1-line block ×3, first 2 shown]
                                        ; implicit-def: $sgpr24_sgpr25
                                        ; implicit-def: $sgpr40_sgpr41
                                        ; implicit-def: $sgpr38_sgpr39
	s_and_saveexec_b64 s[4:5], s[2:3]
	s_cbranch_execz .LBB156_115
; %bb.79:                               ;   in Loop: Header=BB156_6 Depth=1
	s_waitcnt vmcnt(0)
	ds_read_b64 v[4:5], v21 offset:5120
	s_waitcnt lgkmcnt(0)
	s_barrier
	v_readfirstlane_b32 s6, v4
	v_readfirstlane_b32 s7, v5
	s_mov_b64 s[12:13], exec
	v_readlane_b32 s24, v62, 26
	v_readlane_b32 s25, v62, 27
	s_and_b64 s[24:25], s[12:13], s[24:25]
	s_mov_b64 exec, s[24:25]
	s_cbranch_execz .LBB156_81
; %bb.80:                               ;   in Loop: Header=BB156_6 Depth=1
	v_mov_b32_e32 v20, v21
	ds_write_b64 v50, v[20:21]
.LBB156_81:                             ;   in Loop: Header=BB156_6 Depth=1
	s_or_b64 exec, exec, s[12:13]
	v_and_b32_e32 v13, s21, v35
	v_and_b32_e32 v12, s20, v34
	v_or_b32_e32 v15, s19, v33
	v_or_b32_e32 v14, s18, v32
	s_cmp_eq_u64 s[6:7], 0
	s_waitcnt lgkmcnt(0)
	s_barrier
	s_cbranch_scc1 .LBB156_98
; %bb.82:                               ;   in Loop: Header=BB156_6 Depth=1
	v_readlane_b32 s12, v62, 30
	s_add_u32 s34, s12, s6
	v_readlane_b32 s12, v62, 32
	s_addc_u32 s13, s12, s7
	s_mov_b32 s12, s83
	s_cmp_lg_u64 s[12:13], 0
	s_cbranch_scc0 .LBB156_142
; %bb.83:                               ;   in Loop: Header=BB156_6 Depth=1
	v_cvt_f32_u32_e32 v3, s33
	s_sub_u32 s12, 0, s33
	s_subb_u32 s24, 0, 0
	v_mac_f32_e32 v3, 0, v53
	v_rcp_f32_e32 v3, v3
	v_mul_f32_e32 v3, 0x5f7ffffc, v3
	v_mul_f32_e32 v4, 0x2f800000, v3
	v_trunc_f32_e32 v4, v4
	v_mac_f32_e32 v3, 0xcf800000, v4
	v_cvt_u32_f32_e32 v4, v4
	v_cvt_u32_f32_e32 v3, v3
	v_readfirstlane_b32 s25, v4
	v_readfirstlane_b32 s35, v3
	s_mul_i32 s36, s12, s25
	s_mul_hi_u32 s38, s12, s35
	s_mul_i32 s37, s24, s35
	s_add_i32 s36, s38, s36
	s_mul_i32 s39, s12, s35
	s_add_i32 s36, s36, s37
	s_mul_hi_u32 s38, s35, s39
	s_mul_hi_u32 s37, s35, s36
	s_mul_i32 s35, s35, s36
	s_add_u32 s35, s38, s35
	s_addc_u32 s37, 0, s37
	s_mul_hi_u32 s40, s25, s39
	s_mul_i32 s39, s25, s39
	s_add_u32 s35, s35, s39
	s_mul_hi_u32 s38, s25, s36
	s_addc_u32 s35, s37, s40
	s_addc_u32 s37, s38, 0
	s_mul_i32 s36, s25, s36
	s_add_u32 s35, s35, s36
	s_addc_u32 s36, 0, s37
	v_add_co_u32_e32 v3, vcc, s35, v3
	s_cmp_lg_u64 vcc, 0
	s_addc_u32 s25, s25, s36
	v_readfirstlane_b32 s36, v3
	s_mul_i32 s35, s12, s25
	s_mul_hi_u32 s37, s12, s36
	s_add_i32 s35, s37, s35
	s_mul_i32 s24, s24, s36
	s_add_i32 s35, s35, s24
	s_mul_i32 s12, s12, s36
	s_mul_hi_u32 s37, s25, s12
	s_mul_i32 s38, s25, s12
	s_mul_i32 s40, s36, s35
	s_mul_hi_u32 s12, s36, s12
	s_mul_hi_u32 s39, s36, s35
	s_add_u32 s12, s12, s40
	s_addc_u32 s36, 0, s39
	s_add_u32 s12, s12, s38
	s_mul_hi_u32 s24, s25, s35
	s_addc_u32 s12, s36, s37
	s_addc_u32 s24, s24, 0
	s_mul_i32 s35, s25, s35
	s_add_u32 s12, s12, s35
	s_addc_u32 s24, 0, s24
	v_add_co_u32_e32 v3, vcc, s12, v3
	s_cmp_lg_u64 vcc, 0
	s_addc_u32 s12, s25, s24
	v_readfirstlane_b32 s35, v3
	s_mul_i32 s25, s34, s12
	s_mul_hi_u32 s36, s34, s35
	s_mul_hi_u32 s24, s34, s12
	s_add_u32 s25, s36, s25
	s_addc_u32 s24, 0, s24
	s_mul_hi_u32 s37, s13, s35
	s_mul_i32 s35, s13, s35
	s_add_u32 s25, s25, s35
	s_mul_hi_u32 s36, s13, s12
	s_addc_u32 s24, s24, s37
	s_addc_u32 s25, s36, 0
	s_mul_i32 s12, s13, s12
	s_add_u32 s12, s24, s12
	s_addc_u32 s24, 0, s25
	s_mul_hi_u32 s25, s33, s12
	s_mul_i32 s12, s33, s12
	s_mul_i32 s24, s33, s24
	v_mov_b32_e32 v3, s12
	s_add_i32 s25, s25, s24
	v_sub_co_u32_e32 v3, vcc, s34, v3
	s_cmp_lg_u64 vcc, 0
	s_subb_u32 s12, s13, s25
	v_subrev_co_u32_e32 v4, vcc, s33, v3
	s_cmp_lg_u64 vcc, 0
	s_subb_u32 s24, s12, 0
	v_subrev_co_u32_e32 v5, vcc, s33, v4
	s_cmp_lg_u64 vcc, 0
	s_subb_u32 s25, s24, 0
	v_cmp_le_u32_e32 vcc, s33, v4
	s_cmp_eq_u32 s24, 0
	v_cndmask_b32_e64 v8, 0, -1, vcc
	s_cselect_b64 vcc, -1, 0
	v_cndmask_b32_e32 v8, -1, v8, vcc
	v_mov_b32_e32 v9, s24
	v_mov_b32_e32 v10, s25
	v_cmp_ne_u32_e32 vcc, 0, v8
	v_cndmask_b32_e32 v8, v9, v10, vcc
	v_cndmask_b32_e32 v4, v4, v5, vcc
	v_cmp_le_u32_e32 vcc, s33, v3
	s_cmp_eq_u32 s12, 0
	v_cndmask_b32_e64 v5, 0, -1, vcc
	s_cselect_b64 vcc, -1, 0
	v_cndmask_b32_e32 v5, -1, v5, vcc
	v_mov_b32_e32 v9, s12
	v_cmp_ne_u32_e32 vcc, 0, v5
	v_cndmask_b32_e32 v5, v9, v8, vcc
	v_cndmask_b32_e32 v4, v3, v4, vcc
	s_cbranch_execnz .LBB156_85
.LBB156_84:                             ;   in Loop: Header=BB156_6 Depth=1
	v_cvt_f32_u32_e32 v3, s33
	s_sub_i32 s12, 0, s33
	v_rcp_iflag_f32_e32 v3, v3
	v_mul_f32_e32 v3, 0x4f7ffffe, v3
	v_cvt_u32_f32_e32 v3, v3
	v_mul_lo_u32 v4, s12, v3
	v_mul_hi_u32 v4, v3, v4
	v_add_u32_e32 v3, v3, v4
	v_mul_hi_u32 v3, s34, v3
	v_mul_lo_u32 v3, v3, s33
	v_sub_u32_e32 v3, s34, v3
	v_subrev_u32_e32 v4, s33, v3
	v_cmp_le_u32_e32 vcc, s33, v3
	v_cndmask_b32_e32 v3, v3, v4, vcc
	v_subrev_u32_e32 v4, s33, v3
	v_cmp_le_u32_e32 vcc, s33, v3
	v_cndmask_b32_e32 v20, v3, v4, vcc
	v_pk_mov_b32 v[4:5], v[20:21], v[20:21] op_sel:[0,1]
.LBB156_85:                             ;   in Loop: Header=BB156_6 Depth=1
	v_mov_b32_e32 v3, s13
	v_sub_co_u32_e32 v38, vcc, s34, v4
	v_subb_co_u32_e32 v39, vcc, v3, v5, vcc
	v_cmp_gt_u64_e32 vcc, v[38:39], v[0:1]
	s_mov_b64 s[34:35], 0
                                        ; implicit-def: $vgpr10_vgpr11
	s_and_saveexec_b64 s[12:13], vcc
	s_cbranch_execz .LBB156_100
; %bb.86:                               ;   in Loop: Header=BB156_6 Depth=1
	v_mov_b32_e32 v20, v49
	v_pk_mov_b32 v[40:41], v[0:1], v[0:1] op_sel:[0,1]
                                        ; implicit-def: $sgpr24_sgpr25
	s_branch .LBB156_88
.LBB156_87:                             ;   in Loop: Header=BB156_88 Depth=2
	s_or_b64 exec, exec, s[36:37]
	s_waitcnt lgkmcnt(0)
	s_barrier
	ds_read_b128 v[8:11], v21 offset:3072
	v_mov_b32_e32 v3, s0
	v_add_co_u32_e32 v40, vcc, s33, v40
	v_addc_co_u32_e32 v41, vcc, v41, v3, vcc
	s_waitcnt lgkmcnt(0)
	v_readfirstlane_b32 s37, v9
	v_readfirstlane_b32 s36, v8
	s_cmp_lg_u64 s[36:37], 0
	s_cselect_b64 s[36:37], -1, 0
	v_cmp_ge_u64_e32 vcc, v[40:41], v[38:39]
	s_or_b64 s[38:39], vcc, s[36:37]
	s_and_b64 s[38:39], exec, s[38:39]
	s_or_b64 s[34:35], s[38:39], s[34:35]
	s_andn2_b64 s[24:25], s[24:25], exec
	s_and_b64 s[36:37], s[36:37], exec
	v_add_u32_e32 v20, s88, v20
	s_or_b64 s[24:25], s[24:25], s[36:37]
	s_barrier
	s_andn2_b64 exec, exec, s[34:35]
	s_cbranch_execz .LBB156_99
.LBB156_88:                             ;   Parent Loop BB156_6 Depth=1
                                        ; =>  This Inner Loop Header: Depth=2
	v_cmp_gt_u64_e32 vcc, s[6:7], v[40:41]
	v_pk_mov_b32 v[4:5], 0, 0
	s_and_saveexec_b64 s[36:37], vcc
	s_cbranch_execz .LBB156_90
; %bb.89:                               ;   in Loop: Header=BB156_88 Depth=2
	ds_read_b64 v[4:5], v20
.LBB156_90:                             ;   in Loop: Header=BB156_88 Depth=2
	s_or_b64 exec, exec, s[36:37]
	s_and_saveexec_b64 s[36:37], vcc
	s_cbranch_execz .LBB156_87
; %bb.91:                               ;   in Loop: Header=BB156_88 Depth=2
	s_waitcnt lgkmcnt(0)
	v_xor_b32_e32 v3, 0x80000000, v5
	v_and_b32_e32 v9, v3, v15
	v_and_b32_e32 v8, v4, v14
	v_cmp_eq_u64_e32 vcc, v[8:9], v[12:13]
	s_and_b64 exec, exec, vcc
	s_cbranch_execz .LBB156_87
; %bb.92:                               ;   in Loop: Header=BB156_88 Depth=2
	v_mov_b32_e32 v3, v21
	ds_write_b128 v21, v[2:5] offset:3072
	s_branch .LBB156_87
.LBB156_93:                             ;   in Loop: Header=BB156_6 Depth=1
	s_mov_b64 s[36:37], 0
	s_mov_b64 s[34:35], 0
                                        ; implicit-def: $sgpr38_sgpr39
                                        ; implicit-def: $sgpr40_sgpr41
                                        ; implicit-def: $sgpr24_sgpr25
                                        ; implicit-def: $vgpr3
                                        ; implicit-def: $vgpr38_vgpr39
                                        ; implicit-def: $vgpr12_vgpr13
                                        ; implicit-def: $vgpr14_vgpr15
                                        ; implicit-def: $vgpr10_vgpr11
	s_cbranch_execnz .LBB156_279
.LBB156_94:                             ;   in Loop: Header=BB156_6 Depth=1
	s_mov_b64 s[14:15], s[24:25]
	s_mov_b64 s[42:43], s[24:25]
	s_and_saveexec_b64 s[2:3], s[36:37]
	s_cbranch_execnz .LBB156_475
	s_branch .LBB156_476
.LBB156_95:                             ;   in Loop: Header=BB156_6 Depth=1
	s_or_b64 exec, exec, s[4:5]
	s_waitcnt lgkmcnt(0)
	s_barrier
	s_mov_b64 s[4:5], exec
	v_readlane_b32 s6, v62, 8
	v_readlane_b32 s7, v62, 9
	s_and_b64 s[6:7], s[4:5], s[6:7]
	s_mov_b64 exec, s[6:7]
	s_cbranch_execz .LBB156_97
; %bb.96:                               ;   in Loop: Header=BB156_6 Depth=1
	s_waitcnt vmcnt(0)
	ds_read_b32 v4, v21 offset:5144
	s_waitcnt lgkmcnt(0)
	v_ashrrev_i32_e32 v5, 31, v4
	ds_write_b64 v21, v[4:5] offset:5120
.LBB156_97:                             ;   in Loop: Header=BB156_6 Depth=1
	s_or_b64 exec, exec, s[4:5]
	s_waitcnt lgkmcnt(0)
	s_barrier
	s_mov_b64 s[4:5], -1
	s_and_b64 vcc, exec, s[2:3]
	s_cbranch_vccnz .LBB156_24
	s_branch .LBB156_34
.LBB156_98:                             ;   in Loop: Header=BB156_6 Depth=1
	s_mov_b64 s[24:25], -1
	s_mov_b64 s[34:35], 0
                                        ; implicit-def: $sgpr38_sgpr39
                                        ; implicit-def: $vgpr10_vgpr11
	s_mov_b64 s[40:41], s[24:25]
	s_cbranch_execnz .LBB156_101
	s_branch .LBB156_114
.LBB156_99:                             ;   in Loop: Header=BB156_6 Depth=1
	s_or_b64 exec, exec, s[34:35]
	s_and_b64 s[34:35], s[24:25], exec
.LBB156_100:                            ;   in Loop: Header=BB156_6 Depth=1
	s_or_b64 exec, exec, s[12:13]
	s_mov_b64 s[38:39], -1
	s_mov_b64 s[24:25], 0
	s_mov_b64 s[40:41], s[24:25]
	s_branch .LBB156_114
.LBB156_101:                            ;   in Loop: Header=BB156_6 Depth=1
	v_readlane_b32 s36, v62, 33
	v_readlane_b32 s37, v62, 34
	s_mov_b32 s36, s83
	s_cmp_lg_u64 s[36:37], 0
	v_writelane_b32 v62, s36, 33
	v_writelane_b32 v62, s37, 34
	s_cbranch_scc0 .LBB156_143
; %bb.102:                              ;   in Loop: Header=BB156_6 Depth=1
	v_cvt_f32_u32_e32 v3, s33
	s_sub_u32 s6, 0, s33
	s_subb_u32 s7, 0, 0
	v_mac_f32_e32 v3, 0, v53
	v_rcp_f32_e32 v3, v3
	v_mul_f32_e32 v3, 0x5f7ffffc, v3
	v_mul_f32_e32 v4, 0x2f800000, v3
	v_trunc_f32_e32 v4, v4
	v_mac_f32_e32 v3, 0xcf800000, v4
	v_cvt_u32_f32_e32 v4, v4
	v_cvt_u32_f32_e32 v3, v3
	v_readfirstlane_b32 s12, v4
	v_readfirstlane_b32 s13, v3
	s_mul_i32 s24, s6, s12
	s_mul_hi_u32 s34, s6, s13
	s_mul_i32 s25, s7, s13
	s_add_i32 s24, s34, s24
	s_mul_i32 s35, s6, s13
	s_add_i32 s24, s24, s25
	s_mul_hi_u32 s34, s13, s35
	s_mul_hi_u32 s25, s13, s24
	s_mul_i32 s13, s13, s24
	s_add_u32 s13, s34, s13
	s_addc_u32 s25, 0, s25
	s_mul_hi_u32 s36, s12, s35
	s_mul_i32 s35, s12, s35
	s_add_u32 s13, s13, s35
	s_mul_hi_u32 s34, s12, s24
	s_addc_u32 s13, s25, s36
	s_addc_u32 s25, s34, 0
	s_mul_i32 s24, s12, s24
	s_add_u32 s13, s13, s24
	s_addc_u32 s24, 0, s25
	v_add_co_u32_e32 v3, vcc, s13, v3
	s_cmp_lg_u64 vcc, 0
	s_addc_u32 s12, s12, s24
	v_readfirstlane_b32 s24, v3
	s_mul_i32 s13, s6, s12
	s_mul_hi_u32 s25, s6, s24
	s_add_i32 s13, s25, s13
	s_mul_i32 s7, s7, s24
	s_add_i32 s13, s13, s7
	s_mul_i32 s6, s6, s24
	s_mul_hi_u32 s25, s12, s6
	s_mul_i32 s34, s12, s6
	s_mul_i32 s36, s24, s13
	s_mul_hi_u32 s6, s24, s6
	s_mul_hi_u32 s35, s24, s13
	s_add_u32 s6, s6, s36
	s_addc_u32 s24, 0, s35
	s_add_u32 s6, s6, s34
	s_mul_hi_u32 s7, s12, s13
	s_addc_u32 s6, s24, s25
	s_addc_u32 s7, s7, 0
	s_mul_i32 s13, s12, s13
	s_add_u32 s6, s6, s13
	s_addc_u32 s7, 0, s7
	v_add_co_u32_e32 v3, vcc, s6, v3
	s_cmp_lg_u64 vcc, 0
	s_addc_u32 s6, s12, s7
	v_readlane_b32 s34, v62, 31
	v_readfirstlane_b32 s13, v3
	s_mul_i32 s12, s34, s6
	s_mul_hi_u32 s24, s34, s13
	s_mul_hi_u32 s7, s34, s6
	s_add_u32 s12, s24, s12
	s_addc_u32 s7, 0, s7
	s_mul_hi_u32 s25, s37, s13
	s_mul_i32 s13, s37, s13
	s_add_u32 s12, s12, s13
	s_mul_hi_u32 s24, s37, s6
	s_addc_u32 s7, s7, s25
	s_addc_u32 s12, s24, 0
	s_mul_i32 s6, s37, s6
	s_add_u32 s6, s7, s6
	s_addc_u32 s7, 0, s12
	s_mul_hi_u32 s12, s33, s6
	s_mul_i32 s6, s33, s6
	s_mul_i32 s7, s33, s7
	v_mov_b32_e32 v3, s6
	s_add_i32 s12, s12, s7
	v_sub_co_u32_e32 v3, vcc, s34, v3
	s_cmp_lg_u64 vcc, 0
	s_subb_u32 s6, s37, s12
	v_subrev_co_u32_e32 v4, vcc, s33, v3
	s_cmp_lg_u64 vcc, 0
	s_subb_u32 s7, s6, 0
	v_subrev_co_u32_e32 v5, vcc, s33, v4
	s_cmp_lg_u64 vcc, 0
	s_subb_u32 s12, s7, 0
	v_cmp_le_u32_e32 vcc, s33, v4
	s_cmp_eq_u32 s7, 0
	v_cndmask_b32_e64 v8, 0, -1, vcc
	s_cselect_b64 vcc, -1, 0
	v_cndmask_b32_e32 v8, -1, v8, vcc
	v_mov_b32_e32 v9, s7
	v_mov_b32_e32 v10, s12
	v_cmp_ne_u32_e32 vcc, 0, v8
	v_cndmask_b32_e32 v8, v9, v10, vcc
	v_cndmask_b32_e32 v4, v4, v5, vcc
	v_cmp_le_u32_e32 vcc, s33, v3
	s_cmp_eq_u32 s6, 0
	v_cndmask_b32_e64 v5, 0, -1, vcc
	s_cselect_b64 vcc, -1, 0
	v_cndmask_b32_e32 v5, -1, v5, vcc
	v_mov_b32_e32 v9, s6
	v_cmp_ne_u32_e32 vcc, 0, v5
	v_cndmask_b32_e32 v5, v9, v8, vcc
	v_cndmask_b32_e32 v4, v3, v4, vcc
	s_cbranch_execnz .LBB156_104
.LBB156_103:                            ;   in Loop: Header=BB156_6 Depth=1
	v_cvt_f32_u32_e32 v3, s33
	s_sub_i32 s6, 0, s33
	v_rcp_iflag_f32_e32 v3, v3
	v_mul_f32_e32 v3, 0x4f7ffffe, v3
	v_cvt_u32_f32_e32 v3, v3
	v_mul_lo_u32 v4, s6, v3
	v_mul_hi_u32 v4, v3, v4
	v_add_u32_e32 v3, v3, v4
	v_readlane_b32 s6, v62, 31
	v_mul_hi_u32 v3, s6, v3
	v_mul_lo_u32 v3, v3, s33
	v_sub_u32_e32 v3, s6, v3
	v_subrev_u32_e32 v4, s33, v3
	v_cmp_le_u32_e32 vcc, s33, v3
	v_cndmask_b32_e32 v3, v3, v4, vcc
	v_subrev_u32_e32 v4, s33, v3
	v_cmp_le_u32_e32 vcc, s33, v3
	v_cndmask_b32_e32 v20, v3, v4, vcc
	v_pk_mov_b32 v[4:5], v[20:21], v[20:21] op_sel:[0,1]
.LBB156_104:                            ;   in Loop: Header=BB156_6 Depth=1
	v_readlane_b32 s6, v62, 33
	v_readlane_b32 s7, v62, 34
	;; [unrolled: 1-line block ×3, first 2 shown]
	v_mov_b32_e32 v3, s7
	v_sub_co_u32_e32 v38, vcc, s6, v4
	v_subb_co_u32_e32 v39, vcc, v3, v5, vcc
	v_cmp_gt_u64_e32 vcc, v[38:39], v[0:1]
	s_mov_b64 s[34:35], 0
                                        ; implicit-def: $vgpr10_vgpr11
	s_and_saveexec_b64 s[6:7], vcc
	s_cbranch_execz .LBB156_113
; %bb.105:                              ;   in Loop: Header=BB156_6 Depth=1
	s_mov_b64 s[24:25], 0
	v_pk_mov_b32 v[40:41], v[18:19], v[18:19] op_sel:[0,1]
	v_pk_mov_b32 v[42:43], v[0:1], v[0:1] op_sel:[0,1]
                                        ; implicit-def: $sgpr12_sgpr13
	s_branch .LBB156_107
.LBB156_106:                            ;   in Loop: Header=BB156_107 Depth=2
	s_or_b64 exec, exec, s[34:35]
	s_waitcnt lgkmcnt(0)
	s_barrier
	ds_read_b128 v[8:11], v21 offset:3072
	v_mov_b32_e32 v3, s0
	v_add_co_u32_e32 v42, vcc, s33, v42
	v_addc_co_u32_e32 v43, vcc, v43, v3, vcc
	s_waitcnt lgkmcnt(0)
	v_readfirstlane_b32 s35, v9
	v_readfirstlane_b32 s34, v8
	s_cmp_lg_u64 s[34:35], 0
	s_cselect_b64 s[34:35], -1, 0
	v_cmp_ge_u64_e32 vcc, v[42:43], v[38:39]
	s_or_b64 s[36:37], vcc, s[34:35]
	s_and_b64 s[36:37], exec, s[36:37]
	s_or_b64 s[24:25], s[36:37], s[24:25]
	v_mov_b32_e32 v3, s61
	v_add_co_u32_e32 v40, vcc, s60, v40
	s_andn2_b64 s[12:13], s[12:13], exec
	s_and_b64 s[34:35], s[34:35], exec
	v_addc_co_u32_e32 v41, vcc, v41, v3, vcc
	s_or_b64 s[12:13], s[12:13], s[34:35]
	s_barrier
	s_andn2_b64 exec, exec, s[24:25]
	s_cbranch_execz .LBB156_112
.LBB156_107:                            ;   Parent Loop BB156_6 Depth=1
                                        ; =>  This Inner Loop Header: Depth=2
	v_cmp_gt_u64_e32 vcc, s[56:57], v[42:43]
	s_waitcnt vmcnt(0)
	v_pk_mov_b32 v[4:5], 0, 0
	s_and_saveexec_b64 s[34:35], vcc
	s_cbranch_execz .LBB156_109
; %bb.108:                              ;   in Loop: Header=BB156_107 Depth=2
	global_load_dwordx2 v[4:5], v[40:41], off
.LBB156_109:                            ;   in Loop: Header=BB156_107 Depth=2
	s_or_b64 exec, exec, s[34:35]
	s_and_saveexec_b64 s[34:35], vcc
	s_cbranch_execz .LBB156_106
; %bb.110:                              ;   in Loop: Header=BB156_107 Depth=2
	s_waitcnt vmcnt(0)
	v_xor_b32_e32 v3, 0x80000000, v5
	v_and_b32_e32 v9, v3, v15
	v_and_b32_e32 v8, v4, v14
	v_cmp_eq_u64_e32 vcc, v[8:9], v[12:13]
	s_and_b64 exec, exec, vcc
	s_cbranch_execz .LBB156_106
; %bb.111:                              ;   in Loop: Header=BB156_107 Depth=2
	v_mov_b32_e32 v3, v21
	ds_write_b128 v21, v[2:5] offset:3072
	s_branch .LBB156_106
.LBB156_112:                            ;   in Loop: Header=BB156_6 Depth=1
	s_or_b64 exec, exec, s[24:25]
	s_and_b64 s[34:35], s[12:13], exec
.LBB156_113:                            ;   in Loop: Header=BB156_6 Depth=1
	s_or_b64 exec, exec, s[6:7]
	s_mov_b64 s[40:41], -1
	s_mov_b64 s[24:25], 0
	s_mov_b64 s[38:39], 0
.LBB156_114:                            ;   in Loop: Header=BB156_6 Depth=1
	s_orn2_b64 s[6:7], s[34:35], exec
.LBB156_115:                            ;   in Loop: Header=BB156_6 Depth=1
	s_or_b64 exec, exec, s[4:5]
	s_mov_b64 s[42:43], 0
	s_mov_b64 s[36:37], 0
	;; [unrolled: 1-line block ×3, first 2 shown]
                                        ; implicit-def: $vgpr3
                                        ; implicit-def: $vgpr38_vgpr39
	s_and_saveexec_b64 s[44:45], s[6:7]
	s_cbranch_execz .LBB156_278
; %bb.116:                              ;   in Loop: Header=BB156_6 Depth=1
	s_waitcnt vmcnt(0)
	v_mov_b32_e32 v38, 1
	s_xor_b64 s[4:5], s[2:3], -1
	s_mov_b64 s[6:7], 0
	v_mov_b32_e32 v39, 0
	v_mov_b32_e32 v3, 1
	s_and_saveexec_b64 s[2:3], s[4:5]
	s_cbranch_execz .LBB156_126
; %bb.117:                              ;   in Loop: Header=BB156_6 Depth=1
	v_cmp_ge_u64_e32 vcc, s[16:17], v[36:37]
                                        ; implicit-def: $sgpr12
                                        ; implicit-def: $sgpr4_sgpr5
	s_and_saveexec_b64 s[6:7], vcc
	s_xor_b64 s[6:7], exec, s[6:7]
	s_cbranch_execz .LBB156_123
; %bb.118:                              ;   in Loop: Header=BB156_6 Depth=1
	ds_read_b64 v[4:5], v21 offset:5120
	s_waitcnt lgkmcnt(0)
	v_cmp_ne_u64_e32 vcc, 0, v[4:5]
	s_cbranch_vccnz .LBB156_122
; %bb.119:                              ;   in Loop: Header=BB156_6 Depth=1
	s_mov_b64 s[4:5], exec
	v_readlane_b32 s12, v62, 8
	v_readlane_b32 s13, v62, 9
	s_and_b64 s[12:13], s[4:5], s[12:13]
	s_mov_b64 exec, s[12:13]
	s_cbranch_execz .LBB156_121
; %bb.120:                              ;   in Loop: Header=BB156_6 Depth=1
	v_pk_mov_b32 v[4:5], s[16:17], s[16:17] op_sel:[0,1]
	ds_write_b64 v21, v[4:5] offset:5128
.LBB156_121:                            ;   in Loop: Header=BB156_6 Depth=1
	s_or_b64 exec, exec, s[4:5]
	s_waitcnt lgkmcnt(0)
	s_barrier
.LBB156_122:                            ;   in Loop: Header=BB156_6 Depth=1
	v_and_b32_e32 v13, s21, v13
	v_and_b32_e32 v12, s20, v12
	v_or_b32_e32 v15, s19, v15
	v_or_b32_e32 v14, s18, v14
	s_mov_b64 s[4:5], 0
	s_mov_b32 s12, 8
.LBB156_123:                            ;   in Loop: Header=BB156_6 Depth=1
	s_or_saveexec_b64 s[6:7], s[6:7]
	v_mov_b32_e32 v3, s12
	v_pk_mov_b32 v[38:39], v[36:37], v[36:37] op_sel:[0,1]
	s_xor_b64 exec, exec, s[6:7]
; %bb.124:                              ;   in Loop: Header=BB156_6 Depth=1
	v_mov_b32_e32 v3, s17
	v_subrev_co_u32_e32 v38, vcc, s16, v36
	v_subb_co_u32_e32 v39, vcc, v37, v3, vcc
	v_mov_b32_e32 v3, 0
	s_or_b64 s[4:5], s[4:5], exec
; %bb.125:                              ;   in Loop: Header=BB156_6 Depth=1
	s_or_b64 exec, exec, s[6:7]
	s_and_b64 s[6:7], s[4:5], exec
.LBB156_126:                            ;   in Loop: Header=BB156_6 Depth=1
	s_or_b64 exec, exec, s[2:3]
	s_mov_b64 s[36:37], -1
                                        ; implicit-def: $sgpr2_sgpr3
                                        ; implicit-def: $sgpr4_sgpr5
                                        ; implicit-def: $sgpr12_sgpr13
	s_and_saveexec_b64 s[34:35], s[6:7]
	s_xor_b64 s[6:7], exec, s[34:35]
	s_cbranch_execz .LBB156_275
; %bb.127:                              ;   in Loop: Header=BB156_6 Depth=1
	s_cmp_eq_u64 s[22:23], 1
	s_cselect_b64 s[2:3], -1, 0
	v_cmp_eq_u64_e32 vcc, 1, v[38:39]
	s_and_b64 s[2:3], s[2:3], vcc
	s_mov_b64 s[12:13], -1
                                        ; implicit-def: $sgpr34_sgpr35
                                        ; implicit-def: $sgpr46_sgpr47
                                        ; implicit-def: $sgpr36_sgpr37
	s_and_saveexec_b64 s[4:5], s[2:3]
	s_cbranch_execz .LBB156_161
; %bb.128:                              ;   in Loop: Header=BB156_6 Depth=1
	ds_read_b64 v[4:5], v21 offset:5120
	s_waitcnt lgkmcnt(0)
	s_barrier
	v_readfirstlane_b32 s12, v4
	v_readfirstlane_b32 s13, v5
	s_mov_b64 s[34:35], exec
	v_readlane_b32 s36, v62, 26
	v_readlane_b32 s37, v62, 27
	s_and_b64 s[36:37], s[34:35], s[36:37]
	s_mov_b64 exec, s[36:37]
	s_cbranch_execz .LBB156_130
; %bb.129:                              ;   in Loop: Header=BB156_6 Depth=1
	v_mov_b32_e32 v20, v21
	ds_write_b64 v50, v[20:21]
.LBB156_130:                            ;   in Loop: Header=BB156_6 Depth=1
	s_or_b64 exec, exec, s[34:35]
	s_lshl_b64 s[34:35], 1, s82
	v_and_b32_e32 v3, s21, v13
	v_and_b32_e32 v4, s20, v12
	v_or_b32_e32 v13, s35, v3
	v_or_b32_e32 v12, s34, v4
	;; [unrolled: 1-line block ×4, first 2 shown]
	s_cmp_eq_u64 s[12:13], 0
	s_waitcnt lgkmcnt(0)
	s_barrier
	s_cbranch_scc1 .LBB156_144
; %bb.131:                              ;   in Loop: Header=BB156_6 Depth=1
	v_readlane_b32 s34, v62, 30
	s_add_u32 s46, s34, s12
	v_readlane_b32 s34, v62, 32
	s_addc_u32 s35, s34, s13
	s_mov_b32 s34, s83
	s_cmp_lg_u64 s[34:35], 0
	s_cbranch_scc0 .LBB156_188
; %bb.132:                              ;   in Loop: Header=BB156_6 Depth=1
	v_cvt_f32_u32_e32 v3, s33
	s_sub_u32 s34, 0, s33
	s_subb_u32 s36, 0, 0
	v_mac_f32_e32 v3, 0, v53
	v_rcp_f32_e32 v3, v3
	v_mul_f32_e32 v3, 0x5f7ffffc, v3
	v_mul_f32_e32 v4, 0x2f800000, v3
	v_trunc_f32_e32 v4, v4
	v_mac_f32_e32 v3, 0xcf800000, v4
	v_cvt_u32_f32_e32 v4, v4
	v_cvt_u32_f32_e32 v3, v3
	v_readfirstlane_b32 s37, v4
	v_readfirstlane_b32 s47, v3
	s_mul_i32 s48, s34, s37
	s_mul_hi_u32 s50, s34, s47
	s_mul_i32 s49, s36, s47
	s_add_i32 s48, s50, s48
	s_mul_i32 s51, s34, s47
	s_add_i32 s48, s48, s49
	s_mul_hi_u32 s50, s47, s51
	s_mul_hi_u32 s49, s47, s48
	s_mul_i32 s47, s47, s48
	s_add_u32 s47, s50, s47
	s_addc_u32 s49, 0, s49
	s_mul_hi_u32 s52, s37, s51
	s_mul_i32 s51, s37, s51
	s_add_u32 s47, s47, s51
	s_mul_hi_u32 s50, s37, s48
	s_addc_u32 s47, s49, s52
	s_addc_u32 s49, s50, 0
	s_mul_i32 s48, s37, s48
	s_add_u32 s47, s47, s48
	s_addc_u32 s48, 0, s49
	v_add_co_u32_e32 v3, vcc, s47, v3
	s_cmp_lg_u64 vcc, 0
	s_addc_u32 s37, s37, s48
	v_readfirstlane_b32 s48, v3
	s_mul_i32 s47, s34, s37
	s_mul_hi_u32 s49, s34, s48
	s_add_i32 s47, s49, s47
	s_mul_i32 s36, s36, s48
	s_add_i32 s47, s47, s36
	s_mul_i32 s34, s34, s48
	s_mul_hi_u32 s49, s37, s34
	s_mul_i32 s50, s37, s34
	s_mul_i32 s52, s48, s47
	s_mul_hi_u32 s34, s48, s34
	s_mul_hi_u32 s51, s48, s47
	s_add_u32 s34, s34, s52
	s_addc_u32 s48, 0, s51
	s_add_u32 s34, s34, s50
	s_mul_hi_u32 s36, s37, s47
	s_addc_u32 s34, s48, s49
	s_addc_u32 s36, s36, 0
	s_mul_i32 s47, s37, s47
	s_add_u32 s34, s34, s47
	s_addc_u32 s36, 0, s36
	v_add_co_u32_e32 v3, vcc, s34, v3
	s_cmp_lg_u64 vcc, 0
	s_addc_u32 s34, s37, s36
	v_readfirstlane_b32 s47, v3
	s_mul_i32 s37, s46, s34
	s_mul_hi_u32 s48, s46, s47
	s_mul_hi_u32 s36, s46, s34
	s_add_u32 s37, s48, s37
	s_addc_u32 s36, 0, s36
	s_mul_hi_u32 s49, s35, s47
	s_mul_i32 s47, s35, s47
	s_add_u32 s37, s37, s47
	s_mul_hi_u32 s48, s35, s34
	s_addc_u32 s36, s36, s49
	s_addc_u32 s37, s48, 0
	s_mul_i32 s34, s35, s34
	s_add_u32 s34, s36, s34
	s_addc_u32 s36, 0, s37
	s_mul_hi_u32 s37, s33, s34
	s_mul_i32 s34, s33, s34
	s_mul_i32 s36, s33, s36
	v_mov_b32_e32 v3, s34
	s_add_i32 s37, s37, s36
	v_sub_co_u32_e32 v3, vcc, s46, v3
	s_cmp_lg_u64 vcc, 0
	s_subb_u32 s34, s35, s37
	v_subrev_co_u32_e32 v4, vcc, s33, v3
	s_cmp_lg_u64 vcc, 0
	s_subb_u32 s36, s34, 0
	v_subrev_co_u32_e32 v5, vcc, s33, v4
	s_cmp_lg_u64 vcc, 0
	s_subb_u32 s37, s36, 0
	v_cmp_le_u32_e32 vcc, s33, v4
	s_cmp_eq_u32 s36, 0
	v_cndmask_b32_e64 v8, 0, -1, vcc
	s_cselect_b64 vcc, -1, 0
	v_cndmask_b32_e32 v8, -1, v8, vcc
	v_mov_b32_e32 v9, s36
	v_mov_b32_e32 v10, s37
	v_cmp_ne_u32_e32 vcc, 0, v8
	v_cndmask_b32_e32 v8, v9, v10, vcc
	v_cndmask_b32_e32 v4, v4, v5, vcc
	v_cmp_le_u32_e32 vcc, s33, v3
	s_cmp_eq_u32 s34, 0
	v_cndmask_b32_e64 v5, 0, -1, vcc
	s_cselect_b64 vcc, -1, 0
	v_cndmask_b32_e32 v5, -1, v5, vcc
	v_mov_b32_e32 v9, s34
	v_cmp_ne_u32_e32 vcc, 0, v5
	v_cndmask_b32_e32 v5, v9, v8, vcc
	v_cndmask_b32_e32 v4, v3, v4, vcc
	s_cbranch_execnz .LBB156_134
.LBB156_133:                            ;   in Loop: Header=BB156_6 Depth=1
	v_cvt_f32_u32_e32 v3, s33
	s_sub_i32 s34, 0, s33
	v_rcp_iflag_f32_e32 v3, v3
	v_mul_f32_e32 v3, 0x4f7ffffe, v3
	v_cvt_u32_f32_e32 v3, v3
	v_mul_lo_u32 v4, s34, v3
	v_mul_hi_u32 v4, v3, v4
	v_add_u32_e32 v3, v3, v4
	v_mul_hi_u32 v3, s46, v3
	v_mul_lo_u32 v3, v3, s33
	v_sub_u32_e32 v3, s46, v3
	v_subrev_u32_e32 v4, s33, v3
	v_cmp_le_u32_e32 vcc, s33, v3
	v_cndmask_b32_e32 v3, v3, v4, vcc
	v_subrev_u32_e32 v4, s33, v3
	v_cmp_le_u32_e32 vcc, s33, v3
	v_cndmask_b32_e32 v20, v3, v4, vcc
	v_pk_mov_b32 v[4:5], v[20:21], v[20:21] op_sel:[0,1]
.LBB156_134:                            ;   in Loop: Header=BB156_6 Depth=1
	v_mov_b32_e32 v3, s35
	v_sub_co_u32_e32 v40, vcc, s46, v4
	v_subb_co_u32_e32 v41, vcc, v3, v5, vcc
	v_cmp_gt_u64_e32 vcc, v[40:41], v[0:1]
	s_mov_b64 s[48:49], 0
                                        ; implicit-def: $vgpr10_vgpr11
	s_and_saveexec_b64 s[34:35], vcc
	s_cbranch_execz .LBB156_146
; %bb.135:                              ;   in Loop: Header=BB156_6 Depth=1
	s_mov_b64 s[46:47], 0
	v_mov_b32_e32 v20, v49
	v_pk_mov_b32 v[42:43], v[0:1], v[0:1] op_sel:[0,1]
                                        ; implicit-def: $sgpr36_sgpr37
	s_branch .LBB156_137
.LBB156_136:                            ;   in Loop: Header=BB156_137 Depth=2
	s_or_b64 exec, exec, s[48:49]
	s_waitcnt lgkmcnt(0)
	s_barrier
	ds_read_b128 v[8:11], v21 offset:3072
	v_mov_b32_e32 v3, s0
	v_add_co_u32_e32 v42, vcc, s33, v42
	v_addc_co_u32_e32 v43, vcc, v43, v3, vcc
	s_waitcnt lgkmcnt(0)
	v_readfirstlane_b32 s49, v9
	v_readfirstlane_b32 s48, v8
	s_cmp_lg_u64 s[48:49], 0
	s_cselect_b64 s[48:49], -1, 0
	v_cmp_ge_u64_e32 vcc, v[42:43], v[40:41]
	s_or_b64 s[50:51], vcc, s[48:49]
	s_and_b64 s[50:51], exec, s[50:51]
	s_or_b64 s[46:47], s[50:51], s[46:47]
	s_andn2_b64 s[36:37], s[36:37], exec
	s_and_b64 s[48:49], s[48:49], exec
	v_add_u32_e32 v20, s88, v20
	s_or_b64 s[36:37], s[36:37], s[48:49]
	s_barrier
	s_andn2_b64 exec, exec, s[46:47]
	s_cbranch_execz .LBB156_145
.LBB156_137:                            ;   Parent Loop BB156_6 Depth=1
                                        ; =>  This Inner Loop Header: Depth=2
	v_cmp_gt_u64_e32 vcc, s[12:13], v[42:43]
	v_pk_mov_b32 v[4:5], 0, 0
	s_and_saveexec_b64 s[48:49], vcc
	s_cbranch_execz .LBB156_139
; %bb.138:                              ;   in Loop: Header=BB156_137 Depth=2
	ds_read_b64 v[4:5], v20
.LBB156_139:                            ;   in Loop: Header=BB156_137 Depth=2
	s_or_b64 exec, exec, s[48:49]
	s_and_saveexec_b64 s[48:49], vcc
	s_cbranch_execz .LBB156_136
; %bb.140:                              ;   in Loop: Header=BB156_137 Depth=2
	s_waitcnt lgkmcnt(0)
	v_xor_b32_e32 v3, 0x80000000, v5
	v_and_b32_e32 v9, v3, v15
	v_and_b32_e32 v8, v4, v14
	v_cmp_eq_u64_e32 vcc, v[8:9], v[12:13]
	s_and_b64 exec, exec, vcc
	s_cbranch_execz .LBB156_136
; %bb.141:                              ;   in Loop: Header=BB156_137 Depth=2
	v_mov_b32_e32 v3, v21
	ds_write_b128 v21, v[2:5] offset:3072
	s_branch .LBB156_136
.LBB156_142:                            ;   in Loop: Header=BB156_6 Depth=1
                                        ; implicit-def: $vgpr4_vgpr5
	s_branch .LBB156_84
.LBB156_143:                            ;   in Loop: Header=BB156_6 Depth=1
                                        ; implicit-def: $vgpr4_vgpr5
	s_branch .LBB156_103
.LBB156_144:                            ;   in Loop: Header=BB156_6 Depth=1
	s_mov_b64 s[34:35], -1
	s_mov_b64 s[48:49], 0
                                        ; implicit-def: $sgpr36_sgpr37
                                        ; implicit-def: $vgpr10_vgpr11
	s_mov_b64 s[46:47], s[34:35]
	s_cbranch_execnz .LBB156_147
	s_branch .LBB156_160
.LBB156_145:                            ;   in Loop: Header=BB156_6 Depth=1
	s_or_b64 exec, exec, s[46:47]
	s_and_b64 s[48:49], s[36:37], exec
.LBB156_146:                            ;   in Loop: Header=BB156_6 Depth=1
	s_or_b64 exec, exec, s[34:35]
	s_mov_b64 s[36:37], -1
	s_mov_b64 s[34:35], 0
	s_mov_b64 s[46:47], s[34:35]
	s_branch .LBB156_160
.LBB156_147:                            ;   in Loop: Header=BB156_6 Depth=1
	v_readlane_b32 s48, v62, 33
	v_readlane_b32 s49, v62, 34
	s_mov_b32 s48, s83
	s_cmp_lg_u64 s[48:49], 0
	v_writelane_b32 v62, s48, 33
	v_writelane_b32 v62, s49, 34
	s_cbranch_scc0 .LBB156_189
; %bb.148:                              ;   in Loop: Header=BB156_6 Depth=1
	v_cvt_f32_u32_e32 v3, s33
	s_sub_u32 s12, 0, s33
	s_subb_u32 s13, 0, 0
	v_mac_f32_e32 v3, 0, v53
	v_rcp_f32_e32 v3, v3
	v_mul_f32_e32 v3, 0x5f7ffffc, v3
	v_mul_f32_e32 v4, 0x2f800000, v3
	v_trunc_f32_e32 v4, v4
	v_mac_f32_e32 v3, 0xcf800000, v4
	v_cvt_u32_f32_e32 v4, v4
	v_cvt_u32_f32_e32 v3, v3
	v_readfirstlane_b32 s34, v4
	v_readfirstlane_b32 s35, v3
	s_mul_i32 s36, s12, s34
	s_mul_hi_u32 s46, s12, s35
	s_mul_i32 s37, s13, s35
	s_add_i32 s36, s46, s36
	s_mul_i32 s47, s12, s35
	s_add_i32 s36, s36, s37
	s_mul_hi_u32 s46, s35, s47
	s_mul_hi_u32 s37, s35, s36
	s_mul_i32 s35, s35, s36
	s_add_u32 s35, s46, s35
	s_addc_u32 s37, 0, s37
	s_mul_hi_u32 s48, s34, s47
	s_mul_i32 s47, s34, s47
	s_add_u32 s35, s35, s47
	s_mul_hi_u32 s46, s34, s36
	s_addc_u32 s35, s37, s48
	s_addc_u32 s37, s46, 0
	s_mul_i32 s36, s34, s36
	s_add_u32 s35, s35, s36
	s_addc_u32 s36, 0, s37
	v_add_co_u32_e32 v3, vcc, s35, v3
	s_cmp_lg_u64 vcc, 0
	s_addc_u32 s34, s34, s36
	v_readfirstlane_b32 s36, v3
	s_mul_i32 s35, s12, s34
	s_mul_hi_u32 s37, s12, s36
	s_add_i32 s35, s37, s35
	s_mul_i32 s13, s13, s36
	s_add_i32 s35, s35, s13
	s_mul_i32 s12, s12, s36
	s_mul_hi_u32 s37, s34, s12
	s_mul_i32 s46, s34, s12
	s_mul_i32 s48, s36, s35
	s_mul_hi_u32 s12, s36, s12
	s_mul_hi_u32 s47, s36, s35
	s_add_u32 s12, s12, s48
	s_addc_u32 s36, 0, s47
	s_add_u32 s12, s12, s46
	s_mul_hi_u32 s13, s34, s35
	s_addc_u32 s12, s36, s37
	s_addc_u32 s13, s13, 0
	s_mul_i32 s35, s34, s35
	s_add_u32 s12, s12, s35
	s_addc_u32 s13, 0, s13
	v_add_co_u32_e32 v3, vcc, s12, v3
	s_cmp_lg_u64 vcc, 0
	s_addc_u32 s12, s34, s13
	v_readlane_b32 s46, v62, 31
	v_readfirstlane_b32 s35, v3
	s_mul_i32 s34, s46, s12
	s_mul_hi_u32 s36, s46, s35
	s_mul_hi_u32 s13, s46, s12
	s_add_u32 s34, s36, s34
	s_addc_u32 s13, 0, s13
	s_mul_hi_u32 s37, s49, s35
	s_mul_i32 s35, s49, s35
	s_add_u32 s34, s34, s35
	s_mul_hi_u32 s36, s49, s12
	s_addc_u32 s13, s13, s37
	s_addc_u32 s34, s36, 0
	s_mul_i32 s12, s49, s12
	s_add_u32 s12, s13, s12
	s_addc_u32 s13, 0, s34
	s_mul_hi_u32 s34, s33, s12
	s_mul_i32 s12, s33, s12
	s_mul_i32 s13, s33, s13
	v_mov_b32_e32 v3, s12
	s_add_i32 s34, s34, s13
	v_sub_co_u32_e32 v3, vcc, s46, v3
	s_cmp_lg_u64 vcc, 0
	s_subb_u32 s12, s49, s34
	v_subrev_co_u32_e32 v4, vcc, s33, v3
	s_cmp_lg_u64 vcc, 0
	s_subb_u32 s13, s12, 0
	v_subrev_co_u32_e32 v5, vcc, s33, v4
	s_cmp_lg_u64 vcc, 0
	s_subb_u32 s34, s13, 0
	v_cmp_le_u32_e32 vcc, s33, v4
	s_cmp_eq_u32 s13, 0
	v_cndmask_b32_e64 v8, 0, -1, vcc
	s_cselect_b64 vcc, -1, 0
	v_cndmask_b32_e32 v8, -1, v8, vcc
	v_mov_b32_e32 v9, s13
	v_mov_b32_e32 v10, s34
	v_cmp_ne_u32_e32 vcc, 0, v8
	v_cndmask_b32_e32 v8, v9, v10, vcc
	v_cndmask_b32_e32 v4, v4, v5, vcc
	v_cmp_le_u32_e32 vcc, s33, v3
	s_cmp_eq_u32 s12, 0
	v_cndmask_b32_e64 v5, 0, -1, vcc
	s_cselect_b64 vcc, -1, 0
	v_cndmask_b32_e32 v5, -1, v5, vcc
	v_mov_b32_e32 v9, s12
	v_cmp_ne_u32_e32 vcc, 0, v5
	v_cndmask_b32_e32 v5, v9, v8, vcc
	v_cndmask_b32_e32 v4, v3, v4, vcc
	s_cbranch_execnz .LBB156_150
.LBB156_149:                            ;   in Loop: Header=BB156_6 Depth=1
	v_cvt_f32_u32_e32 v3, s33
	s_sub_i32 s12, 0, s33
	v_rcp_iflag_f32_e32 v3, v3
	v_mul_f32_e32 v3, 0x4f7ffffe, v3
	v_cvt_u32_f32_e32 v3, v3
	v_mul_lo_u32 v4, s12, v3
	v_mul_hi_u32 v4, v3, v4
	v_add_u32_e32 v3, v3, v4
	v_readlane_b32 s12, v62, 31
	v_mul_hi_u32 v3, s12, v3
	v_mul_lo_u32 v3, v3, s33
	v_sub_u32_e32 v3, s12, v3
	v_subrev_u32_e32 v4, s33, v3
	v_cmp_le_u32_e32 vcc, s33, v3
	v_cndmask_b32_e32 v3, v3, v4, vcc
	v_subrev_u32_e32 v4, s33, v3
	v_cmp_le_u32_e32 vcc, s33, v3
	v_cndmask_b32_e32 v20, v3, v4, vcc
	v_pk_mov_b32 v[4:5], v[20:21], v[20:21] op_sel:[0,1]
.LBB156_150:                            ;   in Loop: Header=BB156_6 Depth=1
	v_readlane_b32 s12, v62, 33
	v_readlane_b32 s13, v62, 34
	;; [unrolled: 1-line block ×3, first 2 shown]
	v_mov_b32_e32 v3, s13
	v_sub_co_u32_e32 v40, vcc, s12, v4
	v_subb_co_u32_e32 v41, vcc, v3, v5, vcc
	v_cmp_gt_u64_e32 vcc, v[40:41], v[0:1]
	s_mov_b64 s[48:49], 0
                                        ; implicit-def: $vgpr10_vgpr11
	s_and_saveexec_b64 s[12:13], vcc
	s_cbranch_execz .LBB156_159
; %bb.151:                              ;   in Loop: Header=BB156_6 Depth=1
	s_mov_b64 s[36:37], 0
	v_pk_mov_b32 v[42:43], v[18:19], v[18:19] op_sel:[0,1]
	v_pk_mov_b32 v[44:45], v[0:1], v[0:1] op_sel:[0,1]
                                        ; implicit-def: $sgpr34_sgpr35
	s_branch .LBB156_153
.LBB156_152:                            ;   in Loop: Header=BB156_153 Depth=2
	s_or_b64 exec, exec, s[46:47]
	s_waitcnt lgkmcnt(0)
	s_barrier
	ds_read_b128 v[8:11], v21 offset:3072
	v_mov_b32_e32 v3, s0
	v_add_co_u32_e32 v44, vcc, s33, v44
	v_addc_co_u32_e32 v45, vcc, v45, v3, vcc
	s_waitcnt lgkmcnt(0)
	v_readfirstlane_b32 s47, v9
	v_readfirstlane_b32 s46, v8
	s_cmp_lg_u64 s[46:47], 0
	s_cselect_b64 s[46:47], -1, 0
	v_cmp_ge_u64_e32 vcc, v[44:45], v[40:41]
	s_or_b64 s[48:49], vcc, s[46:47]
	s_and_b64 s[48:49], exec, s[48:49]
	s_or_b64 s[36:37], s[48:49], s[36:37]
	v_mov_b32_e32 v3, s61
	v_add_co_u32_e32 v42, vcc, s60, v42
	s_andn2_b64 s[34:35], s[34:35], exec
	s_and_b64 s[46:47], s[46:47], exec
	v_addc_co_u32_e32 v43, vcc, v43, v3, vcc
	s_or_b64 s[34:35], s[34:35], s[46:47]
	s_barrier
	s_andn2_b64 exec, exec, s[36:37]
	s_cbranch_execz .LBB156_158
.LBB156_153:                            ;   Parent Loop BB156_6 Depth=1
                                        ; =>  This Inner Loop Header: Depth=2
	v_cmp_gt_u64_e32 vcc, s[56:57], v[44:45]
	s_waitcnt vmcnt(0)
	v_pk_mov_b32 v[4:5], 0, 0
	s_and_saveexec_b64 s[46:47], vcc
	s_cbranch_execz .LBB156_155
; %bb.154:                              ;   in Loop: Header=BB156_153 Depth=2
	global_load_dwordx2 v[4:5], v[42:43], off
.LBB156_155:                            ;   in Loop: Header=BB156_153 Depth=2
	s_or_b64 exec, exec, s[46:47]
	s_and_saveexec_b64 s[46:47], vcc
	s_cbranch_execz .LBB156_152
; %bb.156:                              ;   in Loop: Header=BB156_153 Depth=2
	s_waitcnt vmcnt(0)
	v_xor_b32_e32 v3, 0x80000000, v5
	v_and_b32_e32 v9, v3, v15
	v_and_b32_e32 v8, v4, v14
	v_cmp_eq_u64_e32 vcc, v[8:9], v[12:13]
	s_and_b64 exec, exec, vcc
	s_cbranch_execz .LBB156_152
; %bb.157:                              ;   in Loop: Header=BB156_153 Depth=2
	v_mov_b32_e32 v3, v21
	ds_write_b128 v21, v[2:5] offset:3072
	s_branch .LBB156_152
.LBB156_158:                            ;   in Loop: Header=BB156_6 Depth=1
	s_or_b64 exec, exec, s[36:37]
	s_and_b64 s[48:49], s[34:35], exec
.LBB156_159:                            ;   in Loop: Header=BB156_6 Depth=1
	s_or_b64 exec, exec, s[12:13]
	s_mov_b64 s[46:47], -1
	s_mov_b64 s[34:35], 0
	s_mov_b64 s[36:37], 0
.LBB156_160:                            ;   in Loop: Header=BB156_6 Depth=1
	s_orn2_b64 s[12:13], s[48:49], exec
.LBB156_161:                            ;   in Loop: Header=BB156_6 Depth=1
	s_or_b64 exec, exec, s[4:5]
	s_mov_b64 s[50:51], 0
                                        ; implicit-def: $vgpr3
	s_and_saveexec_b64 s[48:49], s[12:13]
	s_cbranch_execz .LBB156_274
; %bb.162:                              ;   in Loop: Header=BB156_6 Depth=1
	v_mov_b32_e32 v40, 1
	s_xor_b64 s[4:5], s[2:3], -1
	s_mov_b64 s[12:13], 0
	v_mov_b32_e32 v41, 0
	v_mov_b32_e32 v3, 1
	s_and_saveexec_b64 s[2:3], s[4:5]
	s_cbranch_execz .LBB156_172
; %bb.163:                              ;   in Loop: Header=BB156_6 Depth=1
	v_cmp_ge_u64_e32 vcc, s[22:23], v[38:39]
                                        ; implicit-def: $sgpr50
                                        ; implicit-def: $sgpr4_sgpr5
	s_and_saveexec_b64 s[12:13], vcc
	s_xor_b64 s[12:13], exec, s[12:13]
	s_cbranch_execz .LBB156_169
; %bb.164:                              ;   in Loop: Header=BB156_6 Depth=1
	s_waitcnt vmcnt(0)
	ds_read_b64 v[4:5], v21 offset:5120
	s_waitcnt lgkmcnt(0)
	v_cmp_ne_u64_e32 vcc, 0, v[4:5]
	s_cbranch_vccnz .LBB156_168
; %bb.165:                              ;   in Loop: Header=BB156_6 Depth=1
	s_mov_b64 s[4:5], exec
	v_readlane_b32 s50, v62, 8
	v_readlane_b32 s51, v62, 9
	s_and_b64 s[50:51], s[4:5], s[50:51]
	s_mov_b64 exec, s[50:51]
	s_cbranch_execz .LBB156_167
; %bb.166:                              ;   in Loop: Header=BB156_6 Depth=1
	v_pk_mov_b32 v[4:5], s[22:23], s[22:23] op_sel:[0,1]
	ds_write_b64 v21, v[4:5] offset:5128
.LBB156_167:                            ;   in Loop: Header=BB156_6 Depth=1
	s_or_b64 exec, exec, s[4:5]
	s_waitcnt lgkmcnt(0)
	s_barrier
.LBB156_168:                            ;   in Loop: Header=BB156_6 Depth=1
	s_lshl_b64 s[4:5], 1, s82
	v_and_b32_e32 v3, s21, v13
	v_and_b32_e32 v4, s20, v12
	v_or_b32_e32 v13, s5, v3
	v_or_b32_e32 v12, s4, v4
	;; [unrolled: 1-line block ×4, first 2 shown]
	s_mov_b64 s[4:5], 0
	s_mov_b32 s50, 8
.LBB156_169:                            ;   in Loop: Header=BB156_6 Depth=1
	s_or_saveexec_b64 s[12:13], s[12:13]
	v_mov_b32_e32 v3, s50
	s_xor_b64 exec, exec, s[12:13]
; %bb.170:                              ;   in Loop: Header=BB156_6 Depth=1
	v_mov_b32_e32 v3, s23
	v_subrev_co_u32_e32 v38, vcc, s22, v38
	v_subb_co_u32_e32 v39, vcc, v39, v3, vcc
	v_mov_b32_e32 v3, 0
	s_or_b64 s[4:5], s[4:5], exec
; %bb.171:                              ;   in Loop: Header=BB156_6 Depth=1
	s_or_b64 exec, exec, s[12:13]
	s_and_b64 s[12:13], s[4:5], exec
	v_pk_mov_b32 v[40:41], v[38:39], v[38:39] op_sel:[0,1]
.LBB156_172:                            ;   in Loop: Header=BB156_6 Depth=1
	s_or_b64 exec, exec, s[2:3]
	s_mov_b64 s[2:3], -1
                                        ; implicit-def: $sgpr4_sgpr5
                                        ; implicit-def: $sgpr52_sgpr53
                                        ; implicit-def: $sgpr72_sgpr73
	s_and_saveexec_b64 s[50:51], s[12:13]
	s_cbranch_execz .LBB156_273
; %bb.173:                              ;   in Loop: Header=BB156_6 Depth=1
	s_cmp_eq_u64 s[26:27], 1
	s_cselect_b64 s[2:3], -1, 0
	v_cmp_eq_u64_e32 vcc, 1, v[40:41]
	s_and_b64 s[4:5], s[2:3], vcc
	s_mov_b64 s[72:73], -1
                                        ; implicit-def: $sgpr2_sgpr3
                                        ; implicit-def: $sgpr54_sgpr55
                                        ; implicit-def: $sgpr68_sgpr69
	s_and_saveexec_b64 s[52:53], s[4:5]
	s_cbranch_execz .LBB156_207
; %bb.174:                              ;   in Loop: Header=BB156_6 Depth=1
	s_waitcnt vmcnt(0)
	ds_read_b64 v[4:5], v21 offset:5120
	s_waitcnt lgkmcnt(0)
	s_barrier
	v_readfirstlane_b32 s2, v4
	v_readfirstlane_b32 s3, v5
	s_mov_b64 s[12:13], exec
	v_readlane_b32 s54, v62, 26
	v_readlane_b32 s55, v62, 27
	s_and_b64 s[54:55], s[12:13], s[54:55]
	s_mov_b64 exec, s[54:55]
	s_cbranch_execz .LBB156_176
; %bb.175:                              ;   in Loop: Header=BB156_6 Depth=1
	v_mov_b32_e32 v20, v21
	ds_write_b64 v50, v[20:21]
.LBB156_176:                            ;   in Loop: Header=BB156_6 Depth=1
	s_or_b64 exec, exec, s[12:13]
	s_lshl_b64 s[12:13], 2, s82
	v_and_b32_e32 v3, s21, v13
	v_and_b32_e32 v4, s20, v12
	v_or_b32_e32 v13, s13, v3
	v_or_b32_e32 v12, s12, v4
	;; [unrolled: 1-line block ×4, first 2 shown]
	s_cmp_eq_u64 s[2:3], 0
	s_waitcnt lgkmcnt(0)
	s_barrier
	s_cbranch_scc1 .LBB156_190
; %bb.177:                              ;   in Loop: Header=BB156_6 Depth=1
	v_readlane_b32 s12, v62, 30
	s_add_u32 s72, s12, s2
	v_readlane_b32 s12, v62, 32
	s_addc_u32 s13, s12, s3
	s_mov_b32 s12, s83
	s_cmp_lg_u64 s[12:13], 0
	s_cbranch_scc0 .LBB156_225
; %bb.178:                              ;   in Loop: Header=BB156_6 Depth=1
	v_cvt_f32_u32_e32 v3, s33
	s_sub_u32 s12, 0, s33
	s_subb_u32 s54, 0, 0
	v_mac_f32_e32 v3, 0, v53
	v_rcp_f32_e32 v3, v3
	v_mul_f32_e32 v3, 0x5f7ffffc, v3
	v_mul_f32_e32 v4, 0x2f800000, v3
	v_trunc_f32_e32 v4, v4
	v_mac_f32_e32 v3, 0xcf800000, v4
	v_cvt_u32_f32_e32 v4, v4
	v_cvt_u32_f32_e32 v3, v3
	v_readfirstlane_b32 s55, v4
	v_readfirstlane_b32 s73, v3
	s_mul_i32 s78, s12, s55
	s_mul_hi_u32 s80, s12, s73
	s_mul_i32 s79, s54, s73
	s_add_i32 s78, s80, s78
	s_mul_i32 s81, s12, s73
	s_add_i32 s78, s78, s79
	s_mul_hi_u32 s80, s73, s81
	s_mul_hi_u32 s79, s73, s78
	s_mul_i32 s73, s73, s78
	s_add_u32 s73, s80, s73
	s_addc_u32 s79, 0, s79
	s_mul_hi_u32 s84, s55, s81
	s_mul_i32 s81, s55, s81
	s_add_u32 s73, s73, s81
	s_mul_hi_u32 s80, s55, s78
	s_addc_u32 s73, s79, s84
	s_addc_u32 s79, s80, 0
	s_mul_i32 s78, s55, s78
	s_add_u32 s73, s73, s78
	s_addc_u32 s78, 0, s79
	v_add_co_u32_e32 v3, vcc, s73, v3
	s_cmp_lg_u64 vcc, 0
	s_addc_u32 s55, s55, s78
	v_readfirstlane_b32 s78, v3
	s_mul_i32 s73, s12, s55
	s_mul_hi_u32 s79, s12, s78
	s_add_i32 s73, s79, s73
	s_mul_i32 s54, s54, s78
	s_add_i32 s73, s73, s54
	s_mul_i32 s12, s12, s78
	s_mul_hi_u32 s79, s55, s12
	s_mul_i32 s80, s55, s12
	s_mul_i32 s84, s78, s73
	s_mul_hi_u32 s12, s78, s12
	s_mul_hi_u32 s81, s78, s73
	s_add_u32 s12, s12, s84
	s_addc_u32 s78, 0, s81
	s_add_u32 s12, s12, s80
	s_mul_hi_u32 s54, s55, s73
	s_addc_u32 s12, s78, s79
	s_addc_u32 s54, s54, 0
	s_mul_i32 s73, s55, s73
	s_add_u32 s12, s12, s73
	s_addc_u32 s54, 0, s54
	v_add_co_u32_e32 v3, vcc, s12, v3
	s_cmp_lg_u64 vcc, 0
	s_addc_u32 s12, s55, s54
	v_readfirstlane_b32 s73, v3
	s_mul_i32 s55, s72, s12
	s_mul_hi_u32 s78, s72, s73
	s_mul_hi_u32 s54, s72, s12
	s_add_u32 s55, s78, s55
	s_addc_u32 s54, 0, s54
	s_mul_hi_u32 s79, s13, s73
	s_mul_i32 s73, s13, s73
	s_add_u32 s55, s55, s73
	s_mul_hi_u32 s78, s13, s12
	s_addc_u32 s54, s54, s79
	s_addc_u32 s55, s78, 0
	s_mul_i32 s12, s13, s12
	s_add_u32 s12, s54, s12
	s_addc_u32 s54, 0, s55
	s_mul_hi_u32 s55, s33, s12
	s_mul_i32 s12, s33, s12
	s_mul_i32 s54, s33, s54
	v_mov_b32_e32 v3, s12
	s_add_i32 s55, s55, s54
	v_sub_co_u32_e32 v3, vcc, s72, v3
	s_cmp_lg_u64 vcc, 0
	s_subb_u32 s12, s13, s55
	v_subrev_co_u32_e32 v4, vcc, s33, v3
	s_cmp_lg_u64 vcc, 0
	s_subb_u32 s54, s12, 0
	v_subrev_co_u32_e32 v5, vcc, s33, v4
	s_cmp_lg_u64 vcc, 0
	s_subb_u32 s55, s54, 0
	v_cmp_le_u32_e32 vcc, s33, v4
	s_cmp_eq_u32 s54, 0
	v_cndmask_b32_e64 v8, 0, -1, vcc
	s_cselect_b64 vcc, -1, 0
	v_cndmask_b32_e32 v8, -1, v8, vcc
	v_mov_b32_e32 v9, s54
	v_mov_b32_e32 v10, s55
	v_cmp_ne_u32_e32 vcc, 0, v8
	v_cndmask_b32_e32 v8, v9, v10, vcc
	v_cndmask_b32_e32 v4, v4, v5, vcc
	v_cmp_le_u32_e32 vcc, s33, v3
	s_cmp_eq_u32 s12, 0
	v_cndmask_b32_e64 v5, 0, -1, vcc
	s_cselect_b64 vcc, -1, 0
	v_cndmask_b32_e32 v5, -1, v5, vcc
	v_mov_b32_e32 v9, s12
	v_cmp_ne_u32_e32 vcc, 0, v5
	v_cndmask_b32_e32 v5, v9, v8, vcc
	v_cndmask_b32_e32 v4, v3, v4, vcc
	s_cbranch_execnz .LBB156_180
.LBB156_179:                            ;   in Loop: Header=BB156_6 Depth=1
	v_cvt_f32_u32_e32 v3, s33
	s_sub_i32 s12, 0, s33
	v_rcp_iflag_f32_e32 v3, v3
	v_mul_f32_e32 v3, 0x4f7ffffe, v3
	v_cvt_u32_f32_e32 v3, v3
	v_mul_lo_u32 v4, s12, v3
	v_mul_hi_u32 v4, v3, v4
	v_add_u32_e32 v3, v3, v4
	v_mul_hi_u32 v3, s72, v3
	v_mul_lo_u32 v3, v3, s33
	v_sub_u32_e32 v3, s72, v3
	v_subrev_u32_e32 v4, s33, v3
	v_cmp_le_u32_e32 vcc, s33, v3
	v_cndmask_b32_e32 v3, v3, v4, vcc
	v_subrev_u32_e32 v4, s33, v3
	v_cmp_le_u32_e32 vcc, s33, v3
	v_cndmask_b32_e32 v20, v3, v4, vcc
	v_pk_mov_b32 v[4:5], v[20:21], v[20:21] op_sel:[0,1]
.LBB156_180:                            ;   in Loop: Header=BB156_6 Depth=1
	v_mov_b32_e32 v3, s13
	v_sub_co_u32_e32 v38, vcc, s72, v4
	v_subb_co_u32_e32 v39, vcc, v3, v5, vcc
	v_cmp_gt_u64_e32 vcc, v[38:39], v[0:1]
	s_mov_b64 s[72:73], 0
                                        ; implicit-def: $vgpr10_vgpr11
	s_and_saveexec_b64 s[12:13], vcc
	s_cbranch_execz .LBB156_192
; %bb.181:                              ;   in Loop: Header=BB156_6 Depth=1
	v_mov_b32_e32 v20, v49
	v_pk_mov_b32 v[42:43], v[0:1], v[0:1] op_sel:[0,1]
                                        ; implicit-def: $sgpr54_sgpr55
	s_branch .LBB156_183
.LBB156_182:                            ;   in Loop: Header=BB156_183 Depth=2
	s_or_b64 exec, exec, s[78:79]
	s_waitcnt lgkmcnt(0)
	s_barrier
	ds_read_b128 v[8:11], v21 offset:3072
	v_mov_b32_e32 v3, s0
	v_add_co_u32_e32 v42, vcc, s33, v42
	v_addc_co_u32_e32 v43, vcc, v43, v3, vcc
	s_waitcnt lgkmcnt(0)
	v_readfirstlane_b32 s79, v9
	v_readfirstlane_b32 s78, v8
	s_cmp_lg_u64 s[78:79], 0
	s_cselect_b64 s[78:79], -1, 0
	v_cmp_ge_u64_e32 vcc, v[42:43], v[38:39]
	s_or_b64 s[80:81], vcc, s[78:79]
	s_and_b64 s[80:81], exec, s[80:81]
	s_or_b64 s[72:73], s[80:81], s[72:73]
	s_andn2_b64 s[54:55], s[54:55], exec
	s_and_b64 s[78:79], s[78:79], exec
	v_add_u32_e32 v20, s88, v20
	s_or_b64 s[54:55], s[54:55], s[78:79]
	s_barrier
	s_andn2_b64 exec, exec, s[72:73]
	s_cbranch_execz .LBB156_191
.LBB156_183:                            ;   Parent Loop BB156_6 Depth=1
                                        ; =>  This Inner Loop Header: Depth=2
	v_cmp_gt_u64_e32 vcc, s[2:3], v[42:43]
	v_pk_mov_b32 v[4:5], 0, 0
	s_and_saveexec_b64 s[78:79], vcc
	s_cbranch_execz .LBB156_185
; %bb.184:                              ;   in Loop: Header=BB156_183 Depth=2
	ds_read_b64 v[4:5], v20
.LBB156_185:                            ;   in Loop: Header=BB156_183 Depth=2
	s_or_b64 exec, exec, s[78:79]
	s_and_saveexec_b64 s[78:79], vcc
	s_cbranch_execz .LBB156_182
; %bb.186:                              ;   in Loop: Header=BB156_183 Depth=2
	s_waitcnt lgkmcnt(0)
	v_xor_b32_e32 v3, 0x80000000, v5
	v_and_b32_e32 v9, v3, v15
	v_and_b32_e32 v8, v4, v14
	v_cmp_eq_u64_e32 vcc, v[8:9], v[12:13]
	s_and_b64 exec, exec, vcc
	s_cbranch_execz .LBB156_182
; %bb.187:                              ;   in Loop: Header=BB156_183 Depth=2
	v_mov_b32_e32 v3, v21
	ds_write_b128 v21, v[2:5] offset:3072
	s_branch .LBB156_182
.LBB156_188:                            ;   in Loop: Header=BB156_6 Depth=1
                                        ; implicit-def: $vgpr4_vgpr5
	s_branch .LBB156_133
.LBB156_189:                            ;   in Loop: Header=BB156_6 Depth=1
                                        ; implicit-def: $vgpr4_vgpr5
	s_branch .LBB156_149
.LBB156_190:                            ;   in Loop: Header=BB156_6 Depth=1
	s_mov_b64 s[2:3], -1
	s_mov_b64 s[72:73], 0
                                        ; implicit-def: $sgpr68_sgpr69
                                        ; implicit-def: $vgpr10_vgpr11
	s_mov_b64 s[54:55], s[2:3]
	s_cbranch_execnz .LBB156_193
	s_branch .LBB156_206
.LBB156_191:                            ;   in Loop: Header=BB156_6 Depth=1
	s_or_b64 exec, exec, s[72:73]
	s_and_b64 s[72:73], s[54:55], exec
.LBB156_192:                            ;   in Loop: Header=BB156_6 Depth=1
	s_or_b64 exec, exec, s[12:13]
	s_mov_b64 s[68:69], -1
	s_mov_b64 s[2:3], 0
	s_mov_b64 s[54:55], s[2:3]
	s_branch .LBB156_206
.LBB156_193:                            ;   in Loop: Header=BB156_6 Depth=1
	v_readlane_b32 s68, v62, 33
	v_readlane_b32 s69, v62, 34
	s_mov_b32 s68, s83
	s_cmp_lg_u64 s[68:69], 0
	v_writelane_b32 v62, s68, 33
	v_writelane_b32 v62, s69, 34
	s_cbranch_scc0 .LBB156_226
; %bb.194:                              ;   in Loop: Header=BB156_6 Depth=1
	v_cvt_f32_u32_e32 v3, s33
	s_sub_u32 s2, 0, s33
	s_subb_u32 s3, 0, 0
	v_readlane_b32 s68, v62, 31
	v_mac_f32_e32 v3, 0, v53
	v_rcp_f32_e32 v3, v3
	v_mul_f32_e32 v3, 0x5f7ffffc, v3
	v_mul_f32_e32 v4, 0x2f800000, v3
	v_trunc_f32_e32 v4, v4
	v_mac_f32_e32 v3, 0xcf800000, v4
	v_cvt_u32_f32_e32 v4, v4
	v_cvt_u32_f32_e32 v3, v3
	v_readfirstlane_b32 s12, v4
	v_readfirstlane_b32 s13, v3
	s_mul_i32 s54, s2, s12
	s_mul_hi_u32 s72, s2, s13
	s_mul_i32 s55, s3, s13
	s_add_i32 s54, s72, s54
	s_mul_i32 s73, s2, s13
	s_add_i32 s54, s54, s55
	s_mul_hi_u32 s72, s13, s73
	s_mul_hi_u32 s55, s13, s54
	s_mul_i32 s13, s13, s54
	s_add_u32 s13, s72, s13
	s_addc_u32 s55, 0, s55
	s_mul_hi_u32 s78, s12, s73
	s_mul_i32 s73, s12, s73
	s_add_u32 s13, s13, s73
	s_mul_hi_u32 s72, s12, s54
	s_addc_u32 s13, s55, s78
	s_addc_u32 s55, s72, 0
	s_mul_i32 s54, s12, s54
	s_add_u32 s13, s13, s54
	s_addc_u32 s54, 0, s55
	v_add_co_u32_e32 v3, vcc, s13, v3
	s_cmp_lg_u64 vcc, 0
	s_addc_u32 s12, s12, s54
	v_readfirstlane_b32 s54, v3
	s_mul_i32 s13, s2, s12
	s_mul_hi_u32 s55, s2, s54
	s_add_i32 s13, s55, s13
	s_mul_i32 s3, s3, s54
	s_add_i32 s13, s13, s3
	s_mul_i32 s2, s2, s54
	s_mul_hi_u32 s55, s12, s2
	s_mul_i32 s72, s12, s2
	s_mul_i32 s78, s54, s13
	s_mul_hi_u32 s2, s54, s2
	s_mul_hi_u32 s73, s54, s13
	s_add_u32 s2, s2, s78
	s_addc_u32 s54, 0, s73
	s_add_u32 s2, s2, s72
	s_mul_hi_u32 s3, s12, s13
	s_addc_u32 s2, s54, s55
	s_addc_u32 s3, s3, 0
	s_mul_i32 s13, s12, s13
	s_add_u32 s2, s2, s13
	s_addc_u32 s3, 0, s3
	v_add_co_u32_e32 v3, vcc, s2, v3
	s_cmp_lg_u64 vcc, 0
	s_addc_u32 s2, s12, s3
	v_readfirstlane_b32 s13, v3
	s_mul_i32 s12, s68, s2
	s_mul_hi_u32 s54, s68, s13
	s_mul_hi_u32 s3, s68, s2
	s_add_u32 s12, s54, s12
	s_addc_u32 s3, 0, s3
	s_mul_hi_u32 s55, s69, s13
	s_mul_i32 s13, s69, s13
	s_add_u32 s12, s12, s13
	s_mul_hi_u32 s54, s69, s2
	s_addc_u32 s3, s3, s55
	s_addc_u32 s12, s54, 0
	s_mul_i32 s2, s69, s2
	s_add_u32 s2, s3, s2
	s_addc_u32 s3, 0, s12
	s_mul_hi_u32 s12, s33, s2
	s_mul_i32 s2, s33, s2
	s_mul_i32 s3, s33, s3
	v_mov_b32_e32 v3, s2
	s_add_i32 s12, s12, s3
	v_sub_co_u32_e32 v3, vcc, s68, v3
	s_cmp_lg_u64 vcc, 0
	s_subb_u32 s2, s69, s12
	v_subrev_co_u32_e32 v4, vcc, s33, v3
	s_cmp_lg_u64 vcc, 0
	s_subb_u32 s3, s2, 0
	v_subrev_co_u32_e32 v5, vcc, s33, v4
	s_cmp_lg_u64 vcc, 0
	s_subb_u32 s12, s3, 0
	v_cmp_le_u32_e32 vcc, s33, v4
	s_cmp_eq_u32 s3, 0
	v_cndmask_b32_e64 v8, 0, -1, vcc
	s_cselect_b64 vcc, -1, 0
	v_cndmask_b32_e32 v8, -1, v8, vcc
	v_mov_b32_e32 v9, s3
	v_mov_b32_e32 v10, s12
	v_cmp_ne_u32_e32 vcc, 0, v8
	v_cndmask_b32_e32 v8, v9, v10, vcc
	v_cndmask_b32_e32 v4, v4, v5, vcc
	v_cmp_le_u32_e32 vcc, s33, v3
	s_cmp_eq_u32 s2, 0
	v_cndmask_b32_e64 v5, 0, -1, vcc
	s_cselect_b64 vcc, -1, 0
	v_cndmask_b32_e32 v5, -1, v5, vcc
	v_mov_b32_e32 v9, s2
	v_cmp_ne_u32_e32 vcc, 0, v5
	v_cndmask_b32_e32 v5, v9, v8, vcc
	v_cndmask_b32_e32 v4, v3, v4, vcc
	s_cbranch_execnz .LBB156_196
.LBB156_195:                            ;   in Loop: Header=BB156_6 Depth=1
	v_cvt_f32_u32_e32 v3, s33
	s_sub_i32 s2, 0, s33
	v_rcp_iflag_f32_e32 v3, v3
	v_mul_f32_e32 v3, 0x4f7ffffe, v3
	v_cvt_u32_f32_e32 v3, v3
	v_mul_lo_u32 v4, s2, v3
	v_mul_hi_u32 v4, v3, v4
	v_add_u32_e32 v3, v3, v4
	v_readlane_b32 s2, v62, 31
	v_mul_hi_u32 v3, s2, v3
	v_mul_lo_u32 v3, v3, s33
	v_sub_u32_e32 v3, s2, v3
	v_subrev_u32_e32 v4, s33, v3
	v_cmp_le_u32_e32 vcc, s33, v3
	v_cndmask_b32_e32 v3, v3, v4, vcc
	v_subrev_u32_e32 v4, s33, v3
	v_cmp_le_u32_e32 vcc, s33, v3
	v_cndmask_b32_e32 v20, v3, v4, vcc
	v_pk_mov_b32 v[4:5], v[20:21], v[20:21] op_sel:[0,1]
.LBB156_196:                            ;   in Loop: Header=BB156_6 Depth=1
	v_readlane_b32 s2, v62, 33
	v_readlane_b32 s3, v62, 34
	;; [unrolled: 1-line block ×3, first 2 shown]
	v_mov_b32_e32 v3, s3
	v_sub_co_u32_e32 v38, vcc, s2, v4
	v_subb_co_u32_e32 v39, vcc, v3, v5, vcc
	v_cmp_gt_u64_e32 vcc, v[38:39], v[0:1]
	s_mov_b64 s[72:73], 0
                                        ; implicit-def: $vgpr10_vgpr11
	s_and_saveexec_b64 s[2:3], vcc
	s_cbranch_execz .LBB156_205
; %bb.197:                              ;   in Loop: Header=BB156_6 Depth=1
	s_mov_b64 s[54:55], 0
	v_pk_mov_b32 v[42:43], v[18:19], v[18:19] op_sel:[0,1]
	v_pk_mov_b32 v[44:45], v[0:1], v[0:1] op_sel:[0,1]
                                        ; implicit-def: $sgpr12_sgpr13
	s_branch .LBB156_199
.LBB156_198:                            ;   in Loop: Header=BB156_199 Depth=2
	s_or_b64 exec, exec, s[72:73]
	s_waitcnt lgkmcnt(0)
	s_barrier
	ds_read_b128 v[8:11], v21 offset:3072
	v_mov_b32_e32 v3, s0
	v_add_co_u32_e32 v44, vcc, s33, v44
	v_addc_co_u32_e32 v45, vcc, v45, v3, vcc
	s_waitcnt lgkmcnt(0)
	v_readfirstlane_b32 s73, v9
	v_readfirstlane_b32 s72, v8
	s_cmp_lg_u64 s[72:73], 0
	s_cselect_b64 s[72:73], -1, 0
	v_cmp_ge_u64_e32 vcc, v[44:45], v[38:39]
	s_or_b64 s[78:79], vcc, s[72:73]
	s_and_b64 s[78:79], exec, s[78:79]
	s_or_b64 s[54:55], s[78:79], s[54:55]
	v_mov_b32_e32 v3, s61
	v_add_co_u32_e32 v42, vcc, s60, v42
	s_andn2_b64 s[12:13], s[12:13], exec
	s_and_b64 s[72:73], s[72:73], exec
	v_addc_co_u32_e32 v43, vcc, v43, v3, vcc
	s_or_b64 s[12:13], s[12:13], s[72:73]
	s_barrier
	s_andn2_b64 exec, exec, s[54:55]
	s_cbranch_execz .LBB156_204
.LBB156_199:                            ;   Parent Loop BB156_6 Depth=1
                                        ; =>  This Inner Loop Header: Depth=2
	v_cmp_gt_u64_e32 vcc, s[56:57], v[44:45]
	s_waitcnt vmcnt(0)
	v_pk_mov_b32 v[4:5], 0, 0
	s_and_saveexec_b64 s[72:73], vcc
	s_cbranch_execz .LBB156_201
; %bb.200:                              ;   in Loop: Header=BB156_199 Depth=2
	global_load_dwordx2 v[4:5], v[42:43], off
.LBB156_201:                            ;   in Loop: Header=BB156_199 Depth=2
	s_or_b64 exec, exec, s[72:73]
	s_and_saveexec_b64 s[72:73], vcc
	s_cbranch_execz .LBB156_198
; %bb.202:                              ;   in Loop: Header=BB156_199 Depth=2
	s_waitcnt vmcnt(0)
	v_xor_b32_e32 v3, 0x80000000, v5
	v_and_b32_e32 v9, v3, v15
	v_and_b32_e32 v8, v4, v14
	v_cmp_eq_u64_e32 vcc, v[8:9], v[12:13]
	s_and_b64 exec, exec, vcc
	s_cbranch_execz .LBB156_198
; %bb.203:                              ;   in Loop: Header=BB156_199 Depth=2
	v_mov_b32_e32 v3, v21
	ds_write_b128 v21, v[2:5] offset:3072
	s_branch .LBB156_198
.LBB156_204:                            ;   in Loop: Header=BB156_6 Depth=1
	s_or_b64 exec, exec, s[54:55]
	s_and_b64 s[72:73], s[12:13], exec
.LBB156_205:                            ;   in Loop: Header=BB156_6 Depth=1
	s_or_b64 exec, exec, s[2:3]
	s_mov_b64 s[54:55], -1
	s_mov_b64 s[2:3], 0
	s_mov_b64 s[68:69], 0
.LBB156_206:                            ;   in Loop: Header=BB156_6 Depth=1
	s_orn2_b64 s[72:73], s[72:73], exec
.LBB156_207:                            ;   in Loop: Header=BB156_6 Depth=1
	s_or_b64 exec, exec, s[52:53]
	s_mov_b64 s[12:13], 0
                                        ; implicit-def: $vgpr3
	s_and_saveexec_b64 s[52:53], s[72:73]
	s_cbranch_execz .LBB156_272
; %bb.208:                              ;   in Loop: Header=BB156_6 Depth=1
	v_mov_b32_e32 v38, 1
	s_xor_b64 s[12:13], s[4:5], -1
	s_mov_b64 s[80:81], 0
	v_mov_b32_e32 v39, 0
	v_mov_b32_e32 v3, 1
	s_and_saveexec_b64 s[4:5], s[12:13]
	s_cbranch_execz .LBB156_218
; %bb.209:                              ;   in Loop: Header=BB156_6 Depth=1
	s_mov_b64 s[84:85], s[68:69]
	v_cmp_ge_u64_e32 vcc, s[26:27], v[40:41]
                                        ; implicit-def: $sgpr78
                                        ; implicit-def: $sgpr12_sgpr13
	s_and_saveexec_b64 s[72:73], vcc
	s_xor_b64 s[72:73], exec, s[72:73]
	s_cbranch_execz .LBB156_215
; %bb.210:                              ;   in Loop: Header=BB156_6 Depth=1
	s_waitcnt vmcnt(0)
	ds_read_b64 v[4:5], v21 offset:5120
	s_waitcnt lgkmcnt(0)
	v_cmp_ne_u64_e32 vcc, 0, v[4:5]
	s_cbranch_vccnz .LBB156_214
; %bb.211:                              ;   in Loop: Header=BB156_6 Depth=1
	v_readlane_b32 s68, v62, 8
	v_readlane_b32 s69, v62, 9
	s_and_saveexec_b64 s[12:13], s[68:69]
	s_cbranch_execz .LBB156_213
; %bb.212:                              ;   in Loop: Header=BB156_6 Depth=1
	v_pk_mov_b32 v[4:5], s[26:27], s[26:27] op_sel:[0,1]
	ds_write_b64 v21, v[4:5] offset:5128
.LBB156_213:                            ;   in Loop: Header=BB156_6 Depth=1
	s_or_b64 exec, exec, s[12:13]
	s_waitcnt lgkmcnt(0)
	s_barrier
.LBB156_214:                            ;   in Loop: Header=BB156_6 Depth=1
	s_lshl_b64 s[12:13], 2, s82
	v_and_b32_e32 v3, s21, v13
	v_and_b32_e32 v4, s20, v12
	v_or_b32_e32 v13, s13, v3
	v_or_b32_e32 v12, s12, v4
	v_or_b32_e32 v15, s19, v15
	v_or_b32_e32 v14, s18, v14
	s_mov_b64 s[12:13], 0
	s_mov_b32 s78, 8
.LBB156_215:                            ;   in Loop: Header=BB156_6 Depth=1
	s_or_saveexec_b64 s[72:73], s[72:73]
	v_mov_b32_e32 v3, s78
	s_xor_b64 exec, exec, s[72:73]
; %bb.216:                              ;   in Loop: Header=BB156_6 Depth=1
	v_mov_b32_e32 v3, s27
	v_subrev_co_u32_e32 v40, vcc, s26, v40
	v_subb_co_u32_e32 v41, vcc, v41, v3, vcc
	v_mov_b32_e32 v3, 0
	s_or_b64 s[12:13], s[12:13], exec
; %bb.217:                              ;   in Loop: Header=BB156_6 Depth=1
	s_or_b64 exec, exec, s[72:73]
	s_and_b64 s[80:81], s[12:13], exec
	v_pk_mov_b32 v[38:39], v[40:41], v[40:41] op_sel:[0,1]
	s_mov_b64 s[68:69], s[84:85]
.LBB156_218:                            ;   in Loop: Header=BB156_6 Depth=1
	s_or_b64 exec, exec, s[4:5]
	s_mov_b64 s[4:5], -1
                                        ; implicit-def: $sgpr12_sgpr13
                                        ; implicit-def: $sgpr78_sgpr79
                                        ; implicit-def: $sgpr72_sgpr73
	s_mov_b64 s[84:85], exec
	v_writelane_b32 v62, s84, 52
	s_and_b64 s[80:81], s[84:85], s[80:81]
	v_writelane_b32 v62, s85, 53
	s_mov_b64 exec, s[80:81]
	s_cbranch_execz .LBB156_271
; %bb.219:                              ;   in Loop: Header=BB156_6 Depth=1
	s_cmp_eq_u64 s[28:29], 1
	s_cselect_b64 s[4:5], -1, 0
	v_cmp_eq_u64_e32 vcc, 1, v[38:39]
	v_writelane_b32 v62, s68, 54
	s_and_b64 s[90:91], s[4:5], vcc
	s_mov_b64 s[80:81], -1
	v_writelane_b32 v62, s69, 55
                                        ; implicit-def: $sgpr12_sgpr13
                                        ; implicit-def: $sgpr78_sgpr79
                                        ; implicit-def: $sgpr72_sgpr73
	s_and_saveexec_b64 s[4:5], s[90:91]
	s_cbranch_execz .LBB156_258
; %bb.220:                              ;   in Loop: Header=BB156_6 Depth=1
	s_waitcnt vmcnt(0)
	ds_read_b64 v[4:5], v21 offset:5120
	v_readlane_b32 s68, v62, 26
	v_readlane_b32 s69, v62, 27
	s_waitcnt lgkmcnt(0)
	s_barrier
	v_readfirstlane_b32 s12, v4
	v_readfirstlane_b32 s13, v5
	s_and_saveexec_b64 s[72:73], s[68:69]
	s_cbranch_execz .LBB156_222
; %bb.221:                              ;   in Loop: Header=BB156_6 Depth=1
	v_mov_b32_e32 v20, v21
	ds_write_b64 v50, v[20:21]
.LBB156_222:                            ;   in Loop: Header=BB156_6 Depth=1
	s_or_b64 exec, exec, s[72:73]
	v_or_b32_e32 v13, s19, v13
	v_or_b32_e32 v12, s18, v12
	;; [unrolled: 1-line block ×4, first 2 shown]
	s_cmp_eq_u64 s[12:13], 0
	v_writelane_b32 v62, s90, 56
	s_waitcnt lgkmcnt(0)
	s_barrier
	v_writelane_b32 v62, s91, 57
	s_cbranch_scc1 .LBB156_227
; %bb.223:                              ;   in Loop: Header=BB156_6 Depth=1
	v_readlane_b32 s68, v62, 30
	s_add_u32 s80, s68, s12
	v_readlane_b32 s68, v62, 32
	s_addc_u32 s73, s68, s13
	s_mov_b32 s72, s83
	s_cmp_lg_u64 s[72:73], 0
	s_cbranch_scc0 .LBB156_228
; %bb.224:                              ;   in Loop: Header=BB156_6 Depth=1
	v_cvt_f32_u32_e32 v3, s33
	s_sub_u32 s72, 0, s33
	s_subb_u32 s78, 0, 0
	v_mac_f32_e32 v3, 0, v53
	v_rcp_f32_e32 v3, v3
	v_mul_f32_e32 v3, 0x5f7ffffc, v3
	v_mul_f32_e32 v4, 0x2f800000, v3
	v_trunc_f32_e32 v4, v4
	v_mac_f32_e32 v3, 0xcf800000, v4
	v_cvt_u32_f32_e32 v4, v4
	v_cvt_u32_f32_e32 v3, v3
	v_readfirstlane_b32 s79, v4
	v_readfirstlane_b32 s81, v3
	s_mul_i32 s84, s72, s79
	s_mul_hi_u32 s89, s72, s81
	s_mul_i32 s85, s78, s81
	s_add_i32 s84, s89, s84
	s_mul_i32 s90, s72, s81
	s_add_i32 s84, s84, s85
	s_mul_hi_u32 s89, s81, s90
	s_mul_hi_u32 s85, s81, s84
	s_mul_i32 s81, s81, s84
	s_add_u32 s81, s89, s81
	s_addc_u32 s85, 0, s85
	s_mul_hi_u32 s91, s79, s90
	s_mul_i32 s90, s79, s90
	s_add_u32 s81, s81, s90
	s_mul_hi_u32 s89, s79, s84
	s_addc_u32 s81, s85, s91
	s_addc_u32 s85, s89, 0
	s_mul_i32 s84, s79, s84
	s_add_u32 s81, s81, s84
	s_addc_u32 s84, 0, s85
	v_add_co_u32_e32 v3, vcc, s81, v3
	s_cmp_lg_u64 vcc, 0
	s_addc_u32 s79, s79, s84
	v_readfirstlane_b32 s84, v3
	s_mul_i32 s81, s72, s79
	s_mul_hi_u32 s85, s72, s84
	s_add_i32 s81, s85, s81
	s_mul_i32 s78, s78, s84
	s_add_i32 s81, s81, s78
	s_mul_i32 s72, s72, s84
	s_mul_hi_u32 s85, s79, s72
	s_mul_i32 s89, s79, s72
	s_mul_i32 s91, s84, s81
	s_mul_hi_u32 s72, s84, s72
	s_mul_hi_u32 s90, s84, s81
	s_add_u32 s72, s72, s91
	s_addc_u32 s84, 0, s90
	s_add_u32 s72, s72, s89
	s_mul_hi_u32 s78, s79, s81
	s_addc_u32 s72, s84, s85
	s_addc_u32 s78, s78, 0
	s_mul_i32 s81, s79, s81
	s_add_u32 s72, s72, s81
	s_addc_u32 s78, 0, s78
	v_add_co_u32_e32 v3, vcc, s72, v3
	s_cmp_lg_u64 vcc, 0
	s_addc_u32 s72, s79, s78
	v_readfirstlane_b32 s81, v3
	s_mul_i32 s79, s80, s72
	s_mul_hi_u32 s84, s80, s81
	s_mul_hi_u32 s78, s80, s72
	s_add_u32 s79, s84, s79
	s_addc_u32 s78, 0, s78
	s_mul_hi_u32 s85, s73, s81
	s_mul_i32 s81, s73, s81
	s_add_u32 s79, s79, s81
	s_mul_hi_u32 s84, s73, s72
	s_addc_u32 s78, s78, s85
	s_addc_u32 s79, s84, 0
	s_mul_i32 s72, s73, s72
	s_add_u32 s72, s78, s72
	s_addc_u32 s78, 0, s79
	s_mul_hi_u32 s79, s33, s72
	s_mul_i32 s72, s33, s72
	s_mul_i32 s78, s33, s78
	v_mov_b32_e32 v3, s72
	s_add_i32 s79, s79, s78
	v_sub_co_u32_e32 v3, vcc, s80, v3
	s_cmp_lg_u64 vcc, 0
	s_subb_u32 s72, s73, s79
	v_subrev_co_u32_e32 v4, vcc, s33, v3
	s_cmp_lg_u64 vcc, 0
	s_subb_u32 s78, s72, 0
	v_subrev_co_u32_e32 v5, vcc, s33, v4
	s_cmp_lg_u64 vcc, 0
	s_subb_u32 s79, s78, 0
	v_cmp_le_u32_e32 vcc, s33, v4
	s_cmp_eq_u32 s78, 0
	v_cndmask_b32_e64 v8, 0, -1, vcc
	s_cselect_b64 vcc, -1, 0
	v_cndmask_b32_e32 v8, -1, v8, vcc
	v_mov_b32_e32 v9, s78
	v_mov_b32_e32 v10, s79
	v_cmp_ne_u32_e32 vcc, 0, v8
	v_cndmask_b32_e32 v8, v9, v10, vcc
	v_cndmask_b32_e32 v4, v4, v5, vcc
	v_cmp_le_u32_e32 vcc, s33, v3
	s_cmp_eq_u32 s72, 0
	v_cndmask_b32_e64 v5, 0, -1, vcc
	s_cselect_b64 vcc, -1, 0
	v_cndmask_b32_e32 v5, -1, v5, vcc
	v_mov_b32_e32 v9, s72
	v_cmp_ne_u32_e32 vcc, 0, v5
	v_cndmask_b32_e32 v5, v9, v8, vcc
	v_cndmask_b32_e32 v4, v3, v4, vcc
	s_mov_b64 s[78:79], 0
	s_branch .LBB156_229
.LBB156_225:                            ;   in Loop: Header=BB156_6 Depth=1
                                        ; implicit-def: $vgpr4_vgpr5
	s_branch .LBB156_179
.LBB156_226:                            ;   in Loop: Header=BB156_6 Depth=1
                                        ; implicit-def: $vgpr4_vgpr5
	s_branch .LBB156_195
.LBB156_227:                            ;   in Loop: Header=BB156_6 Depth=1
	s_mov_b64 s[12:13], -1
	s_mov_b64 s[80:81], 0
                                        ; implicit-def: $sgpr72_sgpr73
                                        ; implicit-def: $vgpr10_vgpr11
	s_branch .LBB156_241
.LBB156_228:                            ;   in Loop: Header=BB156_6 Depth=1
	s_mov_b64 s[78:79], -1
                                        ; implicit-def: $vgpr4_vgpr5
.LBB156_229:                            ;   in Loop: Header=BB156_6 Depth=1
	s_andn2_b64 vcc, exec, s[78:79]
	s_cbranch_vccnz .LBB156_231
; %bb.230:                              ;   in Loop: Header=BB156_6 Depth=1
	v_cvt_f32_u32_e32 v3, s33
	s_sub_i32 s72, 0, s33
	v_rcp_iflag_f32_e32 v3, v3
	v_mul_f32_e32 v3, 0x4f7ffffe, v3
	v_cvt_u32_f32_e32 v3, v3
	v_mul_lo_u32 v4, s72, v3
	v_mul_hi_u32 v4, v3, v4
	v_add_u32_e32 v3, v3, v4
	v_mul_hi_u32 v3, s80, v3
	v_mul_lo_u32 v3, v3, s33
	v_sub_u32_e32 v3, s80, v3
	v_subrev_u32_e32 v4, s33, v3
	v_cmp_le_u32_e32 vcc, s33, v3
	v_cndmask_b32_e32 v3, v3, v4, vcc
	v_subrev_u32_e32 v4, s33, v3
	v_cmp_le_u32_e32 vcc, s33, v3
	v_cndmask_b32_e32 v20, v3, v4, vcc
	v_pk_mov_b32 v[4:5], v[20:21], v[20:21] op_sel:[0,1]
.LBB156_231:                            ;   in Loop: Header=BB156_6 Depth=1
	v_mov_b32_e32 v3, s73
	v_sub_co_u32_e32 v40, vcc, s80, v4
	v_subb_co_u32_e32 v41, vcc, v3, v5, vcc
	v_cmp_gt_u64_e32 vcc, v[40:41], v[0:1]
	s_mov_b64 s[80:81], 0
                                        ; implicit-def: $vgpr10_vgpr11
	s_and_saveexec_b64 s[72:73], vcc
	s_cbranch_execz .LBB156_240
; %bb.232:                              ;   in Loop: Header=BB156_6 Depth=1
	v_mov_b32_e32 v20, v49
	v_pk_mov_b32 v[42:43], v[0:1], v[0:1] op_sel:[0,1]
                                        ; implicit-def: $sgpr78_sgpr79
	s_branch .LBB156_234
.LBB156_233:                            ;   in Loop: Header=BB156_234 Depth=2
	s_or_b64 exec, exec, s[84:85]
	s_waitcnt lgkmcnt(0)
	s_barrier
	ds_read_b128 v[8:11], v21 offset:3072
	v_mov_b32_e32 v3, s0
	v_add_co_u32_e32 v42, vcc, s33, v42
	v_addc_co_u32_e32 v43, vcc, v43, v3, vcc
	s_waitcnt lgkmcnt(0)
	v_readfirstlane_b32 s85, v9
	v_readfirstlane_b32 s84, v8
	s_cmp_lg_u64 s[84:85], 0
	s_cselect_b64 s[84:85], -1, 0
	v_cmp_ge_u64_e32 vcc, v[42:43], v[40:41]
	s_or_b64 s[90:91], vcc, s[84:85]
	s_and_b64 s[90:91], exec, s[90:91]
	s_or_b64 s[80:81], s[90:91], s[80:81]
	s_andn2_b64 s[78:79], s[78:79], exec
	s_and_b64 s[84:85], s[84:85], exec
	v_add_u32_e32 v20, s88, v20
	s_or_b64 s[78:79], s[78:79], s[84:85]
	s_barrier
	s_andn2_b64 exec, exec, s[80:81]
	s_cbranch_execz .LBB156_239
.LBB156_234:                            ;   Parent Loop BB156_6 Depth=1
                                        ; =>  This Inner Loop Header: Depth=2
	v_cmp_gt_u64_e32 vcc, s[12:13], v[42:43]
	v_pk_mov_b32 v[4:5], 0, 0
	s_and_saveexec_b64 s[84:85], vcc
	s_cbranch_execz .LBB156_236
; %bb.235:                              ;   in Loop: Header=BB156_234 Depth=2
	ds_read_b64 v[4:5], v20
.LBB156_236:                            ;   in Loop: Header=BB156_234 Depth=2
	s_or_b64 exec, exec, s[84:85]
	s_and_saveexec_b64 s[84:85], vcc
	s_cbranch_execz .LBB156_233
; %bb.237:                              ;   in Loop: Header=BB156_234 Depth=2
	s_waitcnt lgkmcnt(0)
	v_xor_b32_e32 v3, 0x80000000, v5
	v_and_b32_e32 v9, v3, v15
	v_and_b32_e32 v8, v4, v14
	v_cmp_eq_u64_e32 vcc, v[8:9], v[12:13]
	s_and_b64 exec, exec, vcc
	s_cbranch_execz .LBB156_233
; %bb.238:                              ;   in Loop: Header=BB156_234 Depth=2
	v_mov_b32_e32 v3, v21
	ds_write_b128 v21, v[2:5] offset:3072
	s_branch .LBB156_233
.LBB156_239:                            ;   in Loop: Header=BB156_6 Depth=1
	s_or_b64 exec, exec, s[80:81]
	s_and_b64 s[80:81], s[78:79], exec
.LBB156_240:                            ;   in Loop: Header=BB156_6 Depth=1
	s_or_b64 exec, exec, s[72:73]
	s_mov_b64 s[72:73], -1
	s_mov_b64 s[12:13], 0
.LBB156_241:                            ;   in Loop: Header=BB156_6 Depth=1
	s_and_b64 vcc, exec, s[12:13]
	s_mov_b64 s[78:79], s[12:13]
	s_cbranch_vccz .LBB156_257
; %bb.242:                              ;   in Loop: Header=BB156_6 Depth=1
	v_readlane_b32 s68, v62, 33
	v_readlane_b32 s69, v62, 34
	s_mov_b32 s68, s83
	s_cmp_lg_u64 s[68:69], 0
	v_writelane_b32 v62, s68, 33
	v_writelane_b32 v62, s69, 34
	s_cbranch_scc0 .LBB156_244
; %bb.243:                              ;   in Loop: Header=BB156_6 Depth=1
	v_cvt_f32_u32_e32 v3, s33
	s_sub_u32 s12, 0, s33
	s_subb_u32 s13, 0, 0
	v_readlane_b32 s68, v62, 31
	v_mac_f32_e32 v3, 0, v53
	v_rcp_f32_e32 v3, v3
	v_mul_f32_e32 v3, 0x5f7ffffc, v3
	v_mul_f32_e32 v4, 0x2f800000, v3
	v_trunc_f32_e32 v4, v4
	v_mac_f32_e32 v3, 0xcf800000, v4
	v_cvt_u32_f32_e32 v4, v4
	v_cvt_u32_f32_e32 v3, v3
	v_readfirstlane_b32 s72, v4
	v_readfirstlane_b32 s73, v3
	s_mul_i32 s78, s12, s72
	s_mul_hi_u32 s80, s12, s73
	s_mul_i32 s79, s13, s73
	s_add_i32 s78, s80, s78
	s_mul_i32 s81, s12, s73
	s_add_i32 s78, s78, s79
	s_mul_hi_u32 s80, s73, s81
	s_mul_hi_u32 s79, s73, s78
	s_mul_i32 s73, s73, s78
	s_add_u32 s73, s80, s73
	s_addc_u32 s79, 0, s79
	s_mul_hi_u32 s84, s72, s81
	s_mul_i32 s81, s72, s81
	s_add_u32 s73, s73, s81
	s_mul_hi_u32 s80, s72, s78
	s_addc_u32 s73, s79, s84
	s_addc_u32 s79, s80, 0
	s_mul_i32 s78, s72, s78
	s_add_u32 s73, s73, s78
	s_addc_u32 s78, 0, s79
	v_add_co_u32_e32 v3, vcc, s73, v3
	s_cmp_lg_u64 vcc, 0
	s_addc_u32 s72, s72, s78
	v_readfirstlane_b32 s78, v3
	s_mul_i32 s73, s12, s72
	s_mul_hi_u32 s79, s12, s78
	s_add_i32 s73, s79, s73
	s_mul_i32 s13, s13, s78
	s_add_i32 s73, s73, s13
	s_mul_i32 s12, s12, s78
	s_mul_hi_u32 s79, s72, s12
	s_mul_i32 s80, s72, s12
	s_mul_i32 s84, s78, s73
	s_mul_hi_u32 s12, s78, s12
	s_mul_hi_u32 s81, s78, s73
	s_add_u32 s12, s12, s84
	s_addc_u32 s78, 0, s81
	s_add_u32 s12, s12, s80
	s_mul_hi_u32 s13, s72, s73
	s_addc_u32 s12, s78, s79
	s_addc_u32 s13, s13, 0
	s_mul_i32 s73, s72, s73
	s_add_u32 s12, s12, s73
	s_addc_u32 s13, 0, s13
	v_add_co_u32_e32 v3, vcc, s12, v3
	s_cmp_lg_u64 vcc, 0
	s_addc_u32 s12, s72, s13
	v_readfirstlane_b32 s73, v3
	s_mul_i32 s72, s68, s12
	s_mul_hi_u32 s78, s68, s73
	s_mul_hi_u32 s13, s68, s12
	s_add_u32 s72, s78, s72
	s_addc_u32 s13, 0, s13
	s_mul_hi_u32 s79, s69, s73
	s_mul_i32 s73, s69, s73
	s_add_u32 s72, s72, s73
	s_mul_hi_u32 s78, s69, s12
	s_addc_u32 s13, s13, s79
	s_addc_u32 s72, s78, 0
	s_mul_i32 s12, s69, s12
	s_add_u32 s12, s13, s12
	s_addc_u32 s13, 0, s72
	s_mul_hi_u32 s72, s33, s12
	s_mul_i32 s12, s33, s12
	s_mul_i32 s13, s33, s13
	v_mov_b32_e32 v3, s12
	s_add_i32 s72, s72, s13
	v_sub_co_u32_e32 v3, vcc, s68, v3
	s_cmp_lg_u64 vcc, 0
	s_subb_u32 s12, s69, s72
	v_subrev_co_u32_e32 v4, vcc, s33, v3
	s_cmp_lg_u64 vcc, 0
	s_subb_u32 s13, s12, 0
	v_subrev_co_u32_e32 v5, vcc, s33, v4
	s_cmp_lg_u64 vcc, 0
	s_subb_u32 s72, s13, 0
	v_cmp_le_u32_e32 vcc, s33, v4
	s_cmp_eq_u32 s13, 0
	v_cndmask_b32_e64 v8, 0, -1, vcc
	s_cselect_b64 vcc, -1, 0
	v_cndmask_b32_e32 v8, -1, v8, vcc
	v_mov_b32_e32 v9, s13
	v_mov_b32_e32 v10, s72
	v_cmp_ne_u32_e32 vcc, 0, v8
	v_cndmask_b32_e32 v8, v9, v10, vcc
	v_cndmask_b32_e32 v4, v4, v5, vcc
	v_cmp_le_u32_e32 vcc, s33, v3
	s_cmp_eq_u32 s12, 0
	v_cndmask_b32_e64 v5, 0, -1, vcc
	s_cselect_b64 vcc, -1, 0
	v_cndmask_b32_e32 v5, -1, v5, vcc
	v_mov_b32_e32 v9, s12
	v_cmp_ne_u32_e32 vcc, 0, v5
	v_cndmask_b32_e32 v5, v9, v8, vcc
	v_cndmask_b32_e32 v4, v3, v4, vcc
	s_mov_b64 s[12:13], 0
	s_branch .LBB156_245
.LBB156_244:                            ;   in Loop: Header=BB156_6 Depth=1
	s_mov_b64 s[12:13], -1
                                        ; implicit-def: $vgpr4_vgpr5
.LBB156_245:                            ;   in Loop: Header=BB156_6 Depth=1
	s_andn2_b64 vcc, exec, s[12:13]
	s_cbranch_vccnz .LBB156_247
; %bb.246:                              ;   in Loop: Header=BB156_6 Depth=1
	v_cvt_f32_u32_e32 v3, s33
	s_sub_i32 s12, 0, s33
	v_rcp_iflag_f32_e32 v3, v3
	v_mul_f32_e32 v3, 0x4f7ffffe, v3
	v_cvt_u32_f32_e32 v3, v3
	v_mul_lo_u32 v4, s12, v3
	v_mul_hi_u32 v4, v3, v4
	v_add_u32_e32 v3, v3, v4
	v_readlane_b32 s12, v62, 31
	v_mul_hi_u32 v3, s12, v3
	v_mul_lo_u32 v3, v3, s33
	v_sub_u32_e32 v3, s12, v3
	v_subrev_u32_e32 v4, s33, v3
	v_cmp_le_u32_e32 vcc, s33, v3
	v_cndmask_b32_e32 v3, v3, v4, vcc
	v_subrev_u32_e32 v4, s33, v3
	v_cmp_le_u32_e32 vcc, s33, v3
	v_cndmask_b32_e32 v20, v3, v4, vcc
	v_pk_mov_b32 v[4:5], v[20:21], v[20:21] op_sel:[0,1]
.LBB156_247:                            ;   in Loop: Header=BB156_6 Depth=1
	v_readlane_b32 s12, v62, 33
	v_readlane_b32 s13, v62, 34
	;; [unrolled: 1-line block ×3, first 2 shown]
	v_mov_b32_e32 v3, s13
	v_sub_co_u32_e32 v40, vcc, s12, v4
	v_subb_co_u32_e32 v41, vcc, v3, v5, vcc
	v_cmp_gt_u64_e32 vcc, v[40:41], v[0:1]
	s_mov_b64 s[80:81], 0
                                        ; implicit-def: $vgpr10_vgpr11
	s_and_saveexec_b64 s[12:13], vcc
	s_cbranch_execz .LBB156_256
; %bb.248:                              ;   in Loop: Header=BB156_6 Depth=1
	s_mov_b64 s[78:79], 0
	v_pk_mov_b32 v[42:43], v[18:19], v[18:19] op_sel:[0,1]
	v_pk_mov_b32 v[44:45], v[0:1], v[0:1] op_sel:[0,1]
                                        ; implicit-def: $sgpr72_sgpr73
	s_branch .LBB156_250
.LBB156_249:                            ;   in Loop: Header=BB156_250 Depth=2
	s_or_b64 exec, exec, s[80:81]
	s_waitcnt lgkmcnt(0)
	s_barrier
	ds_read_b128 v[8:11], v21 offset:3072
	v_mov_b32_e32 v3, s0
	v_add_co_u32_e32 v44, vcc, s33, v44
	v_addc_co_u32_e32 v45, vcc, v45, v3, vcc
	s_waitcnt lgkmcnt(0)
	v_readfirstlane_b32 s81, v9
	v_readfirstlane_b32 s80, v8
	s_cmp_lg_u64 s[80:81], 0
	s_cselect_b64 s[80:81], -1, 0
	v_cmp_ge_u64_e32 vcc, v[44:45], v[40:41]
	s_or_b64 s[84:85], vcc, s[80:81]
	s_and_b64 s[84:85], exec, s[84:85]
	s_or_b64 s[78:79], s[84:85], s[78:79]
	v_mov_b32_e32 v3, s61
	v_add_co_u32_e32 v42, vcc, s60, v42
	s_andn2_b64 s[72:73], s[72:73], exec
	s_and_b64 s[80:81], s[80:81], exec
	v_addc_co_u32_e32 v43, vcc, v43, v3, vcc
	s_or_b64 s[72:73], s[72:73], s[80:81]
	s_barrier
	s_andn2_b64 exec, exec, s[78:79]
	s_cbranch_execz .LBB156_255
.LBB156_250:                            ;   Parent Loop BB156_6 Depth=1
                                        ; =>  This Inner Loop Header: Depth=2
	v_cmp_gt_u64_e32 vcc, s[56:57], v[44:45]
	s_waitcnt vmcnt(0)
	v_pk_mov_b32 v[4:5], 0, 0
	s_and_saveexec_b64 s[80:81], vcc
	s_cbranch_execz .LBB156_252
; %bb.251:                              ;   in Loop: Header=BB156_250 Depth=2
	global_load_dwordx2 v[4:5], v[42:43], off
.LBB156_252:                            ;   in Loop: Header=BB156_250 Depth=2
	s_or_b64 exec, exec, s[80:81]
	s_and_saveexec_b64 s[80:81], vcc
	s_cbranch_execz .LBB156_249
; %bb.253:                              ;   in Loop: Header=BB156_250 Depth=2
	s_waitcnt vmcnt(0)
	v_xor_b32_e32 v3, 0x80000000, v5
	v_and_b32_e32 v9, v3, v15
	v_and_b32_e32 v8, v4, v14
	v_cmp_eq_u64_e32 vcc, v[8:9], v[12:13]
	s_and_b64 exec, exec, vcc
	s_cbranch_execz .LBB156_249
; %bb.254:                              ;   in Loop: Header=BB156_250 Depth=2
	v_mov_b32_e32 v3, v21
	ds_write_b128 v21, v[2:5] offset:3072
	s_branch .LBB156_249
.LBB156_255:                            ;   in Loop: Header=BB156_6 Depth=1
	s_or_b64 exec, exec, s[78:79]
	s_and_b64 s[80:81], s[72:73], exec
.LBB156_256:                            ;   in Loop: Header=BB156_6 Depth=1
	s_or_b64 exec, exec, s[12:13]
	s_mov_b64 s[78:79], -1
	s_mov_b64 s[12:13], 0
	s_mov_b64 s[72:73], 0
.LBB156_257:                            ;   in Loop: Header=BB156_6 Depth=1
	v_readlane_b32 s90, v62, 56
	s_orn2_b64 s[80:81], s[80:81], exec
	v_readlane_b32 s91, v62, 57
.LBB156_258:                            ;   in Loop: Header=BB156_6 Depth=1
	s_or_b64 exec, exec, s[4:5]
	s_mov_b64 s[84:85], 0
                                        ; implicit-def: $vgpr3
                                        ; implicit-def: $vgpr4_vgpr5
	s_and_saveexec_b64 s[4:5], s[80:81]
	v_readlane_b32 s68, v62, 54
	v_readlane_b32 s69, v62, 55
	s_cbranch_execz .LBB156_270
; %bb.259:                              ;   in Loop: Header=BB156_6 Depth=1
	s_waitcnt vmcnt(0)
	v_mov_b32_e32 v4, 1
	s_xor_b64 s[84:85], s[90:91], -1
	v_mov_b32_e32 v3, 1
	v_mov_b32_e32 v5, 0
	s_and_saveexec_b64 s[80:81], s[84:85]
	s_cbranch_execz .LBB156_269
; %bb.260:                              ;   in Loop: Header=BB156_6 Depth=1
	v_cmp_ge_u64_e32 vcc, s[28:29], v[38:39]
                                        ; implicit-def: $sgpr89
	s_and_saveexec_b64 s[84:85], vcc
	s_xor_b64 s[84:85], exec, s[84:85]
	s_cbranch_execz .LBB156_266
; %bb.261:                              ;   in Loop: Header=BB156_6 Depth=1
	ds_read_b64 v[4:5], v21 offset:5120
	s_waitcnt lgkmcnt(0)
	v_cmp_ne_u64_e32 vcc, 0, v[4:5]
	s_cbranch_vccnz .LBB156_265
; %bb.262:                              ;   in Loop: Header=BB156_6 Depth=1
	s_mov_b64 s[68:69], s[94:95]
	s_mov_b64 s[90:91], exec
	v_readlane_b32 s94, v62, 8
	v_readlane_b32 s95, v62, 9
	s_and_b64 s[94:95], s[90:91], s[94:95]
	s_mov_b64 exec, s[94:95]
	s_cbranch_execz .LBB156_264
; %bb.263:                              ;   in Loop: Header=BB156_6 Depth=1
	v_pk_mov_b32 v[4:5], s[28:29], s[28:29] op_sel:[0,1]
	ds_write_b64 v21, v[4:5] offset:5128
.LBB156_264:                            ;   in Loop: Header=BB156_6 Depth=1
	s_or_b64 exec, exec, s[90:91]
	s_mov_b64 s[94:95], s[68:69]
	s_waitcnt lgkmcnt(0)
	s_barrier
.LBB156_265:                            ;   in Loop: Header=BB156_6 Depth=1
	v_or_b32_e32 v13, s19, v13
	v_or_b32_e32 v12, s18, v12
	;; [unrolled: 1-line block ×4, first 2 shown]
	s_mov_b32 s89, 8
.LBB156_266:                            ;   in Loop: Header=BB156_6 Depth=1
	s_or_saveexec_b64 s[84:85], s[84:85]
	v_mov_b32_e32 v3, s89
	s_xor_b64 exec, exec, s[84:85]
; %bb.267:                              ;   in Loop: Header=BB156_6 Depth=1
	v_mov_b32_e32 v3, s29
	v_subrev_co_u32_e32 v38, vcc, s28, v38
	v_subb_co_u32_e32 v39, vcc, v39, v3, vcc
	v_mov_b32_e32 v3, 8
; %bb.268:                              ;   in Loop: Header=BB156_6 Depth=1
	s_or_b64 exec, exec, s[84:85]
	v_readlane_b32 s68, v62, 54
	v_pk_mov_b32 v[4:5], v[38:39], v[38:39] op_sel:[0,1]
	v_readlane_b32 s69, v62, 55
.LBB156_269:                            ;   in Loop: Header=BB156_6 Depth=1
	s_or_b64 exec, exec, s[80:81]
	s_mov_b64 s[84:85], exec
.LBB156_270:                            ;   in Loop: Header=BB156_6 Depth=1
	s_or_b64 exec, exec, s[4:5]
	s_orn2_b64 s[4:5], s[84:85], exec
	s_waitcnt vmcnt(0)
	v_pk_mov_b32 v[38:39], v[4:5], v[4:5] op_sel:[0,1]
.LBB156_271:                            ;   in Loop: Header=BB156_6 Depth=1
	v_readlane_b32 s80, v62, 52
	v_readlane_b32 s81, v62, 53
	s_or_b64 exec, exec, s[80:81]
	s_andn2_b64 s[2:3], s[2:3], exec
	s_and_b64 s[12:13], s[12:13], exec
	s_or_b64 s[2:3], s[2:3], s[12:13]
	s_andn2_b64 s[12:13], s[54:55], exec
	s_and_b64 s[54:55], s[78:79], exec
	s_or_b64 s[54:55], s[12:13], s[54:55]
	;; [unrolled: 3-line block ×3, first 2 shown]
	s_and_b64 s[12:13], s[4:5], exec
	v_pk_mov_b32 v[40:41], v[38:39], v[38:39] op_sel:[0,1]
.LBB156_272:                            ;   in Loop: Header=BB156_6 Depth=1
	s_or_b64 exec, exec, s[52:53]
	s_and_b64 s[72:73], s[2:3], exec
	s_and_b64 s[52:53], s[54:55], exec
	;; [unrolled: 1-line block ×3, first 2 shown]
	s_orn2_b64 s[2:3], s[12:13], exec
.LBB156_273:                            ;   in Loop: Header=BB156_6 Depth=1
	s_or_b64 exec, exec, s[50:51]
	s_andn2_b64 s[12:13], s[34:35], exec
	s_and_b64 s[34:35], s[72:73], exec
	s_or_b64 s[34:35], s[12:13], s[34:35]
	s_andn2_b64 s[12:13], s[46:47], exec
	s_and_b64 s[46:47], s[52:53], exec
	s_or_b64 s[46:47], s[12:13], s[46:47]
	;; [unrolled: 3-line block ×3, first 2 shown]
	s_and_b64 s[50:51], s[2:3], exec
	v_pk_mov_b32 v[38:39], v[40:41], v[40:41] op_sel:[0,1]
.LBB156_274:                            ;   in Loop: Header=BB156_6 Depth=1
	s_or_b64 exec, exec, s[48:49]
	s_and_b64 s[12:13], s[34:35], exec
	s_and_b64 s[4:5], s[46:47], exec
	;; [unrolled: 1-line block ×3, first 2 shown]
	s_orn2_b64 s[36:37], s[50:51], exec
.LBB156_275:                            ;   in Loop: Header=BB156_6 Depth=1
	s_or_b64 exec, exec, s[6:7]
	s_mov_b64 s[6:7], 0
	s_mov_b64 s[34:35], 0
	s_and_saveexec_b64 s[46:47], s[36:37]
	s_xor_b64 s[36:37], exec, s[46:47]
; %bb.276:                              ;   in Loop: Header=BB156_6 Depth=1
	v_cmp_eq_u32_e32 vcc, 8, v3
	v_cmp_ne_u32_e64 s[6:7], 8, v3
	s_andn2_b64 s[12:13], s[12:13], exec
	s_andn2_b64 s[4:5], s[4:5], exec
	;; [unrolled: 1-line block ×3, first 2 shown]
	s_and_b64 s[34:35], s[6:7], exec
	s_and_b64 s[6:7], vcc, exec
; %bb.277:                              ;   in Loop: Header=BB156_6 Depth=1
	s_or_b64 exec, exec, s[36:37]
	s_andn2_b64 s[24:25], s[24:25], exec
	s_and_b64 s[12:13], s[12:13], exec
	s_or_b64 s[24:25], s[24:25], s[12:13]
	s_andn2_b64 s[12:13], s[40:41], exec
	s_and_b64 s[4:5], s[4:5], exec
	s_or_b64 s[40:41], s[12:13], s[4:5]
	;; [unrolled: 3-line block ×3, first 2 shown]
	s_and_b64 s[34:35], s[34:35], exec
	s_and_b64 s[36:37], s[6:7], exec
.LBB156_278:                            ;   in Loop: Header=BB156_6 Depth=1
	s_or_b64 exec, exec, s[44:45]
	s_and_b64 vcc, exec, s[42:43]
	s_cbranch_vccz .LBB156_94
.LBB156_279:                            ;   in Loop: Header=BB156_6 Depth=1
	s_cmp_eq_u64 s[28:29], 1
	s_cselect_b64 s[2:3], -1, 0
	s_and_b64 s[2:3], s[2:3], s[14:15]
	s_mov_b64 s[6:7], -1
                                        ; implicit-def: $sgpr14_sgpr15
                                        ; implicit-def: $sgpr42_sgpr43
                                        ; implicit-def: $sgpr24_sgpr25
	s_and_saveexec_b64 s[4:5], s[2:3]
	s_cbranch_execz .LBB156_311
; %bb.280:                              ;   in Loop: Header=BB156_6 Depth=1
	s_waitcnt vmcnt(0)
	ds_read_b64 v[4:5], v21 offset:5120
	s_waitcnt lgkmcnt(0)
	s_barrier
	v_readfirstlane_b32 s6, v4
	v_readfirstlane_b32 s7, v5
	s_mov_b64 s[12:13], exec
	v_readlane_b32 s14, v62, 26
	v_readlane_b32 s15, v62, 27
	s_and_b64 s[14:15], s[12:13], s[14:15]
	s_mov_b64 exec, s[14:15]
	s_cbranch_execz .LBB156_282
; %bb.281:                              ;   in Loop: Header=BB156_6 Depth=1
	v_mov_b32_e32 v20, v21
	ds_write_b64 v50, v[20:21]
.LBB156_282:                            ;   in Loop: Header=BB156_6 Depth=1
	s_or_b64 exec, exec, s[12:13]
	v_or_b32_e32 v35, s19, v35
	v_or_b32_e32 v34, s18, v34
	;; [unrolled: 1-line block ×4, first 2 shown]
	s_cmp_eq_u64 s[6:7], 0
	s_waitcnt lgkmcnt(0)
	s_barrier
	s_cbranch_scc1 .LBB156_294
; %bb.283:                              ;   in Loop: Header=BB156_6 Depth=1
	v_readlane_b32 s12, v62, 30
	s_add_u32 s24, s12, s6
	v_readlane_b32 s12, v62, 32
	s_addc_u32 s13, s12, s7
	s_mov_b32 s12, s83
	s_cmp_lg_u64 s[12:13], 0
	s_cbranch_scc0 .LBB156_338
; %bb.284:                              ;   in Loop: Header=BB156_6 Depth=1
	v_cvt_f32_u32_e32 v3, s33
	s_sub_u32 s12, 0, s33
	s_subb_u32 s14, 0, 0
	v_mac_f32_e32 v3, 0, v53
	v_rcp_f32_e32 v3, v3
	v_mul_f32_e32 v3, 0x5f7ffffc, v3
	v_mul_f32_e32 v4, 0x2f800000, v3
	v_trunc_f32_e32 v4, v4
	v_mac_f32_e32 v3, 0xcf800000, v4
	v_cvt_u32_f32_e32 v4, v4
	v_cvt_u32_f32_e32 v3, v3
	v_readfirstlane_b32 s15, v4
	v_readfirstlane_b32 s25, v3
	s_mul_i32 s38, s12, s15
	s_mul_hi_u32 s40, s12, s25
	s_mul_i32 s39, s14, s25
	s_add_i32 s38, s40, s38
	s_mul_i32 s41, s12, s25
	s_add_i32 s38, s38, s39
	s_mul_hi_u32 s40, s25, s41
	s_mul_hi_u32 s39, s25, s38
	s_mul_i32 s25, s25, s38
	s_add_u32 s25, s40, s25
	s_addc_u32 s39, 0, s39
	s_mul_hi_u32 s42, s15, s41
	s_mul_i32 s41, s15, s41
	s_add_u32 s25, s25, s41
	s_mul_hi_u32 s40, s15, s38
	s_addc_u32 s25, s39, s42
	s_addc_u32 s39, s40, 0
	s_mul_i32 s38, s15, s38
	s_add_u32 s25, s25, s38
	s_addc_u32 s38, 0, s39
	v_add_co_u32_e32 v3, vcc, s25, v3
	s_cmp_lg_u64 vcc, 0
	s_addc_u32 s15, s15, s38
	v_readfirstlane_b32 s38, v3
	s_mul_i32 s25, s12, s15
	s_mul_hi_u32 s39, s12, s38
	s_add_i32 s25, s39, s25
	s_mul_i32 s14, s14, s38
	s_add_i32 s25, s25, s14
	s_mul_i32 s12, s12, s38
	s_mul_hi_u32 s39, s15, s12
	s_mul_i32 s40, s15, s12
	s_mul_i32 s42, s38, s25
	s_mul_hi_u32 s12, s38, s12
	s_mul_hi_u32 s41, s38, s25
	s_add_u32 s12, s12, s42
	s_addc_u32 s38, 0, s41
	s_add_u32 s12, s12, s40
	s_mul_hi_u32 s14, s15, s25
	s_addc_u32 s12, s38, s39
	s_addc_u32 s14, s14, 0
	s_mul_i32 s25, s15, s25
	s_add_u32 s12, s12, s25
	s_addc_u32 s14, 0, s14
	v_add_co_u32_e32 v3, vcc, s12, v3
	s_cmp_lg_u64 vcc, 0
	s_addc_u32 s12, s15, s14
	v_readfirstlane_b32 s25, v3
	s_mul_i32 s15, s24, s12
	s_mul_hi_u32 s38, s24, s25
	s_mul_hi_u32 s14, s24, s12
	s_add_u32 s15, s38, s15
	s_addc_u32 s14, 0, s14
	s_mul_hi_u32 s39, s13, s25
	s_mul_i32 s25, s13, s25
	s_add_u32 s15, s15, s25
	s_mul_hi_u32 s38, s13, s12
	s_addc_u32 s14, s14, s39
	s_addc_u32 s15, s38, 0
	s_mul_i32 s12, s13, s12
	s_add_u32 s12, s14, s12
	s_addc_u32 s14, 0, s15
	s_mul_hi_u32 s15, s33, s12
	s_mul_i32 s12, s33, s12
	s_mul_i32 s14, s33, s14
	v_mov_b32_e32 v3, s12
	s_add_i32 s15, s15, s14
	v_sub_co_u32_e32 v3, vcc, s24, v3
	s_cmp_lg_u64 vcc, 0
	s_subb_u32 s12, s13, s15
	v_subrev_co_u32_e32 v4, vcc, s33, v3
	s_cmp_lg_u64 vcc, 0
	s_subb_u32 s14, s12, 0
	v_subrev_co_u32_e32 v5, vcc, s33, v4
	s_cmp_lg_u64 vcc, 0
	s_subb_u32 s15, s14, 0
	v_cmp_le_u32_e32 vcc, s33, v4
	s_cmp_eq_u32 s14, 0
	v_cndmask_b32_e64 v6, 0, -1, vcc
	s_cselect_b64 vcc, -1, 0
	v_cndmask_b32_e32 v6, -1, v6, vcc
	v_mov_b32_e32 v7, s14
	v_mov_b32_e32 v8, s15
	v_cmp_ne_u32_e32 vcc, 0, v6
	v_cndmask_b32_e32 v6, v7, v8, vcc
	v_cndmask_b32_e32 v4, v4, v5, vcc
	v_cmp_le_u32_e32 vcc, s33, v3
	s_cmp_eq_u32 s12, 0
	v_cndmask_b32_e64 v5, 0, -1, vcc
	s_cselect_b64 vcc, -1, 0
	v_cndmask_b32_e32 v5, -1, v5, vcc
	v_mov_b32_e32 v7, s12
	v_cmp_ne_u32_e32 vcc, 0, v5
	v_cndmask_b32_e32 v5, v7, v6, vcc
	v_cndmask_b32_e32 v4, v3, v4, vcc
	s_cbranch_execnz .LBB156_286
.LBB156_285:                            ;   in Loop: Header=BB156_6 Depth=1
	v_cvt_f32_u32_e32 v3, s33
	s_sub_i32 s12, 0, s33
	v_rcp_iflag_f32_e32 v3, v3
	v_mul_f32_e32 v3, 0x4f7ffffe, v3
	v_cvt_u32_f32_e32 v3, v3
	v_mul_lo_u32 v4, s12, v3
	v_mul_hi_u32 v4, v3, v4
	v_add_u32_e32 v3, v3, v4
	v_mul_hi_u32 v3, s24, v3
	v_mul_lo_u32 v3, v3, s33
	v_sub_u32_e32 v3, s24, v3
	v_subrev_u32_e32 v4, s33, v3
	v_cmp_le_u32_e32 vcc, s33, v3
	v_cndmask_b32_e32 v3, v3, v4, vcc
	v_subrev_u32_e32 v4, s33, v3
	v_cmp_le_u32_e32 vcc, s33, v3
	v_cndmask_b32_e32 v20, v3, v4, vcc
	v_pk_mov_b32 v[4:5], v[20:21], v[20:21] op_sel:[0,1]
.LBB156_286:                            ;   in Loop: Header=BB156_6 Depth=1
	v_mov_b32_e32 v3, s13
	v_sub_co_u32_e32 v8, vcc, s24, v4
	v_subb_co_u32_e32 v9, vcc, v3, v5, vcc
	v_cmp_gt_u64_e32 vcc, v[8:9], v[0:1]
	s_mov_b64 s[38:39], 0
                                        ; implicit-def: $vgpr6_vgpr7
	s_and_saveexec_b64 s[12:13], vcc
	s_cbranch_execz .LBB156_296
; %bb.287:                              ;   in Loop: Header=BB156_6 Depth=1
	s_mov_b64 s[24:25], 0
	v_mov_b32_e32 v12, v49
	v_pk_mov_b32 v[10:11], v[0:1], v[0:1] op_sel:[0,1]
                                        ; implicit-def: $sgpr14_sgpr15
	s_branch .LBB156_289
.LBB156_288:                            ;   in Loop: Header=BB156_289 Depth=2
	s_or_b64 exec, exec, s[38:39]
	s_waitcnt lgkmcnt(0)
	s_barrier
	ds_read_b128 v[4:7], v21 offset:3072
	v_mov_b32_e32 v3, s0
	v_add_co_u32_e32 v10, vcc, s33, v10
	v_addc_co_u32_e32 v11, vcc, v11, v3, vcc
	s_waitcnt lgkmcnt(0)
	v_readfirstlane_b32 s39, v5
	v_readfirstlane_b32 s38, v4
	s_cmp_lg_u64 s[38:39], 0
	s_cselect_b64 s[38:39], -1, 0
	v_cmp_ge_u64_e32 vcc, v[10:11], v[8:9]
	s_or_b64 s[40:41], vcc, s[38:39]
	s_and_b64 s[40:41], exec, s[40:41]
	s_or_b64 s[24:25], s[40:41], s[24:25]
	s_andn2_b64 s[14:15], s[14:15], exec
	s_and_b64 s[38:39], s[38:39], exec
	v_add_u32_e32 v12, s88, v12
	s_or_b64 s[14:15], s[14:15], s[38:39]
	s_barrier
	s_andn2_b64 exec, exec, s[24:25]
	s_cbranch_execz .LBB156_295
.LBB156_289:                            ;   Parent Loop BB156_6 Depth=1
                                        ; =>  This Inner Loop Header: Depth=2
	v_cmp_gt_u64_e32 vcc, s[6:7], v[10:11]
	v_pk_mov_b32 v[4:5], 0, 0
	s_and_saveexec_b64 s[38:39], vcc
	s_cbranch_execz .LBB156_291
; %bb.290:                              ;   in Loop: Header=BB156_289 Depth=2
	ds_read_b64 v[4:5], v12
.LBB156_291:                            ;   in Loop: Header=BB156_289 Depth=2
	s_or_b64 exec, exec, s[38:39]
	s_and_saveexec_b64 s[38:39], vcc
	s_cbranch_execz .LBB156_288
; %bb.292:                              ;   in Loop: Header=BB156_289 Depth=2
	s_waitcnt lgkmcnt(0)
	v_xor_b32_e32 v3, 0x80000000, v5
	v_and_b32_e32 v7, v3, v33
	v_and_b32_e32 v6, v4, v32
	v_cmp_eq_u64_e32 vcc, v[6:7], v[34:35]
	s_and_b64 exec, exec, vcc
	s_cbranch_execz .LBB156_288
; %bb.293:                              ;   in Loop: Header=BB156_289 Depth=2
	v_mov_b32_e32 v3, v21
	ds_write_b128 v21, v[2:5] offset:3072
	s_branch .LBB156_288
.LBB156_294:                            ;   in Loop: Header=BB156_6 Depth=1
	s_mov_b64 s[14:15], -1
	s_mov_b64 s[38:39], 0
                                        ; implicit-def: $sgpr42_sgpr43
                                        ; implicit-def: $vgpr6_vgpr7
	s_mov_b64 s[24:25], s[14:15]
	s_cbranch_execnz .LBB156_297
	s_branch .LBB156_310
.LBB156_295:                            ;   in Loop: Header=BB156_6 Depth=1
	s_or_b64 exec, exec, s[24:25]
	s_and_b64 s[38:39], s[14:15], exec
.LBB156_296:                            ;   in Loop: Header=BB156_6 Depth=1
	s_or_b64 exec, exec, s[12:13]
	s_mov_b64 s[14:15], 0
	s_mov_b64 s[42:43], -1
	s_mov_b64 s[24:25], s[14:15]
	s_branch .LBB156_310
.LBB156_297:                            ;   in Loop: Header=BB156_6 Depth=1
	v_readlane_b32 s38, v62, 33
	v_readlane_b32 s39, v62, 34
	s_mov_b32 s38, s83
	s_cmp_lg_u64 s[38:39], 0
	v_writelane_b32 v62, s38, 33
	v_writelane_b32 v62, s39, 34
	s_cbranch_scc0 .LBB156_339
; %bb.298:                              ;   in Loop: Header=BB156_6 Depth=1
	v_cvt_f32_u32_e32 v3, s33
	s_sub_u32 s6, 0, s33
	s_subb_u32 s7, 0, 0
	v_mac_f32_e32 v3, 0, v53
	v_rcp_f32_e32 v3, v3
	v_mul_f32_e32 v3, 0x5f7ffffc, v3
	v_mul_f32_e32 v4, 0x2f800000, v3
	v_trunc_f32_e32 v4, v4
	v_mac_f32_e32 v3, 0xcf800000, v4
	v_cvt_u32_f32_e32 v4, v4
	v_cvt_u32_f32_e32 v3, v3
	v_readfirstlane_b32 s12, v4
	v_readfirstlane_b32 s13, v3
	s_mul_i32 s14, s6, s12
	s_mul_hi_u32 s24, s6, s13
	s_mul_i32 s15, s7, s13
	s_add_i32 s14, s24, s14
	s_mul_i32 s25, s6, s13
	s_add_i32 s14, s14, s15
	s_mul_hi_u32 s24, s13, s25
	s_mul_hi_u32 s15, s13, s14
	s_mul_i32 s13, s13, s14
	s_add_u32 s13, s24, s13
	s_addc_u32 s15, 0, s15
	s_mul_hi_u32 s38, s12, s25
	s_mul_i32 s25, s12, s25
	s_add_u32 s13, s13, s25
	s_mul_hi_u32 s24, s12, s14
	s_addc_u32 s13, s15, s38
	s_addc_u32 s15, s24, 0
	s_mul_i32 s14, s12, s14
	s_add_u32 s13, s13, s14
	s_addc_u32 s14, 0, s15
	v_add_co_u32_e32 v3, vcc, s13, v3
	s_cmp_lg_u64 vcc, 0
	s_addc_u32 s12, s12, s14
	v_readfirstlane_b32 s14, v3
	s_mul_i32 s13, s6, s12
	s_mul_hi_u32 s15, s6, s14
	s_add_i32 s13, s15, s13
	s_mul_i32 s7, s7, s14
	s_add_i32 s13, s13, s7
	s_mul_i32 s6, s6, s14
	s_mul_hi_u32 s15, s12, s6
	s_mul_i32 s24, s12, s6
	s_mul_i32 s38, s14, s13
	s_mul_hi_u32 s6, s14, s6
	s_mul_hi_u32 s25, s14, s13
	s_add_u32 s6, s6, s38
	s_addc_u32 s14, 0, s25
	s_add_u32 s6, s6, s24
	s_mul_hi_u32 s7, s12, s13
	s_addc_u32 s6, s14, s15
	s_addc_u32 s7, s7, 0
	s_mul_i32 s13, s12, s13
	s_add_u32 s6, s6, s13
	s_addc_u32 s7, 0, s7
	v_add_co_u32_e32 v3, vcc, s6, v3
	s_cmp_lg_u64 vcc, 0
	s_addc_u32 s6, s12, s7
	v_readlane_b32 s24, v62, 31
	v_readfirstlane_b32 s13, v3
	s_mul_i32 s12, s24, s6
	s_mul_hi_u32 s14, s24, s13
	s_mul_hi_u32 s7, s24, s6
	s_add_u32 s12, s14, s12
	s_addc_u32 s7, 0, s7
	s_mul_hi_u32 s15, s39, s13
	s_mul_i32 s13, s39, s13
	s_add_u32 s12, s12, s13
	s_mul_hi_u32 s14, s39, s6
	s_addc_u32 s7, s7, s15
	s_addc_u32 s12, s14, 0
	s_mul_i32 s6, s39, s6
	s_add_u32 s6, s7, s6
	s_addc_u32 s7, 0, s12
	s_mul_hi_u32 s12, s33, s6
	s_mul_i32 s6, s33, s6
	s_mul_i32 s7, s33, s7
	v_mov_b32_e32 v3, s6
	s_add_i32 s12, s12, s7
	v_sub_co_u32_e32 v3, vcc, s24, v3
	s_cmp_lg_u64 vcc, 0
	s_subb_u32 s6, s39, s12
	v_subrev_co_u32_e32 v4, vcc, s33, v3
	s_cmp_lg_u64 vcc, 0
	s_subb_u32 s7, s6, 0
	v_subrev_co_u32_e32 v5, vcc, s33, v4
	s_cmp_lg_u64 vcc, 0
	s_subb_u32 s12, s7, 0
	v_cmp_le_u32_e32 vcc, s33, v4
	s_cmp_eq_u32 s7, 0
	v_cndmask_b32_e64 v6, 0, -1, vcc
	s_cselect_b64 vcc, -1, 0
	v_cndmask_b32_e32 v6, -1, v6, vcc
	v_mov_b32_e32 v7, s7
	v_mov_b32_e32 v8, s12
	v_cmp_ne_u32_e32 vcc, 0, v6
	v_cndmask_b32_e32 v6, v7, v8, vcc
	v_cndmask_b32_e32 v4, v4, v5, vcc
	v_cmp_le_u32_e32 vcc, s33, v3
	s_cmp_eq_u32 s6, 0
	v_cndmask_b32_e64 v5, 0, -1, vcc
	s_cselect_b64 vcc, -1, 0
	v_cndmask_b32_e32 v5, -1, v5, vcc
	v_mov_b32_e32 v7, s6
	v_cmp_ne_u32_e32 vcc, 0, v5
	v_cndmask_b32_e32 v5, v7, v6, vcc
	v_cndmask_b32_e32 v4, v3, v4, vcc
	s_cbranch_execnz .LBB156_300
.LBB156_299:                            ;   in Loop: Header=BB156_6 Depth=1
	v_cvt_f32_u32_e32 v3, s33
	s_sub_i32 s6, 0, s33
	v_rcp_iflag_f32_e32 v3, v3
	v_mul_f32_e32 v3, 0x4f7ffffe, v3
	v_cvt_u32_f32_e32 v3, v3
	v_mul_lo_u32 v4, s6, v3
	v_mul_hi_u32 v4, v3, v4
	v_add_u32_e32 v3, v3, v4
	v_readlane_b32 s6, v62, 31
	v_mul_hi_u32 v3, s6, v3
	v_mul_lo_u32 v3, v3, s33
	v_sub_u32_e32 v3, s6, v3
	v_subrev_u32_e32 v4, s33, v3
	v_cmp_le_u32_e32 vcc, s33, v3
	v_cndmask_b32_e32 v3, v3, v4, vcc
	v_subrev_u32_e32 v4, s33, v3
	v_cmp_le_u32_e32 vcc, s33, v3
	v_cndmask_b32_e32 v20, v3, v4, vcc
	v_pk_mov_b32 v[4:5], v[20:21], v[20:21] op_sel:[0,1]
.LBB156_300:                            ;   in Loop: Header=BB156_6 Depth=1
	v_readlane_b32 s6, v62, 33
	v_readlane_b32 s7, v62, 34
	;; [unrolled: 1-line block ×3, first 2 shown]
	v_mov_b32_e32 v3, s7
	v_sub_co_u32_e32 v8, vcc, s6, v4
	v_subb_co_u32_e32 v9, vcc, v3, v5, vcc
	v_cmp_gt_u64_e32 vcc, v[8:9], v[0:1]
	s_mov_b64 s[38:39], 0
                                        ; implicit-def: $vgpr6_vgpr7
	s_and_saveexec_b64 s[6:7], vcc
	s_cbranch_execz .LBB156_309
; %bb.301:                              ;   in Loop: Header=BB156_6 Depth=1
	s_mov_b64 s[14:15], 0
	v_pk_mov_b32 v[10:11], v[18:19], v[18:19] op_sel:[0,1]
	v_pk_mov_b32 v[12:13], v[0:1], v[0:1] op_sel:[0,1]
                                        ; implicit-def: $sgpr12_sgpr13
	s_branch .LBB156_303
.LBB156_302:                            ;   in Loop: Header=BB156_303 Depth=2
	s_or_b64 exec, exec, s[24:25]
	s_waitcnt lgkmcnt(0)
	s_barrier
	s_waitcnt vmcnt(0)
	ds_read_b128 v[4:7], v21 offset:3072
	v_mov_b32_e32 v3, s0
	v_add_co_u32_e32 v12, vcc, s33, v12
	v_addc_co_u32_e32 v13, vcc, v13, v3, vcc
	s_waitcnt lgkmcnt(0)
	v_readfirstlane_b32 s25, v5
	v_readfirstlane_b32 s24, v4
	s_cmp_lg_u64 s[24:25], 0
	s_cselect_b64 s[24:25], -1, 0
	v_cmp_ge_u64_e32 vcc, v[12:13], v[8:9]
	s_or_b64 s[38:39], vcc, s[24:25]
	s_and_b64 s[38:39], exec, s[38:39]
	s_or_b64 s[14:15], s[38:39], s[14:15]
	v_mov_b32_e32 v3, s61
	v_add_co_u32_e32 v10, vcc, s60, v10
	s_andn2_b64 s[12:13], s[12:13], exec
	s_and_b64 s[24:25], s[24:25], exec
	v_addc_co_u32_e32 v11, vcc, v11, v3, vcc
	s_or_b64 s[12:13], s[12:13], s[24:25]
	s_barrier
	s_andn2_b64 exec, exec, s[14:15]
	s_cbranch_execz .LBB156_308
.LBB156_303:                            ;   Parent Loop BB156_6 Depth=1
                                        ; =>  This Inner Loop Header: Depth=2
	v_cmp_gt_u64_e32 vcc, s[56:57], v[12:13]
	v_pk_mov_b32 v[4:5], 0, 0
	s_and_saveexec_b64 s[24:25], vcc
	s_cbranch_execz .LBB156_305
; %bb.304:                              ;   in Loop: Header=BB156_303 Depth=2
	global_load_dwordx2 v[4:5], v[10:11], off
.LBB156_305:                            ;   in Loop: Header=BB156_303 Depth=2
	s_or_b64 exec, exec, s[24:25]
	s_and_saveexec_b64 s[24:25], vcc
	s_cbranch_execz .LBB156_302
; %bb.306:                              ;   in Loop: Header=BB156_303 Depth=2
	s_waitcnt vmcnt(0)
	v_xor_b32_e32 v3, 0x80000000, v5
	v_and_b32_e32 v7, v3, v33
	v_and_b32_e32 v6, v4, v32
	v_cmp_eq_u64_e32 vcc, v[6:7], v[34:35]
	s_and_b64 exec, exec, vcc
	s_cbranch_execz .LBB156_302
; %bb.307:                              ;   in Loop: Header=BB156_303 Depth=2
	v_mov_b32_e32 v3, v21
	ds_write_b128 v21, v[2:5] offset:3072
	s_branch .LBB156_302
.LBB156_308:                            ;   in Loop: Header=BB156_6 Depth=1
	s_or_b64 exec, exec, s[14:15]
	s_and_b64 s[38:39], s[12:13], exec
.LBB156_309:                            ;   in Loop: Header=BB156_6 Depth=1
	s_or_b64 exec, exec, s[6:7]
	s_mov_b64 s[42:43], 0
	s_mov_b64 s[14:15], -1
	s_mov_b64 s[24:25], 0
.LBB156_310:                            ;   in Loop: Header=BB156_6 Depth=1
	s_orn2_b64 s[6:7], s[38:39], exec
.LBB156_311:                            ;   in Loop: Header=BB156_6 Depth=1
	s_or_b64 exec, exec, s[4:5]
                                        ; implicit-def: $vgpr3
                                        ; implicit-def: $vgpr38_vgpr39
                                        ; implicit-def: $vgpr12_vgpr13
                                        ; implicit-def: $vgpr14_vgpr15
                                        ; implicit-def: $vgpr10_vgpr11
	s_and_saveexec_b64 s[38:39], s[6:7]
	s_cbranch_execz .LBB156_474
; %bb.312:                              ;   in Loop: Header=BB156_6 Depth=1
	s_waitcnt vmcnt(0)
	v_mov_b32_e32 v38, 1
	s_xor_b64 s[4:5], s[2:3], -1
	s_mov_b64 s[6:7], 0
	v_mov_b32_e32 v39, 0
	v_mov_b32_e32 v3, 1
	s_and_saveexec_b64 s[2:3], s[4:5]
	s_cbranch_execz .LBB156_322
; %bb.313:                              ;   in Loop: Header=BB156_6 Depth=1
	v_cmp_ge_u64_e32 vcc, s[28:29], v[36:37]
                                        ; implicit-def: $sgpr12
                                        ; implicit-def: $sgpr4_sgpr5
	s_and_saveexec_b64 s[6:7], vcc
	s_xor_b64 s[6:7], exec, s[6:7]
	s_cbranch_execz .LBB156_319
; %bb.314:                              ;   in Loop: Header=BB156_6 Depth=1
	ds_read_b64 v[4:5], v21 offset:5120
	s_waitcnt lgkmcnt(0)
	v_cmp_ne_u64_e32 vcc, 0, v[4:5]
	s_cbranch_vccnz .LBB156_318
; %bb.315:                              ;   in Loop: Header=BB156_6 Depth=1
	s_mov_b64 s[4:5], exec
	v_readlane_b32 s12, v62, 8
	v_readlane_b32 s13, v62, 9
	s_and_b64 s[12:13], s[4:5], s[12:13]
	s_mov_b64 exec, s[12:13]
	s_cbranch_execz .LBB156_317
; %bb.316:                              ;   in Loop: Header=BB156_6 Depth=1
	v_pk_mov_b32 v[4:5], s[28:29], s[28:29] op_sel:[0,1]
	ds_write_b64 v21, v[4:5] offset:5128
.LBB156_317:                            ;   in Loop: Header=BB156_6 Depth=1
	s_or_b64 exec, exec, s[4:5]
	s_waitcnt lgkmcnt(0)
	s_barrier
.LBB156_318:                            ;   in Loop: Header=BB156_6 Depth=1
	v_or_b32_e32 v35, s19, v35
	v_or_b32_e32 v34, s18, v34
	;; [unrolled: 1-line block ×4, first 2 shown]
	s_mov_b64 s[4:5], 0
	s_mov_b32 s12, 5
.LBB156_319:                            ;   in Loop: Header=BB156_6 Depth=1
	s_or_saveexec_b64 s[6:7], s[6:7]
	v_mov_b32_e32 v3, s12
	s_xor_b64 exec, exec, s[6:7]
; %bb.320:                              ;   in Loop: Header=BB156_6 Depth=1
	v_mov_b32_e32 v3, s29
	v_subrev_co_u32_e32 v36, vcc, s28, v36
	v_subb_co_u32_e32 v37, vcc, v37, v3, vcc
	v_mov_b32_e32 v3, 0
	s_or_b64 s[4:5], s[4:5], exec
; %bb.321:                              ;   in Loop: Header=BB156_6 Depth=1
	s_or_b64 exec, exec, s[6:7]
	s_and_b64 s[6:7], s[4:5], exec
	v_pk_mov_b32 v[38:39], v[36:37], v[36:37] op_sel:[0,1]
.LBB156_322:                            ;   in Loop: Header=BB156_6 Depth=1
	s_or_b64 exec, exec, s[2:3]
	s_mov_b64 s[28:29], -1
                                        ; implicit-def: $sgpr2_sgpr3
                                        ; implicit-def: $sgpr4_sgpr5
                                        ; implicit-def: $sgpr12_sgpr13
	s_and_saveexec_b64 s[40:41], s[6:7]
	s_xor_b64 s[6:7], exec, s[40:41]
	s_cbranch_execz .LBB156_471
; %bb.323:                              ;   in Loop: Header=BB156_6 Depth=1
	s_cmp_eq_u64 s[26:27], 1
	s_cselect_b64 s[2:3], -1, 0
	v_cmp_eq_u64_e32 vcc, 1, v[38:39]
	s_and_b64 s[2:3], s[2:3], vcc
	s_mov_b64 s[12:13], -1
                                        ; implicit-def: $sgpr28_sgpr29
                                        ; implicit-def: $sgpr40_sgpr41
                                        ; implicit-def: $sgpr44_sgpr45
	s_and_saveexec_b64 s[4:5], s[2:3]
	s_cbranch_execz .LBB156_357
; %bb.324:                              ;   in Loop: Header=BB156_6 Depth=1
	ds_read_b64 v[4:5], v21 offset:5120
	s_waitcnt lgkmcnt(0)
	s_barrier
	v_readfirstlane_b32 s12, v4
	v_readfirstlane_b32 s13, v5
	s_mov_b64 s[28:29], exec
	v_readlane_b32 s40, v62, 26
	v_readlane_b32 s41, v62, 27
	s_and_b64 s[40:41], s[28:29], s[40:41]
	s_mov_b64 exec, s[40:41]
	s_cbranch_execz .LBB156_326
; %bb.325:                              ;   in Loop: Header=BB156_6 Depth=1
	v_mov_b32_e32 v20, v21
	ds_write_b64 v50, v[20:21]
.LBB156_326:                            ;   in Loop: Header=BB156_6 Depth=1
	s_or_b64 exec, exec, s[28:29]
	s_lshl_b64 s[28:29], 2, s82
	v_and_b32_e32 v3, s21, v35
	v_and_b32_e32 v4, s20, v34
	v_or_b32_e32 v35, s29, v3
	v_or_b32_e32 v34, s28, v4
	;; [unrolled: 1-line block ×4, first 2 shown]
	s_cmp_eq_u64 s[12:13], 0
	s_waitcnt lgkmcnt(0)
	s_barrier
	s_cbranch_scc1 .LBB156_340
; %bb.327:                              ;   in Loop: Header=BB156_6 Depth=1
	v_readlane_b32 s28, v62, 30
	s_add_u32 s44, s28, s12
	v_readlane_b32 s28, v62, 32
	s_addc_u32 s29, s28, s13
	s_mov_b32 s28, s83
	s_cmp_lg_u64 s[28:29], 0
	s_cbranch_scc0 .LBB156_384
; %bb.328:                              ;   in Loop: Header=BB156_6 Depth=1
	v_cvt_f32_u32_e32 v3, s33
	s_sub_u32 s28, 0, s33
	s_subb_u32 s40, 0, 0
	v_mac_f32_e32 v3, 0, v53
	v_rcp_f32_e32 v3, v3
	v_mul_f32_e32 v3, 0x5f7ffffc, v3
	v_mul_f32_e32 v4, 0x2f800000, v3
	v_trunc_f32_e32 v4, v4
	v_mac_f32_e32 v3, 0xcf800000, v4
	v_cvt_u32_f32_e32 v4, v4
	v_cvt_u32_f32_e32 v3, v3
	v_readfirstlane_b32 s41, v4
	v_readfirstlane_b32 s45, v3
	s_mul_i32 s46, s28, s41
	s_mul_hi_u32 s48, s28, s45
	s_mul_i32 s47, s40, s45
	s_add_i32 s46, s48, s46
	s_mul_i32 s49, s28, s45
	s_add_i32 s46, s46, s47
	s_mul_hi_u32 s48, s45, s49
	s_mul_hi_u32 s47, s45, s46
	s_mul_i32 s45, s45, s46
	s_add_u32 s45, s48, s45
	s_addc_u32 s47, 0, s47
	s_mul_hi_u32 s50, s41, s49
	s_mul_i32 s49, s41, s49
	s_add_u32 s45, s45, s49
	s_mul_hi_u32 s48, s41, s46
	s_addc_u32 s45, s47, s50
	s_addc_u32 s47, s48, 0
	s_mul_i32 s46, s41, s46
	s_add_u32 s45, s45, s46
	s_addc_u32 s46, 0, s47
	v_add_co_u32_e32 v3, vcc, s45, v3
	s_cmp_lg_u64 vcc, 0
	s_addc_u32 s41, s41, s46
	v_readfirstlane_b32 s46, v3
	s_mul_i32 s45, s28, s41
	s_mul_hi_u32 s47, s28, s46
	s_add_i32 s45, s47, s45
	s_mul_i32 s40, s40, s46
	s_add_i32 s45, s45, s40
	s_mul_i32 s28, s28, s46
	s_mul_hi_u32 s47, s41, s28
	s_mul_i32 s48, s41, s28
	s_mul_i32 s50, s46, s45
	s_mul_hi_u32 s28, s46, s28
	s_mul_hi_u32 s49, s46, s45
	s_add_u32 s28, s28, s50
	s_addc_u32 s46, 0, s49
	s_add_u32 s28, s28, s48
	s_mul_hi_u32 s40, s41, s45
	s_addc_u32 s28, s46, s47
	s_addc_u32 s40, s40, 0
	s_mul_i32 s45, s41, s45
	s_add_u32 s28, s28, s45
	s_addc_u32 s40, 0, s40
	v_add_co_u32_e32 v3, vcc, s28, v3
	s_cmp_lg_u64 vcc, 0
	s_addc_u32 s28, s41, s40
	v_readfirstlane_b32 s45, v3
	s_mul_i32 s41, s44, s28
	s_mul_hi_u32 s46, s44, s45
	s_mul_hi_u32 s40, s44, s28
	s_add_u32 s41, s46, s41
	s_addc_u32 s40, 0, s40
	s_mul_hi_u32 s47, s29, s45
	s_mul_i32 s45, s29, s45
	s_add_u32 s41, s41, s45
	s_mul_hi_u32 s46, s29, s28
	s_addc_u32 s40, s40, s47
	s_addc_u32 s41, s46, 0
	s_mul_i32 s28, s29, s28
	s_add_u32 s28, s40, s28
	s_addc_u32 s40, 0, s41
	s_mul_hi_u32 s41, s33, s28
	s_mul_i32 s28, s33, s28
	s_mul_i32 s40, s33, s40
	v_mov_b32_e32 v3, s28
	s_add_i32 s41, s41, s40
	v_sub_co_u32_e32 v3, vcc, s44, v3
	s_cmp_lg_u64 vcc, 0
	s_subb_u32 s28, s29, s41
	v_subrev_co_u32_e32 v4, vcc, s33, v3
	s_cmp_lg_u64 vcc, 0
	s_subb_u32 s40, s28, 0
	v_subrev_co_u32_e32 v5, vcc, s33, v4
	s_cmp_lg_u64 vcc, 0
	s_subb_u32 s41, s40, 0
	v_cmp_le_u32_e32 vcc, s33, v4
	s_cmp_eq_u32 s40, 0
	v_cndmask_b32_e64 v6, 0, -1, vcc
	s_cselect_b64 vcc, -1, 0
	v_cndmask_b32_e32 v6, -1, v6, vcc
	v_mov_b32_e32 v7, s40
	v_mov_b32_e32 v8, s41
	v_cmp_ne_u32_e32 vcc, 0, v6
	v_cndmask_b32_e32 v6, v7, v8, vcc
	v_cndmask_b32_e32 v4, v4, v5, vcc
	v_cmp_le_u32_e32 vcc, s33, v3
	s_cmp_eq_u32 s28, 0
	v_cndmask_b32_e64 v5, 0, -1, vcc
	s_cselect_b64 vcc, -1, 0
	v_cndmask_b32_e32 v5, -1, v5, vcc
	v_mov_b32_e32 v7, s28
	v_cmp_ne_u32_e32 vcc, 0, v5
	v_cndmask_b32_e32 v5, v7, v6, vcc
	v_cndmask_b32_e32 v4, v3, v4, vcc
	s_cbranch_execnz .LBB156_330
.LBB156_329:                            ;   in Loop: Header=BB156_6 Depth=1
	v_cvt_f32_u32_e32 v3, s33
	s_sub_i32 s28, 0, s33
	v_rcp_iflag_f32_e32 v3, v3
	v_mul_f32_e32 v3, 0x4f7ffffe, v3
	v_cvt_u32_f32_e32 v3, v3
	v_mul_lo_u32 v4, s28, v3
	v_mul_hi_u32 v4, v3, v4
	v_add_u32_e32 v3, v3, v4
	v_mul_hi_u32 v3, s44, v3
	v_mul_lo_u32 v3, v3, s33
	v_sub_u32_e32 v3, s44, v3
	v_subrev_u32_e32 v4, s33, v3
	v_cmp_le_u32_e32 vcc, s33, v3
	v_cndmask_b32_e32 v3, v3, v4, vcc
	v_subrev_u32_e32 v4, s33, v3
	v_cmp_le_u32_e32 vcc, s33, v3
	v_cndmask_b32_e32 v20, v3, v4, vcc
	v_pk_mov_b32 v[4:5], v[20:21], v[20:21] op_sel:[0,1]
.LBB156_330:                            ;   in Loop: Header=BB156_6 Depth=1
	v_mov_b32_e32 v3, s29
	v_sub_co_u32_e32 v8, vcc, s44, v4
	v_subb_co_u32_e32 v9, vcc, v3, v5, vcc
	v_cmp_gt_u64_e32 vcc, v[8:9], v[0:1]
	s_mov_b64 s[46:47], 0
                                        ; implicit-def: $vgpr6_vgpr7
	s_and_saveexec_b64 s[28:29], vcc
	s_cbranch_execz .LBB156_342
; %bb.331:                              ;   in Loop: Header=BB156_6 Depth=1
	s_mov_b64 s[44:45], 0
	v_mov_b32_e32 v12, v49
	v_pk_mov_b32 v[10:11], v[0:1], v[0:1] op_sel:[0,1]
                                        ; implicit-def: $sgpr40_sgpr41
	s_branch .LBB156_333
.LBB156_332:                            ;   in Loop: Header=BB156_333 Depth=2
	s_or_b64 exec, exec, s[46:47]
	s_waitcnt lgkmcnt(0)
	s_barrier
	ds_read_b128 v[4:7], v21 offset:3072
	v_mov_b32_e32 v3, s0
	v_add_co_u32_e32 v10, vcc, s33, v10
	v_addc_co_u32_e32 v11, vcc, v11, v3, vcc
	s_waitcnt lgkmcnt(0)
	v_readfirstlane_b32 s47, v5
	v_readfirstlane_b32 s46, v4
	s_cmp_lg_u64 s[46:47], 0
	s_cselect_b64 s[46:47], -1, 0
	v_cmp_ge_u64_e32 vcc, v[10:11], v[8:9]
	s_or_b64 s[48:49], vcc, s[46:47]
	s_and_b64 s[48:49], exec, s[48:49]
	s_or_b64 s[44:45], s[48:49], s[44:45]
	s_andn2_b64 s[40:41], s[40:41], exec
	s_and_b64 s[46:47], s[46:47], exec
	v_add_u32_e32 v12, s88, v12
	s_or_b64 s[40:41], s[40:41], s[46:47]
	s_barrier
	s_andn2_b64 exec, exec, s[44:45]
	s_cbranch_execz .LBB156_341
.LBB156_333:                            ;   Parent Loop BB156_6 Depth=1
                                        ; =>  This Inner Loop Header: Depth=2
	v_cmp_gt_u64_e32 vcc, s[12:13], v[10:11]
	v_pk_mov_b32 v[4:5], 0, 0
	s_and_saveexec_b64 s[46:47], vcc
	s_cbranch_execz .LBB156_335
; %bb.334:                              ;   in Loop: Header=BB156_333 Depth=2
	ds_read_b64 v[4:5], v12
.LBB156_335:                            ;   in Loop: Header=BB156_333 Depth=2
	s_or_b64 exec, exec, s[46:47]
	s_and_saveexec_b64 s[46:47], vcc
	s_cbranch_execz .LBB156_332
; %bb.336:                              ;   in Loop: Header=BB156_333 Depth=2
	s_waitcnt lgkmcnt(0)
	v_xor_b32_e32 v3, 0x80000000, v5
	v_and_b32_e32 v7, v3, v33
	v_and_b32_e32 v6, v4, v32
	v_cmp_eq_u64_e32 vcc, v[6:7], v[34:35]
	s_and_b64 exec, exec, vcc
	s_cbranch_execz .LBB156_332
; %bb.337:                              ;   in Loop: Header=BB156_333 Depth=2
	v_mov_b32_e32 v3, v21
	ds_write_b128 v21, v[2:5] offset:3072
	s_branch .LBB156_332
.LBB156_338:                            ;   in Loop: Header=BB156_6 Depth=1
                                        ; implicit-def: $vgpr4_vgpr5
	s_branch .LBB156_285
.LBB156_339:                            ;   in Loop: Header=BB156_6 Depth=1
                                        ; implicit-def: $vgpr4_vgpr5
	s_branch .LBB156_299
.LBB156_340:                            ;   in Loop: Header=BB156_6 Depth=1
	s_mov_b64 s[28:29], -1
	s_mov_b64 s[46:47], 0
                                        ; implicit-def: $sgpr40_sgpr41
                                        ; implicit-def: $vgpr6_vgpr7
	s_mov_b64 s[44:45], s[28:29]
	s_cbranch_execnz .LBB156_343
	s_branch .LBB156_356
.LBB156_341:                            ;   in Loop: Header=BB156_6 Depth=1
	s_or_b64 exec, exec, s[44:45]
	s_and_b64 s[46:47], s[40:41], exec
.LBB156_342:                            ;   in Loop: Header=BB156_6 Depth=1
	s_or_b64 exec, exec, s[28:29]
	s_mov_b64 s[28:29], 0
	s_mov_b64 s[40:41], -1
	s_mov_b64 s[44:45], s[28:29]
	s_branch .LBB156_356
.LBB156_343:                            ;   in Loop: Header=BB156_6 Depth=1
	v_readlane_b32 s46, v62, 33
	v_readlane_b32 s47, v62, 34
	s_mov_b32 s46, s83
	s_cmp_lg_u64 s[46:47], 0
	v_writelane_b32 v62, s46, 33
	v_writelane_b32 v62, s47, 34
	s_cbranch_scc0 .LBB156_385
; %bb.344:                              ;   in Loop: Header=BB156_6 Depth=1
	v_cvt_f32_u32_e32 v3, s33
	s_sub_u32 s12, 0, s33
	s_subb_u32 s13, 0, 0
	v_mac_f32_e32 v3, 0, v53
	v_rcp_f32_e32 v3, v3
	v_mul_f32_e32 v3, 0x5f7ffffc, v3
	v_mul_f32_e32 v4, 0x2f800000, v3
	v_trunc_f32_e32 v4, v4
	v_mac_f32_e32 v3, 0xcf800000, v4
	v_cvt_u32_f32_e32 v4, v4
	v_cvt_u32_f32_e32 v3, v3
	v_readfirstlane_b32 s28, v4
	v_readfirstlane_b32 s29, v3
	s_mul_i32 s40, s12, s28
	s_mul_hi_u32 s44, s12, s29
	s_mul_i32 s41, s13, s29
	s_add_i32 s40, s44, s40
	s_mul_i32 s45, s12, s29
	s_add_i32 s40, s40, s41
	s_mul_hi_u32 s44, s29, s45
	s_mul_hi_u32 s41, s29, s40
	s_mul_i32 s29, s29, s40
	s_add_u32 s29, s44, s29
	s_addc_u32 s41, 0, s41
	s_mul_hi_u32 s46, s28, s45
	s_mul_i32 s45, s28, s45
	s_add_u32 s29, s29, s45
	s_mul_hi_u32 s44, s28, s40
	s_addc_u32 s29, s41, s46
	s_addc_u32 s41, s44, 0
	s_mul_i32 s40, s28, s40
	s_add_u32 s29, s29, s40
	s_addc_u32 s40, 0, s41
	v_add_co_u32_e32 v3, vcc, s29, v3
	s_cmp_lg_u64 vcc, 0
	s_addc_u32 s28, s28, s40
	v_readfirstlane_b32 s40, v3
	s_mul_i32 s29, s12, s28
	s_mul_hi_u32 s41, s12, s40
	s_add_i32 s29, s41, s29
	s_mul_i32 s13, s13, s40
	s_add_i32 s29, s29, s13
	s_mul_i32 s12, s12, s40
	s_mul_hi_u32 s41, s28, s12
	s_mul_i32 s44, s28, s12
	s_mul_i32 s46, s40, s29
	s_mul_hi_u32 s12, s40, s12
	s_mul_hi_u32 s45, s40, s29
	s_add_u32 s12, s12, s46
	s_addc_u32 s40, 0, s45
	s_add_u32 s12, s12, s44
	s_mul_hi_u32 s13, s28, s29
	s_addc_u32 s12, s40, s41
	s_addc_u32 s13, s13, 0
	s_mul_i32 s29, s28, s29
	s_add_u32 s12, s12, s29
	s_addc_u32 s13, 0, s13
	v_add_co_u32_e32 v3, vcc, s12, v3
	s_cmp_lg_u64 vcc, 0
	s_addc_u32 s12, s28, s13
	v_readlane_b32 s44, v62, 31
	v_readfirstlane_b32 s29, v3
	s_mul_i32 s28, s44, s12
	s_mul_hi_u32 s40, s44, s29
	s_mul_hi_u32 s13, s44, s12
	s_add_u32 s28, s40, s28
	s_addc_u32 s13, 0, s13
	s_mul_hi_u32 s41, s47, s29
	s_mul_i32 s29, s47, s29
	s_add_u32 s28, s28, s29
	s_mul_hi_u32 s40, s47, s12
	s_addc_u32 s13, s13, s41
	s_addc_u32 s28, s40, 0
	s_mul_i32 s12, s47, s12
	s_add_u32 s12, s13, s12
	s_addc_u32 s13, 0, s28
	s_mul_hi_u32 s28, s33, s12
	s_mul_i32 s12, s33, s12
	s_mul_i32 s13, s33, s13
	v_mov_b32_e32 v3, s12
	s_add_i32 s28, s28, s13
	v_sub_co_u32_e32 v3, vcc, s44, v3
	s_cmp_lg_u64 vcc, 0
	s_subb_u32 s12, s47, s28
	v_subrev_co_u32_e32 v4, vcc, s33, v3
	s_cmp_lg_u64 vcc, 0
	s_subb_u32 s13, s12, 0
	v_subrev_co_u32_e32 v5, vcc, s33, v4
	s_cmp_lg_u64 vcc, 0
	s_subb_u32 s28, s13, 0
	v_cmp_le_u32_e32 vcc, s33, v4
	s_cmp_eq_u32 s13, 0
	v_cndmask_b32_e64 v6, 0, -1, vcc
	s_cselect_b64 vcc, -1, 0
	v_cndmask_b32_e32 v6, -1, v6, vcc
	v_mov_b32_e32 v7, s13
	v_mov_b32_e32 v8, s28
	v_cmp_ne_u32_e32 vcc, 0, v6
	v_cndmask_b32_e32 v6, v7, v8, vcc
	v_cndmask_b32_e32 v4, v4, v5, vcc
	v_cmp_le_u32_e32 vcc, s33, v3
	s_cmp_eq_u32 s12, 0
	v_cndmask_b32_e64 v5, 0, -1, vcc
	s_cselect_b64 vcc, -1, 0
	v_cndmask_b32_e32 v5, -1, v5, vcc
	v_mov_b32_e32 v7, s12
	v_cmp_ne_u32_e32 vcc, 0, v5
	v_cndmask_b32_e32 v5, v7, v6, vcc
	v_cndmask_b32_e32 v4, v3, v4, vcc
	s_cbranch_execnz .LBB156_346
.LBB156_345:                            ;   in Loop: Header=BB156_6 Depth=1
	v_cvt_f32_u32_e32 v3, s33
	s_sub_i32 s12, 0, s33
	v_rcp_iflag_f32_e32 v3, v3
	v_mul_f32_e32 v3, 0x4f7ffffe, v3
	v_cvt_u32_f32_e32 v3, v3
	v_mul_lo_u32 v4, s12, v3
	v_mul_hi_u32 v4, v3, v4
	v_add_u32_e32 v3, v3, v4
	v_readlane_b32 s12, v62, 31
	v_mul_hi_u32 v3, s12, v3
	v_mul_lo_u32 v3, v3, s33
	v_sub_u32_e32 v3, s12, v3
	v_subrev_u32_e32 v4, s33, v3
	v_cmp_le_u32_e32 vcc, s33, v3
	v_cndmask_b32_e32 v3, v3, v4, vcc
	v_subrev_u32_e32 v4, s33, v3
	v_cmp_le_u32_e32 vcc, s33, v3
	v_cndmask_b32_e32 v20, v3, v4, vcc
	v_pk_mov_b32 v[4:5], v[20:21], v[20:21] op_sel:[0,1]
.LBB156_346:                            ;   in Loop: Header=BB156_6 Depth=1
	v_readlane_b32 s12, v62, 33
	v_readlane_b32 s13, v62, 34
	;; [unrolled: 1-line block ×3, first 2 shown]
	v_mov_b32_e32 v3, s13
	v_sub_co_u32_e32 v8, vcc, s12, v4
	v_subb_co_u32_e32 v9, vcc, v3, v5, vcc
	v_cmp_gt_u64_e32 vcc, v[8:9], v[0:1]
	s_mov_b64 s[46:47], 0
                                        ; implicit-def: $vgpr6_vgpr7
	s_and_saveexec_b64 s[12:13], vcc
	s_cbranch_execz .LBB156_355
; %bb.347:                              ;   in Loop: Header=BB156_6 Depth=1
	s_mov_b64 s[40:41], 0
	v_pk_mov_b32 v[10:11], v[18:19], v[18:19] op_sel:[0,1]
	v_pk_mov_b32 v[12:13], v[0:1], v[0:1] op_sel:[0,1]
                                        ; implicit-def: $sgpr28_sgpr29
	s_branch .LBB156_349
.LBB156_348:                            ;   in Loop: Header=BB156_349 Depth=2
	s_or_b64 exec, exec, s[44:45]
	s_waitcnt lgkmcnt(0)
	s_barrier
	s_waitcnt vmcnt(0)
	ds_read_b128 v[4:7], v21 offset:3072
	v_mov_b32_e32 v3, s0
	v_add_co_u32_e32 v12, vcc, s33, v12
	v_addc_co_u32_e32 v13, vcc, v13, v3, vcc
	s_waitcnt lgkmcnt(0)
	v_readfirstlane_b32 s45, v5
	v_readfirstlane_b32 s44, v4
	s_cmp_lg_u64 s[44:45], 0
	s_cselect_b64 s[44:45], -1, 0
	v_cmp_ge_u64_e32 vcc, v[12:13], v[8:9]
	s_or_b64 s[46:47], vcc, s[44:45]
	s_and_b64 s[46:47], exec, s[46:47]
	s_or_b64 s[40:41], s[46:47], s[40:41]
	v_mov_b32_e32 v3, s61
	v_add_co_u32_e32 v10, vcc, s60, v10
	s_andn2_b64 s[28:29], s[28:29], exec
	s_and_b64 s[44:45], s[44:45], exec
	v_addc_co_u32_e32 v11, vcc, v11, v3, vcc
	s_or_b64 s[28:29], s[28:29], s[44:45]
	s_barrier
	s_andn2_b64 exec, exec, s[40:41]
	s_cbranch_execz .LBB156_354
.LBB156_349:                            ;   Parent Loop BB156_6 Depth=1
                                        ; =>  This Inner Loop Header: Depth=2
	v_cmp_gt_u64_e32 vcc, s[56:57], v[12:13]
	v_pk_mov_b32 v[4:5], 0, 0
	s_and_saveexec_b64 s[44:45], vcc
	s_cbranch_execz .LBB156_351
; %bb.350:                              ;   in Loop: Header=BB156_349 Depth=2
	global_load_dwordx2 v[4:5], v[10:11], off
.LBB156_351:                            ;   in Loop: Header=BB156_349 Depth=2
	s_or_b64 exec, exec, s[44:45]
	s_and_saveexec_b64 s[44:45], vcc
	s_cbranch_execz .LBB156_348
; %bb.352:                              ;   in Loop: Header=BB156_349 Depth=2
	s_waitcnt vmcnt(0)
	v_xor_b32_e32 v3, 0x80000000, v5
	v_and_b32_e32 v7, v3, v33
	v_and_b32_e32 v6, v4, v32
	v_cmp_eq_u64_e32 vcc, v[6:7], v[34:35]
	s_and_b64 exec, exec, vcc
	s_cbranch_execz .LBB156_348
; %bb.353:                              ;   in Loop: Header=BB156_349 Depth=2
	v_mov_b32_e32 v3, v21
	ds_write_b128 v21, v[2:5] offset:3072
	s_branch .LBB156_348
.LBB156_354:                            ;   in Loop: Header=BB156_6 Depth=1
	s_or_b64 exec, exec, s[40:41]
	s_and_b64 s[46:47], s[28:29], exec
.LBB156_355:                            ;   in Loop: Header=BB156_6 Depth=1
	s_or_b64 exec, exec, s[12:13]
	s_mov_b64 s[40:41], 0
	s_mov_b64 s[28:29], -1
	s_mov_b64 s[44:45], 0
.LBB156_356:                            ;   in Loop: Header=BB156_6 Depth=1
	s_orn2_b64 s[12:13], s[46:47], exec
.LBB156_357:                            ;   in Loop: Header=BB156_6 Depth=1
	s_or_b64 exec, exec, s[4:5]
	s_mov_b64 s[48:49], 0
                                        ; implicit-def: $vgpr3
	s_and_saveexec_b64 s[46:47], s[12:13]
	s_cbranch_execz .LBB156_470
; %bb.358:                              ;   in Loop: Header=BB156_6 Depth=1
	v_mov_b32_e32 v8, 1
	s_xor_b64 s[4:5], s[2:3], -1
	s_mov_b64 s[12:13], 0
	v_mov_b32_e32 v9, 0
	v_mov_b32_e32 v3, 1
	s_and_saveexec_b64 s[2:3], s[4:5]
	s_cbranch_execz .LBB156_368
; %bb.359:                              ;   in Loop: Header=BB156_6 Depth=1
	v_cmp_ge_u64_e32 vcc, s[26:27], v[38:39]
                                        ; implicit-def: $sgpr48
                                        ; implicit-def: $sgpr4_sgpr5
	s_and_saveexec_b64 s[12:13], vcc
	s_xor_b64 s[12:13], exec, s[12:13]
	s_cbranch_execz .LBB156_365
; %bb.360:                              ;   in Loop: Header=BB156_6 Depth=1
	ds_read_b64 v[4:5], v21 offset:5120
	s_waitcnt lgkmcnt(0)
	v_cmp_ne_u64_e32 vcc, 0, v[4:5]
	s_cbranch_vccnz .LBB156_364
; %bb.361:                              ;   in Loop: Header=BB156_6 Depth=1
	s_mov_b64 s[4:5], exec
	v_readlane_b32 s48, v62, 8
	v_readlane_b32 s49, v62, 9
	s_and_b64 s[48:49], s[4:5], s[48:49]
	s_mov_b64 exec, s[48:49]
	s_cbranch_execz .LBB156_363
; %bb.362:                              ;   in Loop: Header=BB156_6 Depth=1
	v_pk_mov_b32 v[4:5], s[26:27], s[26:27] op_sel:[0,1]
	ds_write_b64 v21, v[4:5] offset:5128
.LBB156_363:                            ;   in Loop: Header=BB156_6 Depth=1
	s_or_b64 exec, exec, s[4:5]
	s_waitcnt lgkmcnt(0)
	s_barrier
.LBB156_364:                            ;   in Loop: Header=BB156_6 Depth=1
	s_lshl_b64 s[4:5], 2, s82
	v_and_b32_e32 v3, s21, v35
	v_and_b32_e32 v4, s20, v34
	v_or_b32_e32 v35, s5, v3
	v_or_b32_e32 v34, s4, v4
	;; [unrolled: 1-line block ×4, first 2 shown]
	s_mov_b64 s[4:5], 0
	s_mov_b32 s48, 5
.LBB156_365:                            ;   in Loop: Header=BB156_6 Depth=1
	s_or_saveexec_b64 s[12:13], s[12:13]
	v_mov_b32_e32 v3, s48
	s_xor_b64 exec, exec, s[12:13]
; %bb.366:                              ;   in Loop: Header=BB156_6 Depth=1
	v_mov_b32_e32 v3, s27
	v_subrev_co_u32_e32 v38, vcc, s26, v38
	v_subb_co_u32_e32 v39, vcc, v39, v3, vcc
	v_mov_b32_e32 v3, 0
	s_or_b64 s[4:5], s[4:5], exec
; %bb.367:                              ;   in Loop: Header=BB156_6 Depth=1
	s_or_b64 exec, exec, s[12:13]
	s_and_b64 s[12:13], s[4:5], exec
	v_pk_mov_b32 v[8:9], v[38:39], v[38:39] op_sel:[0,1]
.LBB156_368:                            ;   in Loop: Header=BB156_6 Depth=1
	s_or_b64 exec, exec, s[2:3]
	s_mov_b64 s[2:3], -1
                                        ; implicit-def: $sgpr4_sgpr5
                                        ; implicit-def: $sgpr48_sgpr49
                                        ; implicit-def: $sgpr52_sgpr53
	s_and_saveexec_b64 s[26:27], s[12:13]
	s_cbranch_execz .LBB156_469
; %bb.369:                              ;   in Loop: Header=BB156_6 Depth=1
	s_cmp_eq_u64 s[22:23], 1
	s_cselect_b64 s[2:3], -1, 0
	v_cmp_eq_u64_e32 vcc, 1, v[8:9]
	s_and_b64 s[4:5], s[2:3], vcc
	s_mov_b64 s[54:55], -1
                                        ; implicit-def: $sgpr2_sgpr3
                                        ; implicit-def: $sgpr48_sgpr49
                                        ; implicit-def: $sgpr50_sgpr51
	s_and_saveexec_b64 s[52:53], s[4:5]
	s_cbranch_execz .LBB156_403
; %bb.370:                              ;   in Loop: Header=BB156_6 Depth=1
	ds_read_b64 v[4:5], v21 offset:5120
	s_waitcnt lgkmcnt(0)
	s_barrier
	v_readfirstlane_b32 s2, v4
	v_readfirstlane_b32 s3, v5
	s_mov_b64 s[12:13], exec
	v_readlane_b32 s48, v62, 26
	v_readlane_b32 s49, v62, 27
	s_and_b64 s[48:49], s[12:13], s[48:49]
	s_mov_b64 exec, s[48:49]
	s_cbranch_execz .LBB156_372
; %bb.371:                              ;   in Loop: Header=BB156_6 Depth=1
	v_mov_b32_e32 v20, v21
	ds_write_b64 v50, v[20:21]
.LBB156_372:                            ;   in Loop: Header=BB156_6 Depth=1
	s_or_b64 exec, exec, s[12:13]
	s_lshl_b64 s[12:13], 1, s82
	v_and_b32_e32 v3, s21, v35
	v_and_b32_e32 v4, s20, v34
	v_or_b32_e32 v35, s13, v3
	v_or_b32_e32 v34, s12, v4
	;; [unrolled: 1-line block ×4, first 2 shown]
	s_cmp_eq_u64 s[2:3], 0
	s_waitcnt lgkmcnt(0)
	s_barrier
	s_cbranch_scc1 .LBB156_386
; %bb.373:                              ;   in Loop: Header=BB156_6 Depth=1
	v_readlane_b32 s12, v62, 30
	s_add_u32 s50, s12, s2
	v_readlane_b32 s12, v62, 32
	s_addc_u32 s13, s12, s3
	s_mov_b32 s12, s83
	s_cmp_lg_u64 s[12:13], 0
	s_cbranch_scc0 .LBB156_421
; %bb.374:                              ;   in Loop: Header=BB156_6 Depth=1
	v_cvt_f32_u32_e32 v3, s33
	s_sub_u32 s12, 0, s33
	s_subb_u32 s48, 0, 0
	v_mac_f32_e32 v3, 0, v53
	v_rcp_f32_e32 v3, v3
	v_mul_f32_e32 v3, 0x5f7ffffc, v3
	v_mul_f32_e32 v4, 0x2f800000, v3
	v_trunc_f32_e32 v4, v4
	v_mac_f32_e32 v3, 0xcf800000, v4
	v_cvt_u32_f32_e32 v4, v4
	v_cvt_u32_f32_e32 v3, v3
	v_readfirstlane_b32 s49, v4
	v_readfirstlane_b32 s51, v3
	s_mul_i32 s54, s12, s49
	s_mul_hi_u32 s72, s12, s51
	s_mul_i32 s55, s48, s51
	s_add_i32 s54, s72, s54
	s_mul_i32 s73, s12, s51
	s_add_i32 s54, s54, s55
	s_mul_hi_u32 s72, s51, s73
	s_mul_hi_u32 s55, s51, s54
	s_mul_i32 s51, s51, s54
	s_add_u32 s51, s72, s51
	s_addc_u32 s55, 0, s55
	s_mul_hi_u32 s78, s49, s73
	s_mul_i32 s73, s49, s73
	s_add_u32 s51, s51, s73
	s_mul_hi_u32 s72, s49, s54
	s_addc_u32 s51, s55, s78
	s_addc_u32 s55, s72, 0
	s_mul_i32 s54, s49, s54
	s_add_u32 s51, s51, s54
	s_addc_u32 s54, 0, s55
	v_add_co_u32_e32 v3, vcc, s51, v3
	s_cmp_lg_u64 vcc, 0
	s_addc_u32 s49, s49, s54
	v_readfirstlane_b32 s54, v3
	s_mul_i32 s51, s12, s49
	s_mul_hi_u32 s55, s12, s54
	s_add_i32 s51, s55, s51
	s_mul_i32 s48, s48, s54
	s_add_i32 s51, s51, s48
	s_mul_i32 s12, s12, s54
	s_mul_hi_u32 s55, s49, s12
	s_mul_i32 s72, s49, s12
	s_mul_i32 s78, s54, s51
	s_mul_hi_u32 s12, s54, s12
	s_mul_hi_u32 s73, s54, s51
	s_add_u32 s12, s12, s78
	s_addc_u32 s54, 0, s73
	s_add_u32 s12, s12, s72
	s_mul_hi_u32 s48, s49, s51
	s_addc_u32 s12, s54, s55
	s_addc_u32 s48, s48, 0
	s_mul_i32 s51, s49, s51
	s_add_u32 s12, s12, s51
	s_addc_u32 s48, 0, s48
	v_add_co_u32_e32 v3, vcc, s12, v3
	s_cmp_lg_u64 vcc, 0
	s_addc_u32 s12, s49, s48
	v_readfirstlane_b32 s51, v3
	s_mul_i32 s49, s50, s12
	s_mul_hi_u32 s54, s50, s51
	s_mul_hi_u32 s48, s50, s12
	s_add_u32 s49, s54, s49
	s_addc_u32 s48, 0, s48
	s_mul_hi_u32 s55, s13, s51
	s_mul_i32 s51, s13, s51
	s_add_u32 s49, s49, s51
	s_mul_hi_u32 s54, s13, s12
	s_addc_u32 s48, s48, s55
	s_addc_u32 s49, s54, 0
	s_mul_i32 s12, s13, s12
	s_add_u32 s12, s48, s12
	s_addc_u32 s48, 0, s49
	s_mul_hi_u32 s49, s33, s12
	s_mul_i32 s12, s33, s12
	s_mul_i32 s48, s33, s48
	v_mov_b32_e32 v3, s12
	s_add_i32 s49, s49, s48
	v_sub_co_u32_e32 v3, vcc, s50, v3
	s_cmp_lg_u64 vcc, 0
	s_subb_u32 s12, s13, s49
	v_subrev_co_u32_e32 v4, vcc, s33, v3
	s_cmp_lg_u64 vcc, 0
	s_subb_u32 s48, s12, 0
	v_subrev_co_u32_e32 v5, vcc, s33, v4
	s_cmp_lg_u64 vcc, 0
	s_subb_u32 s49, s48, 0
	v_cmp_le_u32_e32 vcc, s33, v4
	s_cmp_eq_u32 s48, 0
	v_cndmask_b32_e64 v6, 0, -1, vcc
	s_cselect_b64 vcc, -1, 0
	v_cndmask_b32_e32 v6, -1, v6, vcc
	v_mov_b32_e32 v7, s48
	v_mov_b32_e32 v10, s49
	v_cmp_ne_u32_e32 vcc, 0, v6
	v_cndmask_b32_e32 v6, v7, v10, vcc
	v_cndmask_b32_e32 v4, v4, v5, vcc
	v_cmp_le_u32_e32 vcc, s33, v3
	s_cmp_eq_u32 s12, 0
	v_cndmask_b32_e64 v5, 0, -1, vcc
	s_cselect_b64 vcc, -1, 0
	v_cndmask_b32_e32 v5, -1, v5, vcc
	v_mov_b32_e32 v7, s12
	v_cmp_ne_u32_e32 vcc, 0, v5
	v_cndmask_b32_e32 v5, v7, v6, vcc
	v_cndmask_b32_e32 v4, v3, v4, vcc
	s_cbranch_execnz .LBB156_376
.LBB156_375:                            ;   in Loop: Header=BB156_6 Depth=1
	v_cvt_f32_u32_e32 v3, s33
	s_sub_i32 s12, 0, s33
	v_rcp_iflag_f32_e32 v3, v3
	v_mul_f32_e32 v3, 0x4f7ffffe, v3
	v_cvt_u32_f32_e32 v3, v3
	v_mul_lo_u32 v4, s12, v3
	v_mul_hi_u32 v4, v3, v4
	v_add_u32_e32 v3, v3, v4
	v_mul_hi_u32 v3, s50, v3
	v_mul_lo_u32 v3, v3, s33
	v_sub_u32_e32 v3, s50, v3
	v_subrev_u32_e32 v4, s33, v3
	v_cmp_le_u32_e32 vcc, s33, v3
	v_cndmask_b32_e32 v3, v3, v4, vcc
	v_subrev_u32_e32 v4, s33, v3
	v_cmp_le_u32_e32 vcc, s33, v3
	v_cndmask_b32_e32 v20, v3, v4, vcc
	v_pk_mov_b32 v[4:5], v[20:21], v[20:21] op_sel:[0,1]
.LBB156_376:                            ;   in Loop: Header=BB156_6 Depth=1
	v_mov_b32_e32 v3, s13
	v_sub_co_u32_e32 v10, vcc, s50, v4
	v_subb_co_u32_e32 v11, vcc, v3, v5, vcc
	v_cmp_gt_u64_e32 vcc, v[10:11], v[0:1]
	s_mov_b64 s[54:55], 0
                                        ; implicit-def: $vgpr6_vgpr7
	s_and_saveexec_b64 s[12:13], vcc
	s_cbranch_execz .LBB156_388
; %bb.377:                              ;   in Loop: Header=BB156_6 Depth=1
	s_mov_b64 s[50:51], 0
	v_mov_b32_e32 v14, v49
	v_pk_mov_b32 v[12:13], v[0:1], v[0:1] op_sel:[0,1]
                                        ; implicit-def: $sgpr48_sgpr49
	s_branch .LBB156_379
.LBB156_378:                            ;   in Loop: Header=BB156_379 Depth=2
	s_or_b64 exec, exec, s[54:55]
	s_waitcnt lgkmcnt(0)
	s_barrier
	ds_read_b128 v[4:7], v21 offset:3072
	v_mov_b32_e32 v3, s0
	v_add_co_u32_e32 v12, vcc, s33, v12
	v_addc_co_u32_e32 v13, vcc, v13, v3, vcc
	s_waitcnt lgkmcnt(0)
	v_readfirstlane_b32 s55, v5
	v_readfirstlane_b32 s54, v4
	s_cmp_lg_u64 s[54:55], 0
	s_cselect_b64 s[54:55], -1, 0
	v_cmp_ge_u64_e32 vcc, v[12:13], v[10:11]
	s_or_b64 s[72:73], vcc, s[54:55]
	s_and_b64 s[72:73], exec, s[72:73]
	s_or_b64 s[50:51], s[72:73], s[50:51]
	s_andn2_b64 s[48:49], s[48:49], exec
	s_and_b64 s[54:55], s[54:55], exec
	v_add_u32_e32 v14, s88, v14
	s_or_b64 s[48:49], s[48:49], s[54:55]
	s_barrier
	s_andn2_b64 exec, exec, s[50:51]
	s_cbranch_execz .LBB156_387
.LBB156_379:                            ;   Parent Loop BB156_6 Depth=1
                                        ; =>  This Inner Loop Header: Depth=2
	v_cmp_gt_u64_e32 vcc, s[2:3], v[12:13]
	v_pk_mov_b32 v[4:5], 0, 0
	s_and_saveexec_b64 s[54:55], vcc
	s_cbranch_execz .LBB156_381
; %bb.380:                              ;   in Loop: Header=BB156_379 Depth=2
	ds_read_b64 v[4:5], v14
.LBB156_381:                            ;   in Loop: Header=BB156_379 Depth=2
	s_or_b64 exec, exec, s[54:55]
	s_and_saveexec_b64 s[54:55], vcc
	s_cbranch_execz .LBB156_378
; %bb.382:                              ;   in Loop: Header=BB156_379 Depth=2
	s_waitcnt lgkmcnt(0)
	v_xor_b32_e32 v3, 0x80000000, v5
	v_and_b32_e32 v7, v3, v33
	v_and_b32_e32 v6, v4, v32
	v_cmp_eq_u64_e32 vcc, v[6:7], v[34:35]
	s_and_b64 exec, exec, vcc
	s_cbranch_execz .LBB156_378
; %bb.383:                              ;   in Loop: Header=BB156_379 Depth=2
	v_mov_b32_e32 v3, v21
	ds_write_b128 v21, v[2:5] offset:3072
	s_branch .LBB156_378
.LBB156_384:                            ;   in Loop: Header=BB156_6 Depth=1
                                        ; implicit-def: $vgpr4_vgpr5
	s_branch .LBB156_329
.LBB156_385:                            ;   in Loop: Header=BB156_6 Depth=1
                                        ; implicit-def: $vgpr4_vgpr5
	s_branch .LBB156_345
.LBB156_386:                            ;   in Loop: Header=BB156_6 Depth=1
	s_mov_b64 s[2:3], -1
	s_mov_b64 s[54:55], 0
                                        ; implicit-def: $sgpr48_sgpr49
                                        ; implicit-def: $vgpr6_vgpr7
	s_mov_b64 s[50:51], s[2:3]
	s_cbranch_execnz .LBB156_389
	s_branch .LBB156_402
.LBB156_387:                            ;   in Loop: Header=BB156_6 Depth=1
	s_or_b64 exec, exec, s[50:51]
	s_and_b64 s[54:55], s[48:49], exec
.LBB156_388:                            ;   in Loop: Header=BB156_6 Depth=1
	s_or_b64 exec, exec, s[12:13]
	s_mov_b64 s[2:3], 0
	s_mov_b64 s[48:49], -1
	s_mov_b64 s[50:51], s[2:3]
	s_branch .LBB156_402
.LBB156_389:                            ;   in Loop: Header=BB156_6 Depth=1
	v_readlane_b32 s54, v62, 33
	v_readlane_b32 s55, v62, 34
	s_mov_b32 s54, s83
	s_cmp_lg_u64 s[54:55], 0
	v_writelane_b32 v62, s54, 33
	v_writelane_b32 v62, s55, 34
	s_cbranch_scc0 .LBB156_422
; %bb.390:                              ;   in Loop: Header=BB156_6 Depth=1
	v_cvt_f32_u32_e32 v3, s33
	s_sub_u32 s2, 0, s33
	s_subb_u32 s3, 0, 0
	v_mac_f32_e32 v3, 0, v53
	v_rcp_f32_e32 v3, v3
	v_mul_f32_e32 v3, 0x5f7ffffc, v3
	v_mul_f32_e32 v4, 0x2f800000, v3
	v_trunc_f32_e32 v4, v4
	v_mac_f32_e32 v3, 0xcf800000, v4
	v_cvt_u32_f32_e32 v4, v4
	v_cvt_u32_f32_e32 v3, v3
	v_readfirstlane_b32 s12, v4
	v_readfirstlane_b32 s13, v3
	s_mul_i32 s48, s2, s12
	s_mul_hi_u32 s50, s2, s13
	s_mul_i32 s49, s3, s13
	s_add_i32 s48, s50, s48
	s_mul_i32 s51, s2, s13
	s_add_i32 s48, s48, s49
	s_mul_hi_u32 s50, s13, s51
	s_mul_hi_u32 s49, s13, s48
	s_mul_i32 s13, s13, s48
	s_add_u32 s13, s50, s13
	s_addc_u32 s49, 0, s49
	s_mul_hi_u32 s54, s12, s51
	s_mul_i32 s51, s12, s51
	s_add_u32 s13, s13, s51
	s_mul_hi_u32 s50, s12, s48
	s_addc_u32 s13, s49, s54
	s_addc_u32 s49, s50, 0
	s_mul_i32 s48, s12, s48
	s_add_u32 s13, s13, s48
	s_addc_u32 s48, 0, s49
	v_add_co_u32_e32 v3, vcc, s13, v3
	s_cmp_lg_u64 vcc, 0
	s_addc_u32 s12, s12, s48
	v_readfirstlane_b32 s48, v3
	s_mul_i32 s13, s2, s12
	s_mul_hi_u32 s49, s2, s48
	s_add_i32 s13, s49, s13
	s_mul_i32 s3, s3, s48
	s_add_i32 s13, s13, s3
	s_mul_i32 s2, s2, s48
	s_mul_hi_u32 s49, s12, s2
	s_mul_i32 s50, s12, s2
	s_mul_i32 s54, s48, s13
	s_mul_hi_u32 s2, s48, s2
	s_mul_hi_u32 s51, s48, s13
	s_add_u32 s2, s2, s54
	s_addc_u32 s48, 0, s51
	s_add_u32 s2, s2, s50
	s_mul_hi_u32 s3, s12, s13
	s_addc_u32 s2, s48, s49
	s_addc_u32 s3, s3, 0
	s_mul_i32 s13, s12, s13
	s_add_u32 s2, s2, s13
	s_addc_u32 s3, 0, s3
	v_add_co_u32_e32 v3, vcc, s2, v3
	s_cmp_lg_u64 vcc, 0
	s_addc_u32 s2, s12, s3
	v_readlane_b32 s50, v62, 31
	v_readfirstlane_b32 s13, v3
	s_mul_i32 s12, s50, s2
	s_mul_hi_u32 s48, s50, s13
	s_mul_hi_u32 s3, s50, s2
	s_add_u32 s12, s48, s12
	s_addc_u32 s3, 0, s3
	s_mul_hi_u32 s49, s55, s13
	s_mul_i32 s13, s55, s13
	s_add_u32 s12, s12, s13
	s_mul_hi_u32 s48, s55, s2
	s_addc_u32 s3, s3, s49
	s_addc_u32 s12, s48, 0
	s_mul_i32 s2, s55, s2
	s_add_u32 s2, s3, s2
	s_addc_u32 s3, 0, s12
	s_mul_hi_u32 s12, s33, s2
	s_mul_i32 s2, s33, s2
	s_mul_i32 s3, s33, s3
	v_mov_b32_e32 v3, s2
	s_add_i32 s12, s12, s3
	v_sub_co_u32_e32 v3, vcc, s50, v3
	s_cmp_lg_u64 vcc, 0
	s_subb_u32 s2, s55, s12
	v_subrev_co_u32_e32 v4, vcc, s33, v3
	s_cmp_lg_u64 vcc, 0
	s_subb_u32 s3, s2, 0
	v_subrev_co_u32_e32 v5, vcc, s33, v4
	s_cmp_lg_u64 vcc, 0
	s_subb_u32 s12, s3, 0
	v_cmp_le_u32_e32 vcc, s33, v4
	s_cmp_eq_u32 s3, 0
	v_cndmask_b32_e64 v6, 0, -1, vcc
	s_cselect_b64 vcc, -1, 0
	v_cndmask_b32_e32 v6, -1, v6, vcc
	v_mov_b32_e32 v7, s3
	v_mov_b32_e32 v10, s12
	v_cmp_ne_u32_e32 vcc, 0, v6
	v_cndmask_b32_e32 v6, v7, v10, vcc
	v_cndmask_b32_e32 v4, v4, v5, vcc
	v_cmp_le_u32_e32 vcc, s33, v3
	s_cmp_eq_u32 s2, 0
	v_cndmask_b32_e64 v5, 0, -1, vcc
	s_cselect_b64 vcc, -1, 0
	v_cndmask_b32_e32 v5, -1, v5, vcc
	v_mov_b32_e32 v7, s2
	v_cmp_ne_u32_e32 vcc, 0, v5
	v_cndmask_b32_e32 v5, v7, v6, vcc
	v_cndmask_b32_e32 v4, v3, v4, vcc
	s_cbranch_execnz .LBB156_392
.LBB156_391:                            ;   in Loop: Header=BB156_6 Depth=1
	v_cvt_f32_u32_e32 v3, s33
	s_sub_i32 s2, 0, s33
	v_rcp_iflag_f32_e32 v3, v3
	v_mul_f32_e32 v3, 0x4f7ffffe, v3
	v_cvt_u32_f32_e32 v3, v3
	v_mul_lo_u32 v4, s2, v3
	v_mul_hi_u32 v4, v3, v4
	v_add_u32_e32 v3, v3, v4
	v_readlane_b32 s2, v62, 31
	v_mul_hi_u32 v3, s2, v3
	v_mul_lo_u32 v3, v3, s33
	v_sub_u32_e32 v3, s2, v3
	v_subrev_u32_e32 v4, s33, v3
	v_cmp_le_u32_e32 vcc, s33, v3
	v_cndmask_b32_e32 v3, v3, v4, vcc
	v_subrev_u32_e32 v4, s33, v3
	v_cmp_le_u32_e32 vcc, s33, v3
	v_cndmask_b32_e32 v20, v3, v4, vcc
	v_pk_mov_b32 v[4:5], v[20:21], v[20:21] op_sel:[0,1]
.LBB156_392:                            ;   in Loop: Header=BB156_6 Depth=1
	v_readlane_b32 s2, v62, 33
	v_readlane_b32 s3, v62, 34
	;; [unrolled: 1-line block ×3, first 2 shown]
	v_mov_b32_e32 v3, s3
	v_sub_co_u32_e32 v10, vcc, s2, v4
	v_subb_co_u32_e32 v11, vcc, v3, v5, vcc
	v_cmp_gt_u64_e32 vcc, v[10:11], v[0:1]
	s_mov_b64 s[54:55], 0
                                        ; implicit-def: $vgpr6_vgpr7
	s_and_saveexec_b64 s[2:3], vcc
	s_cbranch_execz .LBB156_401
; %bb.393:                              ;   in Loop: Header=BB156_6 Depth=1
	s_mov_b64 s[48:49], 0
	v_pk_mov_b32 v[12:13], v[18:19], v[18:19] op_sel:[0,1]
	v_pk_mov_b32 v[14:15], v[0:1], v[0:1] op_sel:[0,1]
                                        ; implicit-def: $sgpr12_sgpr13
	s_branch .LBB156_395
.LBB156_394:                            ;   in Loop: Header=BB156_395 Depth=2
	s_or_b64 exec, exec, s[50:51]
	s_waitcnt lgkmcnt(0)
	s_barrier
	s_waitcnt vmcnt(0)
	ds_read_b128 v[4:7], v21 offset:3072
	v_mov_b32_e32 v3, s0
	v_add_co_u32_e32 v14, vcc, s33, v14
	v_addc_co_u32_e32 v15, vcc, v15, v3, vcc
	s_waitcnt lgkmcnt(0)
	v_readfirstlane_b32 s51, v5
	v_readfirstlane_b32 s50, v4
	s_cmp_lg_u64 s[50:51], 0
	s_cselect_b64 s[50:51], -1, 0
	v_cmp_ge_u64_e32 vcc, v[14:15], v[10:11]
	s_or_b64 s[54:55], vcc, s[50:51]
	s_and_b64 s[54:55], exec, s[54:55]
	s_or_b64 s[48:49], s[54:55], s[48:49]
	v_mov_b32_e32 v3, s61
	v_add_co_u32_e32 v12, vcc, s60, v12
	s_andn2_b64 s[12:13], s[12:13], exec
	s_and_b64 s[50:51], s[50:51], exec
	v_addc_co_u32_e32 v13, vcc, v13, v3, vcc
	s_or_b64 s[12:13], s[12:13], s[50:51]
	s_barrier
	s_andn2_b64 exec, exec, s[48:49]
	s_cbranch_execz .LBB156_400
.LBB156_395:                            ;   Parent Loop BB156_6 Depth=1
                                        ; =>  This Inner Loop Header: Depth=2
	v_cmp_gt_u64_e32 vcc, s[56:57], v[14:15]
	v_pk_mov_b32 v[4:5], 0, 0
	s_and_saveexec_b64 s[50:51], vcc
	s_cbranch_execz .LBB156_397
; %bb.396:                              ;   in Loop: Header=BB156_395 Depth=2
	global_load_dwordx2 v[4:5], v[12:13], off
.LBB156_397:                            ;   in Loop: Header=BB156_395 Depth=2
	s_or_b64 exec, exec, s[50:51]
	s_and_saveexec_b64 s[50:51], vcc
	s_cbranch_execz .LBB156_394
; %bb.398:                              ;   in Loop: Header=BB156_395 Depth=2
	s_waitcnt vmcnt(0)
	v_xor_b32_e32 v3, 0x80000000, v5
	v_and_b32_e32 v7, v3, v33
	v_and_b32_e32 v6, v4, v32
	v_cmp_eq_u64_e32 vcc, v[6:7], v[34:35]
	s_and_b64 exec, exec, vcc
	s_cbranch_execz .LBB156_394
; %bb.399:                              ;   in Loop: Header=BB156_395 Depth=2
	v_mov_b32_e32 v3, v21
	ds_write_b128 v21, v[2:5] offset:3072
	s_branch .LBB156_394
.LBB156_400:                            ;   in Loop: Header=BB156_6 Depth=1
	s_or_b64 exec, exec, s[48:49]
	s_and_b64 s[54:55], s[12:13], exec
.LBB156_401:                            ;   in Loop: Header=BB156_6 Depth=1
	s_or_b64 exec, exec, s[2:3]
	s_mov_b64 s[48:49], 0
	s_mov_b64 s[2:3], -1
	s_mov_b64 s[50:51], 0
.LBB156_402:                            ;   in Loop: Header=BB156_6 Depth=1
	s_orn2_b64 s[54:55], s[54:55], exec
.LBB156_403:                            ;   in Loop: Header=BB156_6 Depth=1
	s_or_b64 exec, exec, s[52:53]
	s_mov_b64 s[12:13], 0
                                        ; implicit-def: $vgpr3
	s_and_saveexec_b64 s[52:53], s[54:55]
	s_cbranch_execz .LBB156_468
; %bb.404:                              ;   in Loop: Header=BB156_6 Depth=1
	v_mov_b32_e32 v10, 1
	s_xor_b64 s[12:13], s[4:5], -1
	s_mov_b64 s[54:55], 0
	v_mov_b32_e32 v11, 0
	v_mov_b32_e32 v3, 1
	s_and_saveexec_b64 s[4:5], s[12:13]
	s_cbranch_execz .LBB156_414
; %bb.405:                              ;   in Loop: Header=BB156_6 Depth=1
	v_cmp_ge_u64_e32 vcc, s[22:23], v[8:9]
                                        ; implicit-def: $sgpr72
                                        ; implicit-def: $sgpr12_sgpr13
	s_and_saveexec_b64 s[54:55], vcc
	s_xor_b64 s[54:55], exec, s[54:55]
	s_cbranch_execz .LBB156_411
; %bb.406:                              ;   in Loop: Header=BB156_6 Depth=1
	ds_read_b64 v[4:5], v21 offset:5120
	s_waitcnt lgkmcnt(0)
	v_cmp_ne_u64_e32 vcc, 0, v[4:5]
	s_cbranch_vccnz .LBB156_410
; %bb.407:                              ;   in Loop: Header=BB156_6 Depth=1
	v_readlane_b32 s68, v62, 8
	v_readlane_b32 s69, v62, 9
	s_and_saveexec_b64 s[12:13], s[68:69]
	s_cbranch_execz .LBB156_409
; %bb.408:                              ;   in Loop: Header=BB156_6 Depth=1
	v_pk_mov_b32 v[4:5], s[22:23], s[22:23] op_sel:[0,1]
	ds_write_b64 v21, v[4:5] offset:5128
.LBB156_409:                            ;   in Loop: Header=BB156_6 Depth=1
	s_or_b64 exec, exec, s[12:13]
	s_waitcnt lgkmcnt(0)
	s_barrier
.LBB156_410:                            ;   in Loop: Header=BB156_6 Depth=1
	s_lshl_b64 s[12:13], 1, s82
	v_and_b32_e32 v3, s21, v35
	v_and_b32_e32 v4, s20, v34
	v_or_b32_e32 v35, s13, v3
	v_or_b32_e32 v34, s12, v4
	;; [unrolled: 1-line block ×4, first 2 shown]
	s_mov_b64 s[12:13], 0
	s_mov_b32 s72, 5
.LBB156_411:                            ;   in Loop: Header=BB156_6 Depth=1
	s_or_saveexec_b64 s[54:55], s[54:55]
	v_mov_b32_e32 v3, s72
	s_xor_b64 exec, exec, s[54:55]
; %bb.412:                              ;   in Loop: Header=BB156_6 Depth=1
	v_mov_b32_e32 v3, s23
	v_subrev_co_u32_e32 v8, vcc, s22, v8
	v_subb_co_u32_e32 v9, vcc, v9, v3, vcc
	v_mov_b32_e32 v3, 0
	s_or_b64 s[12:13], s[12:13], exec
; %bb.413:                              ;   in Loop: Header=BB156_6 Depth=1
	s_or_b64 exec, exec, s[54:55]
	s_and_b64 s[54:55], s[12:13], exec
	v_pk_mov_b32 v[10:11], v[8:9], v[8:9] op_sel:[0,1]
.LBB156_414:                            ;   in Loop: Header=BB156_6 Depth=1
	s_or_b64 exec, exec, s[4:5]
	s_mov_b64 s[22:23], -1
                                        ; implicit-def: $sgpr12_sgpr13
                                        ; implicit-def: $sgpr72_sgpr73
                                        ; implicit-def: $sgpr78_sgpr79
	s_and_saveexec_b64 s[4:5], s[54:55]
	s_cbranch_execz .LBB156_467
; %bb.415:                              ;   in Loop: Header=BB156_6 Depth=1
	s_cmp_eq_u64 s[16:17], 1
	s_cselect_b64 s[12:13], -1, 0
	v_cmp_eq_u64_e32 vcc, 1, v[10:11]
	s_and_b64 s[22:23], s[12:13], vcc
	s_mov_b64 s[80:81], -1
                                        ; implicit-def: $sgpr12_sgpr13
                                        ; implicit-def: $sgpr72_sgpr73
                                        ; implicit-def: $sgpr78_sgpr79
	s_and_saveexec_b64 s[54:55], s[22:23]
	s_cbranch_execz .LBB156_454
; %bb.416:                              ;   in Loop: Header=BB156_6 Depth=1
	ds_read_b64 v[4:5], v21 offset:5120
	v_readlane_b32 s68, v62, 26
	v_readlane_b32 s69, v62, 27
	s_waitcnt lgkmcnt(0)
	s_barrier
	v_readfirstlane_b32 s12, v4
	v_readfirstlane_b32 s13, v5
	s_and_saveexec_b64 s[72:73], s[68:69]
	s_cbranch_execz .LBB156_418
; %bb.417:                              ;   in Loop: Header=BB156_6 Depth=1
	v_mov_b32_e32 v20, v21
	ds_write_b64 v50, v[20:21]
.LBB156_418:                            ;   in Loop: Header=BB156_6 Depth=1
	s_or_b64 exec, exec, s[72:73]
	v_and_b32_e32 v35, s21, v35
	v_and_b32_e32 v34, s20, v34
	v_or_b32_e32 v33, s19, v33
	v_or_b32_e32 v32, s18, v32
	s_cmp_eq_u64 s[12:13], 0
	s_waitcnt lgkmcnt(0)
	s_barrier
	s_cbranch_scc1 .LBB156_423
; %bb.419:                              ;   in Loop: Header=BB156_6 Depth=1
	v_readlane_b32 s68, v62, 30
	s_add_u32 s80, s68, s12
	v_readlane_b32 s68, v62, 32
	s_addc_u32 s73, s68, s13
	s_mov_b32 s72, s83
	s_cmp_lg_u64 s[72:73], 0
	s_cbranch_scc0 .LBB156_424
; %bb.420:                              ;   in Loop: Header=BB156_6 Depth=1
	v_cvt_f32_u32_e32 v3, s33
	s_sub_u32 s72, 0, s33
	s_subb_u32 s78, 0, 0
	v_mac_f32_e32 v3, 0, v53
	v_rcp_f32_e32 v3, v3
	v_mul_f32_e32 v3, 0x5f7ffffc, v3
	v_mul_f32_e32 v4, 0x2f800000, v3
	v_trunc_f32_e32 v4, v4
	v_mac_f32_e32 v3, 0xcf800000, v4
	v_cvt_u32_f32_e32 v4, v4
	v_cvt_u32_f32_e32 v3, v3
	v_readfirstlane_b32 s79, v4
	v_readfirstlane_b32 s81, v3
	s_mul_i32 s82, s72, s79
	s_mul_hi_u32 s85, s72, s81
	s_mul_i32 s84, s78, s81
	s_add_i32 s82, s85, s82
	s_mul_i32 s89, s72, s81
	s_add_i32 s82, s82, s84
	s_mul_hi_u32 s85, s81, s89
	s_mul_hi_u32 s84, s81, s82
	s_mul_i32 s81, s81, s82
	s_add_u32 s81, s85, s81
	s_addc_u32 s84, 0, s84
	s_mul_hi_u32 s90, s79, s89
	s_mul_i32 s89, s79, s89
	s_add_u32 s81, s81, s89
	s_mul_hi_u32 s85, s79, s82
	s_addc_u32 s81, s84, s90
	s_addc_u32 s84, s85, 0
	s_mul_i32 s82, s79, s82
	s_add_u32 s81, s81, s82
	s_addc_u32 s82, 0, s84
	v_add_co_u32_e32 v3, vcc, s81, v3
	s_cmp_lg_u64 vcc, 0
	s_addc_u32 s79, s79, s82
	v_readfirstlane_b32 s82, v3
	s_mul_i32 s81, s72, s79
	s_mul_hi_u32 s84, s72, s82
	s_add_i32 s81, s84, s81
	s_mul_i32 s78, s78, s82
	s_add_i32 s81, s81, s78
	s_mul_i32 s72, s72, s82
	s_mul_hi_u32 s84, s79, s72
	s_mul_i32 s85, s79, s72
	s_mul_i32 s90, s82, s81
	s_mul_hi_u32 s72, s82, s72
	s_mul_hi_u32 s89, s82, s81
	s_add_u32 s72, s72, s90
	s_addc_u32 s82, 0, s89
	s_add_u32 s72, s72, s85
	s_mul_hi_u32 s78, s79, s81
	s_addc_u32 s72, s82, s84
	s_addc_u32 s78, s78, 0
	s_mul_i32 s81, s79, s81
	s_add_u32 s72, s72, s81
	s_addc_u32 s78, 0, s78
	v_add_co_u32_e32 v3, vcc, s72, v3
	s_cmp_lg_u64 vcc, 0
	s_addc_u32 s72, s79, s78
	v_readfirstlane_b32 s81, v3
	s_mul_i32 s79, s80, s72
	s_mul_hi_u32 s82, s80, s81
	s_mul_hi_u32 s78, s80, s72
	s_add_u32 s79, s82, s79
	s_addc_u32 s78, 0, s78
	s_mul_hi_u32 s84, s73, s81
	s_mul_i32 s81, s73, s81
	s_add_u32 s79, s79, s81
	s_mul_hi_u32 s82, s73, s72
	s_addc_u32 s78, s78, s84
	s_addc_u32 s79, s82, 0
	s_mul_i32 s72, s73, s72
	s_add_u32 s72, s78, s72
	s_addc_u32 s78, 0, s79
	s_mul_hi_u32 s79, s33, s72
	s_mul_i32 s72, s33, s72
	s_mul_i32 s78, s33, s78
	v_mov_b32_e32 v3, s72
	s_add_i32 s79, s79, s78
	v_sub_co_u32_e32 v3, vcc, s80, v3
	s_cmp_lg_u64 vcc, 0
	s_subb_u32 s72, s73, s79
	v_subrev_co_u32_e32 v4, vcc, s33, v3
	s_cmp_lg_u64 vcc, 0
	s_subb_u32 s78, s72, 0
	v_subrev_co_u32_e32 v5, vcc, s33, v4
	s_cmp_lg_u64 vcc, 0
	s_subb_u32 s79, s78, 0
	v_cmp_le_u32_e32 vcc, s33, v4
	s_cmp_eq_u32 s78, 0
	v_cndmask_b32_e64 v6, 0, -1, vcc
	s_cselect_b64 vcc, -1, 0
	v_cndmask_b32_e32 v6, -1, v6, vcc
	v_mov_b32_e32 v7, s78
	v_mov_b32_e32 v8, s79
	v_cmp_ne_u32_e32 vcc, 0, v6
	v_cndmask_b32_e32 v6, v7, v8, vcc
	v_cndmask_b32_e32 v4, v4, v5, vcc
	v_cmp_le_u32_e32 vcc, s33, v3
	s_cmp_eq_u32 s72, 0
	v_cndmask_b32_e64 v5, 0, -1, vcc
	s_cselect_b64 vcc, -1, 0
	v_cndmask_b32_e32 v5, -1, v5, vcc
	v_mov_b32_e32 v7, s72
	v_cmp_ne_u32_e32 vcc, 0, v5
	v_cndmask_b32_e32 v5, v7, v6, vcc
	v_cndmask_b32_e32 v4, v3, v4, vcc
	s_mov_b64 s[78:79], 0
	s_branch .LBB156_425
.LBB156_421:                            ;   in Loop: Header=BB156_6 Depth=1
                                        ; implicit-def: $vgpr4_vgpr5
	s_branch .LBB156_375
.LBB156_422:                            ;   in Loop: Header=BB156_6 Depth=1
                                        ; implicit-def: $vgpr4_vgpr5
	s_branch .LBB156_391
.LBB156_423:                            ;   in Loop: Header=BB156_6 Depth=1
	s_mov_b64 s[12:13], -1
	s_mov_b64 s[80:81], 0
                                        ; implicit-def: $sgpr72_sgpr73
                                        ; implicit-def: $vgpr6_vgpr7
	s_branch .LBB156_437
.LBB156_424:                            ;   in Loop: Header=BB156_6 Depth=1
	s_mov_b64 s[78:79], -1
                                        ; implicit-def: $vgpr4_vgpr5
.LBB156_425:                            ;   in Loop: Header=BB156_6 Depth=1
	s_andn2_b64 vcc, exec, s[78:79]
	s_cbranch_vccnz .LBB156_427
; %bb.426:                              ;   in Loop: Header=BB156_6 Depth=1
	v_cvt_f32_u32_e32 v3, s33
	s_sub_i32 s72, 0, s33
	v_rcp_iflag_f32_e32 v3, v3
	v_mul_f32_e32 v3, 0x4f7ffffe, v3
	v_cvt_u32_f32_e32 v3, v3
	v_mul_lo_u32 v4, s72, v3
	v_mul_hi_u32 v4, v3, v4
	v_add_u32_e32 v3, v3, v4
	v_mul_hi_u32 v3, s80, v3
	v_mul_lo_u32 v3, v3, s33
	v_sub_u32_e32 v3, s80, v3
	v_subrev_u32_e32 v4, s33, v3
	v_cmp_le_u32_e32 vcc, s33, v3
	v_cndmask_b32_e32 v3, v3, v4, vcc
	v_subrev_u32_e32 v4, s33, v3
	v_cmp_le_u32_e32 vcc, s33, v3
	v_cndmask_b32_e32 v20, v3, v4, vcc
	v_pk_mov_b32 v[4:5], v[20:21], v[20:21] op_sel:[0,1]
.LBB156_427:                            ;   in Loop: Header=BB156_6 Depth=1
	v_mov_b32_e32 v3, s73
	v_sub_co_u32_e32 v8, vcc, s80, v4
	v_subb_co_u32_e32 v9, vcc, v3, v5, vcc
	v_cmp_gt_u64_e32 vcc, v[8:9], v[0:1]
	s_mov_b64 s[80:81], 0
                                        ; implicit-def: $vgpr6_vgpr7
	s_and_saveexec_b64 s[72:73], vcc
	s_cbranch_execz .LBB156_436
; %bb.428:                              ;   in Loop: Header=BB156_6 Depth=1
	v_mov_b32_e32 v14, v49
	v_pk_mov_b32 v[12:13], v[0:1], v[0:1] op_sel:[0,1]
                                        ; implicit-def: $sgpr78_sgpr79
	s_branch .LBB156_430
.LBB156_429:                            ;   in Loop: Header=BB156_430 Depth=2
	s_or_b64 exec, exec, s[84:85]
	s_waitcnt lgkmcnt(0)
	s_barrier
	ds_read_b128 v[4:7], v21 offset:3072
	v_mov_b32_e32 v3, s0
	v_add_co_u32_e32 v12, vcc, s33, v12
	v_addc_co_u32_e32 v13, vcc, v13, v3, vcc
	s_waitcnt lgkmcnt(0)
	v_readfirstlane_b32 s85, v5
	v_readfirstlane_b32 s84, v4
	s_cmp_lg_u64 s[84:85], 0
	s_cselect_b64 s[84:85], -1, 0
	v_cmp_ge_u64_e32 vcc, v[12:13], v[8:9]
	s_or_b64 s[90:91], vcc, s[84:85]
	s_and_b64 s[90:91], exec, s[90:91]
	s_or_b64 s[80:81], s[90:91], s[80:81]
	s_andn2_b64 s[78:79], s[78:79], exec
	s_and_b64 s[84:85], s[84:85], exec
	v_add_u32_e32 v14, s88, v14
	s_or_b64 s[78:79], s[78:79], s[84:85]
	s_barrier
	s_andn2_b64 exec, exec, s[80:81]
	s_cbranch_execz .LBB156_435
.LBB156_430:                            ;   Parent Loop BB156_6 Depth=1
                                        ; =>  This Inner Loop Header: Depth=2
	v_cmp_gt_u64_e32 vcc, s[12:13], v[12:13]
	v_pk_mov_b32 v[4:5], 0, 0
	s_and_saveexec_b64 s[84:85], vcc
	s_cbranch_execz .LBB156_432
; %bb.431:                              ;   in Loop: Header=BB156_430 Depth=2
	ds_read_b64 v[4:5], v14
.LBB156_432:                            ;   in Loop: Header=BB156_430 Depth=2
	s_or_b64 exec, exec, s[84:85]
	s_and_saveexec_b64 s[84:85], vcc
	s_cbranch_execz .LBB156_429
; %bb.433:                              ;   in Loop: Header=BB156_430 Depth=2
	s_waitcnt lgkmcnt(0)
	v_xor_b32_e32 v3, 0x80000000, v5
	v_and_b32_e32 v7, v3, v33
	v_and_b32_e32 v6, v4, v32
	v_cmp_eq_u64_e32 vcc, v[6:7], v[34:35]
	s_and_b64 exec, exec, vcc
	s_cbranch_execz .LBB156_429
; %bb.434:                              ;   in Loop: Header=BB156_430 Depth=2
	v_mov_b32_e32 v3, v21
	ds_write_b128 v21, v[2:5] offset:3072
	s_branch .LBB156_429
.LBB156_435:                            ;   in Loop: Header=BB156_6 Depth=1
	s_or_b64 exec, exec, s[80:81]
	s_and_b64 s[80:81], s[78:79], exec
.LBB156_436:                            ;   in Loop: Header=BB156_6 Depth=1
	s_or_b64 exec, exec, s[72:73]
	s_mov_b64 s[12:13], 0
	s_mov_b64 s[72:73], -1
.LBB156_437:                            ;   in Loop: Header=BB156_6 Depth=1
	s_and_b64 vcc, exec, s[12:13]
	s_mov_b64 s[78:79], s[12:13]
	s_cbranch_vccz .LBB156_453
; %bb.438:                              ;   in Loop: Header=BB156_6 Depth=1
	v_readlane_b32 s68, v62, 33
	v_readlane_b32 s69, v62, 34
	s_mov_b32 s68, s83
	s_cmp_lg_u64 s[68:69], 0
	v_writelane_b32 v62, s68, 33
	v_writelane_b32 v62, s69, 34
	s_cbranch_scc0 .LBB156_440
; %bb.439:                              ;   in Loop: Header=BB156_6 Depth=1
	v_cvt_f32_u32_e32 v3, s33
	s_sub_u32 s12, 0, s33
	s_subb_u32 s13, 0, 0
	v_readlane_b32 s68, v62, 31
	v_mac_f32_e32 v3, 0, v53
	v_rcp_f32_e32 v3, v3
	v_mul_f32_e32 v3, 0x5f7ffffc, v3
	v_mul_f32_e32 v4, 0x2f800000, v3
	v_trunc_f32_e32 v4, v4
	v_mac_f32_e32 v3, 0xcf800000, v4
	v_cvt_u32_f32_e32 v4, v4
	v_cvt_u32_f32_e32 v3, v3
	v_readfirstlane_b32 s72, v4
	v_readfirstlane_b32 s73, v3
	s_mul_i32 s78, s12, s72
	s_mul_hi_u32 s80, s12, s73
	s_mul_i32 s79, s13, s73
	s_add_i32 s78, s80, s78
	s_mul_i32 s81, s12, s73
	s_add_i32 s78, s78, s79
	s_mul_hi_u32 s80, s73, s81
	s_mul_hi_u32 s79, s73, s78
	s_mul_i32 s73, s73, s78
	s_add_u32 s73, s80, s73
	s_addc_u32 s79, 0, s79
	s_mul_hi_u32 s82, s72, s81
	s_mul_i32 s81, s72, s81
	s_add_u32 s73, s73, s81
	s_mul_hi_u32 s80, s72, s78
	s_addc_u32 s73, s79, s82
	s_addc_u32 s79, s80, 0
	s_mul_i32 s78, s72, s78
	s_add_u32 s73, s73, s78
	s_addc_u32 s78, 0, s79
	v_add_co_u32_e32 v3, vcc, s73, v3
	s_cmp_lg_u64 vcc, 0
	s_addc_u32 s72, s72, s78
	v_readfirstlane_b32 s78, v3
	s_mul_i32 s73, s12, s72
	s_mul_hi_u32 s79, s12, s78
	s_add_i32 s73, s79, s73
	s_mul_i32 s13, s13, s78
	s_add_i32 s73, s73, s13
	s_mul_i32 s12, s12, s78
	s_mul_hi_u32 s79, s72, s12
	s_mul_i32 s80, s72, s12
	s_mul_i32 s82, s78, s73
	s_mul_hi_u32 s12, s78, s12
	s_mul_hi_u32 s81, s78, s73
	s_add_u32 s12, s12, s82
	s_addc_u32 s78, 0, s81
	s_add_u32 s12, s12, s80
	s_mul_hi_u32 s13, s72, s73
	s_addc_u32 s12, s78, s79
	s_addc_u32 s13, s13, 0
	s_mul_i32 s73, s72, s73
	s_add_u32 s12, s12, s73
	s_addc_u32 s13, 0, s13
	v_add_co_u32_e32 v3, vcc, s12, v3
	s_cmp_lg_u64 vcc, 0
	s_addc_u32 s12, s72, s13
	v_readfirstlane_b32 s73, v3
	s_mul_i32 s72, s68, s12
	s_mul_hi_u32 s78, s68, s73
	s_mul_hi_u32 s13, s68, s12
	s_add_u32 s72, s78, s72
	s_addc_u32 s13, 0, s13
	s_mul_hi_u32 s79, s69, s73
	s_mul_i32 s73, s69, s73
	s_add_u32 s72, s72, s73
	s_mul_hi_u32 s78, s69, s12
	s_addc_u32 s13, s13, s79
	s_addc_u32 s72, s78, 0
	s_mul_i32 s12, s69, s12
	s_add_u32 s12, s13, s12
	s_addc_u32 s13, 0, s72
	s_mul_hi_u32 s72, s33, s12
	s_mul_i32 s12, s33, s12
	s_mul_i32 s13, s33, s13
	v_mov_b32_e32 v3, s12
	s_add_i32 s72, s72, s13
	v_sub_co_u32_e32 v3, vcc, s68, v3
	s_cmp_lg_u64 vcc, 0
	s_subb_u32 s12, s69, s72
	v_subrev_co_u32_e32 v4, vcc, s33, v3
	s_cmp_lg_u64 vcc, 0
	s_subb_u32 s13, s12, 0
	v_subrev_co_u32_e32 v5, vcc, s33, v4
	s_cmp_lg_u64 vcc, 0
	s_subb_u32 s72, s13, 0
	v_cmp_le_u32_e32 vcc, s33, v4
	s_cmp_eq_u32 s13, 0
	v_cndmask_b32_e64 v6, 0, -1, vcc
	s_cselect_b64 vcc, -1, 0
	v_cndmask_b32_e32 v6, -1, v6, vcc
	v_mov_b32_e32 v7, s13
	v_mov_b32_e32 v8, s72
	v_cmp_ne_u32_e32 vcc, 0, v6
	v_cndmask_b32_e32 v6, v7, v8, vcc
	v_cndmask_b32_e32 v4, v4, v5, vcc
	v_cmp_le_u32_e32 vcc, s33, v3
	s_cmp_eq_u32 s12, 0
	v_cndmask_b32_e64 v5, 0, -1, vcc
	s_cselect_b64 vcc, -1, 0
	v_cndmask_b32_e32 v5, -1, v5, vcc
	v_mov_b32_e32 v7, s12
	v_cmp_ne_u32_e32 vcc, 0, v5
	v_cndmask_b32_e32 v5, v7, v6, vcc
	v_cndmask_b32_e32 v4, v3, v4, vcc
	s_mov_b64 s[12:13], 0
	s_branch .LBB156_441
.LBB156_440:                            ;   in Loop: Header=BB156_6 Depth=1
	s_mov_b64 s[12:13], -1
                                        ; implicit-def: $vgpr4_vgpr5
.LBB156_441:                            ;   in Loop: Header=BB156_6 Depth=1
	s_andn2_b64 vcc, exec, s[12:13]
	s_cbranch_vccnz .LBB156_443
; %bb.442:                              ;   in Loop: Header=BB156_6 Depth=1
	v_cvt_f32_u32_e32 v3, s33
	s_sub_i32 s12, 0, s33
	v_rcp_iflag_f32_e32 v3, v3
	v_mul_f32_e32 v3, 0x4f7ffffe, v3
	v_cvt_u32_f32_e32 v3, v3
	v_mul_lo_u32 v4, s12, v3
	v_mul_hi_u32 v4, v3, v4
	v_add_u32_e32 v3, v3, v4
	v_readlane_b32 s12, v62, 31
	v_mul_hi_u32 v3, s12, v3
	v_mul_lo_u32 v3, v3, s33
	v_sub_u32_e32 v3, s12, v3
	v_subrev_u32_e32 v4, s33, v3
	v_cmp_le_u32_e32 vcc, s33, v3
	v_cndmask_b32_e32 v3, v3, v4, vcc
	v_subrev_u32_e32 v4, s33, v3
	v_cmp_le_u32_e32 vcc, s33, v3
	v_cndmask_b32_e32 v20, v3, v4, vcc
	v_pk_mov_b32 v[4:5], v[20:21], v[20:21] op_sel:[0,1]
.LBB156_443:                            ;   in Loop: Header=BB156_6 Depth=1
	v_readlane_b32 s12, v62, 33
	v_readlane_b32 s13, v62, 34
	;; [unrolled: 1-line block ×3, first 2 shown]
	v_mov_b32_e32 v3, s13
	v_sub_co_u32_e32 v8, vcc, s12, v4
	v_subb_co_u32_e32 v9, vcc, v3, v5, vcc
	v_cmp_gt_u64_e32 vcc, v[8:9], v[0:1]
	s_mov_b64 s[80:81], 0
                                        ; implicit-def: $vgpr6_vgpr7
	s_and_saveexec_b64 s[12:13], vcc
	s_cbranch_execz .LBB156_452
; %bb.444:                              ;   in Loop: Header=BB156_6 Depth=1
	s_mov_b64 s[78:79], 0
	v_pk_mov_b32 v[12:13], v[18:19], v[18:19] op_sel:[0,1]
	v_pk_mov_b32 v[14:15], v[0:1], v[0:1] op_sel:[0,1]
                                        ; implicit-def: $sgpr72_sgpr73
	s_branch .LBB156_446
.LBB156_445:                            ;   in Loop: Header=BB156_446 Depth=2
	s_or_b64 exec, exec, s[80:81]
	s_waitcnt lgkmcnt(0)
	s_barrier
	s_waitcnt vmcnt(0)
	ds_read_b128 v[4:7], v21 offset:3072
	v_mov_b32_e32 v3, s0
	v_add_co_u32_e32 v14, vcc, s33, v14
	v_addc_co_u32_e32 v15, vcc, v15, v3, vcc
	s_waitcnt lgkmcnt(0)
	v_readfirstlane_b32 s81, v5
	v_readfirstlane_b32 s80, v4
	s_cmp_lg_u64 s[80:81], 0
	s_cselect_b64 s[80:81], -1, 0
	v_cmp_ge_u64_e32 vcc, v[14:15], v[8:9]
	s_or_b64 s[84:85], vcc, s[80:81]
	s_and_b64 s[84:85], exec, s[84:85]
	s_or_b64 s[78:79], s[84:85], s[78:79]
	v_mov_b32_e32 v3, s61
	v_add_co_u32_e32 v12, vcc, s60, v12
	s_andn2_b64 s[72:73], s[72:73], exec
	s_and_b64 s[80:81], s[80:81], exec
	v_addc_co_u32_e32 v13, vcc, v13, v3, vcc
	s_or_b64 s[72:73], s[72:73], s[80:81]
	s_barrier
	s_andn2_b64 exec, exec, s[78:79]
	s_cbranch_execz .LBB156_451
.LBB156_446:                            ;   Parent Loop BB156_6 Depth=1
                                        ; =>  This Inner Loop Header: Depth=2
	v_cmp_gt_u64_e32 vcc, s[56:57], v[14:15]
	v_pk_mov_b32 v[4:5], 0, 0
	s_and_saveexec_b64 s[80:81], vcc
	s_cbranch_execz .LBB156_448
; %bb.447:                              ;   in Loop: Header=BB156_446 Depth=2
	global_load_dwordx2 v[4:5], v[12:13], off
.LBB156_448:                            ;   in Loop: Header=BB156_446 Depth=2
	s_or_b64 exec, exec, s[80:81]
	s_and_saveexec_b64 s[80:81], vcc
	s_cbranch_execz .LBB156_445
; %bb.449:                              ;   in Loop: Header=BB156_446 Depth=2
	s_waitcnt vmcnt(0)
	v_xor_b32_e32 v3, 0x80000000, v5
	v_and_b32_e32 v7, v3, v33
	v_and_b32_e32 v6, v4, v32
	v_cmp_eq_u64_e32 vcc, v[6:7], v[34:35]
	s_and_b64 exec, exec, vcc
	s_cbranch_execz .LBB156_445
; %bb.450:                              ;   in Loop: Header=BB156_446 Depth=2
	v_mov_b32_e32 v3, v21
	ds_write_b128 v21, v[2:5] offset:3072
	s_branch .LBB156_445
.LBB156_451:                            ;   in Loop: Header=BB156_6 Depth=1
	s_or_b64 exec, exec, s[78:79]
	s_and_b64 s[80:81], s[72:73], exec
.LBB156_452:                            ;   in Loop: Header=BB156_6 Depth=1
	s_or_b64 exec, exec, s[12:13]
	s_mov_b64 s[72:73], 0
	s_mov_b64 s[12:13], -1
	s_mov_b64 s[78:79], 0
.LBB156_453:                            ;   in Loop: Header=BB156_6 Depth=1
	s_orn2_b64 s[80:81], s[80:81], exec
.LBB156_454:                            ;   in Loop: Header=BB156_6 Depth=1
	s_or_b64 exec, exec, s[54:55]
	s_mov_b64 s[84:85], 0
                                        ; implicit-def: $vgpr3
                                        ; implicit-def: $vgpr4_vgpr5
	s_and_saveexec_b64 s[54:55], s[80:81]
	s_cbranch_execz .LBB156_466
; %bb.455:                              ;   in Loop: Header=BB156_6 Depth=1
	v_mov_b32_e32 v4, 1
	s_xor_b64 s[80:81], s[22:23], -1
	v_mov_b32_e32 v3, 1
	v_mov_b32_e32 v5, 0
	s_and_saveexec_b64 s[22:23], s[80:81]
	s_cbranch_execz .LBB156_465
; %bb.456:                              ;   in Loop: Header=BB156_6 Depth=1
	v_cmp_ge_u64_e32 vcc, s[16:17], v[10:11]
                                        ; implicit-def: $sgpr82
	s_and_saveexec_b64 s[80:81], vcc
	s_xor_b64 s[80:81], exec, s[80:81]
	s_cbranch_execz .LBB156_462
; %bb.457:                              ;   in Loop: Header=BB156_6 Depth=1
	ds_read_b64 v[4:5], v21 offset:5120
	s_waitcnt lgkmcnt(0)
	v_cmp_ne_u64_e32 vcc, 0, v[4:5]
	s_cbranch_vccnz .LBB156_461
; %bb.458:                              ;   in Loop: Header=BB156_6 Depth=1
	v_readlane_b32 s68, v62, 8
	v_readlane_b32 s69, v62, 9
	s_and_saveexec_b64 s[84:85], s[68:69]
	s_cbranch_execz .LBB156_460
; %bb.459:                              ;   in Loop: Header=BB156_6 Depth=1
	v_pk_mov_b32 v[4:5], s[16:17], s[16:17] op_sel:[0,1]
	ds_write_b64 v21, v[4:5] offset:5128
.LBB156_460:                            ;   in Loop: Header=BB156_6 Depth=1
	s_or_b64 exec, exec, s[84:85]
	s_waitcnt lgkmcnt(0)
	s_barrier
.LBB156_461:                            ;   in Loop: Header=BB156_6 Depth=1
	v_and_b32_e32 v35, s21, v35
	v_and_b32_e32 v34, s20, v34
	v_or_b32_e32 v33, s19, v33
	v_or_b32_e32 v32, s18, v32
	s_mov_b32 s82, 5
.LBB156_462:                            ;   in Loop: Header=BB156_6 Depth=1
	s_or_saveexec_b64 s[18:19], s[80:81]
	v_mov_b32_e32 v3, s82
	s_xor_b64 exec, exec, s[18:19]
; %bb.463:                              ;   in Loop: Header=BB156_6 Depth=1
	v_mov_b32_e32 v3, s17
	v_subrev_co_u32_e32 v10, vcc, s16, v10
	v_subb_co_u32_e32 v11, vcc, v11, v3, vcc
	v_mov_b32_e32 v3, 5
; %bb.464:                              ;   in Loop: Header=BB156_6 Depth=1
	s_or_b64 exec, exec, s[18:19]
	v_pk_mov_b32 v[4:5], v[10:11], v[10:11] op_sel:[0,1]
.LBB156_465:                            ;   in Loop: Header=BB156_6 Depth=1
	s_or_b64 exec, exec, s[22:23]
	s_mov_b64 s[84:85], exec
.LBB156_466:                            ;   in Loop: Header=BB156_6 Depth=1
	s_or_b64 exec, exec, s[54:55]
	s_orn2_b64 s[22:23], s[84:85], exec
	v_pk_mov_b32 v[10:11], v[4:5], v[4:5] op_sel:[0,1]
.LBB156_467:                            ;   in Loop: Header=BB156_6 Depth=1
	s_or_b64 exec, exec, s[4:5]
	s_andn2_b64 s[2:3], s[2:3], exec
	s_and_b64 s[4:5], s[12:13], exec
	s_or_b64 s[2:3], s[2:3], s[4:5]
	s_andn2_b64 s[4:5], s[48:49], exec
	s_and_b64 s[12:13], s[72:73], exec
	s_or_b64 s[48:49], s[4:5], s[12:13]
	;; [unrolled: 3-line block ×3, first 2 shown]
	s_and_b64 s[12:13], s[22:23], exec
	v_pk_mov_b32 v[8:9], v[10:11], v[10:11] op_sel:[0,1]
.LBB156_468:                            ;   in Loop: Header=BB156_6 Depth=1
	s_or_b64 exec, exec, s[52:53]
	s_and_b64 s[52:53], s[2:3], exec
	s_and_b64 s[48:49], s[48:49], exec
	;; [unrolled: 1-line block ×3, first 2 shown]
	s_orn2_b64 s[2:3], s[12:13], exec
.LBB156_469:                            ;   in Loop: Header=BB156_6 Depth=1
	s_or_b64 exec, exec, s[26:27]
	s_andn2_b64 s[12:13], s[28:29], exec
	s_and_b64 s[16:17], s[52:53], exec
	s_or_b64 s[28:29], s[12:13], s[16:17]
	s_andn2_b64 s[12:13], s[40:41], exec
	s_and_b64 s[16:17], s[48:49], exec
	s_or_b64 s[40:41], s[12:13], s[16:17]
	;; [unrolled: 3-line block ×3, first 2 shown]
	s_and_b64 s[48:49], s[2:3], exec
	v_pk_mov_b32 v[38:39], v[8:9], v[8:9] op_sel:[0,1]
.LBB156_470:                            ;   in Loop: Header=BB156_6 Depth=1
	s_or_b64 exec, exec, s[46:47]
	s_and_b64 s[12:13], s[28:29], exec
	s_and_b64 s[4:5], s[40:41], exec
	;; [unrolled: 1-line block ×3, first 2 shown]
	s_orn2_b64 s[28:29], s[48:49], exec
.LBB156_471:                            ;   in Loop: Header=BB156_6 Depth=1
	s_or_b64 exec, exec, s[6:7]
	s_mov_b64 s[6:7], s[36:37]
	s_mov_b64 s[16:17], s[34:35]
	s_and_saveexec_b64 s[18:19], s[28:29]
; %bb.472:                              ;   in Loop: Header=BB156_6 Depth=1
	v_cmp_ne_u32_e64 s[6:7], 5, v3
	v_cmp_eq_u32_e32 vcc, 5, v3
	s_andn2_b64 s[16:17], s[34:35], exec
	s_and_b64 s[6:7], s[6:7], exec
	s_or_b64 s[16:17], s[16:17], s[6:7]
	s_andn2_b64 s[6:7], s[36:37], exec
	s_and_b64 s[20:21], vcc, exec
	s_andn2_b64 s[12:13], s[12:13], exec
	s_andn2_b64 s[4:5], s[4:5], exec
	;; [unrolled: 1-line block ×3, first 2 shown]
	s_or_b64 s[6:7], s[6:7], s[20:21]
; %bb.473:                              ;   in Loop: Header=BB156_6 Depth=1
	s_or_b64 exec, exec, s[18:19]
	s_andn2_b64 s[14:15], s[14:15], exec
	s_and_b64 s[12:13], s[12:13], exec
	s_or_b64 s[14:15], s[14:15], s[12:13]
	s_andn2_b64 s[12:13], s[42:43], exec
	s_and_b64 s[4:5], s[4:5], exec
	s_or_b64 s[42:43], s[12:13], s[4:5]
	s_andn2_b64 s[4:5], s[24:25], exec
	s_and_b64 s[2:3], s[2:3], exec
	s_or_b64 s[24:25], s[4:5], s[2:3]
	s_andn2_b64 s[2:3], s[34:35], exec
	s_and_b64 s[4:5], s[16:17], exec
	s_or_b64 s[34:35], s[2:3], s[4:5]
	s_andn2_b64 s[2:3], s[36:37], exec
	s_and_b64 s[4:5], s[6:7], exec
	s_or_b64 s[36:37], s[2:3], s[4:5]
	v_pk_mov_b32 v[12:13], v[34:35], v[34:35] op_sel:[0,1]
	v_pk_mov_b32 v[14:15], v[32:33], v[32:33] op_sel:[0,1]
	;; [unrolled: 1-line block ×3, first 2 shown]
.LBB156_474:                            ;   in Loop: Header=BB156_6 Depth=1
	s_or_b64 exec, exec, s[38:39]
	s_mov_b64 s[40:41], s[24:25]
	s_mov_b64 s[38:39], s[24:25]
	s_and_saveexec_b64 s[2:3], s[36:37]
.LBB156_475:                            ;   in Loop: Header=BB156_6 Depth=1
	v_mov_b32_e32 v3, 0
	s_andn2_b64 s[24:25], s[24:25], exec
	s_andn2_b64 s[14:15], s[14:15], exec
	s_andn2_b64 s[42:43], s[42:43], exec
	s_andn2_b64 s[40:41], s[40:41], exec
	s_andn2_b64 s[38:39], s[38:39], exec
	s_or_b64 s[34:35], s[34:35], exec
.LBB156_476:                            ;   in Loop: Header=BB156_6 Depth=1
	s_or_b64 exec, exec, s[2:3]
	s_andn2_b64 s[2:3], s[86:87], exec
	s_and_b64 s[6:7], s[24:25], exec
	s_or_b64 s[86:87], s[2:3], s[6:7]
	s_andn2_b64 s[2:3], s[10:11], exec
	s_and_b64 s[6:7], s[14:15], exec
	s_or_b64 s[10:11], s[2:3], s[6:7]
	;; [unrolled: 3-line block ×3, first 2 shown]
	v_readlane_b32 s2, v62, 50
	v_readlane_b32 s3, v62, 51
	s_andn2_b64 s[2:3], s[2:3], exec
	s_and_b64 s[6:7], s[40:41], exec
	s_or_b64 s[28:29], s[2:3], s[6:7]
	v_readlane_b32 s2, v62, 48
	v_readlane_b32 s3, v62, 49
	s_andn2_b64 s[2:3], s[2:3], exec
	s_and_b64 s[6:7], s[38:39], exec
	s_mov_b64 s[4:5], -1
	s_or_b64 s[26:27], s[2:3], s[6:7]
                                        ; implicit-def: $vgpr32_vgpr33
                                        ; implicit-def: $vgpr34_vgpr35
                                        ; implicit-def: $vgpr36_vgpr37
                                        ; implicit-def: $vgpr6_vgpr7
	s_and_saveexec_b64 s[2:3], s[34:35]
	s_xor_b64 s[2:3], exec, s[2:3]
	s_cbranch_execz .LBB156_5
; %bb.477:                              ;   in Loop: Header=BB156_6 Depth=1
	v_cmp_eq_u32_e32 vcc, 0, v3
	s_mov_b64 s[6:7], -1
	s_and_saveexec_b64 s[12:13], vcc
	s_cbranch_execz .LBB156_4
; %bb.478:                              ;   in Loop: Header=BB156_6 Depth=1
	v_readlane_b32 s4, v62, 47
	s_xor_b32 s4, s4, 1
	v_writelane_b32 v62, s4, 47
	v_readlane_b32 s4, v62, 46
	s_add_i32 s14, s4, -2
	s_cmp_eq_u32 s4, 0
	s_cselect_b64 s[4:5], -1, 0
	s_xor_b64 s[6:7], exec, -1
	s_orn2_b64 s[4:5], s[4:5], exec
	v_writelane_b32 v62, s14, 46
	s_branch .LBB156_4
.LBB156_479:
	s_or_b64 exec, exec, s[74:75]
	s_xor_b64 s[4:5], s[92:93], -1
	s_xor_b64 s[14:15], s[64:65], -1
	;; [unrolled: 1-line block ×5, first 2 shown]
	s_mov_b64 s[8:9], 0
	s_and_saveexec_b64 s[10:11], s[6:7]
	s_xor_b64 s[6:7], exec, s[10:11]
	s_cbranch_execnz .LBB156_484
; %bb.480:
	s_andn2_saveexec_b64 s[0:1], s[6:7]
	s_cbranch_execnz .LBB156_503
.LBB156_481:
	s_or_b64 exec, exec, s[0:1]
	s_and_saveexec_b64 s[0:1], s[8:9]
.LBB156_482:
	; divergent unreachable
.LBB156_483:
	s_endpgm
.LBB156_484:
	s_mov_b64 s[10:11], 0
	s_and_saveexec_b64 s[8:9], s[12:13]
	s_xor_b64 s[8:9], exec, s[8:9]
	s_cbranch_execz .LBB156_501
; %bb.485:
	s_mov_b64 s[12:13], 0
	s_and_saveexec_b64 s[10:11], s[14:15]
	s_xor_b64 s[10:11], exec, s[10:11]
	s_cbranch_execz .LBB156_499
; %bb.486:
	;; [unrolled: 5-line block ×3, first 2 shown]
	s_and_saveexec_b64 s[4:5], s[2:3]
	s_xor_b64 s[2:3], exec, s[4:5]
; %bb.488:
	v_xor_b32_e32 v13, 0x80000000, v13
	v_pk_mov_b32 v[10:11], v[12:13], v[12:13] op_sel:[0,1]
; %bb.489:
	s_or_b64 exec, exec, s[2:3]
	s_mov_b64 s[2:3], exec
	v_readlane_b32 s20, v62, 10
	v_readlane_b32 s21, v62, 11
	s_load_dwordx2 s[38:39], s[20:21], 0x0
	v_readlane_b32 s4, v62, 8
	v_readlane_b32 s5, v62, 9
	;; [unrolled: 1-line block ×3, first 2 shown]
	s_and_b64 s[4:5], s[2:3], s[4:5]
	v_readlane_b32 s41, v62, 17
	s_mov_b64 exec, s[4:5]
	s_cbranch_execz .LBB156_491
; %bb.490:
	v_mov_b32_e32 v2, 0
	v_mov_b32_e32 v3, v2
	ds_write_b64 v2, v[2:3] offset:5136
.LBB156_491:
	s_or_b64 exec, exec, s[2:3]
	s_waitcnt vmcnt(0)
	v_pk_mov_b32 v[4:5], 0, 0
	s_waitcnt lgkmcnt(0)
	s_barrier
	s_mov_b64 s[2:3], exec
	v_readlane_b32 s4, v62, 24
	v_readlane_b32 s5, v62, 25
	s_and_b64 s[4:5], s[2:3], s[4:5]
	s_mov_b64 exec, s[4:5]
	s_cbranch_execz .LBB156_493
; %bb.492:
	global_load_dwordx2 v[4:5], v[18:19], off
.LBB156_493:
	s_or_b64 exec, exec, s[2:3]
	v_readlane_b32 s4, v62, 4
	s_add_u32 s1, s56, 63
	v_readlane_b32 s2, v62, 12
	v_readlane_b32 s5, v62, 5
	;; [unrolled: 1-line block ×3, first 2 shown]
	s_addc_u32 s15, s57, 0
	s_and_b32 s14, s1, 0xffffffc0
	v_readlane_b32 s3, v62, 13
	s_mov_b32 s16, s2
	s_mul_i32 s1, s5, s2
	s_mul_hi_u32 s2, s4, s2
	v_readlane_b32 s19, v62, 1
	s_add_i32 s3, s2, s1
	s_mul_i32 s2, s4, s16
	s_mul_i32 s1, s19, s16
	s_mul_hi_u32 s4, s18, s16
	s_add_i32 s5, s4, s1
	s_mul_i32 s4, s18, s16
	s_lshl_b64 s[2:3], s[2:3], 3
	v_readlane_b32 s16, v62, 6
	v_readlane_b32 s17, v62, 7
	s_add_u32 s1, s16, s2
	s_addc_u32 s46, s17, s3
	s_load_dwordx2 s[16:17], s[20:21], 0x368
	s_load_dwordx2 s[18:19], s[20:21], 0x510
	s_lshl_b64 s[2:3], s[4:5], 3
	v_readlane_b32 s4, v62, 2
	v_readlane_b32 s5, v62, 3
	s_add_u32 s47, s4, s2
	s_addc_u32 s48, s5, s3
	v_cmp_gt_u64_e32 vcc, s[14:15], v[0:1]
	s_mov_b64 s[22:23], -1
	s_mov_b64 s[2:3], 0
	v_add_u32_e32 v26, s33, v0
	s_mov_b64 s[4:5], 0
	s_and_saveexec_b64 s[20:21], vcc
	s_cbranch_execnz .LBB156_504
; %bb.494:
	s_or_b64 exec, exec, s[20:21]
	s_and_saveexec_b64 s[20:21], s[22:23]
	s_cbranch_execnz .LBB156_519
.LBB156_495:
	s_or_b64 exec, exec, s[20:21]
	s_and_saveexec_b64 s[0:1], s[4:5]
	s_xor_b64 s[0:1], exec, s[0:1]
	s_cbranch_execnz .LBB156_541
.LBB156_496:
	s_or_b64 exec, exec, s[0:1]
	s_and_b64 s[14:15], s[2:3], exec
.LBB156_497:
	s_andn2_saveexec_b64 s[0:1], s[12:13]
	s_cbranch_execnz .LBB156_544
.LBB156_498:
	s_or_b64 exec, exec, s[0:1]
	s_and_b64 s[12:13], s[14:15], exec
.LBB156_499:
	s_andn2_saveexec_b64 s[0:1], s[10:11]
	s_cbranch_execnz .LBB156_543
.LBB156_500:
	s_or_b64 exec, exec, s[0:1]
	s_and_b64 s[10:11], s[12:13], exec
.LBB156_501:
	s_andn2_saveexec_b64 s[0:1], s[8:9]
	s_cbranch_execnz .LBB156_542
.LBB156_502:
	s_or_b64 exec, exec, s[0:1]
	s_and_b64 s[8:9], s[10:11], exec
	s_andn2_saveexec_b64 s[0:1], s[6:7]
	s_cbranch_execz .LBB156_481
.LBB156_503:
	s_or_b64 s[8:9], s[8:9], exec
	s_trap 2
	s_or_b64 exec, exec, s[0:1]
	s_and_saveexec_b64 s[0:1], s[8:9]
	s_cbranch_execnz .LBB156_482
	s_branch .LBB156_483
.LBB156_504:
	v_mad_u64_u32 v[6:7], s[4:5], s62, v26, 0
	v_mov_b32_e32 v8, v7
	v_mad_u64_u32 v[8:9], s[4:5], s63, v26, v[8:9]
	v_readlane_b32 s4, v62, 14
	v_mov_b32_e32 v7, v8
	v_readlane_b32 s5, v62, 15
	s_add_u32 s4, s38, s4
	v_lshlrev_b64 v[6:7], 3, v[6:7]
	s_addc_u32 s5, s39, s5
	v_mov_b32_e32 v8, s5
	v_add_co_u32_e32 v6, vcc, s4, v6
	v_xor_b32_e32 v3, 0x80000000, v11
	v_mov_b32_e32 v2, v10
	v_addc_co_u32_e32 v7, vcc, v8, v7, vcc
	s_mov_b64 s[22:23], 0
	v_mov_b32_e32 v27, s0
	v_mov_b32_e32 v9, 0
	v_pk_mov_b32 v[22:23], v[0:1], v[0:1] op_sel:[0,1]
                                        ; implicit-def: $sgpr24_sgpr25
                                        ; implicit-def: $vgpr20_vgpr21
	s_branch .LBB156_506
.LBB156_505:                            ;   in Loop: Header=BB156_506 Depth=1
	s_or_b64 exec, exec, s[26:27]
	s_xor_b64 s[26:27], s[30:31], -1
	s_and_b64 s[4:5], exec, s[4:5]
	s_or_b64 s[22:23], s[4:5], s[22:23]
	s_andn2_b64 s[4:5], s[24:25], exec
	s_and_b64 s[24:25], s[26:27], exec
	s_or_b64 s[24:25], s[4:5], s[24:25]
	v_pk_mov_b32 v[4:5], v[14:15], v[14:15] op_sel:[0,1]
	v_pk_mov_b32 v[22:23], v[12:13], v[12:13] op_sel:[0,1]
	s_andn2_b64 exec, exec, s[22:23]
	s_cbranch_execz .LBB156_518
.LBB156_506:                            ; =>This Inner Loop Header: Depth=1
	v_add_co_u32_e32 v12, vcc, s33, v22
	v_addc_co_u32_e32 v13, vcc, v23, v27, vcc
	v_cmp_gt_u64_e32 vcc, s[56:57], v[12:13]
	v_pk_mov_b32 v[14:15], 0, 0
	s_and_saveexec_b64 s[4:5], vcc
	s_cbranch_execz .LBB156_508
; %bb.507:                              ;   in Loop: Header=BB156_506 Depth=1
	global_load_dwordx2 v[14:15], v[6:7], off
.LBB156_508:                            ;   in Loop: Header=BB156_506 Depth=1
	s_or_b64 exec, exec, s[4:5]
	s_waitcnt vmcnt(0)
	v_xor_b32_e32 v25, 0x80000000, v5
	v_mov_b32_e32 v24, v4
	v_cmp_gt_u64_e64 s[4:5], v[24:25], v[2:3]
	v_cndmask_b32_e64 v8, 0, 1, s[4:5]
	v_cmp_lt_u64_e64 s[4:5], v[24:25], v[2:3]
	v_cndmask_b32_e64 v24, 0, 1, s[4:5]
	v_cndmask_b32_e64 v8, v24, v8, s[40:41]
	v_and_b32_e32 v8, 1, v8
	v_cmp_gt_u64_e32 vcc, s[56:57], v[22:23]
	v_cmp_eq_u32_e64 s[4:5], 1, v8
	s_and_b64 s[28:29], vcc, s[4:5]
	v_cndmask_b32_e64 v8, 0, 1, s[28:29]
	v_cmp_ne_u32_e32 vcc, 0, v8
	s_cmp_lg_u64 vcc, 0
	s_cselect_b64 s[4:5], -1, 0
	s_and_b64 s[4:5], s[94:95], s[4:5]
	s_and_saveexec_b64 s[26:27], s[4:5]
	s_cbranch_execz .LBB156_512
; %bb.509:                              ;   in Loop: Header=BB156_506 Depth=1
	s_mov_b64 s[34:35], exec
	v_mbcnt_lo_u32_b32 v8, s34, 0
	v_mbcnt_hi_u32_b32 v24, s35, v8
	s_bcnt1_i32_b64 s36, vcc
	v_cmp_eq_u32_e64 s[4:5], 0, v24
                                        ; implicit-def: $vgpr20_vgpr21
	s_and_saveexec_b64 s[30:31], s[4:5]
	s_cbranch_execz .LBB156_511
; %bb.510:                              ;   in Loop: Header=BB156_506 Depth=1
	s_bcnt1_i32_b64 s4, s[34:35]
	s_mul_i32 s4, s36, s4
	v_mov_b32_e32 v8, s4
	s_waitcnt lgkmcnt(0)
	ds_add_rtn_u64 v[20:21], v9, v[8:9] offset:5136
.LBB156_511:                            ;   in Loop: Header=BB156_506 Depth=1
	s_or_b64 exec, exec, s[30:31]
	s_waitcnt lgkmcnt(0)
	v_readfirstlane_b32 s4, v21
	v_readfirstlane_b32 s5, v20
	v_mov_b32_e32 v20, s5
	v_mov_b32_e32 v21, s4
	v_mad_u64_u32 v[20:21], s[4:5], s36, v24, v[20:21]
.LBB156_512:                            ;   in Loop: Header=BB156_506 Depth=1
	s_or_b64 exec, exec, s[26:27]
	s_waitcnt lgkmcnt(0)
	ds_bpermute_b32 v20, v46, v20
	ds_bpermute_b32 v21, v46, v21
	s_mov_b64 s[4:5], -1
	s_mov_b64 s[34:35], -1
                                        ; implicit-def: $sgpr30_sgpr31
	s_and_saveexec_b64 s[26:27], s[28:29]
	s_cbranch_execz .LBB156_516
; %bb.513:                              ;   in Loop: Header=BB156_506 Depth=1
	v_and_b32_e32 v24, vcc_lo, v16
	v_and_b32_e32 v8, vcc_hi, v17
	v_bcnt_u32_b32 v24, v24, 0
	v_bcnt_u32_b32 v8, v8, v24
	s_waitcnt lgkmcnt(0)
	v_add_co_u32_e32 v24, vcc, v20, v8
	v_addc_co_u32_e32 v25, vcc, 0, v21, vcc
	v_cmp_gt_u64_e32 vcc, s[58:59], v[24:25]
	s_mov_b64 s[28:29], 0
	s_and_saveexec_b64 s[30:31], vcc
	s_cbranch_execz .LBB156_515
; %bb.514:                              ;   in Loop: Header=BB156_506 Depth=1
	v_mul_lo_u32 v8, v25, s16
	v_mul_lo_u32 v30, v24, s17
	v_mad_u64_u32 v[28:29], s[34:35], v24, s16, 0
	v_add3_u32 v29, v29, v30, v8
	v_mul_lo_u32 v8, v25, s18
	v_mul_lo_u32 v30, v24, s19
	v_mad_u64_u32 v[24:25], s[34:35], v24, s18, 0
	v_lshlrev_b64 v[28:29], 3, v[28:29]
	v_add3_u32 v25, v25, v30, v8
	v_mov_b32_e32 v8, s46
	v_add_co_u32_e32 v28, vcc, s1, v28
	v_addc_co_u32_e32 v29, vcc, v8, v29, vcc
	global_store_dwordx2 v[28:29], v[4:5], off
	v_lshlrev_b64 v[4:5], 3, v[24:25]
	v_mov_b32_e32 v8, s48
	v_add_co_u32_e32 v4, vcc, s47, v4
	s_mov_b64 s[28:29], exec
	v_addc_co_u32_e32 v5, vcc, v8, v5, vcc
	global_store_dwordx2 v[4:5], v[22:23], off
.LBB156_515:                            ;   in Loop: Header=BB156_506 Depth=1
	s_or_b64 exec, exec, s[30:31]
	s_mov_b64 s[30:31], -1
	s_orn2_b64 s[34:35], s[28:29], exec
.LBB156_516:                            ;   in Loop: Header=BB156_506 Depth=1
	s_or_b64 exec, exec, s[26:27]
	s_and_saveexec_b64 s[26:27], s[34:35]
	s_cbranch_execz .LBB156_505
; %bb.517:                              ;   in Loop: Header=BB156_506 Depth=1
	v_mov_b32_e32 v4, s61
	v_add_co_u32_e32 v6, vcc, s60, v6
	v_addc_co_u32_e32 v7, vcc, v7, v4, vcc
	v_cmp_le_u64_e32 vcc, s[14:15], v[12:13]
	s_andn2_b64 s[30:31], s[30:31], exec
	s_orn2_b64 s[4:5], vcc, exec
	s_branch .LBB156_505
.LBB156_518:
	s_or_b64 exec, exec, s[22:23]
	s_mov_b64 s[4:5], exec
	s_orn2_b64 s[22:23], s[24:25], exec
	s_or_b64 exec, exec, s[20:21]
	s_and_saveexec_b64 s[20:21], s[22:23]
	s_cbranch_execz .LBB156_495
.LBB156_519:
	v_pk_mov_b32 v[8:9], 0, 0
	s_waitcnt lgkmcnt(0)
	s_barrier
	s_mov_b64 s[2:3], exec
	v_readlane_b32 s22, v62, 24
	v_readlane_b32 s23, v62, 25
	s_and_b64 s[22:23], s[2:3], s[22:23]
	s_mov_b64 exec, s[22:23]
	s_cbranch_execz .LBB156_521
; %bb.520:
	global_load_dwordx2 v[8:9], v[18:19], off
.LBB156_521:
	s_or_b64 exec, exec, s[2:3]
	v_mad_u64_u32 v[2:3], s[2:3], s62, v26, 0
	s_waitcnt vmcnt(0)
	v_mov_b32_e32 v4, v3
	v_mad_u64_u32 v[4:5], s[2:3], s63, v26, v[4:5]
	v_readlane_b32 s2, v62, 14
	v_mov_b32_e32 v3, v4
	v_readlane_b32 s3, v62, 15
	s_add_u32 s2, s38, s2
	v_lshlrev_b64 v[2:3], 3, v[2:3]
	s_addc_u32 s3, s39, s3
	v_mov_b32_e32 v4, s3
	v_add_co_u32_e32 v2, vcc, s2, v2
	v_addc_co_u32_e32 v3, vcc, v4, v3, vcc
	s_mov_b64 s[22:23], 0
	v_mov_b32_e32 v5, 0
                                        ; implicit-def: $sgpr24_sgpr25
                                        ; implicit-def: $sgpr26_sgpr27
                                        ; implicit-def: $sgpr28_sgpr29
                                        ; implicit-def: $vgpr6_vgpr7
	s_branch .LBB156_524
.LBB156_522:                            ;   in Loop: Header=BB156_524 Depth=1
	s_or_b64 exec, exec, s[36:37]
	s_andn2_b64 s[28:29], s[28:29], exec
	s_and_b64 s[34:35], s[40:41], exec
	s_andn2_b64 s[26:27], s[26:27], exec
	s_and_b64 s[2:3], s[2:3], exec
	s_or_b64 s[28:29], s[28:29], s[34:35]
	s_or_b64 s[26:27], s[26:27], s[2:3]
	v_pk_mov_b32 v[0:1], v[12:13], v[12:13] op_sel:[0,1]
.LBB156_523:                            ;   in Loop: Header=BB156_524 Depth=1
	s_or_b64 exec, exec, s[30:31]
	s_xor_b64 s[2:3], s[28:29], -1
	s_and_b64 s[30:31], exec, s[26:27]
	s_or_b64 s[22:23], s[30:31], s[22:23]
	s_andn2_b64 s[24:25], s[24:25], exec
	s_and_b64 s[2:3], s[2:3], exec
	s_or_b64 s[24:25], s[24:25], s[2:3]
	s_andn2_b64 exec, exec, s[22:23]
	s_cbranch_execz .LBB156_539
.LBB156_524:                            ; =>This Inner Loop Header: Depth=1
	v_cmp_gt_u64_e32 vcc, s[14:15], v[0:1]
	s_or_b64 s[28:29], s[28:29], exec
	s_or_b64 s[26:27], s[26:27], exec
	s_and_saveexec_b64 s[30:31], vcc
	s_cbranch_execz .LBB156_523
; %bb.525:                              ;   in Loop: Header=BB156_524 Depth=1
	v_mov_b32_e32 v4, s0
	v_add_co_u32_e32 v12, vcc, s33, v0
	v_addc_co_u32_e32 v13, vcc, v1, v4, vcc
	v_cmp_gt_u64_e32 vcc, s[56:57], v[12:13]
	v_pk_mov_b32 v[14:15], 0, 0
	s_and_saveexec_b64 s[2:3], vcc
	s_cbranch_execz .LBB156_527
; %bb.526:                              ;   in Loop: Header=BB156_524 Depth=1
	global_load_dwordx2 v[14:15], v[2:3], off
.LBB156_527:                            ;   in Loop: Header=BB156_524 Depth=1
	s_or_b64 exec, exec, s[2:3]
	v_cmp_gt_u64_e32 vcc, s[56:57], v[0:1]
	v_cmp_eq_u64_e64 s[2:3], v[8:9], v[10:11]
	s_and_b64 s[36:37], vcc, s[2:3]
	v_cndmask_b32_e64 v4, 0, 1, s[36:37]
	v_cmp_ne_u32_e32 vcc, 0, v4
	s_cmp_lg_u64 vcc, 0
	s_cselect_b64 s[2:3], -1, 0
	s_and_b64 s[2:3], s[94:95], s[2:3]
	s_and_saveexec_b64 s[34:35], s[2:3]
	s_cbranch_execz .LBB156_531
; %bb.528:                              ;   in Loop: Header=BB156_524 Depth=1
	s_mov_b64 s[40:41], exec
	v_mbcnt_lo_u32_b32 v4, s40, 0
	v_mbcnt_hi_u32_b32 v18, s41, v4
	s_bcnt1_i32_b64 s42, vcc
	v_cmp_eq_u32_e64 s[2:3], 0, v18
                                        ; implicit-def: $vgpr6_vgpr7
	s_and_saveexec_b64 s[38:39], s[2:3]
	s_cbranch_execz .LBB156_530
; %bb.529:                              ;   in Loop: Header=BB156_524 Depth=1
	s_bcnt1_i32_b64 s2, s[40:41]
	s_mul_i32 s2, s42, s2
	v_mov_b32_e32 v4, s2
	ds_add_rtn_u64 v[6:7], v5, v[4:5] offset:5136
.LBB156_530:                            ;   in Loop: Header=BB156_524 Depth=1
	s_or_b64 exec, exec, s[38:39]
	s_waitcnt lgkmcnt(0)
	v_readfirstlane_b32 s2, v7
	v_readfirstlane_b32 s3, v6
	v_mov_b32_e32 v6, s3
	v_mov_b32_e32 v7, s2
	v_mad_u64_u32 v[6:7], s[2:3], s42, v18, v[6:7]
.LBB156_531:                            ;   in Loop: Header=BB156_524 Depth=1
	s_or_b64 exec, exec, s[34:35]
	ds_bpermute_b32 v6, v46, v6
	ds_bpermute_b32 v7, v46, v7
	s_cmp_eq_u64 vcc, 0
	s_cselect_b64 s[34:35], -1, 0
	s_mov_b64 s[38:39], -1
	s_mov_b64 s[40:41], -1
	s_waitcnt lgkmcnt(0)
	v_cmp_gt_u64_e64 s[2:3], s[58:59], v[6:7]
	s_or_b64 s[34:35], s[34:35], s[2:3]
	s_waitcnt vmcnt(0)
	v_cndmask_b32_e64 v9, v9, v15, s[34:35]
	s_and_b64 s[42:43], s[36:37], s[34:35]
	v_cndmask_b32_e64 v8, v8, v14, s[34:35]
	s_mov_b64 s[2:3], -1
	s_and_saveexec_b64 s[36:37], s[42:43]
	s_cbranch_execz .LBB156_537
; %bb.532:                              ;   in Loop: Header=BB156_524 Depth=1
	v_and_b32_e32 v8, vcc_lo, v16
	v_and_b32_e32 v4, vcc_hi, v17
	v_bcnt_u32_b32 v8, v8, 0
	v_bcnt_u32_b32 v4, v4, v8
	v_mov_b32_e32 v9, s59
	v_sub_co_u32_e32 v8, vcc, s58, v6
	v_subb_co_u32_e32 v9, vcc, v9, v7, vcc
	v_cmp_le_u64_e64 s[38:39], v[8:9], v[4:5]
	v_cmp_gt_u64_e32 vcc, v[8:9], v[4:5]
	s_mov_b64 s[42:43], -1
	s_and_saveexec_b64 s[40:41], vcc
	s_cbranch_execz .LBB156_536
; %bb.533:                              ;   in Loop: Header=BB156_524 Depth=1
	v_add_co_u32_e32 v8, vcc, v6, v4
	v_addc_co_u32_e32 v9, vcc, 0, v7, vcc
	v_cmp_gt_u64_e32 vcc, s[58:59], v[8:9]
	s_mov_b64 s[44:45], s[38:39]
	s_and_saveexec_b64 s[42:43], vcc
	s_cbranch_execz .LBB156_535
; %bb.534:                              ;   in Loop: Header=BB156_524 Depth=1
	v_mul_lo_u32 v4, v9, s16
	v_mul_lo_u32 v20, v8, s17
	v_mad_u64_u32 v[18:19], s[44:45], v8, s16, 0
	v_add3_u32 v19, v19, v20, v4
	v_mul_lo_u32 v4, v9, s18
	v_mul_lo_u32 v20, v8, s19
	v_mad_u64_u32 v[8:9], s[44:45], v8, s18, 0
	v_lshlrev_b64 v[18:19], 3, v[18:19]
	v_add3_u32 v9, v9, v20, v4
	v_mov_b32_e32 v4, s46
	v_add_co_u32_e32 v18, vcc, s1, v18
	v_addc_co_u32_e32 v19, vcc, v4, v19, vcc
	v_lshlrev_b64 v[8:9], 3, v[8:9]
	v_mov_b32_e32 v4, s48
	v_add_co_u32_e32 v8, vcc, s47, v8
	v_addc_co_u32_e32 v9, vcc, v4, v9, vcc
	s_or_b64 s[44:45], s[38:39], exec
	global_store_dwordx2 v[18:19], v[10:11], off
	global_store_dwordx2 v[8:9], v[0:1], off
.LBB156_535:                            ;   in Loop: Header=BB156_524 Depth=1
	s_or_b64 exec, exec, s[42:43]
	s_andn2_b64 s[38:39], s[38:39], exec
	s_and_b64 s[44:45], s[44:45], exec
	s_xor_b64 s[42:43], exec, -1
	s_or_b64 s[38:39], s[38:39], s[44:45]
.LBB156_536:                            ;   in Loop: Header=BB156_524 Depth=1
	s_or_b64 exec, exec, s[40:41]
	s_orn2_b64 s[40:41], s[42:43], exec
	s_or_b64 s[34:35], s[34:35], exec
	s_orn2_b64 s[38:39], s[38:39], exec
	v_pk_mov_b32 v[8:9], v[14:15], v[14:15] op_sel:[0,1]
.LBB156_537:                            ;   in Loop: Header=BB156_524 Depth=1
	s_or_b64 exec, exec, s[36:37]
	s_and_saveexec_b64 s[36:37], s[38:39]
	s_cbranch_execz .LBB156_522
; %bb.538:                              ;   in Loop: Header=BB156_524 Depth=1
	s_xor_b64 s[2:3], s[34:35], -1
	v_mov_b32_e32 v0, s61
	v_add_co_u32_e32 v2, vcc, s60, v2
	v_addc_co_u32_e32 v3, vcc, v3, v0, vcc
	s_or_b64 s[40:41], s[40:41], exec
	s_orn2_b64 s[2:3], s[2:3], exec
	s_branch .LBB156_522
.LBB156_539:
	s_or_b64 exec, exec, s[22:23]
	s_mov_b64 s[0:1], 0
	s_and_saveexec_b64 s[2:3], s[24:25]
	s_xor_b64 s[2:3], exec, s[2:3]
	s_cbranch_execnz .LBB156_545
.LBB156_540:
	s_or_b64 exec, exec, s[2:3]
	s_and_b64 s[2:3], s[0:1], exec
	s_andn2_b64 s[4:5], s[4:5], exec
	s_or_b64 exec, exec, s[20:21]
	s_and_saveexec_b64 s[0:1], s[4:5]
	s_xor_b64 s[0:1], exec, s[0:1]
	s_cbranch_execz .LBB156_496
.LBB156_541:
	s_or_b64 s[2:3], s[2:3], exec
	s_trap 2
	s_branch .LBB156_496
.LBB156_542:
	s_or_b64 s[10:11], s[10:11], exec
	s_trap 2
	s_branch .LBB156_502
.LBB156_543:
	s_or_b64 s[12:13], s[12:13], exec
	s_trap 2
	s_branch .LBB156_500
.LBB156_544:
	s_trap 2
	s_or_b64 s[14:15], s[14:15], exec
	s_branch .LBB156_498
.LBB156_545:
	s_mov_b64 s[0:1], exec
	s_trap 2
	s_branch .LBB156_540
	.section	.rodata,"a",@progbits
	.p2align	6, 0x0
	.amdhsa_kernel _ZN2at6native6sbtopk10gatherTopKIlmLi1ELb0EEEvNS_4cuda6detail10TensorInfoIKT_T0_EES8_S8_bS8_S8_NS5_IS6_S8_EES8_NS5_IlS8_EES8_PS6_
		.amdhsa_group_segment_fixed_size 5152
		.amdhsa_private_segment_fixed_size 0
		.amdhsa_kernarg_size 1568
		.amdhsa_user_sgpr_count 6
		.amdhsa_user_sgpr_private_segment_buffer 1
		.amdhsa_user_sgpr_dispatch_ptr 0
		.amdhsa_user_sgpr_queue_ptr 0
		.amdhsa_user_sgpr_kernarg_segment_ptr 1
		.amdhsa_user_sgpr_dispatch_id 0
		.amdhsa_user_sgpr_flat_scratch_init 0
		.amdhsa_user_sgpr_kernarg_preload_length 0
		.amdhsa_user_sgpr_kernarg_preload_offset 0
		.amdhsa_user_sgpr_private_segment_size 0
		.amdhsa_uses_dynamic_stack 0
		.amdhsa_system_sgpr_private_segment_wavefront_offset 0
		.amdhsa_system_sgpr_workgroup_id_x 1
		.amdhsa_system_sgpr_workgroup_id_y 1
		.amdhsa_system_sgpr_workgroup_id_z 1
		.amdhsa_system_sgpr_workgroup_info 0
		.amdhsa_system_vgpr_workitem_id 0
		.amdhsa_next_free_vgpr 63
		.amdhsa_next_free_sgpr 96
		.amdhsa_accum_offset 64
		.amdhsa_reserve_vcc 1
		.amdhsa_reserve_flat_scratch 0
		.amdhsa_float_round_mode_32 0
		.amdhsa_float_round_mode_16_64 0
		.amdhsa_float_denorm_mode_32 3
		.amdhsa_float_denorm_mode_16_64 3
		.amdhsa_dx10_clamp 1
		.amdhsa_ieee_mode 1
		.amdhsa_fp16_overflow 0
		.amdhsa_tg_split 0
		.amdhsa_exception_fp_ieee_invalid_op 0
		.amdhsa_exception_fp_denorm_src 0
		.amdhsa_exception_fp_ieee_div_zero 0
		.amdhsa_exception_fp_ieee_overflow 0
		.amdhsa_exception_fp_ieee_underflow 0
		.amdhsa_exception_fp_ieee_inexact 0
		.amdhsa_exception_int_div_zero 0
	.end_amdhsa_kernel
	.section	.text._ZN2at6native6sbtopk10gatherTopKIlmLi1ELb0EEEvNS_4cuda6detail10TensorInfoIKT_T0_EES8_S8_bS8_S8_NS5_IS6_S8_EES8_NS5_IlS8_EES8_PS6_,"axG",@progbits,_ZN2at6native6sbtopk10gatherTopKIlmLi1ELb0EEEvNS_4cuda6detail10TensorInfoIKT_T0_EES8_S8_bS8_S8_NS5_IS6_S8_EES8_NS5_IlS8_EES8_PS6_,comdat
.Lfunc_end156:
	.size	_ZN2at6native6sbtopk10gatherTopKIlmLi1ELb0EEEvNS_4cuda6detail10TensorInfoIKT_T0_EES8_S8_bS8_S8_NS5_IS6_S8_EES8_NS5_IlS8_EES8_PS6_, .Lfunc_end156-_ZN2at6native6sbtopk10gatherTopKIlmLi1ELb0EEEvNS_4cuda6detail10TensorInfoIKT_T0_EES8_S8_bS8_S8_NS5_IS6_S8_EES8_NS5_IlS8_EES8_PS6_
                                        ; -- End function
	.section	.AMDGPU.csdata,"",@progbits
; Kernel info:
; codeLenInByte = 27228
; NumSgprs: 100
; NumVgprs: 63
; NumAgprs: 0
; TotalNumVgprs: 63
; ScratchSize: 0
; MemoryBound: 0
; FloatMode: 240
; IeeeMode: 1
; LDSByteSize: 5152 bytes/workgroup (compile time only)
; SGPRBlocks: 12
; VGPRBlocks: 7
; NumSGPRsForWavesPerEU: 100
; NumVGPRsForWavesPerEU: 63
; AccumOffset: 64
; Occupancy: 8
; WaveLimiterHint : 1
; COMPUTE_PGM_RSRC2:SCRATCH_EN: 0
; COMPUTE_PGM_RSRC2:USER_SGPR: 6
; COMPUTE_PGM_RSRC2:TRAP_HANDLER: 0
; COMPUTE_PGM_RSRC2:TGID_X_EN: 1
; COMPUTE_PGM_RSRC2:TGID_Y_EN: 1
; COMPUTE_PGM_RSRC2:TGID_Z_EN: 1
; COMPUTE_PGM_RSRC2:TIDIG_COMP_CNT: 0
; COMPUTE_PGM_RSRC3_GFX90A:ACCUM_OFFSET: 15
; COMPUTE_PGM_RSRC3_GFX90A:TG_SPLIT: 0
	.section	.text._ZN2at6native6mbtopk23computeBlockDigitCountsIlmmLi2EEEvNS_4cuda6detail10TensorInfoIKT_T0_EEjPjjS8_iijT1_PSB_Ps,"axG",@progbits,_ZN2at6native6mbtopk23computeBlockDigitCountsIlmmLi2EEEvNS_4cuda6detail10TensorInfoIKT_T0_EEjPjjS8_iijT1_PSB_Ps,comdat
	.protected	_ZN2at6native6mbtopk23computeBlockDigitCountsIlmmLi2EEEvNS_4cuda6detail10TensorInfoIKT_T0_EEjPjjS8_iijT1_PSB_Ps ; -- Begin function _ZN2at6native6mbtopk23computeBlockDigitCountsIlmmLi2EEEvNS_4cuda6detail10TensorInfoIKT_T0_EEjPjjS8_iijT1_PSB_Ps
	.globl	_ZN2at6native6mbtopk23computeBlockDigitCountsIlmmLi2EEEvNS_4cuda6detail10TensorInfoIKT_T0_EEjPjjS8_iijT1_PSB_Ps
	.p2align	8
	.type	_ZN2at6native6mbtopk23computeBlockDigitCountsIlmmLi2EEEvNS_4cuda6detail10TensorInfoIKT_T0_EEjPjjS8_iijT1_PSB_Ps,@function
_ZN2at6native6mbtopk23computeBlockDigitCountsIlmmLi2EEEvNS_4cuda6detail10TensorInfoIKT_T0_EEjPjjS8_iijT1_PSB_Ps: ; @_ZN2at6native6mbtopk23computeBlockDigitCountsIlmmLi2EEEvNS_4cuda6detail10TensorInfoIKT_T0_EEjPjjS8_iijT1_PSB_Ps
; %bb.0:
	s_load_dwordx4 s[0:3], s[4:5], 0x1c0
	s_load_dwordx2 s[10:11], s[4:5], 0x1e8
	s_waitcnt lgkmcnt(0)
	s_load_dword s3, s[4:5], 0x1b0
	s_mov_b32 s13, 0
	v_cvt_f32_u32_e32 v1, s2
	s_mul_i32 s8, s11, s8
	s_add_i32 s7, s8, s7
	s_mul_i32 s20, s7, s10
	v_rcp_iflag_f32_e32 v1, v1
	s_sub_i32 s9, 0, s2
	s_add_i32 s20, s20, s6
	v_mul_f32_e32 v1, 0x4f7ffffe, v1
	v_cvt_u32_f32_e32 v1, v1
	v_readfirstlane_b32 s6, v1
	s_mul_i32 s9, s9, s6
	s_mul_hi_u32 s7, s6, s9
	s_add_i32 s6, s6, s7
	s_mul_hi_u32 s6, s20, s6
	s_mul_i32 s7, s6, s2
	s_sub_i32 s7, s20, s7
	s_add_i32 s8, s6, 1
	s_sub_i32 s9, s7, s2
	s_cmp_ge_u32 s7, s2
	s_cselect_b32 s6, s8, s6
	s_cselect_b32 s7, s9, s7
	s_add_i32 s8, s6, 1
	s_cmp_ge_u32 s7, s2
	s_cselect_b32 s12, s8, s6
	s_waitcnt lgkmcnt(0)
	s_cmp_ge_u32 s12, s3
	s_cbranch_scc1 .LBB157_25
; %bb.1:
	s_load_dwordx4 s[8:11], s[4:5], 0x1d0
	s_load_dwordx2 s[14:15], s[4:5], 0x10
	s_load_dwordx2 s[6:7], s[4:5], 0x1e0
	s_lshl_b64 s[16:17], s[12:13], 3
	s_waitcnt lgkmcnt(0)
	s_add_u32 s10, s10, s16
	v_pk_mov_b32 v[2:3], s[14:15], s[14:15] op_sel:[0,1]
	v_cmp_lt_u64_e32 vcc, s[12:13], v[2:3]
	s_addc_u32 s11, s11, s17
	s_mov_b64 s[16:17], 0
	s_cbranch_vccnz .LBB157_3
; %bb.2:
	v_cvt_f32_u32_e32 v1, s14
	s_sub_i32 s3, 0, s14
	v_rcp_iflag_f32_e32 v1, v1
	v_mul_f32_e32 v1, 0x4f7ffffe, v1
	v_cvt_u32_f32_e32 v1, v1
	v_readfirstlane_b32 s13, v1
	s_mul_i32 s3, s3, s13
	s_mul_hi_u32 s3, s13, s3
	s_add_i32 s13, s13, s3
	s_mul_hi_u32 s3, s12, s13
	s_mul_i32 s16, s3, s14
	s_sub_i32 s16, s12, s16
	s_add_i32 s13, s3, 1
	s_sub_i32 s17, s16, s14
	s_cmp_ge_u32 s16, s14
	s_cselect_b32 s3, s13, s3
	s_cselect_b32 s16, s17, s16
	s_add_i32 s13, s3, 1
	s_cmp_ge_u32 s16, s14
	s_cselect_b32 s16, s13, s3
.LBB157_3:
	s_movk_i32 s3, 0x100
	v_cmp_gt_u32_e32 vcc, s3, v0
	v_lshlrev_b32_e32 v1, 2, v0
	s_and_saveexec_b64 s[18:19], vcc
	s_cbranch_execz .LBB157_5
; %bb.4:
	v_mov_b32_e32 v2, 0
	ds_write_b32 v1, v2
.LBB157_5:
	s_or_b64 exec, exec, s[18:19]
	s_load_dword s13, s[4:5], 0x1a0
	s_mul_i32 s3, s12, s2
	s_sub_i32 s3, s20, s3
	s_add_i32 s17, s3, 1
	s_mul_i32 s3, s1, s3
	s_lshl_b32 s18, s3, 8
	s_waitcnt lgkmcnt(0)
	s_sub_i32 s3, s13, s18
	s_add_u32 s3, s3, 0xff
	s_addc_u32 s19, 0, 0
	v_mov_b32_e32 v2, s3
	v_alignbit_b32 v2, s19, v2, 8
	s_cmp_lt_u32 s17, s2
	v_readfirstlane_b32 s2, v2
	s_cselect_b32 s17, s1, s2
	s_cmp_lt_i32 s17, 1
	s_mov_b32 s1, 0
	s_barrier
	s_cbranch_scc1 .LBB157_21
; %bb.6:
	s_load_dwordx2 s[2:3], s[10:11], 0x0
	s_load_dwordx2 s[22:23], s[4:5], 0x0
	s_load_dwordx4 s[24:27], s[4:5], 0xd0
	s_mul_i32 s10, s16, s15
	s_mul_hi_u32 s11, s16, s14
	s_add_i32 s11, s11, s10
	s_mul_i32 s10, s16, s14
	s_sub_u32 s10, s12, s10
	s_subb_u32 s11, 0, s11
	s_waitcnt lgkmcnt(0)
	s_mul_i32 s12, s10, s27
	s_mul_hi_u32 s14, s10, s26
	s_add_i32 s12, s14, s12
	s_mul_i32 s11, s11, s26
	s_add_i32 s11, s12, s11
	s_mul_i32 s12, s16, s25
	s_mul_hi_u32 s14, s16, s24
	s_add_i32 s15, s14, s12
	s_mul_i32 s14, s16, s24
	s_lshl_b64 s[14:15], s[14:15], 3
	s_mul_i32 s10, s10, s26
	s_add_u32 s12, s22, s14
	s_load_dwordx2 s[4:5], s[4:5], 0x1b8
	s_addc_u32 s15, s23, s15
	s_lshl_b64 s[10:11], s[10:11], 3
	s_add_u32 s14, s12, s10
	s_addc_u32 s15, s15, s11
	s_and_b32 s12, s0, 0xff
	s_cmp_eq_u32 s17, 1
	v_add_u32_e32 v4, s18, v0
	s_cbranch_scc1 .LBB157_16
; %bb.7:
	s_and_b32 s16, s17, 0x7ffffffe
	s_mov_b32 s18, 0
	v_mov_b32_e32 v5, 1
	v_mov_b32_e32 v6, 2
	;; [unrolled: 1-line block ×3, first 2 shown]
	s_branch .LBB157_9
.LBB157_8:                              ;   in Loop: Header=BB157_9 Depth=1
	s_or_b64 exec, exec, s[10:11]
	s_add_i32 s18, s18, 2
	s_cmp_eq_u32 s16, s18
	v_add_u32_e32 v7, 0x200, v7
	s_cbranch_scc1 .LBB157_15
.LBB157_9:                              ; =>This Inner Loop Header: Depth=1
	v_cmp_gt_u32_e64 s[0:1], s13, v7
	s_and_saveexec_b64 s[10:11], s[0:1]
	s_cbranch_execz .LBB157_12
; %bb.10:                               ;   in Loop: Header=BB157_9 Depth=1
	s_waitcnt lgkmcnt(0)
	v_mad_u64_u32 v[2:3], s[0:1], v7, s4, 0
	v_mov_b32_e32 v8, v3
	v_mad_u64_u32 v[8:9], s[0:1], v7, s5, v[8:9]
	v_mov_b32_e32 v3, v8
	v_lshlrev_b64 v[2:3], 3, v[2:3]
	v_mov_b32_e32 v8, s15
	v_add_co_u32_e64 v2, s[0:1], s14, v2
	v_addc_co_u32_e64 v3, s[0:1], v8, v3, s[0:1]
	global_load_dwordx2 v[2:3], v[2:3], off
	s_waitcnt vmcnt(0)
	v_xor_b32_e32 v3, 0x80000000, v3
	v_xor_b32_e32 v8, s2, v2
	;; [unrolled: 1-line block ×3, first 2 shown]
	v_and_b32_e32 v9, s9, v9
	v_and_b32_e32 v8, s8, v8
	v_cmp_eq_u64_e64 s[0:1], 0, v[8:9]
	s_and_b64 exec, exec, s[0:1]
	s_cbranch_execz .LBB157_12
; %bb.11:                               ;   in Loop: Header=BB157_9 Depth=1
	v_lshrrev_b64 v[2:3], s12, v[2:3]
	v_lshlrev_b32_sdwa v2, v6, v2 dst_sel:DWORD dst_unused:UNUSED_PAD src0_sel:DWORD src1_sel:BYTE_0
	ds_add_u32 v2, v5
.LBB157_12:                             ;   in Loop: Header=BB157_9 Depth=1
	s_or_b64 exec, exec, s[10:11]
	v_add_u32_e32 v2, 0x100, v7
	v_cmp_gt_u32_e64 s[0:1], s13, v2
	s_and_saveexec_b64 s[10:11], s[0:1]
	s_cbranch_execz .LBB157_8
; %bb.13:                               ;   in Loop: Header=BB157_9 Depth=1
	s_waitcnt lgkmcnt(0)
	v_mad_u64_u32 v[8:9], s[0:1], v2, s4, 0
	v_mov_b32_e32 v10, v9
	v_mad_u64_u32 v[2:3], s[0:1], v2, s5, v[10:11]
	v_mov_b32_e32 v9, v2
	v_lshlrev_b64 v[2:3], 3, v[8:9]
	v_mov_b32_e32 v8, s15
	v_add_co_u32_e64 v2, s[0:1], s14, v2
	v_addc_co_u32_e64 v3, s[0:1], v8, v3, s[0:1]
	global_load_dwordx2 v[2:3], v[2:3], off
	s_waitcnt vmcnt(0)
	v_xor_b32_e32 v3, 0x80000000, v3
	v_xor_b32_e32 v8, s2, v2
	;; [unrolled: 1-line block ×3, first 2 shown]
	v_and_b32_e32 v9, s9, v9
	v_and_b32_e32 v8, s8, v8
	v_cmp_eq_u64_e64 s[0:1], 0, v[8:9]
	s_and_b64 exec, exec, s[0:1]
	s_cbranch_execz .LBB157_8
; %bb.14:                               ;   in Loop: Header=BB157_9 Depth=1
	v_lshrrev_b64 v[2:3], s12, v[2:3]
	v_lshlrev_b32_sdwa v2, v6, v2 dst_sel:DWORD dst_unused:UNUSED_PAD src0_sel:DWORD src1_sel:BYTE_0
	ds_add_u32 v2, v5
	s_branch .LBB157_8
.LBB157_15:
	s_lshl_b32 s1, s16, 8
.LBB157_16:
	s_bitcmp0_b32 s17, 0
	s_cbranch_scc1 .LBB157_21
; %bb.17:
	v_add_u32_e32 v2, s1, v4
	v_cmp_gt_u32_e64 s[0:1], s13, v2
	s_and_saveexec_b64 s[10:11], s[0:1]
	s_cbranch_execz .LBB157_20
; %bb.18:
	s_waitcnt lgkmcnt(0)
	v_mad_u64_u32 v[4:5], s[0:1], v2, s4, 0
	v_mov_b32_e32 v6, v5
	v_mad_u64_u32 v[2:3], s[0:1], v2, s5, v[6:7]
	v_mov_b32_e32 v5, v2
	v_lshlrev_b64 v[2:3], 3, v[4:5]
	v_mov_b32_e32 v4, s15
	v_add_co_u32_e64 v2, s[0:1], s14, v2
	v_addc_co_u32_e64 v3, s[0:1], v4, v3, s[0:1]
	global_load_dwordx2 v[2:3], v[2:3], off
	s_waitcnt vmcnt(0)
	v_xor_b32_e32 v3, 0x80000000, v3
	v_xor_b32_e32 v4, s2, v2
	;; [unrolled: 1-line block ×3, first 2 shown]
	v_and_b32_e32 v5, s9, v5
	v_and_b32_e32 v4, s8, v4
	v_cmp_eq_u64_e64 s[0:1], 0, v[4:5]
	s_and_b64 exec, exec, s[0:1]
	s_cbranch_execz .LBB157_20
; %bb.19:
	v_lshrrev_b64 v[2:3], s12, v[2:3]
	v_mov_b32_e32 v3, 2
	v_lshlrev_b32_sdwa v2, v3, v2 dst_sel:DWORD dst_unused:UNUSED_PAD src0_sel:DWORD src1_sel:BYTE_0
	v_mov_b32_e32 v3, 1
	ds_add_u32 v2, v3
.LBB157_20:
	s_or_b64 exec, exec, s[10:11]
.LBB157_21:
	v_mov_b32_e32 v2, 0
	s_waitcnt lgkmcnt(0)
	s_barrier
	s_and_saveexec_b64 s[0:1], vcc
	s_cbranch_execz .LBB157_23
; %bb.22:
	ds_read_b32 v2, v1
.LBB157_23:
	s_or_b64 exec, exec, s[0:1]
	s_and_saveexec_b64 s[0:1], vcc
	s_cbranch_execz .LBB157_25
; %bb.24:
	v_lshl_or_b32 v0, s20, 8, v0
	v_mov_b32_e32 v1, 0
	v_lshlrev_b64 v[0:1], 1, v[0:1]
	v_mov_b32_e32 v3, s7
	v_add_co_u32_e32 v0, vcc, s6, v0
	v_addc_co_u32_e32 v1, vcc, v3, v1, vcc
	s_waitcnt lgkmcnt(0)
	global_store_short v[0:1], v2, off
.LBB157_25:
	s_endpgm
	.section	.rodata,"a",@progbits
	.p2align	6, 0x0
	.amdhsa_kernel _ZN2at6native6mbtopk23computeBlockDigitCountsIlmmLi2EEEvNS_4cuda6detail10TensorInfoIKT_T0_EEjPjjS8_iijT1_PSB_Ps
		.amdhsa_group_segment_fixed_size 1024
		.amdhsa_private_segment_fixed_size 0
		.amdhsa_kernarg_size 744
		.amdhsa_user_sgpr_count 6
		.amdhsa_user_sgpr_private_segment_buffer 1
		.amdhsa_user_sgpr_dispatch_ptr 0
		.amdhsa_user_sgpr_queue_ptr 0
		.amdhsa_user_sgpr_kernarg_segment_ptr 1
		.amdhsa_user_sgpr_dispatch_id 0
		.amdhsa_user_sgpr_flat_scratch_init 0
		.amdhsa_user_sgpr_kernarg_preload_length 0
		.amdhsa_user_sgpr_kernarg_preload_offset 0
		.amdhsa_user_sgpr_private_segment_size 0
		.amdhsa_uses_dynamic_stack 0
		.amdhsa_system_sgpr_private_segment_wavefront_offset 0
		.amdhsa_system_sgpr_workgroup_id_x 1
		.amdhsa_system_sgpr_workgroup_id_y 1
		.amdhsa_system_sgpr_workgroup_id_z 1
		.amdhsa_system_sgpr_workgroup_info 0
		.amdhsa_system_vgpr_workitem_id 0
		.amdhsa_next_free_vgpr 12
		.amdhsa_next_free_sgpr 28
		.amdhsa_accum_offset 12
		.amdhsa_reserve_vcc 1
		.amdhsa_reserve_flat_scratch 0
		.amdhsa_float_round_mode_32 0
		.amdhsa_float_round_mode_16_64 0
		.amdhsa_float_denorm_mode_32 3
		.amdhsa_float_denorm_mode_16_64 3
		.amdhsa_dx10_clamp 1
		.amdhsa_ieee_mode 1
		.amdhsa_fp16_overflow 0
		.amdhsa_tg_split 0
		.amdhsa_exception_fp_ieee_invalid_op 0
		.amdhsa_exception_fp_denorm_src 0
		.amdhsa_exception_fp_ieee_div_zero 0
		.amdhsa_exception_fp_ieee_overflow 0
		.amdhsa_exception_fp_ieee_underflow 0
		.amdhsa_exception_fp_ieee_inexact 0
		.amdhsa_exception_int_div_zero 0
	.end_amdhsa_kernel
	.section	.text._ZN2at6native6mbtopk23computeBlockDigitCountsIlmmLi2EEEvNS_4cuda6detail10TensorInfoIKT_T0_EEjPjjS8_iijT1_PSB_Ps,"axG",@progbits,_ZN2at6native6mbtopk23computeBlockDigitCountsIlmmLi2EEEvNS_4cuda6detail10TensorInfoIKT_T0_EEjPjjS8_iijT1_PSB_Ps,comdat
.Lfunc_end157:
	.size	_ZN2at6native6mbtopk23computeBlockDigitCountsIlmmLi2EEEvNS_4cuda6detail10TensorInfoIKT_T0_EEjPjjS8_iijT1_PSB_Ps, .Lfunc_end157-_ZN2at6native6mbtopk23computeBlockDigitCountsIlmmLi2EEEvNS_4cuda6detail10TensorInfoIKT_T0_EEjPjjS8_iijT1_PSB_Ps
                                        ; -- End function
	.section	.AMDGPU.csdata,"",@progbits
; Kernel info:
; codeLenInByte = 1184
; NumSgprs: 32
; NumVgprs: 12
; NumAgprs: 0
; TotalNumVgprs: 12
; ScratchSize: 0
; MemoryBound: 0
; FloatMode: 240
; IeeeMode: 1
; LDSByteSize: 1024 bytes/workgroup (compile time only)
; SGPRBlocks: 3
; VGPRBlocks: 1
; NumSGPRsForWavesPerEU: 32
; NumVGPRsForWavesPerEU: 12
; AccumOffset: 12
; Occupancy: 8
; WaveLimiterHint : 1
; COMPUTE_PGM_RSRC2:SCRATCH_EN: 0
; COMPUTE_PGM_RSRC2:USER_SGPR: 6
; COMPUTE_PGM_RSRC2:TRAP_HANDLER: 0
; COMPUTE_PGM_RSRC2:TGID_X_EN: 1
; COMPUTE_PGM_RSRC2:TGID_Y_EN: 1
; COMPUTE_PGM_RSRC2:TGID_Z_EN: 1
; COMPUTE_PGM_RSRC2:TIDIG_COMP_CNT: 0
; COMPUTE_PGM_RSRC3_GFX90A:ACCUM_OFFSET: 2
; COMPUTE_PGM_RSRC3_GFX90A:TG_SPLIT: 0
	.section	.text._ZN2at6native6mbtopk10gatherTopKIlmLi2EEEvNS_4cuda6detail10TensorInfoIKT_T0_EES8_S8_bjS8_NS5_IS6_S8_EES8_NS5_IlS8_EES8_jjPS6_PjSD_j,"axG",@progbits,_ZN2at6native6mbtopk10gatherTopKIlmLi2EEEvNS_4cuda6detail10TensorInfoIKT_T0_EES8_S8_bjS8_NS5_IS6_S8_EES8_NS5_IlS8_EES8_jjPS6_PjSD_j,comdat
	.protected	_ZN2at6native6mbtopk10gatherTopKIlmLi2EEEvNS_4cuda6detail10TensorInfoIKT_T0_EES8_S8_bjS8_NS5_IS6_S8_EES8_NS5_IlS8_EES8_jjPS6_PjSD_j ; -- Begin function _ZN2at6native6mbtopk10gatherTopKIlmLi2EEEvNS_4cuda6detail10TensorInfoIKT_T0_EES8_S8_bjS8_NS5_IS6_S8_EES8_NS5_IlS8_EES8_jjPS6_PjSD_j
	.globl	_ZN2at6native6mbtopk10gatherTopKIlmLi2EEEvNS_4cuda6detail10TensorInfoIKT_T0_EES8_S8_bjS8_NS5_IS6_S8_EES8_NS5_IlS8_EES8_jjPS6_PjSD_j
	.p2align	8
	.type	_ZN2at6native6mbtopk10gatherTopKIlmLi2EEEvNS_4cuda6detail10TensorInfoIKT_T0_EES8_S8_bjS8_NS5_IS6_S8_EES8_NS5_IlS8_EES8_jjPS6_PjSD_j,@function
_ZN2at6native6mbtopk10gatherTopKIlmLi2EEEvNS_4cuda6detail10TensorInfoIKT_T0_EES8_S8_bjS8_NS5_IS6_S8_EES8_NS5_IlS8_EES8_jjPS6_PjSD_j: ; @_ZN2at6native6mbtopk10gatherTopKIlmLi2EEEvNS_4cuda6detail10TensorInfoIKT_T0_EES8_S8_bjS8_NS5_IS6_S8_EES8_NS5_IlS8_EES8_jjPS6_PjSD_j
; %bb.0:
	s_load_dwordx2 s[0:1], s[4:5], 0x538
	s_load_dword s2, s[4:5], 0x530
	s_waitcnt lgkmcnt(0)
	s_mul_i32 s1, s1, s8
	s_add_i32 s1, s1, s7
	s_mul_i32 s0, s1, s0
	s_add_i32 s0, s0, s6
	s_cmp_ge_u32 s0, s2
	s_cbranch_scc1 .LBB158_48
; %bb.1:
	s_load_dwordx2 s[34:35], s[4:5], 0x510
	s_load_dwordx2 s[40:41], s[4:5], 0x1d0
	s_load_dwordx4 s[8:11], s[4:5], 0x1a0
	s_load_dwordx2 s[38:39], s[4:5], 0x10
	s_mov_b32 s7, 0
	s_waitcnt lgkmcnt(0)
	v_cvt_f32_u32_e32 v1, s35
	s_sub_i32 s2, 0, s35
	s_lshl_b32 s1, s34, 8
	v_rcp_iflag_f32_e32 v1, v1
	v_mul_f32_e32 v1, 0x4f7ffffe, v1
	v_cvt_u32_f32_e32 v1, v1
	v_readfirstlane_b32 s3, v1
	s_mul_i32 s2, s2, s3
	s_mul_hi_u32 s2, s3, s2
	s_add_i32 s3, s3, s2
	s_mul_hi_u32 s2, s0, s3
	s_mul_i32 s3, s2, s35
	s_sub_i32 s3, s0, s3
	s_add_i32 s6, s2, 1
	s_sub_i32 s12, s3, s35
	s_cmp_ge_u32 s3, s35
	s_cselect_b32 s2, s6, s2
	s_cselect_b32 s3, s12, s3
	s_add_i32 s6, s2, 1
	s_cmp_ge_u32 s3, s35
	s_cselect_b32 s6, s6, s2
	s_mul_i32 s20, s6, s35
	s_sub_i32 s28, s0, s20
	s_add_i32 s0, s28, 1
	s_cmp_lt_u32 s0, s35
	s_mul_i32 s33, s28, s1
	s_cbranch_scc1 .LBB158_3
; %bb.2:
	s_sub_u32 s0, s8, s33
	s_subb_u32 s1, s9, 0
	s_add_u32 s0, s0, 0xff
	s_addc_u32 s1, s1, 0
	s_ashr_i32 s2, s1, 31
	s_lshr_b32 s2, s2, 24
	s_add_u32 s0, s0, s2
	s_addc_u32 s1, s1, 0
	v_mov_b32_e32 v1, s0
	v_alignbit_b32 v1, s1, v1, 8
	v_readfirstlane_b32 s34, v1
.LBB158_3:
	s_load_dwordx2 s[42:43], s[4:5], 0x378
	v_pk_mov_b32 v[2:3], s[38:39], s[38:39] op_sel:[0,1]
	v_cmp_lt_u64_e32 vcc, s[6:7], v[2:3]
	s_mov_b64 s[46:47], 0
	s_mov_b64 s[44:45], 0
	s_cbranch_vccnz .LBB158_5
; %bb.4:
	v_cvt_f32_u32_e32 v1, s38
	s_sub_i32 s0, 0, s38
	v_rcp_iflag_f32_e32 v1, v1
	v_mul_f32_e32 v1, 0x4f7ffffe, v1
	v_cvt_u32_f32_e32 v1, v1
	v_readfirstlane_b32 s1, v1
	s_mul_i32 s0, s0, s1
	s_mul_hi_u32 s0, s1, s0
	s_add_i32 s1, s1, s0
	s_mul_hi_u32 s0, s6, s1
	s_mul_i32 s2, s0, s38
	s_sub_i32 s2, s6, s2
	s_add_i32 s1, s0, 1
	s_sub_i32 s3, s2, s38
	s_cmp_ge_u32 s2, s38
	s_cselect_b32 s0, s1, s0
	s_cselect_b32 s2, s3, s2
	s_add_i32 s1, s0, 1
	s_cmp_ge_u32 s2, s38
	s_cselect_b32 s44, s1, s0
.LBB158_5:
	v_pk_mov_b32 v[2:3], s[40:41], s[40:41] op_sel:[0,1]
	v_cmp_lt_u64_e32 vcc, s[6:7], v[2:3]
	s_cbranch_vccnz .LBB158_7
; %bb.6:
	v_cvt_f32_u32_e32 v1, s40
	s_sub_i32 s0, 0, s40
	v_rcp_iflag_f32_e32 v1, v1
	v_mul_f32_e32 v1, 0x4f7ffffe, v1
	v_cvt_u32_f32_e32 v1, v1
	v_readfirstlane_b32 s1, v1
	s_mul_i32 s0, s0, s1
	s_mul_hi_u32 s0, s1, s0
	s_add_i32 s1, s1, s0
	s_mul_hi_u32 s0, s6, s1
	s_mul_i32 s2, s0, s40
	s_sub_i32 s2, s6, s2
	s_add_i32 s1, s0, 1
	s_sub_i32 s3, s2, s40
	s_cmp_ge_u32 s2, s40
	s_cselect_b32 s0, s1, s0
	s_cselect_b32 s2, s3, s2
	s_add_i32 s1, s0, 1
	s_cmp_ge_u32 s2, s40
	s_cselect_b32 s46, s1, s0
.LBB158_7:
	s_waitcnt lgkmcnt(0)
	v_pk_mov_b32 v[2:3], s[42:43], s[42:43] op_sel:[0,1]
	v_cmp_lt_u64_e32 vcc, s[6:7], v[2:3]
	s_mov_b64 s[48:49], 0
	s_cbranch_vccnz .LBB158_9
; %bb.8:
	v_cvt_f32_u32_e32 v1, s42
	s_sub_i32 s0, 0, s42
	v_rcp_iflag_f32_e32 v1, v1
	v_mul_f32_e32 v1, 0x4f7ffffe, v1
	v_cvt_u32_f32_e32 v1, v1
	v_readfirstlane_b32 s1, v1
	s_mul_i32 s0, s0, s1
	s_mul_hi_u32 s0, s1, s0
	s_add_i32 s1, s1, s0
	s_mul_hi_u32 s0, s6, s1
	s_mul_i32 s2, s0, s42
	s_sub_i32 s2, s6, s2
	s_add_i32 s1, s0, 1
	s_sub_i32 s3, s2, s42
	s_cmp_ge_u32 s2, s42
	s_cselect_b32 s0, s1, s0
	s_cselect_b32 s2, s3, s2
	s_add_i32 s1, s0, 1
	s_cmp_ge_u32 s2, s42
	s_cselect_b32 s48, s1, s0
.LBB158_9:
	s_load_dwordx4 s[12:15], s[4:5], 0x518
	s_load_dwordx2 s[50:51], s[4:5], 0x0
	s_lshl_b64 s[0:1], s[6:7], 3
	s_mov_b32 s21, 0
	v_cmp_eq_u32_e64 s[2:3], 0, v0
	s_waitcnt lgkmcnt(0)
	s_add_u32 s0, s12, s0
	s_addc_u32 s1, s13, s1
	s_load_dwordx2 s[36:37], s[0:1], 0x0
	v_cmp_ne_u32_e64 s[0:1], 0, v0
	s_and_saveexec_b64 s[12:13], s[2:3]
	s_cbranch_execz .LBB158_25
; %bb.10:
	s_load_dwordx2 s[22:23], s[4:5], 0x528
	s_lshl_b64 s[24:25], s[20:21], 2
	s_add_u32 s16, s14, s24
	s_addc_u32 s17, s15, s25
	s_mov_b32 s20, 0
	s_waitcnt lgkmcnt(0)
	s_add_u32 s18, s22, s24
	s_addc_u32 s19, s23, s25
	s_cmp_lt_u32 s35, 4
	s_cbranch_scc1 .LBB158_22
; %bb.11:
	s_mov_b32 s29, 0
.LBB158_12:                             ; =>This Inner Loop Header: Depth=1
	s_add_u32 s16, s14, s24
	s_addc_u32 s17, s15, s25
	s_load_dwordx4 s[16:19], s[16:17], 0x0
	s_add_u32 s26, s22, s24
	s_addc_u32 s27, s23, s25
	s_cmp_ge_u32 s29, s28
	s_cbranch_scc0 .LBB158_19
; %bb.13:                               ;   in Loop: Header=BB158_12 Depth=1
	s_add_i32 s30, s29, 1
	s_cmp_ge_u32 s30, s28
	s_cbranch_scc0 .LBB158_20
.LBB158_14:                             ;   in Loop: Header=BB158_12 Depth=1
	s_add_i32 s30, s30, 1
	s_cmp_ge_u32 s30, s28
	s_cbranch_scc0 .LBB158_21
.LBB158_15:                             ;   in Loop: Header=BB158_12 Depth=1
	s_add_i32 s30, s30, 1
	s_cmp_ge_u32 s30, s28
	s_cbranch_scc1 .LBB158_17
.LBB158_16:                             ;   in Loop: Header=BB158_12 Depth=1
	s_load_dword s26, s[26:27], 0xc
	s_waitcnt lgkmcnt(0)
	s_add_i32 s21, s21, s19
	s_add_i32 s7, s26, s7
.LBB158_17:                             ;   in Loop: Header=BB158_12 Depth=1
	s_waitcnt lgkmcnt(0)
	s_add_i32 s16, s16, s20
	s_add_i32 s16, s16, s17
	s_add_i32 s16, s16, s18
	s_add_i32 s20, s16, s19
	s_add_u32 s14, s14, 16
	s_addc_u32 s15, s15, 0
	s_add_u32 s22, s22, 16
	s_addc_u32 s23, s23, 0
	s_add_i32 s27, s30, 4
	s_add_u32 s18, s22, s24
	s_addc_u32 s19, s23, s25
	s_add_u32 s16, s14, s24
	s_addc_u32 s17, s15, s25
	s_add_i32 s26, s30, 1
	s_cmp_ge_u32 s27, s35
	s_cbranch_scc1 .LBB158_23
; %bb.18:                               ;   in Loop: Header=BB158_12 Depth=1
	s_mov_b32 s29, s26
	s_branch .LBB158_12
.LBB158_19:                             ;   in Loop: Header=BB158_12 Depth=1
	s_load_dword s30, s[26:27], 0x0
	s_waitcnt lgkmcnt(0)
	s_add_i32 s21, s16, s21
	s_add_i32 s7, s30, s7
	;; [unrolled: 1-line block ×3, first 2 shown]
	s_cmp_ge_u32 s30, s28
	s_cbranch_scc1 .LBB158_14
.LBB158_20:                             ;   in Loop: Header=BB158_12 Depth=1
	s_load_dword s31, s[26:27], 0x4
	s_waitcnt lgkmcnt(0)
	s_add_i32 s21, s21, s17
	s_add_i32 s7, s31, s7
	s_add_i32 s30, s30, 1
	s_cmp_ge_u32 s30, s28
	s_cbranch_scc1 .LBB158_15
.LBB158_21:                             ;   in Loop: Header=BB158_12 Depth=1
	s_load_dword s31, s[26:27], 0x8
	s_waitcnt lgkmcnt(0)
	s_add_i32 s21, s21, s18
	s_add_i32 s7, s31, s7
	;; [unrolled: 1-line block ×3, first 2 shown]
	s_cmp_ge_u32 s30, s28
	s_cbranch_scc0 .LBB158_16
	s_branch .LBB158_17
.LBB158_22:
	s_mov_b32 s14, 0
	s_cmp_ge_u32 s14, s35
	s_cbranch_scc0 .LBB158_46
	s_branch .LBB158_24
.LBB158_23:
	s_add_i32 s14, s29, 4
	s_cmp_ge_u32 s14, s35
	s_cbranch_scc0 .LBB158_46
.LBB158_24:
	v_mov_b32_e32 v2, s7
	v_mov_b32_e32 v3, s20
	;; [unrolled: 1-line block ×4, first 2 shown]
	ds_write_b96 v1, v[2:4] offset:1056
.LBB158_25:
	s_or_b64 exec, exec, s[12:13]
	s_load_dwordx4 s[12:15], s[4:5], 0x1b8
	s_load_dwordx4 s[24:27], s[4:5], 0xd0
	;; [unrolled: 1-line block ×5, first 2 shown]
	s_cmp_eq_u32 s34, 0
	s_waitcnt lgkmcnt(0)
	s_barrier
	s_cbranch_scc1 .LBB158_48
; %bb.26:
	s_mul_i32 s7, s46, s41
	s_mul_hi_u32 s35, s46, s40
	s_add_i32 s35, s35, s7
	s_mul_i32 s7, s46, s40
	s_sub_u32 s7, s6, s7
	s_subb_u32 s35, 0, s35
	s_mul_i32 s31, s7, s31
	s_mul_hi_u32 s40, s7, s30
	s_add_i32 s31, s40, s31
	s_mul_i32 s35, s35, s30
	s_mul_i32 s30, s7, s30
	;; [unrolled: 1-line block ×3, first 2 shown]
	s_mul_hi_u32 s29, s46, s28
	s_add_i32 s31, s31, s35
	s_add_i32 s29, s29, s7
	s_mul_i32 s7, s44, s39
	s_mul_hi_u32 s35, s44, s38
	s_add_i32 s35, s35, s7
	s_mul_i32 s7, s44, s38
	s_sub_u32 s7, s6, s7
	s_subb_u32 s35, 0, s35
	s_mul_i32 s27, s7, s27
	s_mul_hi_u32 s38, s7, s26
	s_add_i32 s27, s38, s27
	s_mul_i32 s35, s35, s26
	s_mul_i32 s26, s7, s26
	;; [unrolled: 1-line block ×3, first 2 shown]
	s_mul_hi_u32 s25, s44, s24
	s_add_i32 s27, s27, s35
	s_add_i32 s25, s25, s7
	s_mul_i32 s7, s48, s43
	s_mul_hi_u32 s35, s48, s42
	s_add_i32 s35, s35, s7
	s_mul_i32 s7, s48, s42
	s_sub_u32 s6, s6, s7
	s_subb_u32 s7, 0, s35
	s_mul_i32 s23, s6, s23
	s_mul_hi_u32 s35, s6, s22
	s_mul_i32 s24, s44, s24
	s_add_i32 s23, s35, s23
	s_mul_i32 s7, s7, s22
	s_mul_i32 s6, s6, s22
	;; [unrolled: 1-line block ×3, first 2 shown]
	s_mul_hi_u32 s22, s48, s20
	s_add_i32 s7, s23, s7
	s_add_i32 s21, s22, s21
	s_lshl_b64 s[22:23], s[24:25], 3
	s_add_u32 s24, s50, s22
	s_addc_u32 s25, s51, s23
	s_lshl_b64 s[22:23], s[26:27], 3
	s_mul_i32 s28, s46, s28
	s_add_u32 s22, s24, s22
	s_addc_u32 s23, s25, s23
	s_lshl_b64 s[24:25], s[28:29], 3
	s_add_u32 s24, s14, s24
	v_mov_b32_e32 v1, 0
	s_addc_u32 s25, s15, s25
	s_lshl_b64 s[14:15], s[30:31], 3
	ds_read_b96 v[2:4], v1 offset:1056
	s_mul_i32 s20, s48, s20
	s_add_u32 s24, s24, s14
	s_addc_u32 s25, s25, s15
	s_lshl_b64 s[14:15], s[20:21], 3
	s_add_u32 s14, s18, s14
	s_addc_u32 s15, s19, s15
	s_lshl_b64 s[6:7], s[6:7], 3
	s_add_u32 s26, s14, s6
	s_load_dword s6, s[4:5], 0x1b0
	s_load_dwordx2 s[18:19], s[4:5], 0x508
	s_waitcnt lgkmcnt(0)
	v_add_u32_e32 v2, v2, v3
	v_lshrrev_b32_e32 v3, 5, v0
	v_add_lshl_u32 v5, v3, v0, 2
	v_lshlrev_b32_e32 v3, 2, v0
	v_lshrrev_b32_e32 v6, 3, v0
	v_add_lshl_u32 v10, v6, v3, 2
	v_add_u32_e32 v3, -1, v0
	v_lshrrev_b32_e32 v6, 5, v3
	s_addc_u32 s27, s15, s7
	s_xor_b32 s15, s37, 0x80000000
	v_add_lshl_u32 v11, v6, v3, 2
	v_mbcnt_lo_u32_b32 v3, -1, 0
	s_bitcmp1_b32 s6, 0
	v_mbcnt_hi_u32_b32 v12, -1, v3
	s_mov_b32 s14, s36
	s_cselect_b64 s[4:5], -1, 0
	v_cmp_gt_u32_e64 s[6:7], 64, v0
	v_add_u32_e32 v0, s33, v0
	v_and_b32_e32 v13, 15, v12
	v_bfe_i32 v14, v12, 4, 1
	v_add_u32_e32 v15, -1, v12
	v_and_b32_e32 v16, 64, v12
                                        ; implicit-def: $vgpr6_vgpr7
	s_branch .LBB158_29
.LBB158_27:                             ;   in Loop: Header=BB158_29 Depth=1
	s_or_b64 exec, exec, s[20:21]
	v_add_u32_e32 v2, v3, v2
.LBB158_28:                             ;   in Loop: Header=BB158_29 Depth=1
	s_add_i32 s34, s34, -1
	v_add_u32_e32 v4, v17, v4
	s_cmp_lg_u32 s34, 0
	v_add_u32_e32 v0, 0x100, v0
	s_cbranch_scc0 .LBB158_48
.LBB158_29:                             ; =>This Inner Loop Header: Depth=1
	v_cmp_gt_u64_e32 vcc, s[8:9], v[0:1]
	v_mov_b32_e32 v3, v1
	v_mov_b32_e32 v8, v1
	s_and_saveexec_b64 s[20:21], vcc
	s_cbranch_execz .LBB158_31
; %bb.30:                               ;   in Loop: Header=BB158_29 Depth=1
	v_mad_u64_u32 v[6:7], s[28:29], v0, s12, 0
	v_mov_b32_e32 v8, v7
	v_mad_u64_u32 v[8:9], s[28:29], v0, s13, v[8:9]
	v_mov_b32_e32 v7, v8
	v_lshlrev_b64 v[6:7], 3, v[6:7]
	v_mov_b32_e32 v3, s23
	v_add_co_u32_e32 v6, vcc, s22, v6
	v_addc_co_u32_e32 v7, vcc, v3, v7, vcc
	global_load_dwordx2 v[6:7], v[6:7], off
	s_waitcnt vmcnt(0)
	v_xor_b32_e32 v9, 0x80000000, v7
	v_mov_b32_e32 v8, v6
	v_cmp_lt_u64_e32 vcc, s[14:15], v[8:9]
	v_cndmask_b32_e64 v3, 0, 1, vcc
	v_cmp_gt_u64_e32 vcc, s[14:15], v[8:9]
	v_cndmask_b32_e64 v8, 0, 1, vcc
	v_cndmask_b32_e64 v3, v8, v3, s[4:5]
	v_cmp_eq_u64_e32 vcc, s[36:37], v[6:7]
	v_and_b32_e32 v3, 1, v3
	v_cndmask_b32_e64 v8, 0, 1, vcc
.LBB158_31:                             ;   in Loop: Header=BB158_29 Depth=1
	s_or_b64 exec, exec, s[20:21]
	ds_write_b32 v5, v3
	s_waitcnt lgkmcnt(0)
	s_barrier
	s_and_saveexec_b64 s[20:21], s[6:7]
	s_cbranch_execz .LBB158_33
; %bb.32:                               ;   in Loop: Header=BB158_29 Depth=1
	ds_read2_b32 v[18:19], v10 offset1:1
	ds_read2_b32 v[20:21], v10 offset0:2 offset1:3
	v_cmp_ne_u32_e32 vcc, 0, v13
	; wave barrier
	s_waitcnt lgkmcnt(1)
	v_add_u32_e32 v9, v19, v18
	s_waitcnt lgkmcnt(0)
	v_add3_u32 v9, v9, v20, v21
	s_nop 1
	v_mov_b32_dpp v17, v9 row_shr:1 row_mask:0xf bank_mask:0xf
	v_cndmask_b32_e32 v17, 0, v17, vcc
	v_add_u32_e32 v9, v17, v9
	v_cmp_lt_u32_e32 vcc, 1, v13
	s_nop 0
	v_mov_b32_dpp v17, v9 row_shr:2 row_mask:0xf bank_mask:0xf
	v_cndmask_b32_e32 v17, 0, v17, vcc
	v_add_u32_e32 v9, v9, v17
	v_cmp_lt_u32_e32 vcc, 3, v13
	;; [unrolled: 5-line block ×4, first 2 shown]
	s_nop 0
	v_mov_b32_dpp v17, v9 row_bcast:15 row_mask:0xf bank_mask:0xf
	v_and_b32_e32 v17, v14, v17
	v_add_u32_e32 v9, v9, v17
	s_nop 1
	v_mov_b32_dpp v17, v9 row_bcast:31 row_mask:0xf bank_mask:0xf
	v_cndmask_b32_e32 v17, 0, v17, vcc
	v_cmp_lt_i32_e32 vcc, v15, v16
	v_add_u32_e32 v9, v9, v17
	v_cndmask_b32_e32 v17, v15, v12, vcc
	v_lshlrev_b32_e32 v17, 2, v17
	ds_bpermute_b32 v9, v17, v9
	s_waitcnt lgkmcnt(0)
	v_add_u32_e32 v9, v9, v18
	v_cndmask_b32_e64 v9, v9, v3, s[2:3]
	ds_write_b32 v10, v9
	; wave barrier
	ds_read2_b32 v[18:19], v10 offset0:1 offset1:2
	ds_read_b32 v17, v10 offset:12
	s_waitcnt lgkmcnt(1)
	v_add_u32_e32 v9, v18, v9
	v_add_u32_e32 v18, v19, v9
	ds_write2_b32 v10, v9, v18 offset0:1 offset1:2
	s_waitcnt lgkmcnt(1)
	v_add_u32_e32 v9, v17, v18
	ds_write_b32 v10, v9 offset:12
.LBB158_33:                             ;   in Loop: Header=BB158_29 Depth=1
	s_or_b64 exec, exec, s[20:21]
	v_mov_b32_e32 v9, 0
	s_waitcnt lgkmcnt(0)
	s_barrier
	s_and_saveexec_b64 s[20:21], s[0:1]
	s_cbranch_execz .LBB158_35
; %bb.34:                               ;   in Loop: Header=BB158_29 Depth=1
	ds_read_b32 v9, v11
.LBB158_35:                             ;   in Loop: Header=BB158_29 Depth=1
	s_or_b64 exec, exec, s[20:21]
	ds_read_b32 v17, v1 offset:1048
	v_cmp_ne_u32_e32 vcc, 0, v3
	s_waitcnt lgkmcnt(0)
	s_barrier
	s_and_saveexec_b64 s[20:21], vcc
	s_cbranch_execz .LBB158_37
; %bb.36:                               ;   in Loop: Header=BB158_29 Depth=1
	v_add_u32_e32 v3, v9, v4
	v_mad_u64_u32 v[18:19], s[28:29], v3, s16, 0
	v_mov_b32_e32 v20, v19
	v_mad_u64_u32 v[20:21], s[28:29], v3, s17, v[20:21]
	v_mov_b32_e32 v19, v20
	v_lshlrev_b64 v[18:19], 3, v[18:19]
	v_mov_b32_e32 v9, s25
	v_add_co_u32_e32 v18, vcc, s24, v18
	v_addc_co_u32_e32 v19, vcc, v9, v19, vcc
	global_store_dwordx2 v[18:19], v[6:7], off
	v_mad_u64_u32 v[18:19], s[28:29], v3, s18, 0
	v_mov_b32_e32 v20, v19
	v_mad_u64_u32 v[20:21], s[28:29], v3, s19, v[20:21]
	v_mov_b32_e32 v19, v20
	v_lshlrev_b64 v[18:19], 3, v[18:19]
	v_mov_b32_e32 v3, s27
	v_add_co_u32_e32 v18, vcc, s26, v18
	v_addc_co_u32_e32 v19, vcc, v3, v19, vcc
	global_store_dwordx2 v[18:19], v[0:1], off
.LBB158_37:                             ;   in Loop: Header=BB158_29 Depth=1
	s_or_b64 exec, exec, s[20:21]
	v_mov_b32_e32 v3, v1
	v_cmp_le_u64_e32 vcc, s[10:11], v[2:3]
	s_cbranch_vccnz .LBB158_28
; %bb.38:                               ;   in Loop: Header=BB158_29 Depth=1
	ds_write_b32 v5, v8
	s_waitcnt lgkmcnt(0)
	s_barrier
	s_and_saveexec_b64 s[20:21], s[6:7]
	s_cbranch_execz .LBB158_40
; %bb.39:                               ;   in Loop: Header=BB158_29 Depth=1
	ds_read2_b32 v[18:19], v10 offset1:1
	ds_read2_b32 v[20:21], v10 offset0:2 offset1:3
	v_cmp_ne_u32_e32 vcc, 0, v13
	; wave barrier
	s_waitcnt lgkmcnt(1)
	v_add_u32_e32 v3, v19, v18
	s_waitcnt lgkmcnt(0)
	v_add3_u32 v3, v3, v20, v21
	s_nop 1
	v_mov_b32_dpp v9, v3 row_shr:1 row_mask:0xf bank_mask:0xf
	v_cndmask_b32_e32 v9, 0, v9, vcc
	v_add_u32_e32 v3, v9, v3
	v_cmp_lt_u32_e32 vcc, 1, v13
	s_nop 0
	v_mov_b32_dpp v9, v3 row_shr:2 row_mask:0xf bank_mask:0xf
	v_cndmask_b32_e32 v9, 0, v9, vcc
	v_add_u32_e32 v3, v3, v9
	v_cmp_lt_u32_e32 vcc, 3, v13
	;; [unrolled: 5-line block ×4, first 2 shown]
	s_nop 0
	v_mov_b32_dpp v9, v3 row_bcast:15 row_mask:0xf bank_mask:0xf
	v_and_b32_e32 v9, v14, v9
	v_add_u32_e32 v3, v3, v9
	s_nop 1
	v_mov_b32_dpp v9, v3 row_bcast:31 row_mask:0xf bank_mask:0xf
	v_cndmask_b32_e32 v9, 0, v9, vcc
	v_cmp_lt_i32_e32 vcc, v15, v16
	v_add_u32_e32 v3, v3, v9
	v_cndmask_b32_e32 v9, v15, v12, vcc
	v_lshlrev_b32_e32 v9, 2, v9
	ds_bpermute_b32 v3, v9, v3
	s_waitcnt lgkmcnt(0)
	v_add_u32_e32 v3, v3, v18
	v_cndmask_b32_e64 v3, v3, v8, s[2:3]
	ds_write_b32 v10, v3
	; wave barrier
	ds_read2_b32 v[18:19], v10 offset0:1 offset1:2
	ds_read_b32 v9, v10 offset:12
	s_waitcnt lgkmcnt(1)
	v_add_u32_e32 v3, v18, v3
	v_add_u32_e32 v18, v19, v3
	ds_write2_b32 v10, v3, v18 offset0:1 offset1:2
	s_waitcnt lgkmcnt(1)
	v_add_u32_e32 v3, v9, v18
	ds_write_b32 v10, v3 offset:12
.LBB158_40:                             ;   in Loop: Header=BB158_29 Depth=1
	s_or_b64 exec, exec, s[20:21]
	v_mov_b32_e32 v9, 0
	s_waitcnt lgkmcnt(0)
	s_barrier
	s_and_saveexec_b64 s[20:21], s[0:1]
	s_cbranch_execz .LBB158_42
; %bb.41:                               ;   in Loop: Header=BB158_29 Depth=1
	ds_read_b32 v9, v11
.LBB158_42:                             ;   in Loop: Header=BB158_29 Depth=1
	s_or_b64 exec, exec, s[20:21]
	ds_read_b32 v3, v1 offset:1048
	v_cmp_ne_u32_e32 vcc, 0, v8
	s_waitcnt lgkmcnt(0)
	s_barrier
	s_and_saveexec_b64 s[20:21], vcc
	s_cbranch_execz .LBB158_27
; %bb.43:                               ;   in Loop: Header=BB158_29 Depth=1
	v_add_u32_e32 v8, v9, v2
	v_mov_b32_e32 v9, v1
	v_cmp_gt_u64_e32 vcc, s[10:11], v[8:9]
	s_and_b64 exec, exec, vcc
	s_cbranch_execz .LBB158_27
; %bb.44:                               ;   in Loop: Header=BB158_29 Depth=1
	v_mad_u64_u32 v[18:19], s[28:29], v8, s16, 0
	v_mov_b32_e32 v20, v19
	v_mad_u64_u32 v[20:21], s[28:29], v8, s17, v[20:21]
	v_mov_b32_e32 v19, v20
	v_lshlrev_b64 v[18:19], 3, v[18:19]
	v_mov_b32_e32 v9, s25
	v_add_co_u32_e32 v18, vcc, s24, v18
	v_addc_co_u32_e32 v19, vcc, v9, v19, vcc
	global_store_dwordx2 v[18:19], v[6:7], off
	v_mad_u64_u32 v[18:19], s[28:29], v8, s18, 0
	v_mov_b32_e32 v20, v19
	v_mad_u64_u32 v[8:9], s[28:29], v8, s19, v[20:21]
	v_mov_b32_e32 v19, v8
	v_lshlrev_b64 v[8:9], 3, v[18:19]
	v_mov_b32_e32 v18, s27
	v_add_co_u32_e32 v8, vcc, s26, v8
	v_addc_co_u32_e32 v9, vcc, v18, v9, vcc
	global_store_dwordx2 v[8:9], v[0:1], off
	s_branch .LBB158_27
.LBB158_45:                             ;   in Loop: Header=BB158_46 Depth=1
	s_add_u32 s16, s16, 4
	s_addc_u32 s17, s17, 0
	s_waitcnt lgkmcnt(0)
	s_add_i32 s20, s15, s20
	s_add_u32 s18, s18, 4
	s_addc_u32 s19, s19, 0
	s_add_i32 s14, s14, 1
	s_cmp_lt_u32 s14, s35
	s_cbranch_scc0 .LBB158_24
.LBB158_46:                             ; =>This Inner Loop Header: Depth=1
	s_load_dword s15, s[16:17], 0x0
	s_cmp_ge_u32 s14, s28
	s_cbranch_scc1 .LBB158_45
; %bb.47:                               ;   in Loop: Header=BB158_46 Depth=1
	s_load_dword s22, s[18:19], 0x0
	s_waitcnt lgkmcnt(0)
	s_add_i32 s21, s15, s21
	s_add_i32 s7, s22, s7
	s_branch .LBB158_45
.LBB158_48:
	s_endpgm
	.section	.rodata,"a",@progbits
	.p2align	6, 0x0
	.amdhsa_kernel _ZN2at6native6mbtopk10gatherTopKIlmLi2EEEvNS_4cuda6detail10TensorInfoIKT_T0_EES8_S8_bjS8_NS5_IS6_S8_EES8_NS5_IlS8_EES8_jjPS6_PjSD_j
		.amdhsa_group_segment_fixed_size 1068
		.amdhsa_private_segment_fixed_size 0
		.amdhsa_kernarg_size 1592
		.amdhsa_user_sgpr_count 6
		.amdhsa_user_sgpr_private_segment_buffer 1
		.amdhsa_user_sgpr_dispatch_ptr 0
		.amdhsa_user_sgpr_queue_ptr 0
		.amdhsa_user_sgpr_kernarg_segment_ptr 1
		.amdhsa_user_sgpr_dispatch_id 0
		.amdhsa_user_sgpr_flat_scratch_init 0
		.amdhsa_user_sgpr_kernarg_preload_length 0
		.amdhsa_user_sgpr_kernarg_preload_offset 0
		.amdhsa_user_sgpr_private_segment_size 0
		.amdhsa_uses_dynamic_stack 0
		.amdhsa_system_sgpr_private_segment_wavefront_offset 0
		.amdhsa_system_sgpr_workgroup_id_x 1
		.amdhsa_system_sgpr_workgroup_id_y 1
		.amdhsa_system_sgpr_workgroup_id_z 1
		.amdhsa_system_sgpr_workgroup_info 0
		.amdhsa_system_vgpr_workitem_id 0
		.amdhsa_next_free_vgpr 22
		.amdhsa_next_free_sgpr 52
		.amdhsa_accum_offset 24
		.amdhsa_reserve_vcc 1
		.amdhsa_reserve_flat_scratch 0
		.amdhsa_float_round_mode_32 0
		.amdhsa_float_round_mode_16_64 0
		.amdhsa_float_denorm_mode_32 3
		.amdhsa_float_denorm_mode_16_64 3
		.amdhsa_dx10_clamp 1
		.amdhsa_ieee_mode 1
		.amdhsa_fp16_overflow 0
		.amdhsa_tg_split 0
		.amdhsa_exception_fp_ieee_invalid_op 0
		.amdhsa_exception_fp_denorm_src 0
		.amdhsa_exception_fp_ieee_div_zero 0
		.amdhsa_exception_fp_ieee_overflow 0
		.amdhsa_exception_fp_ieee_underflow 0
		.amdhsa_exception_fp_ieee_inexact 0
		.amdhsa_exception_int_div_zero 0
	.end_amdhsa_kernel
	.section	.text._ZN2at6native6mbtopk10gatherTopKIlmLi2EEEvNS_4cuda6detail10TensorInfoIKT_T0_EES8_S8_bjS8_NS5_IS6_S8_EES8_NS5_IlS8_EES8_jjPS6_PjSD_j,"axG",@progbits,_ZN2at6native6mbtopk10gatherTopKIlmLi2EEEvNS_4cuda6detail10TensorInfoIKT_T0_EES8_S8_bjS8_NS5_IS6_S8_EES8_NS5_IlS8_EES8_jjPS6_PjSD_j,comdat
.Lfunc_end158:
	.size	_ZN2at6native6mbtopk10gatherTopKIlmLi2EEEvNS_4cuda6detail10TensorInfoIKT_T0_EES8_S8_bjS8_NS5_IS6_S8_EES8_NS5_IlS8_EES8_jjPS6_PjSD_j, .Lfunc_end158-_ZN2at6native6mbtopk10gatherTopKIlmLi2EEEvNS_4cuda6detail10TensorInfoIKT_T0_EES8_S8_bjS8_NS5_IS6_S8_EES8_NS5_IlS8_EES8_jjPS6_PjSD_j
                                        ; -- End function
	.section	.AMDGPU.csdata,"",@progbits
; Kernel info:
; codeLenInByte = 2704
; NumSgprs: 56
; NumVgprs: 22
; NumAgprs: 0
; TotalNumVgprs: 22
; ScratchSize: 0
; MemoryBound: 0
; FloatMode: 240
; IeeeMode: 1
; LDSByteSize: 1068 bytes/workgroup (compile time only)
; SGPRBlocks: 6
; VGPRBlocks: 2
; NumSGPRsForWavesPerEU: 56
; NumVGPRsForWavesPerEU: 22
; AccumOffset: 24
; Occupancy: 8
; WaveLimiterHint : 1
; COMPUTE_PGM_RSRC2:SCRATCH_EN: 0
; COMPUTE_PGM_RSRC2:USER_SGPR: 6
; COMPUTE_PGM_RSRC2:TRAP_HANDLER: 0
; COMPUTE_PGM_RSRC2:TGID_X_EN: 1
; COMPUTE_PGM_RSRC2:TGID_Y_EN: 1
; COMPUTE_PGM_RSRC2:TGID_Z_EN: 1
; COMPUTE_PGM_RSRC2:TIDIG_COMP_CNT: 0
; COMPUTE_PGM_RSRC3_GFX90A:ACCUM_OFFSET: 5
; COMPUTE_PGM_RSRC3_GFX90A:TG_SPLIT: 0
	.section	.text._ZN2at6native6sbtopk10gatherTopKIlmLi2ELb0EEEvNS_4cuda6detail10TensorInfoIKT_T0_EES8_S8_bS8_S8_NS5_IS6_S8_EES8_NS5_IlS8_EES8_PS6_,"axG",@progbits,_ZN2at6native6sbtopk10gatherTopKIlmLi2ELb0EEEvNS_4cuda6detail10TensorInfoIKT_T0_EES8_S8_bS8_S8_NS5_IS6_S8_EES8_NS5_IlS8_EES8_PS6_,comdat
	.protected	_ZN2at6native6sbtopk10gatherTopKIlmLi2ELb0EEEvNS_4cuda6detail10TensorInfoIKT_T0_EES8_S8_bS8_S8_NS5_IS6_S8_EES8_NS5_IlS8_EES8_PS6_ ; -- Begin function _ZN2at6native6sbtopk10gatherTopKIlmLi2ELb0EEEvNS_4cuda6detail10TensorInfoIKT_T0_EES8_S8_bS8_S8_NS5_IS6_S8_EES8_NS5_IlS8_EES8_PS6_
	.globl	_ZN2at6native6sbtopk10gatherTopKIlmLi2ELb0EEEvNS_4cuda6detail10TensorInfoIKT_T0_EES8_S8_bS8_S8_NS5_IS6_S8_EES8_NS5_IlS8_EES8_PS6_
	.p2align	8
	.type	_ZN2at6native6sbtopk10gatherTopKIlmLi2ELb0EEEvNS_4cuda6detail10TensorInfoIKT_T0_EES8_S8_bS8_S8_NS5_IS6_S8_EES8_NS5_IlS8_EES8_PS6_,@function
_ZN2at6native6sbtopk10gatherTopKIlmLi2ELb0EEEvNS_4cuda6detail10TensorInfoIKT_T0_EES8_S8_bS8_S8_NS5_IS6_S8_EES8_NS5_IlS8_EES8_PS6_: ; @_ZN2at6native6sbtopk10gatherTopKIlmLi2ELb0EEEvNS_4cuda6detail10TensorInfoIKT_T0_EES8_S8_bS8_S8_NS5_IS6_S8_EES8_NS5_IlS8_EES8_PS6_
; %bb.0:
	s_load_dwordx4 s[56:59], s[4:5], 0x1b8
	s_load_dwordx2 s[10:11], s[4:5], 0x520
	s_add_u32 s20, s4, 0x520
	s_addc_u32 s21, s5, 0
	s_mov_b32 s23, 0
	s_waitcnt lgkmcnt(0)
	v_mov_b32_e32 v2, s56
	s_mul_i32 s0, s11, s8
	s_add_i32 s0, s0, s7
	s_mul_i32 s0, s0, s10
	v_mov_b32_e32 v3, s57
	s_add_i32 s22, s0, s6
	v_cmp_ge_u64_e32 vcc, s[22:23], v[2:3]
	s_cbranch_vccnz .LBB159_489
; %bb.1:
	s_load_dwordx2 s[8:9], s[4:5], 0x10
	s_load_dwordx2 s[16:17], s[4:5], 0x380
	;; [unrolled: 1-line block ×3, first 2 shown]
	s_mov_b64 s[0:1], 0
                                        ; implicit-def: $vgpr54 : SGPR spill to VGPR lane
	s_mov_b64 s[12:13], 0
	s_waitcnt lgkmcnt(0)
	v_pk_mov_b32 v[2:3], s[8:9], s[8:9] op_sel:[0,1]
	v_cmp_lt_u64_e32 vcc, s[22:23], v[2:3]
	v_writelane_b32 v54, s0, 0
	v_writelane_b32 v54, s1, 1
	s_cbranch_vccnz .LBB159_3
; %bb.2:
	v_cvt_f32_u32_e32 v1, s8
	s_sub_i32 s0, 0, s8
	v_rcp_iflag_f32_e32 v1, v1
	v_mul_f32_e32 v1, 0x4f7ffffe, v1
	v_cvt_u32_f32_e32 v1, v1
	v_readfirstlane_b32 s1, v1
	s_mul_i32 s0, s0, s1
	s_mul_hi_u32 s0, s1, s0
	s_add_i32 s1, s1, s0
	s_mul_hi_u32 s0, s22, s1
	s_mul_i32 s2, s0, s8
	s_sub_i32 s2, s22, s2
	s_add_i32 s1, s0, 1
	s_sub_i32 s3, s2, s8
	s_cmp_ge_u32 s2, s8
	s_cselect_b32 s0, s1, s0
	s_cselect_b32 s2, s3, s2
	s_add_i32 s1, s0, 1
	s_cmp_ge_u32 s2, s8
	s_cselect_b32 s12, s1, s0
.LBB159_3:
	v_pk_mov_b32 v[2:3], s[14:15], s[14:15] op_sel:[0,1]
	v_cmp_lt_u64_e32 vcc, s[22:23], v[2:3]
	s_cbranch_vccnz .LBB159_5
; %bb.4:
	v_cvt_f32_u32_e32 v1, s14
	s_sub_i32 s0, 0, s14
	v_rcp_iflag_f32_e32 v1, v1
	v_mul_f32_e32 v1, 0x4f7ffffe, v1
	v_cvt_u32_f32_e32 v1, v1
	v_readfirstlane_b32 s1, v1
	s_mul_i32 s0, s0, s1
	s_mul_hi_u32 s0, s1, s0
	s_add_i32 s1, s1, s0
	s_mul_hi_u32 s0, s22, s1
	s_mul_i32 s2, s0, s14
	s_sub_i32 s2, s22, s2
	s_add_i32 s1, s0, 1
	s_sub_i32 s3, s2, s14
	s_cmp_ge_u32 s2, s14
	s_cselect_b32 s0, s1, s0
	s_cselect_b32 s2, s3, s2
	s_add_i32 s1, s0, 1
	s_cmp_ge_u32 s2, s14
	s_cselect_b32 s0, s1, s0
	v_writelane_b32 v54, s0, 0
	v_writelane_b32 v54, s1, 1
.LBB159_5:
	v_writelane_b32 v54, s14, 2
	v_writelane_b32 v54, s15, 3
	s_load_dwordx2 s[14:15], s[4:5], 0x0
	v_pk_mov_b32 v[2:3], s[16:17], s[16:17] op_sel:[0,1]
	v_cmp_lt_u64_e32 vcc, s[22:23], v[2:3]
	s_mov_b64 s[0:1], 0
	v_writelane_b32 v54, s0, 4
	v_writelane_b32 v54, s1, 5
	s_cbranch_vccnz .LBB159_7
; %bb.6:
	v_cvt_f32_u32_e32 v1, s16
	s_sub_i32 s0, 0, s16
	v_rcp_iflag_f32_e32 v1, v1
	v_mul_f32_e32 v1, 0x4f7ffffe, v1
	v_cvt_u32_f32_e32 v1, v1
	v_readfirstlane_b32 s1, v1
	s_mul_i32 s0, s0, s1
	s_mul_hi_u32 s0, s1, s0
	s_add_i32 s1, s1, s0
	s_mul_hi_u32 s0, s22, s1
	s_mul_i32 s2, s0, s16
	s_sub_i32 s2, s22, s2
	s_add_i32 s1, s0, 1
	s_sub_i32 s3, s2, s16
	s_cmp_ge_u32 s2, s16
	s_cselect_b32 s0, s1, s0
	s_cselect_b32 s2, s3, s2
	s_add_i32 s1, s0, 1
	s_cmp_ge_u32 s2, s16
	s_cselect_b32 s0, s1, s0
	v_writelane_b32 v54, s0, 4
	v_writelane_b32 v54, s1, 5
.LBB159_7:
	s_load_dwordx2 s[0:1], s[4:5], 0x370
	v_writelane_b32 v54, s16, 6
	v_writelane_b32 v54, s17, 7
	s_mov_b32 s85, 0
	v_cmp_eq_u32_e64 s[18:19], 0, v0
	s_waitcnt lgkmcnt(0)
	v_writelane_b32 v54, s0, 8
	v_writelane_b32 v54, s1, 9
	s_load_dwordx2 s[0:1], s[4:5], 0x1c8
	s_waitcnt lgkmcnt(0)
	v_writelane_b32 v54, s0, 10
	v_writelane_b32 v54, s1, 11
	s_load_dwordx4 s[0:3], s[4:5], 0xd0
	s_load_dwordx4 s[60:63], s[4:5], 0x1a0
	s_mov_b64 s[16:17], exec
	v_writelane_b32 v54, s18, 12
	v_writelane_b32 v54, s19, 13
	s_and_b64 s[18:19], s[16:17], s[18:19]
	s_mov_b64 exec, s[18:19]
	s_cbranch_execz .LBB159_9
; %bb.8:
	v_mov_b32_e32 v2, 0
	s_waitcnt lgkmcnt(0)
	v_mov_b32_e32 v4, s60
	v_mov_b32_e32 v5, s61
	;; [unrolled: 1-line block ×3, first 2 shown]
	ds_write_b32 v2, v2 offset:5144
	ds_write_b128 v2, v[2:5] offset:5120
.LBB159_9:
	s_or_b64 exec, exec, s[16:17]
	s_mul_i32 s7, s12, s9
	s_mul_hi_u32 s9, s12, s8
	s_add_i32 s9, s9, s7
	s_mul_i32 s7, s12, s8
	s_mov_b32 s8, s22
	v_writelane_b32 v54, s8, 14
	s_sub_u32 s7, s22, s7
	v_writelane_b32 v54, s9, 15
	s_subb_u32 s8, 0, s9
	s_waitcnt lgkmcnt(0)
	s_mul_i32 s3, s7, s3
	s_mul_hi_u32 s9, s7, s2
	s_mul_i32 s8, s8, s2
	s_mul_i32 s2, s7, s2
	;; [unrolled: 1-line block ×3, first 2 shown]
	s_mul_hi_u32 s7, s12, s0
	s_load_dwordx4 s[16:19], s[4:5], 0x298
	s_add_i32 s3, s9, s3
	s_add_i32 s1, s7, s1
	s_mul_i32 s0, s12, s0
	s_add_i32 s3, s3, s8
	s_load_dword s8, s[4:5], 0x1b0
	s_lshl_b64 s[0:1], s[0:1], 3
	s_add_u32 s7, s14, s0
	s_addc_u32 s9, s15, s1
	s_lshl_b64 s[0:1], s[2:3], 3
	s_waitcnt lgkmcnt(0)
	v_writelane_b32 v54, s16, 16
	s_add_u32 s33, s7, s0
	v_writelane_b32 v54, s17, 17
	s_addc_u32 s86, s9, s1
	v_writelane_b32 v54, s18, 18
	s_bitcmp1_b32 s8, 0
	v_writelane_b32 v54, s19, 19
	s_cselect_b64 s[0:1], -1, 0
	v_writelane_b32 v54, s0, 20
	v_mbcnt_lo_u32_b32 v1, -1, 0
	v_writelane_b32 v54, s1, 21
	s_xor_b64 s[0:1], s[0:1], -1
	v_mbcnt_hi_u32_b32 v37, -1, v1
	v_writelane_b32 v54, s0, 22
	v_cmp_gt_u32_e32 vcc, 64, v0
	v_cmp_gt_i32_e64 s[2:3], 4, v37
	v_writelane_b32 v54, s1, 23
	s_and_b64 s[2:3], vcc, s[2:3]
	v_mov_b32_e32 v2, 0x180
	v_writelane_b32 v54, s2, 24
	v_mov_b32_e32 v3, 0
	v_mov_b32_e32 v21, 0
	v_writelane_b32 v54, s3, 25
	v_cmp_gt_u64_e64 s[2:3], s[60:61], v[2:3]
	v_writelane_b32 v54, s2, 26
	v_mov_b32_e32 v1, v21
	v_writelane_b32 v54, s3, 27
	v_cmp_gt_u64_e64 s[2:3], s[60:61], v[0:1]
	v_writelane_b32 v54, s2, 28
	v_writelane_b32 v54, s3, 29
	v_mad_u64_u32 v[2:3], s[2:3], v0, s58, 0
	v_mov_b32_e32 v4, v3
	v_mad_u64_u32 v[4:5], s[2:3], v0, s59, v[4:5]
	v_cmp_gt_u32_e64 s[2:3], 2, v0
	v_writelane_b32 v54, s2, 30
	s_barrier
	v_writelane_b32 v54, s3, 31
	s_load_dword s2, s[20:21], 0xc
	v_mov_b32_e32 v3, v4
	v_lshlrev_b64 v[2:3], 3, v[2:3]
	v_add_co_u32_e32 v18, vcc, s33, v2
	s_waitcnt lgkmcnt(0)
	s_and_b32 s87, s2, 0xffff
	s_bfe_u32 s3, s2, 0xa0006
	v_cmp_gt_u16_e64 s[8:9], s2, 63
	v_writelane_b32 v54, s8, 32
	s_add_u32 s2, s87, -1
	v_writelane_b32 v54, s9, 33
	s_addc_u32 s7, 0, -1
	v_writelane_b32 v54, s2, 34
	s_add_u32 s2, s2, s60
	s_addc_u32 s93, s7, s61
	s_cmp_lt_u32 s6, s10
	v_writelane_b32 v54, s2, 35
	s_cselect_b32 s2, 12, 18
	s_add_u32 s6, s20, s2
	v_writelane_b32 v54, s7, 36
	s_addc_u32 s7, s21, 0
	v_writelane_b32 v54, s6, 37
	v_writelane_b32 v54, s7, 38
	s_add_i32 s2, s3, -1
	s_bfe_u32 s6, s87, 0x30006
	s_cmp_gt_u32 s2, 6
	s_cselect_b64 s[8:9], -1, 0
	v_writelane_b32 v54, s8, 39
	s_and_b32 s94, s3, 0x3f8
	v_writelane_b32 v54, s9, 40
	s_cmp_lg_u32 s6, 0
	v_writelane_b32 v54, s6, 41
	s_cselect_b64 s[2:3], -1, 0
	v_writelane_b32 v54, s2, 42
	v_writelane_b32 v54, s3, 43
	;; [unrolled: 1-line block ×4, first 2 shown]
	s_load_dwordx4 s[4:7], s[4:5], 0x440
	v_lshrrev_b32_e32 v2, 4, v0
	v_mov_b32_e32 v4, s86
	v_and_b32_e32 v38, 60, v2
	v_lshlrev_b32_e32 v2, 2, v37
	s_waitcnt lgkmcnt(0)
	v_writelane_b32 v54, s4, 46
	v_addc_co_u32_e32 v19, vcc, v4, v3, vcc
	v_and_b32_e32 v36, 0x100, v2
	v_lshlrev_b64 v[2:3], v37, -1
	v_writelane_b32 v54, s5, 47
	v_lshlrev_b32_e32 v39, 3, v0
	v_not_b32_e32 v16, v2
	v_mov_b32_e32 v2, 0xc00
	v_pk_mov_b32 v[6:7], 0, 0
	v_writelane_b32 v54, s6, 48
	v_cmp_eq_u32_e64 s[0:1], 0, v37
	v_lshlrev_b32_e32 v22, 2, v0
	v_mov_b32_e32 v23, v21
	v_add_u32_e32 v40, 0xc00, v39
	v_not_b32_e32 v17, v3
	s_mov_b32 s88, s85
	v_lshlrev_b32_e32 v41, 5, v0
	v_lshl_or_b32 v42, v37, 3, v2
	s_lshl_b32 s95, s87, 3
	s_mov_b32 s89, 62
	s_mov_b64 s[64:65], 0
	v_pk_mov_b32 v[28:29], s[62:63], s[62:63] op_sel:[0,1]
	v_mov_b32_e32 v2, 1
	v_writelane_b32 v54, s7, 49
	v_mov_b32_e32 v43, 0x4f800000
	s_mov_b32 s2, 0
	v_pk_mov_b32 v[26:27], v[6:7], v[6:7] op_sel:[0,1]
	v_pk_mov_b32 v[24:25], v[6:7], v[6:7] op_sel:[0,1]
                                        ; implicit-def: $sgpr68_sgpr69
                                        ; implicit-def: $sgpr70_sgpr71
                                        ; implicit-def: $sgpr78_sgpr79
                                        ; implicit-def: $sgpr72_sgpr73
                                        ; implicit-def: $sgpr76_sgpr77
                                        ; implicit-def: $sgpr74_sgpr75
                                        ; implicit-def: $sgpr30_sgpr31
                                        ; implicit-def: $sgpr66_sgpr67
                                        ; implicit-def: $sgpr80_sgpr81
	v_writelane_b32 v54, s2, 50
                                        ; implicit-def: $sgpr82_sgpr83
	s_branch .LBB159_12
.LBB159_10:                             ;   in Loop: Header=BB159_12 Depth=1
	s_or_b64 exec, exec, s[8:9]
	s_andn2_b64 s[8:9], s[82:83], exec
	s_and_b64 s[6:7], s[6:7], exec
	s_or_b64 s[82:83], s[8:9], s[6:7]
	s_andn2_b64 s[80:81], s[80:81], exec
	s_andn2_b64 s[66:67], s[66:67], exec
	s_andn2_b64 s[30:31], s[30:31], exec
	s_andn2_b64 s[74:75], s[74:75], exec
	s_orn2_b64 s[4:5], s[4:5], exec
	v_pk_mov_b32 v[24:25], v[14:15], v[14:15] op_sel:[0,1]
	v_pk_mov_b32 v[26:27], v[12:13], v[12:13] op_sel:[0,1]
	s_waitcnt vmcnt(0)
	v_pk_mov_b32 v[28:29], v[30:31], v[30:31] op_sel:[0,1]
	v_pk_mov_b32 v[6:7], v[10:11], v[10:11] op_sel:[0,1]
.LBB159_11:                             ;   in Loop: Header=BB159_12 Depth=1
	s_or_b64 exec, exec, s[2:3]
	s_and_b64 s[2:3], exec, s[4:5]
	s_or_b64 s[64:65], s[2:3], s[64:65]
	s_andn2_b64 s[2:3], s[76:77], exec
	s_and_b64 s[4:5], s[82:83], exec
	s_or_b64 s[76:77], s[2:3], s[4:5]
	s_andn2_b64 s[2:3], s[72:73], exec
	s_and_b64 s[4:5], s[80:81], exec
	;; [unrolled: 3-line block ×5, first 2 shown]
	s_or_b64 s[68:69], s[2:3], s[4:5]
	s_andn2_b64 exec, exec, s[64:65]
	s_cbranch_execz .LBB159_485
.LBB159_12:                             ; =>This Loop Header: Depth=1
                                        ;     Child Loop BB159_20 Depth 2
                                        ;     Child Loop BB159_35 Depth 2
                                        ;     Child Loop BB159_62 Depth 2
                                        ;     Child Loop BB159_66 Depth 2
                                        ;     Child Loop BB159_48 Depth 2
                                        ;     Child Loop BB159_55 Depth 2
                                        ;     Child Loop BB159_75 Depth 2
                                        ;     Child Loop BB159_81 Depth 2
                                        ;     Child Loop BB159_113 Depth 2
                                        ;     Child Loop BB159_94 Depth 2
                                        ;     Child Loop BB159_159 Depth 2
                                        ;     Child Loop BB159_143 Depth 2
                                        ;     Child Loop BB159_205 Depth 2
                                        ;     Child Loop BB159_189 Depth 2
                                        ;     Child Loop BB159_240 Depth 2
                                        ;     Child Loop BB159_256 Depth 2
                                        ;     Child Loop BB159_309 Depth 2
                                        ;     Child Loop BB159_295 Depth 2
                                        ;     Child Loop BB159_355 Depth 2
                                        ;     Child Loop BB159_339 Depth 2
                                        ;     Child Loop BB159_401 Depth 2
                                        ;     Child Loop BB159_385 Depth 2
                                        ;     Child Loop BB159_436 Depth 2
                                        ;     Child Loop BB159_452 Depth 2
	ds_read_b128 v[8:11], v21 offset:5120
	s_waitcnt lgkmcnt(0)
	v_readfirstlane_b32 s9, v9
	v_readfirstlane_b32 s8, v8
	s_cmp_lg_u64 s[8:9], 0
	s_cbranch_scc1 .LBB159_42
; %bb.13:                               ;   in Loop: Header=BB159_12 Depth=1
	v_readlane_b32 s2, v54, 26
	v_readlane_b32 s3, v54, 27
	s_and_b64 vcc, exec, s[2:3]
	s_cbranch_vccz .LBB159_28
; %bb.14:                               ;   in Loop: Header=BB159_12 Depth=1
	s_mov_b64 s[2:3], 0x181
	v_cmp_gt_u64_e32 vcc, s[2:3], v[10:11]
	s_mov_b64 s[8:9], 0
	s_mov_b64 s[2:3], 0
	s_cbranch_vccz .LBB159_29
; %bb.15:                               ;   in Loop: Header=BB159_12 Depth=1
	s_waitcnt vmcnt(0)
	v_pk_mov_b32 v[4:5], 0, 0
	s_mov_b64 s[2:3], exec
	v_readlane_b32 s4, v54, 28
	v_readlane_b32 s5, v54, 29
	s_and_b64 s[4:5], s[2:3], s[4:5]
	s_mov_b64 exec, s[4:5]
	s_cbranch_execz .LBB159_17
; %bb.16:                               ;   in Loop: Header=BB159_12 Depth=1
	global_load_dwordx2 v[4:5], v[18:19], off
.LBB159_17:                             ;   in Loop: Header=BB159_12 Depth=1
	s_or_b64 exec, exec, s[2:3]
	s_mov_b64 s[2:3], exec
	v_readlane_b32 s4, v54, 28
	v_readlane_b32 s5, v54, 29
	s_and_b64 s[4:5], s[2:3], s[4:5]
	s_mov_b64 exec, s[4:5]
	s_cbranch_execz .LBB159_101
; %bb.18:                               ;   in Loop: Header=BB159_12 Depth=1
	v_readlane_b32 s4, v54, 37
	v_readlane_b32 s5, v54, 38
	v_pk_mov_b32 v[8:9], v[0:1], v[0:1] op_sel:[0,1]
	s_nop 3
	global_load_ushort v3, v21, s[4:5]
	s_mov_b64 s[4:5], 0
	s_branch .LBB159_20
.LBB159_19:                             ;   in Loop: Header=BB159_20 Depth=2
	s_or_b64 exec, exec, s[6:7]
	s_waitcnt vmcnt(0)
	v_pk_mov_b32 v[4:5], v[10:11], v[10:11] op_sel:[0,1]
	s_andn2_b64 exec, exec, s[4:5]
	s_cbranch_execz .LBB159_101
.LBB159_20:                             ;   Parent Loop BB159_12 Depth=1
                                        ; =>  This Inner Loop Header: Depth=2
	s_waitcnt vmcnt(0)
	v_add_co_u32_sdwa v8, vcc, v8, v3 dst_sel:DWORD dst_unused:UNUSED_PAD src0_sel:DWORD src1_sel:WORD_0
	v_addc_co_u32_e32 v9, vcc, 0, v9, vcc
	v_cmp_gt_u64_e64 s[6:7], s[60:61], v[8:9]
	v_cmp_le_u64_e32 vcc, s[60:61], v[8:9]
	v_pk_mov_b32 v[10:11], 0, 0
	s_and_saveexec_b64 s[10:11], s[6:7]
	s_cbranch_execz .LBB159_22
; %bb.21:                               ;   in Loop: Header=BB159_20 Depth=2
	s_waitcnt lgkmcnt(0)
	v_mul_lo_u32 v12, v9, s58
	v_mul_lo_u32 v13, v8, s59
	v_mad_u64_u32 v[10:11], s[6:7], v8, s58, 0
	v_add3_u32 v11, v11, v13, v12
	v_lshlrev_b64 v[10:11], 3, v[10:11]
	v_mov_b32_e32 v12, s86
	v_add_co_u32_e64 v10, s[6:7], s33, v10
	v_addc_co_u32_e64 v11, s[6:7], v12, v11, s[6:7]
	global_load_dwordx2 v[10:11], v[10:11], off
.LBB159_22:                             ;   in Loop: Header=BB159_20 Depth=2
	s_or_b64 exec, exec, s[10:11]
	s_waitcnt lgkmcnt(0)
	v_xor_b32_e32 v12, 0x80000000, v5
	v_and_b32_e32 v13, v12, v25
	v_and_b32_e32 v12, v4, v24
	v_cmp_eq_u64_e64 s[14:15], v[12:13], v[26:27]
	s_cmp_lg_u64 s[14:15], 0
	s_cselect_b64 s[6:7], -1, 0
	s_and_b64 s[6:7], s[0:1], s[6:7]
	v_mov_b32_e32 v12, 0
	s_and_saveexec_b64 s[10:11], s[6:7]
	s_cbranch_execz .LBB159_26
; %bb.23:                               ;   in Loop: Header=BB159_20 Depth=2
	s_mov_b64 s[16:17], exec
	v_mbcnt_lo_u32_b32 v12, s16, 0
	v_mbcnt_hi_u32_b32 v12, s17, v12
	s_bcnt1_i32_b64 s18, s[14:15]
	v_cmp_eq_u32_e64 s[6:7], 0, v12
                                        ; implicit-def: $vgpr13
	s_and_saveexec_b64 s[12:13], s[6:7]
	s_cbranch_execz .LBB159_25
; %bb.24:                               ;   in Loop: Header=BB159_20 Depth=2
	s_bcnt1_i32_b64 s6, s[16:17]
	s_mul_i32 s6, s18, s6
	v_mov_b32_e32 v13, s6
	ds_add_rtn_u32 v13, v21, v13 offset:5144
.LBB159_25:                             ;   in Loop: Header=BB159_20 Depth=2
	s_or_b64 exec, exec, s[12:13]
	s_waitcnt lgkmcnt(0)
	v_readfirstlane_b32 s6, v13
	v_mov_b32_e32 v13, s6
	v_mad_u32_u24 v12, s18, v12, v13
.LBB159_26:                             ;   in Loop: Header=BB159_20 Depth=2
	s_or_b64 exec, exec, s[10:11]
	ds_bpermute_b32 v12, v36, v12
	s_and_b64 s[6:7], exec, vcc
	s_or_b64 s[4:5], s[6:7], s[4:5]
	s_and_saveexec_b64 s[6:7], s[14:15]
	s_cbranch_execz .LBB159_19
; %bb.27:                               ;   in Loop: Header=BB159_20 Depth=2
	v_and_b32_e32 v14, s14, v16
	v_and_b32_e32 v13, s15, v17
	v_bcnt_u32_b32 v14, v14, 0
	v_bcnt_u32_b32 v13, v13, v14
	v_lshlrev_b32_e32 v13, 3, v13
	s_waitcnt lgkmcnt(0)
	v_lshl_add_u32 v12, v12, 3, v13
	ds_write_b64 v12, v[4:5]
	s_branch .LBB159_19
.LBB159_28:                             ;   in Loop: Header=BB159_12 Depth=1
	s_mov_b64 s[8:9], -1
	s_mov_b64 s[2:3], 0
.LBB159_29:                             ;   in Loop: Header=BB159_12 Depth=1
	s_and_b64 vcc, exec, s[8:9]
	s_cbranch_vccz .LBB159_40
.LBB159_30:                             ;   in Loop: Header=BB159_12 Depth=1
	s_waitcnt vmcnt(0)
	v_pk_mov_b32 v[4:5], 0, 0
	s_mov_b64 s[2:3], exec
	v_readlane_b32 s4, v54, 28
	v_readlane_b32 s5, v54, 29
	s_and_b64 s[4:5], s[2:3], s[4:5]
	s_mov_b64 exec, s[4:5]
	s_cbranch_execz .LBB159_32
; %bb.31:                               ;   in Loop: Header=BB159_12 Depth=1
	global_load_dwordx2 v[4:5], v[18:19], off
.LBB159_32:                             ;   in Loop: Header=BB159_12 Depth=1
	s_or_b64 exec, exec, s[2:3]
	s_mov_b64 s[2:3], exec
	v_readlane_b32 s4, v54, 28
	v_readlane_b32 s5, v54, 29
	s_and_b64 s[4:5], s[2:3], s[4:5]
	s_mov_b64 exec, s[4:5]
	s_cbranch_execz .LBB159_37
; %bb.33:                               ;   in Loop: Header=BB159_12 Depth=1
	v_readlane_b32 s4, v54, 37
	v_readlane_b32 s5, v54, 38
	v_mov_b32_e32 v3, v39
	s_nop 3
	global_load_ushort v8, v21, s[4:5]
	s_mov_b64 s[4:5], 0
	s_waitcnt vmcnt(0)
	v_and_b32_e32 v12, 0xffff, v8
	v_lshlrev_b32_e32 v13, 3, v12
	v_pk_mov_b32 v[8:9], v[0:1], v[0:1] op_sel:[0,1]
	s_branch .LBB159_35
.LBB159_34:                             ;   in Loop: Header=BB159_35 Depth=2
	s_or_b64 exec, exec, s[8:9]
	s_and_b64 s[6:7], exec, vcc
	s_or_b64 s[4:5], s[6:7], s[4:5]
	ds_write_b64 v3, v[4:5]
	v_add_u32_e32 v3, v3, v13
	s_waitcnt vmcnt(0)
	v_pk_mov_b32 v[4:5], v[10:11], v[10:11] op_sel:[0,1]
	s_andn2_b64 exec, exec, s[4:5]
	s_cbranch_execz .LBB159_37
.LBB159_35:                             ;   Parent Loop BB159_12 Depth=1
                                        ; =>  This Inner Loop Header: Depth=2
	v_add_co_u32_e32 v8, vcc, v8, v12
	v_addc_co_u32_e32 v9, vcc, 0, v9, vcc
	v_cmp_gt_u64_e64 s[6:7], s[60:61], v[8:9]
	v_cmp_le_u64_e32 vcc, s[60:61], v[8:9]
	v_pk_mov_b32 v[10:11], 0, 0
	s_and_saveexec_b64 s[8:9], s[6:7]
	s_cbranch_execz .LBB159_34
; %bb.36:                               ;   in Loop: Header=BB159_35 Depth=2
	v_mul_lo_u32 v14, v9, s58
	v_mul_lo_u32 v15, v8, s59
	v_mad_u64_u32 v[10:11], s[6:7], v8, s58, 0
	v_add3_u32 v11, v11, v15, v14
	v_lshlrev_b64 v[10:11], 3, v[10:11]
	v_mov_b32_e32 v14, s86
	v_add_co_u32_e64 v10, s[6:7], s33, v10
	v_addc_co_u32_e64 v11, s[6:7], v14, v11, s[6:7]
	global_load_dwordx2 v[10:11], v[10:11], off
	s_branch .LBB159_34
.LBB159_37:                             ;   in Loop: Header=BB159_12 Depth=1
	s_or_b64 exec, exec, s[2:3]
	s_waitcnt lgkmcnt(0)
	s_barrier
	s_mov_b64 s[2:3], exec
	v_readlane_b32 s4, v54, 12
	v_readlane_b32 s5, v54, 13
	s_and_b64 s[4:5], s[2:3], s[4:5]
	s_mov_b64 exec, s[4:5]
	s_cbranch_execz .LBB159_39
; %bb.38:                               ;   in Loop: Header=BB159_12 Depth=1
	s_waitcnt vmcnt(0)
	v_pk_mov_b32 v[4:5], s[60:61], s[60:61] op_sel:[0,1]
	ds_write_b64 v21, v[4:5] offset:5120
.LBB159_39:                             ;   in Loop: Header=BB159_12 Depth=1
	s_or_b64 exec, exec, s[2:3]
	s_mov_b64 s[2:3], -1
	s_waitcnt lgkmcnt(0)
	s_barrier
                                        ; implicit-def: $sgpr8_sgpr9
.LBB159_40:                             ;   in Loop: Header=BB159_12 Depth=1
	s_and_b64 vcc, exec, s[2:3]
	s_cbranch_vccz .LBB159_42
; %bb.41:                               ;   in Loop: Header=BB159_12 Depth=1
	s_waitcnt vmcnt(0)
	ds_read_b64 v[4:5], v21 offset:5120
	s_waitcnt lgkmcnt(0)
	v_readfirstlane_b32 s8, v4
.LBB159_42:                             ;   in Loop: Header=BB159_12 Depth=1
	s_cmp_lt_i32 s8, 1
	s_cbranch_scc0 .LBB159_57
; %bb.43:                               ;   in Loop: Header=BB159_12 Depth=1
	v_readlane_b32 s2, v54, 37
	v_readlane_b32 s3, v54, 38
	s_nop 4
	global_load_ushort v3, v21, s[2:3]
	s_mov_b32 s2, s85
	s_waitcnt vmcnt(0)
	v_readfirstlane_b32 s3, v3
	s_and_b32 s3, 0xffff, s3
	s_lshl_b32 s9, s3, 2
	s_mov_b32 s3, s61
	s_cmp_lg_u64 s[2:3], 0
	s_cbranch_scc0 .LBB159_77
; %bb.44:                               ;   in Loop: Header=BB159_12 Depth=1
	v_cvt_f32_u32_e32 v4, s9
	s_sub_u32 s2, 0, s9
	s_subb_u32 s3, 0, 0
	v_mac_f32_e32 v4, 0, v43
	v_rcp_f32_e32 v4, v4
	v_mul_f32_e32 v4, 0x5f7ffffc, v4
	v_mul_f32_e32 v5, 0x2f800000, v4
	v_trunc_f32_e32 v5, v5
	v_mac_f32_e32 v4, 0xcf800000, v5
	v_cvt_u32_f32_e32 v5, v5
	v_cvt_u32_f32_e32 v4, v4
	v_readfirstlane_b32 s4, v5
	v_readfirstlane_b32 s5, v4
	s_mul_i32 s6, s2, s4
	s_mul_hi_u32 s10, s2, s5
	s_mul_i32 s7, s3, s5
	s_add_i32 s6, s10, s6
	s_mul_i32 s11, s2, s5
	s_add_i32 s6, s6, s7
	s_mul_hi_u32 s10, s5, s11
	s_mul_hi_u32 s7, s5, s6
	s_mul_i32 s5, s5, s6
	s_add_u32 s5, s10, s5
	s_addc_u32 s7, 0, s7
	s_mul_hi_u32 s12, s4, s11
	s_mul_i32 s11, s4, s11
	s_add_u32 s5, s5, s11
	s_mul_hi_u32 s10, s4, s6
	s_addc_u32 s5, s7, s12
	s_addc_u32 s7, s10, 0
	s_mul_i32 s6, s4, s6
	s_add_u32 s5, s5, s6
	s_addc_u32 s6, 0, s7
	v_add_co_u32_e32 v4, vcc, s5, v4
	s_cmp_lg_u64 vcc, 0
	s_addc_u32 s4, s4, s6
	v_readfirstlane_b32 s6, v4
	s_mul_i32 s5, s2, s4
	s_mul_hi_u32 s7, s2, s6
	s_add_i32 s5, s7, s5
	s_mul_i32 s3, s3, s6
	s_add_i32 s5, s5, s3
	s_mul_i32 s2, s2, s6
	s_mul_hi_u32 s7, s4, s2
	s_mul_i32 s10, s4, s2
	s_mul_i32 s12, s6, s5
	s_mul_hi_u32 s2, s6, s2
	s_mul_hi_u32 s11, s6, s5
	s_add_u32 s2, s2, s12
	s_addc_u32 s6, 0, s11
	s_add_u32 s2, s2, s10
	s_mul_hi_u32 s3, s4, s5
	s_addc_u32 s2, s6, s7
	s_addc_u32 s3, s3, 0
	s_mul_i32 s5, s4, s5
	s_add_u32 s2, s2, s5
	s_addc_u32 s3, 0, s3
	v_add_co_u32_e32 v4, vcc, s2, v4
	s_cmp_lg_u64 vcc, 0
	s_addc_u32 s2, s4, s3
	v_readfirstlane_b32 s5, v4
	s_mul_i32 s4, s60, s2
	s_mul_hi_u32 s6, s60, s5
	s_mul_hi_u32 s3, s60, s2
	s_add_u32 s4, s6, s4
	s_addc_u32 s3, 0, s3
	s_mul_hi_u32 s7, s61, s5
	s_mul_i32 s5, s61, s5
	s_add_u32 s4, s4, s5
	s_mul_hi_u32 s6, s61, s2
	s_addc_u32 s3, s3, s7
	s_addc_u32 s4, s6, 0
	s_mul_i32 s2, s61, s2
	s_add_u32 s2, s3, s2
	s_addc_u32 s3, 0, s4
	s_mul_hi_u32 s4, s9, s2
	s_mul_i32 s2, s9, s2
	s_mul_i32 s3, s9, s3
	v_mov_b32_e32 v4, s2
	s_add_i32 s4, s4, s3
	v_sub_co_u32_e32 v4, vcc, s60, v4
	s_cmp_lg_u64 vcc, 0
	s_subb_u32 s2, s61, s4
	v_subrev_co_u32_e32 v5, vcc, s9, v4
	s_cmp_lg_u64 vcc, 0
	s_subb_u32 s3, s2, 0
	v_subrev_co_u32_e32 v8, vcc, s9, v5
	s_cmp_lg_u64 vcc, 0
	s_subb_u32 s4, s3, 0
	v_cmp_le_u32_e32 vcc, s9, v5
	s_cmp_eq_u32 s3, 0
	v_cndmask_b32_e64 v9, 0, -1, vcc
	s_cselect_b64 vcc, -1, 0
	v_cndmask_b32_e32 v9, -1, v9, vcc
	v_mov_b32_e32 v10, s3
	v_mov_b32_e32 v11, s4
	v_cmp_ne_u32_e32 vcc, 0, v9
	v_cndmask_b32_e32 v9, v10, v11, vcc
	v_cndmask_b32_e32 v8, v5, v8, vcc
	v_cmp_le_u32_e32 vcc, s9, v4
	s_cmp_eq_u32 s2, 0
	v_cndmask_b32_e64 v5, 0, -1, vcc
	s_cselect_b64 vcc, -1, 0
	v_cndmask_b32_e32 v5, -1, v5, vcc
	v_mov_b32_e32 v10, s2
	v_cmp_ne_u32_e32 vcc, 0, v5
	v_cndmask_b32_e32 v5, v10, v9, vcc
	v_cndmask_b32_e32 v4, v4, v8, vcc
	s_cbranch_execnz .LBB159_46
.LBB159_45:                             ;   in Loop: Header=BB159_12 Depth=1
	v_cvt_f32_u32_e32 v4, s9
	s_sub_i32 s2, 0, s9
	v_rcp_iflag_f32_e32 v4, v4
	v_mul_f32_e32 v4, 0x4f7ffffe, v4
	v_cvt_u32_f32_e32 v4, v4
	v_mul_lo_u32 v5, s2, v4
	v_mul_hi_u32 v5, v4, v5
	v_add_u32_e32 v4, v4, v5
	v_mul_hi_u32 v4, s60, v4
	v_mul_lo_u32 v4, v4, s9
	v_sub_u32_e32 v4, s60, v4
	v_subrev_u32_e32 v5, s9, v4
	v_cmp_le_u32_e32 vcc, s9, v4
	v_cndmask_b32_e32 v4, v4, v5, vcc
	v_subrev_u32_e32 v5, s9, v4
	v_cmp_le_u32_e32 vcc, s9, v4
	v_cndmask_b32_e32 v20, v4, v5, vcc
	v_pk_mov_b32 v[4:5], v[20:21], v[20:21] op_sel:[0,1]
.LBB159_46:                             ;   in Loop: Header=BB159_12 Depth=1
	v_mov_b32_e32 v8, s61
	v_sub_co_u32_e32 v4, vcc, s60, v4
	v_subb_co_u32_e32 v5, vcc, v8, v5, vcc
	v_pk_mov_b32 v[8:9], 0, 0
	v_cmp_gt_u64_e32 vcc, v[4:5], v[22:23]
	s_mov_b64 s[54:55], 0
	v_pk_mov_b32 v[10:11], v[8:9], v[8:9] op_sel:[0,1]
	v_pk_mov_b32 v[12:13], v[8:9], v[8:9] op_sel:[0,1]
	;; [unrolled: 1-line block ×3, first 2 shown]
	s_and_saveexec_b64 s[10:11], vcc
	s_cbranch_execz .LBB159_50
; %bb.47:                               ;   in Loop: Header=BB159_12 Depth=1
	s_and_b32 s84, s89, 0xfe
	s_mov_b64 s[56:57], 0
	s_mov_b64 s[90:91], 0
	s_mov_b64 s[2:3], 0
	s_mov_b64 s[12:13], 0
	v_pk_mov_b32 v[30:31], v[22:23], v[22:23] op_sel:[0,1]
.LBB159_48:                             ;   Parent Loop BB159_12 Depth=1
                                        ; =>  This Inner Loop Header: Depth=2
	v_mul_lo_u32 v10, v31, s58
	v_mul_lo_u32 v12, v30, s59
	v_mad_u64_u32 v[8:9], s[4:5], v30, s58, 0
	v_add3_u32 v9, v9, v12, v10
	v_lshlrev_b64 v[8:9], 3, v[8:9]
	v_mov_b32_e32 v14, s86
	v_add_co_u32_e64 v8, s[6:7], s33, v8
	s_lshl_b64 s[4:5], s[58:59], 3
	v_addc_co_u32_e64 v9, s[6:7], v14, v9, s[6:7]
	v_mov_b32_e32 v10, s5
	v_add_co_u32_e64 v32, s[6:7], s4, v8
	v_addc_co_u32_e64 v33, s[6:7], v9, v10, s[6:7]
	global_load_dwordx2 v[8:9], v[8:9], off
	s_nop 0
	global_load_dwordx2 v[34:35], v[32:33], off
	v_add_co_u32_e64 v32, s[6:7], s4, v32
	v_addc_co_u32_e64 v33, s[6:7], v33, v10, s[6:7]
	global_load_dwordx2 v[44:45], v[32:33], off
	v_add_co_u32_e64 v32, s[6:7], s4, v32
	v_addc_co_u32_e64 v33, s[6:7], v33, v10, s[6:7]
	global_load_dwordx2 v[32:33], v[32:33], off
	v_mov_b32_e32 v15, v21
	v_mov_b32_e32 v13, v21
	;; [unrolled: 1-line block ×3, first 2 shown]
	v_add_co_u32_e32 v30, vcc, s9, v30
	v_addc_co_u32_e32 v31, vcc, 0, v31, vcc
	v_cmp_ge_u64_e32 vcc, v[30:31], v[4:5]
	s_waitcnt vmcnt(3)
	v_xor_b32_e32 v9, 0x80000000, v9
	v_and_b32_e32 v46, v8, v24
	s_waitcnt vmcnt(2)
	v_xor_b32_e32 v35, 0x80000000, v35
	v_and_b32_e32 v47, v9, v25
	v_lshrrev_b64 v[8:9], s84, v[8:9]
	v_and_b32_e32 v20, 3, v8
	s_waitcnt vmcnt(1)
	v_xor_b32_e32 v45, 0x80000000, v45
	v_lshrrev_b64 v[8:9], s84, v[34:35]
	v_and_b32_e32 v48, v34, v24
	v_cmp_eq_u64_e64 s[16:17], v[46:47], v[26:27]
	v_and_b32_e32 v49, v35, v25
	s_waitcnt vmcnt(0)
	v_xor_b32_e32 v33, 0x80000000, v33
	v_and_b32_e32 v14, 3, v8
	v_lshrrev_b64 v[8:9], s84, v[44:45]
	v_cmp_eq_u64_e64 s[6:7], 0, v[20:21]
	v_and_b32_e32 v46, v44, v24
	v_cmp_eq_u64_e64 s[14:15], v[48:49], v[26:27]
	v_and_b32_e32 v47, v45, v25
	v_and_b32_e32 v12, 3, v8
	v_lshrrev_b64 v[8:9], s84, v[32:33]
	v_cmp_eq_u64_e64 s[28:29], 0, v[14:15]
	s_and_b64 s[4:5], s[16:17], s[6:7]
	v_and_b32_e32 v34, v32, v24
	v_cmp_eq_u64_e64 s[18:19], v[46:47], v[26:27]
	v_and_b32_e32 v35, v33, v25
	v_cndmask_b32_e64 v9, 0, 1, s[4:5]
	v_and_b32_e32 v10, 3, v8
	v_cmp_eq_u64_e64 s[6:7], 0, v[12:13]
	s_and_b64 s[4:5], s[14:15], s[28:29]
	v_cmp_eq_u64_e64 s[22:23], v[34:35], v[26:27]
	v_cmp_ne_u32_e64 s[46:47], 0, v9
	v_cndmask_b32_e64 v8, 0, 1, s[4:5]
	v_cmp_eq_u64_e64 s[48:49], 0, v[10:11]
	s_and_b64 s[4:5], s[18:19], s[6:7]
	s_bcnt1_i32_b64 s92, s[46:47]
	v_cmp_ne_u32_e64 s[46:47], 0, v8
	v_cndmask_b32_e64 v8, 0, 1, s[4:5]
	s_and_b64 s[4:5], s[22:23], s[48:49]
	v_cmp_ne_u32_e64 s[6:7], 0, v8
	v_cndmask_b32_e64 v8, 0, 1, s[4:5]
	s_bcnt1_i32_b64 s4, s[6:7]
	v_cmp_ne_u32_e64 s[6:7], 0, v8
	s_bcnt1_i32_b64 s46, s[46:47]
	s_bcnt1_i32_b64 s5, s[6:7]
	s_add_u32 s6, s92, s12
	s_addc_u32 s7, 0, s13
	s_add_u32 s6, s6, s46
	s_addc_u32 s7, s7, 0
	;; [unrolled: 2-line block ×3, first 2 shown]
	v_cmp_eq_u64_e64 s[34:35], 1, v[20:21]
	s_add_u32 s12, s4, s5
	v_cmp_eq_u64_e64 s[38:39], 1, v[14:15]
	s_addc_u32 s13, s6, 0
	s_and_b64 s[4:5], s[16:17], s[34:35]
	v_cmp_eq_u64_e64 s[42:43], 1, v[12:13]
	v_cmp_eq_u64_e64 s[50:51], 1, v[10:11]
	;; [unrolled: 1-line block ×4, first 2 shown]
	v_cndmask_b32_e64 v10, 0, 1, s[4:5]
	s_and_b64 s[4:5], s[14:15], s[38:39]
	v_cndmask_b32_e64 v11, 0, 1, s[4:5]
	s_and_b64 s[4:5], s[18:19], s[42:43]
	v_cmp_eq_u64_e64 s[44:45], 2, v[12:13]
	v_cmp_eq_u64_e64 s[26:27], 3, v[12:13]
	v_cndmask_b32_e64 v12, 0, 1, s[4:5]
	s_and_b64 s[4:5], s[22:23], s[50:51]
	v_cndmask_b32_e64 v13, 0, 1, s[4:5]
	v_cmp_ne_u32_e64 s[6:7], 0, v10
	v_cmp_ne_u32_e64 s[34:35], 0, v11
	;; [unrolled: 1-line block ×4, first 2 shown]
	s_bcnt1_i32_b64 s4, s[6:7]
	s_bcnt1_i32_b64 s5, s[34:35]
	;; [unrolled: 1-line block ×4, first 2 shown]
	s_add_u32 s2, s4, s2
	s_addc_u32 s3, 0, s3
	s_add_u32 s2, s2, s5
	s_addc_u32 s3, s3, 0
	;; [unrolled: 2-line block ×3, first 2 shown]
	v_cmp_eq_u64_e64 s[36:37], 2, v[20:21]
	s_add_u32 s2, s2, s7
	v_cmp_eq_u64_e64 s[40:41], 2, v[14:15]
	s_addc_u32 s3, s3, 0
	s_and_b64 s[4:5], s[16:17], s[36:37]
	v_cndmask_b32_e64 v12, 0, 1, s[4:5]
	s_and_b64 s[4:5], s[14:15], s[40:41]
	v_cndmask_b32_e64 v13, 0, 1, s[4:5]
	s_and_b64 s[4:5], s[18:19], s[44:45]
	v_cmp_eq_u64_e64 s[24:25], 3, v[14:15]
	v_cndmask_b32_e64 v14, 0, 1, s[4:5]
	s_and_b64 s[4:5], s[22:23], s[52:53]
	v_cndmask_b32_e64 v15, 0, 1, s[4:5]
	v_cmp_ne_u32_e64 s[6:7], 0, v12
	v_cmp_ne_u32_e64 s[34:35], 0, v13
	v_cmp_ne_u32_e64 s[36:37], 0, v14
	v_cmp_ne_u32_e64 s[38:39], 0, v15
	s_bcnt1_i32_b64 s4, s[6:7]
	s_bcnt1_i32_b64 s5, s[34:35]
	;; [unrolled: 1-line block ×4, first 2 shown]
	s_add_u32 s4, s4, s90
	s_addc_u32 s34, 0, s91
	s_add_u32 s4, s4, s5
	s_addc_u32 s5, s34, 0
	;; [unrolled: 2-line block ×3, first 2 shown]
	v_cmp_eq_u64_e64 s[20:21], 3, v[20:21]
	s_add_u32 s90, s4, s7
	s_addc_u32 s91, s5, 0
	s_and_b64 s[4:5], s[16:17], s[20:21]
	v_cndmask_b32_e64 v14, 0, 1, s[4:5]
	s_and_b64 s[4:5], s[14:15], s[24:25]
	v_cndmask_b32_e64 v15, 0, 1, s[4:5]
	;; [unrolled: 2-line block ×4, first 2 shown]
	v_cmp_ne_u32_e64 s[6:7], 0, v14
	v_cmp_ne_u32_e64 s[14:15], 0, v15
	;; [unrolled: 1-line block ×4, first 2 shown]
	s_bcnt1_i32_b64 s4, s[6:7]
	s_bcnt1_i32_b64 s5, s[14:15]
	;; [unrolled: 1-line block ×4, first 2 shown]
	s_add_u32 s4, s4, s56
	s_addc_u32 s14, 0, s57
	s_add_u32 s4, s4, s5
	s_addc_u32 s5, s14, 0
	;; [unrolled: 2-line block ×4, first 2 shown]
	v_pk_mov_b32 v[8:9], s[12:13], s[12:13] op_sel:[0,1]
	v_pk_mov_b32 v[10:11], s[2:3], s[2:3] op_sel:[0,1]
	;; [unrolled: 1-line block ×3, first 2 shown]
	s_or_b64 s[54:55], vcc, s[54:55]
	v_pk_mov_b32 v[14:15], s[56:57], s[56:57] op_sel:[0,1]
	s_andn2_b64 exec, exec, s[54:55]
	s_cbranch_execnz .LBB159_48
; %bb.49:                               ;   in Loop: Header=BB159_12 Depth=1
	s_or_b64 exec, exec, s[54:55]
.LBB159_50:                             ;   in Loop: Header=BB159_12 Depth=1
	s_or_b64 exec, exec, s[10:11]
	v_add_co_u32_e32 v4, vcc, v4, v0
	v_addc_co_u32_e32 v5, vcc, 0, v5, vcc
	v_cmp_gt_u64_e32 vcc, s[60:61], v[4:5]
	v_pk_mov_b32 v[30:31], 0, 0
	s_and_saveexec_b64 s[2:3], vcc
	s_cbranch_execz .LBB159_52
; %bb.51:                               ;   in Loop: Header=BB159_12 Depth=1
	v_mul_lo_u32 v20, v5, s58
	v_mul_lo_u32 v32, v4, s59
	v_mad_u64_u32 v[30:31], s[4:5], v4, s58, 0
	v_add3_u32 v31, v31, v32, v20
	v_lshlrev_b64 v[30:31], 3, v[30:31]
	v_mov_b32_e32 v20, s86
	v_add_co_u32_e64 v30, s[6:7], s33, v30
	v_addc_co_u32_e64 v31, s[6:7], v20, v31, s[6:7]
	global_load_dwordx2 v[30:31], v[30:31], off
.LBB159_52:                             ;   in Loop: Header=BB159_12 Depth=1
	s_or_b64 exec, exec, s[2:3]
	s_and_saveexec_b64 s[2:3], vcc
	s_cbranch_execz .LBB159_59
; %bb.53:                               ;   in Loop: Header=BB159_12 Depth=1
	s_and_b32 s9, s89, 0xfe
	s_mov_b64 s[4:5], 0
	s_branch .LBB159_55
.LBB159_54:                             ;   in Loop: Header=BB159_55 Depth=2
	s_or_b64 exec, exec, s[10:11]
	s_waitcnt vmcnt(0)
	v_xor_b32_e32 v31, 0x80000000, v31
	v_and_b32_e32 v35, v31, v25
	v_and_b32_e32 v34, v30, v24
	v_lshrrev_b64 v[30:31], s9, v[30:31]
	s_and_b64 s[6:7], exec, vcc
	v_and_b32_e32 v20, 3, v30
	s_or_b64 s[4:5], s[6:7], s[4:5]
	v_cmp_eq_u64_e32 vcc, v[34:35], v[26:27]
	v_cmp_eq_u64_e64 s[6:7], 0, v[20:21]
	s_and_b64 s[6:7], vcc, s[6:7]
	v_cndmask_b32_e64 v30, 0, 1, s[6:7]
	v_cmp_ne_u32_e64 s[6:7], 0, v30
	s_bcnt1_i32_b64 s6, s[6:7]
	v_add_co_u32_e64 v8, s[6:7], s6, v8
	v_addc_co_u32_e64 v9, s[6:7], 0, v9, s[6:7]
	v_cmp_eq_u64_e64 s[6:7], 1, v[20:21]
	s_and_b64 s[6:7], vcc, s[6:7]
	v_cndmask_b32_e64 v30, 0, 1, s[6:7]
	v_cmp_ne_u32_e64 s[6:7], 0, v30
	s_bcnt1_i32_b64 s6, s[6:7]
	v_add_co_u32_e64 v10, s[6:7], s6, v10
	v_addc_co_u32_e64 v11, s[6:7], 0, v11, s[6:7]
	v_cmp_eq_u64_e64 s[6:7], 2, v[20:21]
	s_and_b64 s[6:7], vcc, s[6:7]
	v_cndmask_b32_e64 v30, 0, 1, s[6:7]
	v_cmp_ne_u32_e64 s[6:7], 0, v30
	s_bcnt1_i32_b64 s6, s[6:7]
	v_add_co_u32_e64 v12, s[6:7], s6, v12
	v_addc_co_u32_e64 v13, s[6:7], 0, v13, s[6:7]
	v_cmp_eq_u64_e64 s[6:7], 3, v[20:21]
	s_and_b64 s[6:7], vcc, s[6:7]
	v_cndmask_b32_e64 v20, 0, 1, s[6:7]
	v_cmp_ne_u32_e32 vcc, 0, v20
	s_bcnt1_i32_b64 s6, vcc
	v_add_co_u32_e32 v14, vcc, s6, v14
	v_addc_co_u32_e32 v15, vcc, 0, v15, vcc
	v_pk_mov_b32 v[30:31], v[32:33], v[32:33] op_sel:[0,1]
	s_andn2_b64 exec, exec, s[4:5]
	s_cbranch_execz .LBB159_58
.LBB159_55:                             ;   Parent Loop BB159_12 Depth=1
                                        ; =>  This Inner Loop Header: Depth=2
	v_add_co_u32_sdwa v4, vcc, v4, v3 dst_sel:DWORD dst_unused:UNUSED_PAD src0_sel:DWORD src1_sel:WORD_0
	v_addc_co_u32_e32 v5, vcc, 0, v5, vcc
	v_cmp_gt_u64_e64 s[6:7], s[60:61], v[4:5]
	v_cmp_le_u64_e32 vcc, s[60:61], v[4:5]
	v_pk_mov_b32 v[32:33], 0, 0
	s_and_saveexec_b64 s[10:11], s[6:7]
	s_cbranch_execz .LBB159_54
; %bb.56:                               ;   in Loop: Header=BB159_55 Depth=2
	v_mul_lo_u32 v20, v5, s58
	v_mul_lo_u32 v34, v4, s59
	v_mad_u64_u32 v[32:33], s[6:7], v4, s58, 0
	v_add3_u32 v33, v33, v34, v20
	v_lshlrev_b64 v[32:33], 3, v[32:33]
	v_mov_b32_e32 v20, s86
	v_add_co_u32_e64 v32, s[6:7], s33, v32
	v_addc_co_u32_e64 v33, s[6:7], v20, v33, s[6:7]
	global_load_dwordx2 v[32:33], v[32:33], off
	s_branch .LBB159_54
.LBB159_57:                             ;   in Loop: Header=BB159_12 Depth=1
                                        ; implicit-def: $vgpr14_vgpr15
                                        ; implicit-def: $vgpr10_vgpr11
	s_cbranch_execnz .LBB159_60
	s_branch .LBB159_69
.LBB159_58:                             ;   in Loop: Header=BB159_12 Depth=1
	s_or_b64 exec, exec, s[4:5]
.LBB159_59:                             ;   in Loop: Header=BB159_12 Depth=1
	s_or_b64 exec, exec, s[2:3]
	s_branch .LBB159_69
.LBB159_60:                             ;   in Loop: Header=BB159_12 Depth=1
	v_readlane_b32 s2, v54, 37
	v_readlane_b32 s3, v54, 38
	v_pk_mov_b32 v[8:9], 0, 0
	s_mov_b64 s[10:11], 0
	v_pk_mov_b32 v[10:11], v[8:9], v[8:9] op_sel:[0,1]
	v_pk_mov_b32 v[12:13], v[8:9], v[8:9] op_sel:[0,1]
	;; [unrolled: 1-line block ×3, first 2 shown]
	global_load_ushort v3, v21, s[2:3]
	s_waitcnt vmcnt(0)
	v_readfirstlane_b32 s2, v3
	s_and_b32 s2, 0xffff, s2
	s_lshl_b32 s9, s2, 2
	v_cvt_f32_u32_e32 v4, s9
	s_sub_i32 s2, 0, s9
	v_and_b32_e32 v3, 0xffff, v3
	v_rcp_iflag_f32_e32 v4, v4
	v_mul_f32_e32 v4, 0x4f7ffffe, v4
	v_cvt_u32_f32_e32 v4, v4
	v_readfirstlane_b32 s3, v4
	s_mul_i32 s2, s2, s3
	s_mul_hi_u32 s2, s3, s2
	s_add_i32 s3, s3, s2
	s_mul_hi_u32 s2, s8, s3
	s_mul_i32 s2, s2, s9
	s_sub_i32 s2, s8, s2
	s_sub_i32 s3, s2, s9
	s_cmp_ge_u32 s2, s9
	s_cselect_b32 s2, s3, s2
	s_sub_i32 s3, s2, s9
	s_cmp_ge_u32 s2, s9
	s_cselect_b32 s2, s3, s2
	s_sub_i32 s84, s8, s2
	v_cmp_gt_u32_e32 vcc, s84, v22
	s_and_saveexec_b64 s[2:3], vcc
	s_cbranch_execz .LBB159_64
; %bb.61:                               ;   in Loop: Header=BB159_12 Depth=1
	s_and_b32 s92, s89, 0xfe
	v_lshlrev_b32_e32 v44, 5, v3
	v_mov_b32_e32 v45, v41
	s_mov_b64 s[12:13], 0
	s_mov_b64 s[56:57], 0
	;; [unrolled: 1-line block ×4, first 2 shown]
	v_pk_mov_b32 v[4:5], v[22:23], v[22:23] op_sel:[0,1]
.LBB159_62:                             ;   Parent Loop BB159_12 Depth=1
                                        ; =>  This Inner Loop Header: Depth=2
	ds_read_b128 v[12:15], v45
	ds_read_b128 v[8:11], v45 offset:16
	v_mov_b32_e32 v31, v21
	v_mov_b32_e32 v33, v21
	;; [unrolled: 1-line block ×3, first 2 shown]
	s_waitcnt lgkmcnt(1)
	v_xor_b32_e32 v13, 0x80000000, v13
	v_xor_b32_e32 v15, 0x80000000, v15
	v_and_b32_e32 v46, v12, v24
	v_and_b32_e32 v47, v13, v25
	v_lshrrev_b64 v[12:13], s92, v[12:13]
	s_waitcnt lgkmcnt(0)
	v_xor_b32_e32 v9, 0x80000000, v9
	v_and_b32_e32 v48, v14, v24
	v_and_b32_e32 v49, v15, v25
	v_lshrrev_b64 v[14:15], s92, v[14:15]
	v_and_b32_e32 v20, 3, v12
	v_xor_b32_e32 v11, 0x80000000, v11
	v_and_b32_e32 v50, v8, v24
	v_and_b32_e32 v51, v9, v25
	v_lshrrev_b64 v[8:9], s92, v[8:9]
	v_cmp_eq_u64_e64 s[20:21], v[46:47], v[26:27]
	v_and_b32_e32 v30, 3, v14
	v_cmp_eq_u64_e64 s[6:7], 0, v[20:21]
	v_and_b32_e32 v52, v10, v24
	v_and_b32_e32 v53, v11, v25
	v_lshrrev_b64 v[10:11], s92, v[10:11]
	v_cmp_eq_u64_e64 s[18:19], v[48:49], v[26:27]
	v_and_b32_e32 v32, 3, v8
	v_cmp_eq_u64_e64 s[34:35], 0, v[30:31]
	s_and_b64 s[6:7], s[20:21], s[6:7]
	v_cmp_eq_u64_e64 s[16:17], v[50:51], v[26:27]
	v_and_b32_e32 v34, 3, v10
	v_cmp_eq_u64_e64 s[36:37], 0, v[32:33]
	v_cndmask_b32_e64 v8, 0, 1, s[6:7]
	s_and_b64 s[6:7], s[18:19], s[34:35]
	v_cmp_eq_u64_e64 s[14:15], v[52:53], v[26:27]
	v_cmp_eq_u64_e64 s[38:39], 0, v[34:35]
	v_cndmask_b32_e64 v9, 0, 1, s[6:7]
	s_and_b64 s[6:7], s[16:17], s[36:37]
	v_cndmask_b32_e64 v10, 0, 1, s[6:7]
	s_and_b64 s[6:7], s[14:15], s[38:39]
	v_cndmask_b32_e64 v11, 0, 1, s[6:7]
	v_cmp_ne_u32_e64 s[6:7], 0, v8
	v_cmp_ne_u32_e64 s[34:35], 0, v9
	v_cmp_ne_u32_e64 s[36:37], 0, v10
	v_cmp_ne_u32_e64 s[38:39], 0, v11
	s_bcnt1_i32_b64 s6, s[6:7]
	s_bcnt1_i32_b64 s7, s[34:35]
	s_bcnt1_i32_b64 s34, s[36:37]
	s_bcnt1_i32_b64 s35, s[38:39]
	s_add_u32 s4, s6, s4
	s_addc_u32 s5, 0, s5
	s_add_u32 s4, s4, s7
	s_addc_u32 s5, s5, 0
	s_add_u32 s4, s4, s34
	s_addc_u32 s5, s5, 0
	v_cmp_eq_u64_e64 s[40:41], 1, v[20:21]
	s_add_u32 s4, s4, s35
	v_cmp_eq_u64_e64 s[42:43], 1, v[30:31]
	s_addc_u32 s5, s5, 0
	s_and_b64 s[6:7], s[20:21], s[40:41]
	v_cmp_eq_u64_e64 s[44:45], 1, v[32:33]
	v_cndmask_b32_e64 v10, 0, 1, s[6:7]
	s_and_b64 s[6:7], s[18:19], s[42:43]
	v_cmp_eq_u64_e64 s[46:47], 1, v[34:35]
	v_cndmask_b32_e64 v11, 0, 1, s[6:7]
	s_and_b64 s[6:7], s[16:17], s[44:45]
	v_cndmask_b32_e64 v12, 0, 1, s[6:7]
	s_and_b64 s[6:7], s[14:15], s[46:47]
	v_cndmask_b32_e64 v13, 0, 1, s[6:7]
	v_cmp_ne_u32_e64 s[6:7], 0, v10
	v_cmp_ne_u32_e64 s[34:35], 0, v11
	v_cmp_ne_u32_e64 s[36:37], 0, v12
	v_cmp_ne_u32_e64 s[38:39], 0, v13
	s_bcnt1_i32_b64 s6, s[6:7]
	s_bcnt1_i32_b64 s7, s[34:35]
	s_bcnt1_i32_b64 s34, s[36:37]
	s_bcnt1_i32_b64 s35, s[38:39]
	s_add_u32 s6, s6, s90
	s_addc_u32 s36, 0, s91
	s_add_u32 s6, s6, s7
	s_addc_u32 s7, s36, 0
	s_add_u32 s6, s6, s34
	s_addc_u32 s7, s7, 0
	v_cmp_eq_u64_e64 s[48:49], 2, v[20:21]
	s_add_u32 s90, s6, s35
	v_cmp_eq_u64_e64 s[50:51], 2, v[30:31]
	s_addc_u32 s91, s7, 0
	s_and_b64 s[6:7], s[20:21], s[48:49]
	v_cmp_eq_u64_e64 s[52:53], 2, v[32:33]
	v_cndmask_b32_e64 v12, 0, 1, s[6:7]
	s_and_b64 s[6:7], s[18:19], s[50:51]
	v_cmp_eq_u64_e64 s[54:55], 2, v[34:35]
	v_cndmask_b32_e64 v13, 0, 1, s[6:7]
	s_and_b64 s[6:7], s[16:17], s[52:53]
	v_cndmask_b32_e64 v14, 0, 1, s[6:7]
	s_and_b64 s[6:7], s[14:15], s[54:55]
	v_cndmask_b32_e64 v15, 0, 1, s[6:7]
	v_cmp_ne_u32_e64 s[6:7], 0, v12
	v_cmp_ne_u32_e64 s[34:35], 0, v13
	v_cmp_ne_u32_e64 s[36:37], 0, v14
	v_cmp_ne_u32_e64 s[38:39], 0, v15
	s_bcnt1_i32_b64 s6, s[6:7]
	s_bcnt1_i32_b64 s7, s[34:35]
	s_bcnt1_i32_b64 s34, s[36:37]
	s_bcnt1_i32_b64 s35, s[38:39]
	s_add_u32 s6, s6, s56
	s_addc_u32 s36, 0, s57
	s_add_u32 s6, s6, s7
	s_addc_u32 s7, s36, 0
	s_add_u32 s6, s6, s34
	s_addc_u32 s7, s7, 0
	v_cmp_eq_u64_e64 s[28:29], 3, v[20:21]
	s_add_u32 s56, s6, s35
	v_cmp_eq_u64_e64 s[26:27], 3, v[30:31]
	s_addc_u32 s57, s7, 0
	s_and_b64 s[6:7], s[20:21], s[28:29]
	v_cmp_eq_u64_e64 s[24:25], 3, v[32:33]
	v_cndmask_b32_e64 v14, 0, 1, s[6:7]
	s_and_b64 s[6:7], s[18:19], s[26:27]
	v_cmp_eq_u64_e64 s[22:23], 3, v[34:35]
	v_cndmask_b32_e64 v15, 0, 1, s[6:7]
	s_and_b64 s[6:7], s[16:17], s[24:25]
	v_cndmask_b32_e64 v20, 0, 1, s[6:7]
	s_and_b64 s[6:7], s[14:15], s[22:23]
	v_cndmask_b32_e64 v30, 0, 1, s[6:7]
	v_cmp_ne_u32_e64 s[6:7], 0, v14
	v_cmp_ne_u32_e64 s[14:15], 0, v15
	;; [unrolled: 1-line block ×4, first 2 shown]
	s_bcnt1_i32_b64 s6, s[6:7]
	s_bcnt1_i32_b64 s7, s[14:15]
	;; [unrolled: 1-line block ×4, first 2 shown]
	s_add_u32 s6, s6, s12
	s_addc_u32 s12, 0, s13
	s_add_u32 s6, s6, s7
	s_addc_u32 s7, s12, 0
	s_add_u32 s6, s6, s14
	v_add_co_u32_e32 v4, vcc, s9, v4
	s_addc_u32 s7, s7, 0
	v_addc_co_u32_e32 v5, vcc, 0, v5, vcc
	s_add_u32 s12, s6, s15
	v_cmp_le_u64_e32 vcc, s[84:85], v[4:5]
	s_addc_u32 s13, s7, 0
	v_add_u32_e32 v45, v45, v44
	v_pk_mov_b32 v[8:9], s[4:5], s[4:5] op_sel:[0,1]
	v_pk_mov_b32 v[10:11], s[90:91], s[90:91] op_sel:[0,1]
	;; [unrolled: 1-line block ×3, first 2 shown]
	s_or_b64 s[10:11], vcc, s[10:11]
	v_pk_mov_b32 v[14:15], s[12:13], s[12:13] op_sel:[0,1]
	s_andn2_b64 exec, exec, s[10:11]
	s_cbranch_execnz .LBB159_62
; %bb.63:                               ;   in Loop: Header=BB159_12 Depth=1
	s_or_b64 exec, exec, s[10:11]
.LBB159_64:                             ;   in Loop: Header=BB159_12 Depth=1
	s_or_b64 exec, exec, s[2:3]
	v_add_u32_e32 v20, s84, v0
	v_cmp_gt_u32_e32 vcc, s8, v20
	s_and_saveexec_b64 s[2:3], vcc
	s_cbranch_execz .LBB159_68
; %bb.65:                               ;   in Loop: Header=BB159_12 Depth=1
	s_and_b32 s84, s8, 0x7fffffff
	s_and_b32 s8, s89, 0xfe
	v_lshlrev_b32_e32 v30, 3, v20
	v_lshlrev_b32_e32 v31, 3, v3
	s_mov_b64 s[4:5], 0
	v_pk_mov_b32 v[4:5], v[20:21], v[20:21] op_sel:[0,1]
.LBB159_66:                             ;   Parent Loop BB159_12 Depth=1
                                        ; =>  This Inner Loop Header: Depth=2
	ds_read_b64 v[32:33], v30
	v_add_co_u32_e32 v4, vcc, v4, v3
	v_addc_co_u32_e32 v5, vcc, 0, v5, vcc
	s_waitcnt lgkmcnt(0)
	v_xor_b32_e32 v33, 0x80000000, v33
	v_and_b32_e32 v34, v32, v24
	v_and_b32_e32 v35, v33, v25
	v_lshrrev_b64 v[32:33], s8, v[32:33]
	v_and_b32_e32 v20, 3, v32
	v_cmp_eq_u64_e64 s[6:7], v[34:35], v[26:27]
	v_cmp_eq_u64_e64 s[14:15], 0, v[20:21]
	;; [unrolled: 1-line block ×3, first 2 shown]
	s_and_b64 s[10:11], s[6:7], s[14:15]
	v_cmp_eq_u64_e64 s[18:19], 2, v[20:21]
	v_cmp_eq_u64_e64 s[20:21], 3, v[20:21]
	v_cndmask_b32_e64 v20, 0, 1, s[10:11]
	s_and_b64 s[10:11], s[6:7], s[16:17]
	v_cndmask_b32_e64 v32, 0, 1, s[10:11]
	s_and_b64 s[10:11], s[6:7], s[18:19]
	s_and_b64 s[6:7], s[6:7], s[20:21]
	v_cndmask_b32_e64 v33, 0, 1, s[10:11]
	v_cndmask_b32_e64 v34, 0, 1, s[6:7]
	v_cmp_ne_u32_e64 s[6:7], 0, v20
	v_cmp_ne_u32_e64 s[14:15], 0, v32
	v_cmp_ne_u32_e64 s[16:17], 0, v33
	v_cmp_ne_u32_e64 s[18:19], 0, v34
	v_cmp_le_u64_e32 vcc, s[84:85], v[4:5]
	s_bcnt1_i32_b64 s6, s[6:7]
	s_bcnt1_i32_b64 s7, s[14:15]
	;; [unrolled: 1-line block ×4, first 2 shown]
	s_or_b64 s[4:5], vcc, s[4:5]
	v_add_co_u32_e32 v8, vcc, s6, v8
	v_addc_co_u32_e32 v9, vcc, 0, v9, vcc
	v_add_co_u32_e32 v10, vcc, s7, v10
	v_addc_co_u32_e32 v11, vcc, 0, v11, vcc
	;; [unrolled: 2-line block ×3, first 2 shown]
	v_add_co_u32_e32 v14, vcc, s10, v14
	v_add_u32_e32 v30, v30, v31
	v_addc_co_u32_e32 v15, vcc, 0, v15, vcc
	s_andn2_b64 exec, exec, s[4:5]
	s_cbranch_execnz .LBB159_66
; %bb.67:                               ;   in Loop: Header=BB159_12 Depth=1
	s_or_b64 exec, exec, s[4:5]
.LBB159_68:                             ;   in Loop: Header=BB159_12 Depth=1
	s_or_b64 exec, exec, s[2:3]
.LBB159_69:                             ;   in Loop: Header=BB159_12 Depth=1
	v_readlane_b32 s2, v54, 50
	s_lshl_b32 s4, s2, 6
	s_and_saveexec_b64 s[2:3], s[0:1]
	s_cbranch_execz .LBB159_71
; %bb.70:                               ;   in Loop: Header=BB159_12 Depth=1
	v_or_b32_e32 v3, s4, v38
	v_lshlrev_b32_e32 v3, 3, v3
	ds_write_b128 v3, v[8:11] offset:3072
	ds_write_b128 v3, v[12:15] offset:3088
.LBB159_71:                             ;   in Loop: Header=BB159_12 Depth=1
	s_or_b64 exec, exec, s[2:3]
	s_waitcnt lgkmcnt(0)
	s_barrier
	s_mov_b64 s[2:3], exec
	v_readlane_b32 s6, v54, 24
	v_readlane_b32 s7, v54, 25
	s_and_b64 s[6:7], s[2:3], s[6:7]
	s_mov_b64 exec, s[6:7]
	s_cbranch_execz .LBB159_83
; %bb.72:                               ;   in Loop: Header=BB159_12 Depth=1
	v_readlane_b32 s6, v54, 32
	v_readlane_b32 s7, v54, 33
	s_andn2_b64 vcc, exec, s[6:7]
	s_waitcnt vmcnt(0)
	v_pk_mov_b32 v[4:5], 0, 0
	s_cbranch_vccnz .LBB159_82
; %bb.73:                               ;   in Loop: Header=BB159_12 Depth=1
	v_readlane_b32 s6, v54, 39
	v_readlane_b32 s7, v54, 40
	s_andn2_b64 vcc, exec, s[6:7]
	s_cbranch_vccnz .LBB159_78
; %bb.74:                               ;   in Loop: Header=BB159_12 Depth=1
	v_readlane_b32 s5, v54, 50
	v_lshl_add_u32 v3, s5, 9, v42
	s_mov_b32 s5, 0
	v_pk_mov_b32 v[4:5], 0, 0
.LBB159_75:                             ;   Parent Loop BB159_12 Depth=1
                                        ; =>  This Inner Loop Header: Depth=2
	ds_read2_b64 v[8:11], v3 offset1:4
	ds_read2_b64 v[12:15], v3 offset0:8 offset1:12
	ds_read2_b64 v[30:33], v3 offset0:16 offset1:20
	ds_read2_b64 v[44:47], v3 offset0:24 offset1:28
	s_add_i32 s5, s5, 8
	s_waitcnt lgkmcnt(3)
	v_add_co_u32_e32 v4, vcc, v8, v4
	v_addc_co_u32_e32 v5, vcc, v9, v5, vcc
	v_add_co_u32_e32 v4, vcc, v10, v4
	v_addc_co_u32_e32 v5, vcc, v11, v5, vcc
	s_waitcnt lgkmcnt(2)
	v_add_co_u32_e32 v4, vcc, v12, v4
	v_addc_co_u32_e32 v5, vcc, v13, v5, vcc
	v_add_co_u32_e32 v4, vcc, v14, v4
	v_addc_co_u32_e32 v5, vcc, v15, v5, vcc
	;; [unrolled: 5-line block ×3, first 2 shown]
	s_waitcnt lgkmcnt(0)
	v_add_co_u32_e32 v4, vcc, v44, v4
	v_addc_co_u32_e32 v5, vcc, v45, v5, vcc
	v_add_co_u32_e32 v4, vcc, v46, v4
	v_add_u32_e32 v3, 0x100, v3
	s_cmp_eq_u32 s94, s5
	v_addc_co_u32_e32 v5, vcc, v47, v5, vcc
	s_cbranch_scc0 .LBB159_75
; %bb.76:                               ;   in Loop: Header=BB159_12 Depth=1
	s_mov_b32 s5, s94
	s_branch .LBB159_79
.LBB159_77:                             ;   in Loop: Header=BB159_12 Depth=1
                                        ; implicit-def: $vgpr4_vgpr5
	s_branch .LBB159_45
.LBB159_78:                             ;   in Loop: Header=BB159_12 Depth=1
	s_mov_b32 s5, 0
	v_pk_mov_b32 v[4:5], 0, 0
.LBB159_79:                             ;   in Loop: Header=BB159_12 Depth=1
	v_readlane_b32 s6, v54, 42
	v_readlane_b32 s7, v54, 43
	s_andn2_b64 vcc, exec, s[6:7]
	s_cbranch_vccnz .LBB159_82
; %bb.80:                               ;   in Loop: Header=BB159_12 Depth=1
	v_readlane_b32 s6, v54, 50
	s_lshl_b32 s6, s6, 9
	s_lshl_b32 s5, s5, 5
	s_add_i32 s6, s6, s5
	v_add_u32_e32 v3, s6, v42
	v_readlane_b32 s5, v54, 41
.LBB159_81:                             ;   Parent Loop BB159_12 Depth=1
                                        ; =>  This Inner Loop Header: Depth=2
	ds_read_b64 v[8:9], v3
	s_add_i32 s5, s5, -1
	v_add_u32_e32 v3, 32, v3
	s_cmp_lg_u32 s5, 0
	s_waitcnt lgkmcnt(0)
	v_add_co_u32_e32 v4, vcc, v8, v4
	v_addc_co_u32_e32 v5, vcc, v9, v5, vcc
	s_cbranch_scc1 .LBB159_81
.LBB159_82:                             ;   in Loop: Header=BB159_12 Depth=1
	v_add_lshl_u32 v3, s4, v37, 3
	ds_write_b64 v3, v[4:5] offset:3072
.LBB159_83:                             ;   in Loop: Header=BB159_12 Depth=1
	s_or_b64 exec, exec, s[2:3]
	s_lshl_b32 s2, s4, 3
	v_mov_b32_e32 v3, s2
	s_waitcnt lgkmcnt(0)
	s_barrier
	ds_read_b128 v[8:11], v3 offset:3072
	ds_read_b128 v[12:15], v3 offset:3088
	s_and_b32 s84, s89, 0xfe
	v_readlane_b32 s2, v54, 22
	s_lshl_b64 s[18:19], 3, s84
	v_readlane_b32 s3, v54, 23
	s_waitcnt lgkmcnt(1)
	v_readfirstlane_b32 s17, v9
	v_readfirstlane_b32 s16, v8
	;; [unrolled: 1-line block ×4, first 2 shown]
	s_waitcnt lgkmcnt(0)
	v_readfirstlane_b32 s27, v13
	v_readfirstlane_b32 s26, v12
	;; [unrolled: 1-line block ×4, first 2 shown]
	s_not_b64 s[20:21], s[18:19]
	s_andn2_b64 vcc, exec, s[2:3]
	v_cmp_eq_u64_e64 s[14:15], 1, v[28:29]
	s_cbranch_vccnz .LBB159_99
; %bb.84:                               ;   in Loop: Header=BB159_12 Depth=1
	s_cmp_eq_u64 s[16:17], 1
	s_cselect_b64 s[2:3], -1, 0
	s_and_b64 s[8:9], s[2:3], s[14:15]
	s_mov_b64 s[2:3], -1
	v_pk_mov_b32 v[12:13], v[26:27], v[26:27] op_sel:[0,1]
	v_pk_mov_b32 v[14:15], v[24:25], v[24:25] op_sel:[0,1]
	;; [unrolled: 1-line block ×3, first 2 shown]
                                        ; implicit-def: $sgpr24_sgpr25
                                        ; implicit-def: $sgpr40_sgpr41
                                        ; implicit-def: $sgpr38_sgpr39
	s_and_saveexec_b64 s[10:11], s[8:9]
	s_cbranch_execz .LBB159_121
; %bb.85:                               ;   in Loop: Header=BB159_12 Depth=1
	s_waitcnt vmcnt(0)
	ds_read_b64 v[4:5], v21 offset:5120
	s_waitcnt lgkmcnt(0)
	s_barrier
	v_readfirstlane_b32 s2, v4
	v_readfirstlane_b32 s3, v5
	s_mov_b64 s[4:5], exec
	v_readlane_b32 s6, v54, 30
	v_readlane_b32 s7, v54, 31
	s_and_b64 s[6:7], s[4:5], s[6:7]
	s_mov_b64 exec, s[6:7]
	s_cbranch_execz .LBB159_87
; %bb.86:                               ;   in Loop: Header=BB159_12 Depth=1
	v_mov_b32_e32 v20, v21
	ds_write_b64 v40, v[20:21]
.LBB159_87:                             ;   in Loop: Header=BB159_12 Depth=1
	s_or_b64 exec, exec, s[4:5]
	v_and_b32_e32 v13, s21, v27
	v_and_b32_e32 v12, s20, v26
	v_or_b32_e32 v15, s19, v25
	v_or_b32_e32 v14, s18, v24
	s_cmp_eq_u64 s[2:3], 0
	s_waitcnt lgkmcnt(0)
	s_barrier
	s_cbranch_scc1 .LBB159_104
; %bb.88:                               ;   in Loop: Header=BB159_12 Depth=1
	v_readlane_b32 s4, v54, 34
	s_add_u32 s12, s4, s2
	v_readlane_b32 s4, v54, 36
	s_addc_u32 s5, s4, s3
	s_mov_b32 s4, s85
	s_cmp_lg_u64 s[4:5], 0
	s_cbranch_scc0 .LBB159_148
; %bb.89:                               ;   in Loop: Header=BB159_12 Depth=1
	v_cvt_f32_u32_e32 v3, s87
	s_sub_u32 s4, 0, s87
	s_subb_u32 s6, 0, 0
	v_mac_f32_e32 v3, 0, v43
	v_rcp_f32_e32 v3, v3
	v_mul_f32_e32 v3, 0x5f7ffffc, v3
	v_mul_f32_e32 v4, 0x2f800000, v3
	v_trunc_f32_e32 v4, v4
	v_mac_f32_e32 v3, 0xcf800000, v4
	v_cvt_u32_f32_e32 v4, v4
	v_cvt_u32_f32_e32 v3, v3
	v_readfirstlane_b32 s7, v4
	v_readfirstlane_b32 s13, v3
	s_mul_i32 s24, s4, s7
	s_mul_hi_u32 s34, s4, s13
	s_mul_i32 s25, s6, s13
	s_add_i32 s24, s34, s24
	s_mul_i32 s35, s4, s13
	s_add_i32 s24, s24, s25
	s_mul_hi_u32 s34, s13, s35
	s_mul_hi_u32 s25, s13, s24
	s_mul_i32 s13, s13, s24
	s_add_u32 s13, s34, s13
	s_addc_u32 s25, 0, s25
	s_mul_hi_u32 s36, s7, s35
	s_mul_i32 s35, s7, s35
	s_add_u32 s13, s13, s35
	s_mul_hi_u32 s34, s7, s24
	s_addc_u32 s13, s25, s36
	s_addc_u32 s25, s34, 0
	s_mul_i32 s24, s7, s24
	s_add_u32 s13, s13, s24
	s_addc_u32 s24, 0, s25
	v_add_co_u32_e32 v3, vcc, s13, v3
	s_cmp_lg_u64 vcc, 0
	s_addc_u32 s7, s7, s24
	v_readfirstlane_b32 s24, v3
	s_mul_i32 s13, s4, s7
	s_mul_hi_u32 s25, s4, s24
	s_add_i32 s13, s25, s13
	s_mul_i32 s6, s6, s24
	s_add_i32 s13, s13, s6
	s_mul_i32 s4, s4, s24
	s_mul_hi_u32 s25, s7, s4
	s_mul_i32 s34, s7, s4
	s_mul_i32 s36, s24, s13
	s_mul_hi_u32 s4, s24, s4
	s_mul_hi_u32 s35, s24, s13
	s_add_u32 s4, s4, s36
	s_addc_u32 s24, 0, s35
	s_add_u32 s4, s4, s34
	s_mul_hi_u32 s6, s7, s13
	s_addc_u32 s4, s24, s25
	s_addc_u32 s6, s6, 0
	s_mul_i32 s13, s7, s13
	s_add_u32 s4, s4, s13
	s_addc_u32 s6, 0, s6
	v_add_co_u32_e32 v3, vcc, s4, v3
	s_cmp_lg_u64 vcc, 0
	s_addc_u32 s4, s7, s6
	v_readfirstlane_b32 s13, v3
	s_mul_i32 s7, s12, s4
	s_mul_hi_u32 s24, s12, s13
	s_mul_hi_u32 s6, s12, s4
	s_add_u32 s7, s24, s7
	s_addc_u32 s6, 0, s6
	s_mul_hi_u32 s25, s5, s13
	s_mul_i32 s13, s5, s13
	s_add_u32 s7, s7, s13
	s_mul_hi_u32 s24, s5, s4
	s_addc_u32 s6, s6, s25
	s_addc_u32 s7, s24, 0
	s_mul_i32 s4, s5, s4
	s_add_u32 s4, s6, s4
	s_addc_u32 s6, 0, s7
	s_mul_hi_u32 s7, s87, s4
	s_mul_i32 s4, s87, s4
	s_mul_i32 s6, s87, s6
	v_mov_b32_e32 v3, s4
	s_add_i32 s7, s7, s6
	v_sub_co_u32_e32 v3, vcc, s12, v3
	s_cmp_lg_u64 vcc, 0
	s_subb_u32 s4, s5, s7
	v_subrev_co_u32_e32 v4, vcc, s87, v3
	s_cmp_lg_u64 vcc, 0
	s_subb_u32 s6, s4, 0
	v_subrev_co_u32_e32 v5, vcc, s87, v4
	s_cmp_lg_u64 vcc, 0
	s_subb_u32 s7, s6, 0
	v_cmp_le_u32_e32 vcc, s87, v4
	s_cmp_eq_u32 s6, 0
	v_cndmask_b32_e64 v8, 0, -1, vcc
	s_cselect_b64 vcc, -1, 0
	v_cndmask_b32_e32 v8, -1, v8, vcc
	v_mov_b32_e32 v9, s6
	v_mov_b32_e32 v10, s7
	v_cmp_ne_u32_e32 vcc, 0, v8
	v_cndmask_b32_e32 v8, v9, v10, vcc
	v_cndmask_b32_e32 v4, v4, v5, vcc
	v_cmp_le_u32_e32 vcc, s87, v3
	s_cmp_eq_u32 s4, 0
	v_cndmask_b32_e64 v5, 0, -1, vcc
	s_cselect_b64 vcc, -1, 0
	v_cndmask_b32_e32 v5, -1, v5, vcc
	v_mov_b32_e32 v9, s4
	v_cmp_ne_u32_e32 vcc, 0, v5
	v_cndmask_b32_e32 v5, v9, v8, vcc
	v_cndmask_b32_e32 v4, v3, v4, vcc
	s_cbranch_execnz .LBB159_91
.LBB159_90:                             ;   in Loop: Header=BB159_12 Depth=1
	v_cvt_f32_u32_e32 v3, s87
	s_sub_i32 s4, 0, s87
	v_rcp_iflag_f32_e32 v3, v3
	v_mul_f32_e32 v3, 0x4f7ffffe, v3
	v_cvt_u32_f32_e32 v3, v3
	v_mul_lo_u32 v4, s4, v3
	v_mul_hi_u32 v4, v3, v4
	v_add_u32_e32 v3, v3, v4
	v_mul_hi_u32 v3, s12, v3
	v_mul_lo_u32 v3, v3, s87
	v_sub_u32_e32 v3, s12, v3
	v_subrev_u32_e32 v4, s87, v3
	v_cmp_le_u32_e32 vcc, s87, v3
	v_cndmask_b32_e32 v3, v3, v4, vcc
	v_subrev_u32_e32 v4, s87, v3
	v_cmp_le_u32_e32 vcc, s87, v3
	v_cndmask_b32_e32 v20, v3, v4, vcc
	v_pk_mov_b32 v[4:5], v[20:21], v[20:21] op_sel:[0,1]
.LBB159_91:                             ;   in Loop: Header=BB159_12 Depth=1
	v_mov_b32_e32 v3, s5
	v_sub_co_u32_e32 v30, vcc, s12, v4
	v_subb_co_u32_e32 v31, vcc, v3, v5, vcc
	v_cmp_gt_u64_e32 vcc, v[30:31], v[0:1]
	s_mov_b64 s[6:7], 0
                                        ; implicit-def: $vgpr10_vgpr11
	s_and_saveexec_b64 s[4:5], vcc
	s_cbranch_execz .LBB159_106
; %bb.92:                               ;   in Loop: Header=BB159_12 Depth=1
	s_mov_b64 s[12:13], 0
	v_mov_b32_e32 v20, v39
	v_pk_mov_b32 v[32:33], v[0:1], v[0:1] op_sel:[0,1]
                                        ; implicit-def: $sgpr6_sgpr7
	s_branch .LBB159_94
.LBB159_93:                             ;   in Loop: Header=BB159_94 Depth=2
	s_or_b64 exec, exec, s[24:25]
	s_waitcnt lgkmcnt(0)
	s_barrier
	ds_read_b128 v[8:11], v21 offset:3072
	v_mov_b32_e32 v3, s88
	v_add_co_u32_e32 v32, vcc, s87, v32
	v_addc_co_u32_e32 v33, vcc, v33, v3, vcc
	s_waitcnt lgkmcnt(0)
	v_readfirstlane_b32 s25, v9
	v_readfirstlane_b32 s24, v8
	s_cmp_lg_u64 s[24:25], 0
	s_cselect_b64 s[24:25], -1, 0
	v_cmp_ge_u64_e32 vcc, v[32:33], v[30:31]
	s_or_b64 s[34:35], vcc, s[24:25]
	s_and_b64 s[34:35], exec, s[34:35]
	s_or_b64 s[12:13], s[34:35], s[12:13]
	s_andn2_b64 s[6:7], s[6:7], exec
	s_and_b64 s[24:25], s[24:25], exec
	v_add_u32_e32 v20, s95, v20
	s_or_b64 s[6:7], s[6:7], s[24:25]
	s_barrier
	s_andn2_b64 exec, exec, s[12:13]
	s_cbranch_execz .LBB159_105
.LBB159_94:                             ;   Parent Loop BB159_12 Depth=1
                                        ; =>  This Inner Loop Header: Depth=2
	v_cmp_gt_u64_e32 vcc, s[2:3], v[32:33]
	v_pk_mov_b32 v[4:5], 0, 0
	s_and_saveexec_b64 s[24:25], vcc
	s_cbranch_execz .LBB159_96
; %bb.95:                               ;   in Loop: Header=BB159_94 Depth=2
	ds_read_b64 v[4:5], v20
.LBB159_96:                             ;   in Loop: Header=BB159_94 Depth=2
	s_or_b64 exec, exec, s[24:25]
	s_and_saveexec_b64 s[24:25], vcc
	s_cbranch_execz .LBB159_93
; %bb.97:                               ;   in Loop: Header=BB159_94 Depth=2
	s_waitcnt lgkmcnt(0)
	v_xor_b32_e32 v3, 0x80000000, v5
	v_and_b32_e32 v9, v3, v15
	v_and_b32_e32 v8, v4, v14
	v_cmp_eq_u64_e32 vcc, v[8:9], v[12:13]
	s_and_b64 exec, exec, vcc
	s_cbranch_execz .LBB159_93
; %bb.98:                               ;   in Loop: Header=BB159_94 Depth=2
	v_mov_b32_e32 v3, v21
	ds_write_b128 v21, v[2:5] offset:3072
	s_branch .LBB159_93
.LBB159_99:                             ;   in Loop: Header=BB159_12 Depth=1
	s_mov_b64 s[36:37], 0
	s_mov_b64 s[34:35], 0
                                        ; implicit-def: $sgpr38_sgpr39
                                        ; implicit-def: $sgpr40_sgpr41
                                        ; implicit-def: $sgpr24_sgpr25
                                        ; implicit-def: $vgpr3
                                        ; implicit-def: $vgpr30_vgpr31
                                        ; implicit-def: $vgpr12_vgpr13
                                        ; implicit-def: $vgpr14_vgpr15
                                        ; implicit-def: $vgpr10_vgpr11
	s_cbranch_execnz .LBB159_285
.LBB159_100:                            ;   in Loop: Header=BB159_12 Depth=1
	s_mov_b64 s[14:15], s[24:25]
	s_mov_b64 s[42:43], s[24:25]
	s_and_saveexec_b64 s[2:3], s[36:37]
	s_cbranch_execnz .LBB159_481
	s_branch .LBB159_482
.LBB159_101:                            ;   in Loop: Header=BB159_12 Depth=1
	s_or_b64 exec, exec, s[2:3]
	s_waitcnt lgkmcnt(0)
	s_barrier
	s_mov_b64 s[2:3], exec
	v_readlane_b32 s4, v54, 12
	v_readlane_b32 s5, v54, 13
	s_and_b64 s[4:5], s[2:3], s[4:5]
	s_mov_b64 exec, s[4:5]
	s_cbranch_execz .LBB159_103
; %bb.102:                              ;   in Loop: Header=BB159_12 Depth=1
	s_waitcnt vmcnt(0)
	ds_read_b32 v4, v21 offset:5144
	s_waitcnt lgkmcnt(0)
	v_ashrrev_i32_e32 v5, 31, v4
	ds_write_b64 v21, v[4:5] offset:5120
.LBB159_103:                            ;   in Loop: Header=BB159_12 Depth=1
	s_or_b64 exec, exec, s[2:3]
	s_waitcnt lgkmcnt(0)
	s_barrier
	s_mov_b64 s[2:3], -1
	s_and_b64 vcc, exec, s[8:9]
	s_cbranch_vccnz .LBB159_30
	s_branch .LBB159_40
.LBB159_104:                            ;   in Loop: Header=BB159_12 Depth=1
	s_mov_b64 s[24:25], -1
	s_mov_b64 s[6:7], 0
                                        ; implicit-def: $sgpr38_sgpr39
                                        ; implicit-def: $vgpr10_vgpr11
	s_mov_b64 s[40:41], s[24:25]
	s_cbranch_execnz .LBB159_107
	s_branch .LBB159_120
.LBB159_105:                            ;   in Loop: Header=BB159_12 Depth=1
	s_or_b64 exec, exec, s[12:13]
	s_and_b64 s[6:7], s[6:7], exec
.LBB159_106:                            ;   in Loop: Header=BB159_12 Depth=1
	s_or_b64 exec, exec, s[4:5]
	s_mov_b64 s[38:39], -1
	s_mov_b64 s[24:25], 0
	s_mov_b64 s[40:41], s[24:25]
	s_branch .LBB159_120
.LBB159_107:                            ;   in Loop: Header=BB159_12 Depth=1
	s_mov_b32 s92, s85
	s_cmp_lg_u64 s[92:93], 0
	s_cbranch_scc0 .LBB159_149
; %bb.108:                              ;   in Loop: Header=BB159_12 Depth=1
	v_cvt_f32_u32_e32 v3, s87
	s_sub_u32 s2, 0, s87
	s_subb_u32 s3, 0, 0
	v_mac_f32_e32 v3, 0, v43
	v_rcp_f32_e32 v3, v3
	v_mul_f32_e32 v3, 0x5f7ffffc, v3
	v_mul_f32_e32 v4, 0x2f800000, v3
	v_trunc_f32_e32 v4, v4
	v_mac_f32_e32 v3, 0xcf800000, v4
	v_cvt_u32_f32_e32 v4, v4
	v_cvt_u32_f32_e32 v3, v3
	v_readfirstlane_b32 s4, v4
	v_readfirstlane_b32 s5, v3
	s_mul_i32 s6, s2, s4
	s_mul_hi_u32 s12, s2, s5
	s_mul_i32 s7, s3, s5
	s_add_i32 s6, s12, s6
	s_mul_i32 s13, s2, s5
	s_add_i32 s6, s6, s7
	s_mul_hi_u32 s12, s5, s13
	s_mul_hi_u32 s7, s5, s6
	s_mul_i32 s5, s5, s6
	s_add_u32 s5, s12, s5
	s_addc_u32 s7, 0, s7
	s_mul_hi_u32 s24, s4, s13
	s_mul_i32 s13, s4, s13
	s_add_u32 s5, s5, s13
	s_mul_hi_u32 s12, s4, s6
	s_addc_u32 s5, s7, s24
	s_addc_u32 s7, s12, 0
	s_mul_i32 s6, s4, s6
	s_add_u32 s5, s5, s6
	s_addc_u32 s6, 0, s7
	v_add_co_u32_e32 v3, vcc, s5, v3
	s_cmp_lg_u64 vcc, 0
	s_addc_u32 s4, s4, s6
	v_readfirstlane_b32 s6, v3
	s_mul_i32 s5, s2, s4
	s_mul_hi_u32 s7, s2, s6
	s_add_i32 s5, s7, s5
	s_mul_i32 s3, s3, s6
	s_add_i32 s5, s5, s3
	s_mul_i32 s2, s2, s6
	s_mul_hi_u32 s7, s4, s2
	s_mul_i32 s12, s4, s2
	s_mul_i32 s24, s6, s5
	s_mul_hi_u32 s2, s6, s2
	s_mul_hi_u32 s13, s6, s5
	s_add_u32 s2, s2, s24
	s_addc_u32 s6, 0, s13
	s_add_u32 s2, s2, s12
	s_mul_hi_u32 s3, s4, s5
	s_addc_u32 s2, s6, s7
	s_addc_u32 s3, s3, 0
	s_mul_i32 s5, s4, s5
	s_add_u32 s2, s2, s5
	s_addc_u32 s3, 0, s3
	v_add_co_u32_e32 v3, vcc, s2, v3
	s_cmp_lg_u64 vcc, 0
	s_addc_u32 s2, s4, s3
	v_readlane_b32 s12, v54, 35
	v_readfirstlane_b32 s5, v3
	s_mul_i32 s4, s12, s2
	s_mul_hi_u32 s6, s12, s5
	s_mul_hi_u32 s3, s12, s2
	s_add_u32 s4, s6, s4
	s_addc_u32 s3, 0, s3
	s_mul_hi_u32 s7, s93, s5
	s_mul_i32 s5, s93, s5
	s_add_u32 s4, s4, s5
	s_mul_hi_u32 s6, s93, s2
	s_addc_u32 s3, s3, s7
	s_addc_u32 s4, s6, 0
	s_mul_i32 s2, s93, s2
	s_add_u32 s2, s3, s2
	s_addc_u32 s3, 0, s4
	s_mul_hi_u32 s4, s87, s2
	s_mul_i32 s2, s87, s2
	s_mul_i32 s3, s87, s3
	v_mov_b32_e32 v3, s2
	s_add_i32 s4, s4, s3
	v_sub_co_u32_e32 v3, vcc, s12, v3
	s_cmp_lg_u64 vcc, 0
	s_subb_u32 s2, s93, s4
	v_subrev_co_u32_e32 v4, vcc, s87, v3
	s_cmp_lg_u64 vcc, 0
	s_subb_u32 s3, s2, 0
	v_subrev_co_u32_e32 v5, vcc, s87, v4
	s_cmp_lg_u64 vcc, 0
	s_subb_u32 s4, s3, 0
	v_cmp_le_u32_e32 vcc, s87, v4
	s_cmp_eq_u32 s3, 0
	v_cndmask_b32_e64 v8, 0, -1, vcc
	s_cselect_b64 vcc, -1, 0
	v_cndmask_b32_e32 v8, -1, v8, vcc
	v_mov_b32_e32 v9, s3
	v_mov_b32_e32 v10, s4
	v_cmp_ne_u32_e32 vcc, 0, v8
	v_cndmask_b32_e32 v8, v9, v10, vcc
	v_cndmask_b32_e32 v4, v4, v5, vcc
	v_cmp_le_u32_e32 vcc, s87, v3
	s_cmp_eq_u32 s2, 0
	v_cndmask_b32_e64 v5, 0, -1, vcc
	s_cselect_b64 vcc, -1, 0
	v_cndmask_b32_e32 v5, -1, v5, vcc
	v_mov_b32_e32 v9, s2
	v_cmp_ne_u32_e32 vcc, 0, v5
	v_cndmask_b32_e32 v5, v9, v8, vcc
	v_cndmask_b32_e32 v4, v3, v4, vcc
	s_cbranch_execnz .LBB159_110
.LBB159_109:                            ;   in Loop: Header=BB159_12 Depth=1
	v_cvt_f32_u32_e32 v3, s87
	s_sub_i32 s2, 0, s87
	v_rcp_iflag_f32_e32 v3, v3
	v_mul_f32_e32 v3, 0x4f7ffffe, v3
	v_cvt_u32_f32_e32 v3, v3
	v_mul_lo_u32 v4, s2, v3
	v_mul_hi_u32 v4, v3, v4
	v_add_u32_e32 v3, v3, v4
	v_readlane_b32 s2, v54, 35
	v_mul_hi_u32 v3, s2, v3
	v_mul_lo_u32 v3, v3, s87
	v_sub_u32_e32 v3, s2, v3
	v_subrev_u32_e32 v4, s87, v3
	v_cmp_le_u32_e32 vcc, s87, v3
	v_cndmask_b32_e32 v3, v3, v4, vcc
	v_subrev_u32_e32 v4, s87, v3
	v_cmp_le_u32_e32 vcc, s87, v3
	v_cndmask_b32_e32 v20, v3, v4, vcc
	v_pk_mov_b32 v[4:5], v[20:21], v[20:21] op_sel:[0,1]
.LBB159_110:                            ;   in Loop: Header=BB159_12 Depth=1
	v_readlane_b32 s2, v54, 35
	v_mov_b32_e32 v3, s93
	v_sub_co_u32_e32 v30, vcc, s2, v4
	v_subb_co_u32_e32 v31, vcc, v3, v5, vcc
	v_cmp_gt_u64_e32 vcc, v[30:31], v[0:1]
	s_mov_b64 s[6:7], 0
                                        ; implicit-def: $vgpr10_vgpr11
	s_and_saveexec_b64 s[2:3], vcc
	s_cbranch_execz .LBB159_119
; %bb.111:                              ;   in Loop: Header=BB159_12 Depth=1
	s_mov_b64 s[12:13], 0
	v_pk_mov_b32 v[32:33], v[0:1], v[0:1] op_sel:[0,1]
                                        ; implicit-def: $sgpr4_sgpr5
	s_branch .LBB159_113
.LBB159_112:                            ;   in Loop: Header=BB159_113 Depth=2
	s_or_b64 exec, exec, s[6:7]
	s_waitcnt lgkmcnt(0)
	s_barrier
	ds_read_b128 v[8:11], v21 offset:3072
	v_mov_b32_e32 v3, s88
	v_add_co_u32_e32 v32, vcc, s87, v32
	v_addc_co_u32_e32 v33, vcc, v33, v3, vcc
	s_waitcnt lgkmcnt(0)
	v_readfirstlane_b32 s7, v9
	v_readfirstlane_b32 s6, v8
	s_cmp_lg_u64 s[6:7], 0
	s_cselect_b64 s[6:7], -1, 0
	v_cmp_ge_u64_e32 vcc, v[32:33], v[30:31]
	s_or_b64 s[24:25], vcc, s[6:7]
	s_and_b64 s[24:25], exec, s[24:25]
	s_or_b64 s[12:13], s[24:25], s[12:13]
	s_andn2_b64 s[4:5], s[4:5], exec
	s_and_b64 s[6:7], s[6:7], exec
	s_or_b64 s[4:5], s[4:5], s[6:7]
	s_barrier
	s_andn2_b64 exec, exec, s[12:13]
	s_cbranch_execz .LBB159_118
.LBB159_113:                            ;   Parent Loop BB159_12 Depth=1
                                        ; =>  This Inner Loop Header: Depth=2
	v_cmp_gt_u64_e32 vcc, s[60:61], v[32:33]
	s_waitcnt vmcnt(0)
	v_pk_mov_b32 v[4:5], 0, 0
	s_and_saveexec_b64 s[24:25], vcc
	s_cbranch_execz .LBB159_115
; %bb.114:                              ;   in Loop: Header=BB159_113 Depth=2
	v_mul_lo_u32 v3, v33, s58
	v_mul_lo_u32 v8, v32, s59
	v_mad_u64_u32 v[4:5], s[6:7], v32, s58, 0
	v_add3_u32 v5, v5, v8, v3
	v_lshlrev_b64 v[4:5], 3, v[4:5]
	v_mov_b32_e32 v3, s86
	v_add_co_u32_e64 v4, s[6:7], s33, v4
	v_addc_co_u32_e64 v5, s[6:7], v3, v5, s[6:7]
	global_load_dwordx2 v[4:5], v[4:5], off
.LBB159_115:                            ;   in Loop: Header=BB159_113 Depth=2
	s_or_b64 exec, exec, s[24:25]
	s_and_saveexec_b64 s[6:7], vcc
	s_cbranch_execz .LBB159_112
; %bb.116:                              ;   in Loop: Header=BB159_113 Depth=2
	s_waitcnt vmcnt(0)
	v_xor_b32_e32 v3, 0x80000000, v5
	v_and_b32_e32 v9, v3, v15
	v_and_b32_e32 v8, v4, v14
	v_cmp_eq_u64_e32 vcc, v[8:9], v[12:13]
	s_and_b64 exec, exec, vcc
	s_cbranch_execz .LBB159_112
; %bb.117:                              ;   in Loop: Header=BB159_113 Depth=2
	v_mov_b32_e32 v3, v21
	ds_write_b128 v21, v[2:5] offset:3072
	s_branch .LBB159_112
.LBB159_118:                            ;   in Loop: Header=BB159_12 Depth=1
	s_or_b64 exec, exec, s[12:13]
	s_and_b64 s[6:7], s[4:5], exec
.LBB159_119:                            ;   in Loop: Header=BB159_12 Depth=1
	s_or_b64 exec, exec, s[2:3]
	s_mov_b64 s[40:41], -1
	s_mov_b64 s[24:25], 0
	s_mov_b64 s[38:39], 0
.LBB159_120:                            ;   in Loop: Header=BB159_12 Depth=1
	s_orn2_b64 s[2:3], s[6:7], exec
.LBB159_121:                            ;   in Loop: Header=BB159_12 Depth=1
	s_or_b64 exec, exec, s[10:11]
	s_mov_b64 s[42:43], 0
	s_mov_b64 s[36:37], 0
	;; [unrolled: 1-line block ×3, first 2 shown]
                                        ; implicit-def: $vgpr3
                                        ; implicit-def: $vgpr30_vgpr31
	s_and_saveexec_b64 s[44:45], s[2:3]
	s_cbranch_execz .LBB159_284
; %bb.122:                              ;   in Loop: Header=BB159_12 Depth=1
	s_waitcnt vmcnt(0)
	v_mov_b32_e32 v30, 1
	s_xor_b64 s[4:5], s[8:9], -1
	s_mov_b64 s[6:7], 0
	v_mov_b32_e32 v31, 0
	v_mov_b32_e32 v3, 1
	s_and_saveexec_b64 s[2:3], s[4:5]
	s_cbranch_execz .LBB159_132
; %bb.123:                              ;   in Loop: Header=BB159_12 Depth=1
	v_cmp_ge_u64_e32 vcc, s[16:17], v[28:29]
                                        ; implicit-def: $sgpr8
                                        ; implicit-def: $sgpr4_sgpr5
	s_and_saveexec_b64 s[6:7], vcc
	s_xor_b64 s[6:7], exec, s[6:7]
	s_cbranch_execz .LBB159_129
; %bb.124:                              ;   in Loop: Header=BB159_12 Depth=1
	ds_read_b64 v[4:5], v21 offset:5120
	s_waitcnt lgkmcnt(0)
	v_cmp_ne_u64_e32 vcc, 0, v[4:5]
	s_cbranch_vccnz .LBB159_128
; %bb.125:                              ;   in Loop: Header=BB159_12 Depth=1
	s_mov_b64 s[4:5], exec
	v_readlane_b32 s8, v54, 12
	v_readlane_b32 s9, v54, 13
	s_and_b64 s[8:9], s[4:5], s[8:9]
	s_mov_b64 exec, s[8:9]
	s_cbranch_execz .LBB159_127
; %bb.126:                              ;   in Loop: Header=BB159_12 Depth=1
	v_pk_mov_b32 v[4:5], s[16:17], s[16:17] op_sel:[0,1]
	ds_write_b64 v21, v[4:5] offset:5128
.LBB159_127:                            ;   in Loop: Header=BB159_12 Depth=1
	s_or_b64 exec, exec, s[4:5]
	s_waitcnt lgkmcnt(0)
	s_barrier
.LBB159_128:                            ;   in Loop: Header=BB159_12 Depth=1
	v_and_b32_e32 v13, s21, v13
	v_and_b32_e32 v12, s20, v12
	v_or_b32_e32 v15, s19, v15
	v_or_b32_e32 v14, s18, v14
	s_mov_b64 s[4:5], 0
	s_mov_b32 s8, 8
.LBB159_129:                            ;   in Loop: Header=BB159_12 Depth=1
	s_or_saveexec_b64 s[6:7], s[6:7]
	v_mov_b32_e32 v3, s8
	v_pk_mov_b32 v[30:31], v[28:29], v[28:29] op_sel:[0,1]
	s_xor_b64 exec, exec, s[6:7]
; %bb.130:                              ;   in Loop: Header=BB159_12 Depth=1
	v_mov_b32_e32 v3, s17
	v_subrev_co_u32_e32 v30, vcc, s16, v28
	v_subb_co_u32_e32 v31, vcc, v29, v3, vcc
	v_mov_b32_e32 v3, 0
	s_or_b64 s[4:5], s[4:5], exec
; %bb.131:                              ;   in Loop: Header=BB159_12 Depth=1
	s_or_b64 exec, exec, s[6:7]
	s_and_b64 s[6:7], s[4:5], exec
.LBB159_132:                            ;   in Loop: Header=BB159_12 Depth=1
	s_or_b64 exec, exec, s[2:3]
	s_mov_b64 s[12:13], -1
                                        ; implicit-def: $sgpr2_sgpr3
                                        ; implicit-def: $sgpr4_sgpr5
                                        ; implicit-def: $sgpr8_sgpr9
	s_and_saveexec_b64 s[10:11], s[6:7]
	s_xor_b64 s[34:35], exec, s[10:11]
	s_cbranch_execz .LBB159_281
; %bb.133:                              ;   in Loop: Header=BB159_12 Depth=1
	s_cmp_eq_u64 s[22:23], 1
	s_cselect_b64 s[2:3], -1, 0
	v_cmp_eq_u64_e32 vcc, 1, v[30:31]
	s_and_b64 s[8:9], s[2:3], vcc
	s_mov_b64 s[2:3], -1
                                        ; implicit-def: $sgpr36_sgpr37
                                        ; implicit-def: $sgpr48_sgpr49
                                        ; implicit-def: $sgpr46_sgpr47
	s_and_saveexec_b64 s[10:11], s[8:9]
	s_cbranch_execz .LBB159_167
; %bb.134:                              ;   in Loop: Header=BB159_12 Depth=1
	ds_read_b64 v[4:5], v21 offset:5120
	s_waitcnt lgkmcnt(0)
	s_barrier
	v_readfirstlane_b32 s2, v4
	v_readfirstlane_b32 s3, v5
	s_mov_b64 s[4:5], exec
	v_readlane_b32 s6, v54, 30
	v_readlane_b32 s7, v54, 31
	s_and_b64 s[6:7], s[4:5], s[6:7]
	s_mov_b64 exec, s[6:7]
	s_cbranch_execz .LBB159_136
; %bb.135:                              ;   in Loop: Header=BB159_12 Depth=1
	v_mov_b32_e32 v20, v21
	ds_write_b64 v40, v[20:21]
.LBB159_136:                            ;   in Loop: Header=BB159_12 Depth=1
	s_or_b64 exec, exec, s[4:5]
	s_lshl_b64 s[4:5], 1, s84
	v_and_b32_e32 v3, s21, v13
	v_and_b32_e32 v4, s20, v12
	v_or_b32_e32 v13, s5, v3
	v_or_b32_e32 v12, s4, v4
	;; [unrolled: 1-line block ×4, first 2 shown]
	s_cmp_eq_u64 s[2:3], 0
	s_waitcnt lgkmcnt(0)
	s_barrier
	s_cbranch_scc1 .LBB159_150
; %bb.137:                              ;   in Loop: Header=BB159_12 Depth=1
	v_readlane_b32 s4, v54, 34
	s_add_u32 s12, s4, s2
	v_readlane_b32 s4, v54, 36
	s_addc_u32 s5, s4, s3
	s_mov_b32 s4, s85
	s_cmp_lg_u64 s[4:5], 0
	s_cbranch_scc0 .LBB159_194
; %bb.138:                              ;   in Loop: Header=BB159_12 Depth=1
	v_cvt_f32_u32_e32 v3, s87
	s_sub_u32 s4, 0, s87
	s_subb_u32 s6, 0, 0
	v_mac_f32_e32 v3, 0, v43
	v_rcp_f32_e32 v3, v3
	v_mul_f32_e32 v3, 0x5f7ffffc, v3
	v_mul_f32_e32 v4, 0x2f800000, v3
	v_trunc_f32_e32 v4, v4
	v_mac_f32_e32 v3, 0xcf800000, v4
	v_cvt_u32_f32_e32 v4, v4
	v_cvt_u32_f32_e32 v3, v3
	v_readfirstlane_b32 s7, v4
	v_readfirstlane_b32 s13, v3
	s_mul_i32 s36, s4, s7
	s_mul_hi_u32 s46, s4, s13
	s_mul_i32 s37, s6, s13
	s_add_i32 s36, s46, s36
	s_mul_i32 s47, s4, s13
	s_add_i32 s36, s36, s37
	s_mul_hi_u32 s46, s13, s47
	s_mul_hi_u32 s37, s13, s36
	s_mul_i32 s13, s13, s36
	s_add_u32 s13, s46, s13
	s_addc_u32 s37, 0, s37
	s_mul_hi_u32 s48, s7, s47
	s_mul_i32 s47, s7, s47
	s_add_u32 s13, s13, s47
	s_mul_hi_u32 s46, s7, s36
	s_addc_u32 s13, s37, s48
	s_addc_u32 s37, s46, 0
	s_mul_i32 s36, s7, s36
	s_add_u32 s13, s13, s36
	s_addc_u32 s36, 0, s37
	v_add_co_u32_e32 v3, vcc, s13, v3
	s_cmp_lg_u64 vcc, 0
	s_addc_u32 s7, s7, s36
	v_readfirstlane_b32 s36, v3
	s_mul_i32 s13, s4, s7
	s_mul_hi_u32 s37, s4, s36
	s_add_i32 s13, s37, s13
	s_mul_i32 s6, s6, s36
	s_add_i32 s13, s13, s6
	s_mul_i32 s4, s4, s36
	s_mul_hi_u32 s37, s7, s4
	s_mul_i32 s46, s7, s4
	s_mul_i32 s48, s36, s13
	s_mul_hi_u32 s4, s36, s4
	s_mul_hi_u32 s47, s36, s13
	s_add_u32 s4, s4, s48
	s_addc_u32 s36, 0, s47
	s_add_u32 s4, s4, s46
	s_mul_hi_u32 s6, s7, s13
	s_addc_u32 s4, s36, s37
	s_addc_u32 s6, s6, 0
	s_mul_i32 s13, s7, s13
	s_add_u32 s4, s4, s13
	s_addc_u32 s6, 0, s6
	v_add_co_u32_e32 v3, vcc, s4, v3
	s_cmp_lg_u64 vcc, 0
	s_addc_u32 s4, s7, s6
	v_readfirstlane_b32 s13, v3
	s_mul_i32 s7, s12, s4
	s_mul_hi_u32 s36, s12, s13
	s_mul_hi_u32 s6, s12, s4
	s_add_u32 s7, s36, s7
	s_addc_u32 s6, 0, s6
	s_mul_hi_u32 s37, s5, s13
	s_mul_i32 s13, s5, s13
	s_add_u32 s7, s7, s13
	s_mul_hi_u32 s36, s5, s4
	s_addc_u32 s6, s6, s37
	s_addc_u32 s7, s36, 0
	s_mul_i32 s4, s5, s4
	s_add_u32 s4, s6, s4
	s_addc_u32 s6, 0, s7
	s_mul_hi_u32 s7, s87, s4
	s_mul_i32 s4, s87, s4
	s_mul_i32 s6, s87, s6
	v_mov_b32_e32 v3, s4
	s_add_i32 s7, s7, s6
	v_sub_co_u32_e32 v3, vcc, s12, v3
	s_cmp_lg_u64 vcc, 0
	s_subb_u32 s4, s5, s7
	v_subrev_co_u32_e32 v4, vcc, s87, v3
	s_cmp_lg_u64 vcc, 0
	s_subb_u32 s6, s4, 0
	v_subrev_co_u32_e32 v5, vcc, s87, v4
	s_cmp_lg_u64 vcc, 0
	s_subb_u32 s7, s6, 0
	v_cmp_le_u32_e32 vcc, s87, v4
	s_cmp_eq_u32 s6, 0
	v_cndmask_b32_e64 v8, 0, -1, vcc
	s_cselect_b64 vcc, -1, 0
	v_cndmask_b32_e32 v8, -1, v8, vcc
	v_mov_b32_e32 v9, s6
	v_mov_b32_e32 v10, s7
	v_cmp_ne_u32_e32 vcc, 0, v8
	v_cndmask_b32_e32 v8, v9, v10, vcc
	v_cndmask_b32_e32 v4, v4, v5, vcc
	v_cmp_le_u32_e32 vcc, s87, v3
	s_cmp_eq_u32 s4, 0
	v_cndmask_b32_e64 v5, 0, -1, vcc
	s_cselect_b64 vcc, -1, 0
	v_cndmask_b32_e32 v5, -1, v5, vcc
	v_mov_b32_e32 v9, s4
	v_cmp_ne_u32_e32 vcc, 0, v5
	v_cndmask_b32_e32 v5, v9, v8, vcc
	v_cndmask_b32_e32 v4, v3, v4, vcc
	s_cbranch_execnz .LBB159_140
.LBB159_139:                            ;   in Loop: Header=BB159_12 Depth=1
	v_cvt_f32_u32_e32 v3, s87
	s_sub_i32 s4, 0, s87
	v_rcp_iflag_f32_e32 v3, v3
	v_mul_f32_e32 v3, 0x4f7ffffe, v3
	v_cvt_u32_f32_e32 v3, v3
	v_mul_lo_u32 v4, s4, v3
	v_mul_hi_u32 v4, v3, v4
	v_add_u32_e32 v3, v3, v4
	v_mul_hi_u32 v3, s12, v3
	v_mul_lo_u32 v3, v3, s87
	v_sub_u32_e32 v3, s12, v3
	v_subrev_u32_e32 v4, s87, v3
	v_cmp_le_u32_e32 vcc, s87, v3
	v_cndmask_b32_e32 v3, v3, v4, vcc
	v_subrev_u32_e32 v4, s87, v3
	v_cmp_le_u32_e32 vcc, s87, v3
	v_cndmask_b32_e32 v20, v3, v4, vcc
	v_pk_mov_b32 v[4:5], v[20:21], v[20:21] op_sel:[0,1]
.LBB159_140:                            ;   in Loop: Header=BB159_12 Depth=1
	v_mov_b32_e32 v3, s5
	v_sub_co_u32_e32 v32, vcc, s12, v4
	v_subb_co_u32_e32 v33, vcc, v3, v5, vcc
	v_cmp_gt_u64_e32 vcc, v[32:33], v[0:1]
	s_mov_b64 s[6:7], 0
                                        ; implicit-def: $vgpr10_vgpr11
	s_and_saveexec_b64 s[4:5], vcc
	s_cbranch_execz .LBB159_152
; %bb.141:                              ;   in Loop: Header=BB159_12 Depth=1
	s_mov_b64 s[12:13], 0
	v_mov_b32_e32 v20, v39
	v_pk_mov_b32 v[34:35], v[0:1], v[0:1] op_sel:[0,1]
                                        ; implicit-def: $sgpr6_sgpr7
	s_branch .LBB159_143
.LBB159_142:                            ;   in Loop: Header=BB159_143 Depth=2
	s_or_b64 exec, exec, s[36:37]
	s_waitcnt lgkmcnt(0)
	s_barrier
	ds_read_b128 v[8:11], v21 offset:3072
	v_mov_b32_e32 v3, s88
	v_add_co_u32_e32 v34, vcc, s87, v34
	v_addc_co_u32_e32 v35, vcc, v35, v3, vcc
	s_waitcnt lgkmcnt(0)
	v_readfirstlane_b32 s37, v9
	v_readfirstlane_b32 s36, v8
	s_cmp_lg_u64 s[36:37], 0
	s_cselect_b64 s[36:37], -1, 0
	v_cmp_ge_u64_e32 vcc, v[34:35], v[32:33]
	s_or_b64 s[46:47], vcc, s[36:37]
	s_and_b64 s[46:47], exec, s[46:47]
	s_or_b64 s[12:13], s[46:47], s[12:13]
	s_andn2_b64 s[6:7], s[6:7], exec
	s_and_b64 s[36:37], s[36:37], exec
	v_add_u32_e32 v20, s95, v20
	s_or_b64 s[6:7], s[6:7], s[36:37]
	s_barrier
	s_andn2_b64 exec, exec, s[12:13]
	s_cbranch_execz .LBB159_151
.LBB159_143:                            ;   Parent Loop BB159_12 Depth=1
                                        ; =>  This Inner Loop Header: Depth=2
	v_cmp_gt_u64_e32 vcc, s[2:3], v[34:35]
	v_pk_mov_b32 v[4:5], 0, 0
	s_and_saveexec_b64 s[36:37], vcc
	s_cbranch_execz .LBB159_145
; %bb.144:                              ;   in Loop: Header=BB159_143 Depth=2
	ds_read_b64 v[4:5], v20
.LBB159_145:                            ;   in Loop: Header=BB159_143 Depth=2
	s_or_b64 exec, exec, s[36:37]
	s_and_saveexec_b64 s[36:37], vcc
	s_cbranch_execz .LBB159_142
; %bb.146:                              ;   in Loop: Header=BB159_143 Depth=2
	s_waitcnt lgkmcnt(0)
	v_xor_b32_e32 v3, 0x80000000, v5
	v_and_b32_e32 v9, v3, v15
	v_and_b32_e32 v8, v4, v14
	v_cmp_eq_u64_e32 vcc, v[8:9], v[12:13]
	s_and_b64 exec, exec, vcc
	s_cbranch_execz .LBB159_142
; %bb.147:                              ;   in Loop: Header=BB159_143 Depth=2
	v_mov_b32_e32 v3, v21
	ds_write_b128 v21, v[2:5] offset:3072
	s_branch .LBB159_142
.LBB159_148:                            ;   in Loop: Header=BB159_12 Depth=1
                                        ; implicit-def: $vgpr4_vgpr5
	s_branch .LBB159_90
.LBB159_149:                            ;   in Loop: Header=BB159_12 Depth=1
                                        ; implicit-def: $vgpr4_vgpr5
	s_branch .LBB159_109
.LBB159_150:                            ;   in Loop: Header=BB159_12 Depth=1
	s_mov_b64 s[36:37], -1
	s_mov_b64 s[6:7], 0
                                        ; implicit-def: $sgpr46_sgpr47
                                        ; implicit-def: $vgpr10_vgpr11
	s_mov_b64 s[48:49], s[36:37]
	s_cbranch_execnz .LBB159_153
	s_branch .LBB159_166
.LBB159_151:                            ;   in Loop: Header=BB159_12 Depth=1
	s_or_b64 exec, exec, s[12:13]
	s_and_b64 s[6:7], s[6:7], exec
.LBB159_152:                            ;   in Loop: Header=BB159_12 Depth=1
	s_or_b64 exec, exec, s[4:5]
	s_mov_b64 s[46:47], -1
	s_mov_b64 s[36:37], 0
	s_mov_b64 s[48:49], s[36:37]
	s_branch .LBB159_166
.LBB159_153:                            ;   in Loop: Header=BB159_12 Depth=1
	s_mov_b32 s92, s85
	s_cmp_lg_u64 s[92:93], 0
	s_cbranch_scc0 .LBB159_195
; %bb.154:                              ;   in Loop: Header=BB159_12 Depth=1
	v_cvt_f32_u32_e32 v3, s87
	s_sub_u32 s2, 0, s87
	s_subb_u32 s3, 0, 0
	v_mac_f32_e32 v3, 0, v43
	v_rcp_f32_e32 v3, v3
	v_mul_f32_e32 v3, 0x5f7ffffc, v3
	v_mul_f32_e32 v4, 0x2f800000, v3
	v_trunc_f32_e32 v4, v4
	v_mac_f32_e32 v3, 0xcf800000, v4
	v_cvt_u32_f32_e32 v4, v4
	v_cvt_u32_f32_e32 v3, v3
	v_readfirstlane_b32 s4, v4
	v_readfirstlane_b32 s5, v3
	s_mul_i32 s6, s2, s4
	s_mul_hi_u32 s12, s2, s5
	s_mul_i32 s7, s3, s5
	s_add_i32 s6, s12, s6
	s_mul_i32 s13, s2, s5
	s_add_i32 s6, s6, s7
	s_mul_hi_u32 s12, s5, s13
	s_mul_hi_u32 s7, s5, s6
	s_mul_i32 s5, s5, s6
	s_add_u32 s5, s12, s5
	s_addc_u32 s7, 0, s7
	s_mul_hi_u32 s36, s4, s13
	s_mul_i32 s13, s4, s13
	s_add_u32 s5, s5, s13
	s_mul_hi_u32 s12, s4, s6
	s_addc_u32 s5, s7, s36
	s_addc_u32 s7, s12, 0
	s_mul_i32 s6, s4, s6
	s_add_u32 s5, s5, s6
	s_addc_u32 s6, 0, s7
	v_add_co_u32_e32 v3, vcc, s5, v3
	s_cmp_lg_u64 vcc, 0
	s_addc_u32 s4, s4, s6
	v_readfirstlane_b32 s6, v3
	s_mul_i32 s5, s2, s4
	s_mul_hi_u32 s7, s2, s6
	s_add_i32 s5, s7, s5
	s_mul_i32 s3, s3, s6
	s_add_i32 s5, s5, s3
	s_mul_i32 s2, s2, s6
	s_mul_hi_u32 s7, s4, s2
	s_mul_i32 s12, s4, s2
	s_mul_i32 s36, s6, s5
	s_mul_hi_u32 s2, s6, s2
	s_mul_hi_u32 s13, s6, s5
	s_add_u32 s2, s2, s36
	s_addc_u32 s6, 0, s13
	s_add_u32 s2, s2, s12
	s_mul_hi_u32 s3, s4, s5
	s_addc_u32 s2, s6, s7
	s_addc_u32 s3, s3, 0
	s_mul_i32 s5, s4, s5
	s_add_u32 s2, s2, s5
	s_addc_u32 s3, 0, s3
	v_add_co_u32_e32 v3, vcc, s2, v3
	s_cmp_lg_u64 vcc, 0
	s_addc_u32 s2, s4, s3
	v_readlane_b32 s12, v54, 35
	v_readfirstlane_b32 s5, v3
	s_mul_i32 s4, s12, s2
	s_mul_hi_u32 s6, s12, s5
	s_mul_hi_u32 s3, s12, s2
	s_add_u32 s4, s6, s4
	s_addc_u32 s3, 0, s3
	s_mul_hi_u32 s7, s93, s5
	s_mul_i32 s5, s93, s5
	s_add_u32 s4, s4, s5
	s_mul_hi_u32 s6, s93, s2
	s_addc_u32 s3, s3, s7
	s_addc_u32 s4, s6, 0
	s_mul_i32 s2, s93, s2
	s_add_u32 s2, s3, s2
	s_addc_u32 s3, 0, s4
	s_mul_hi_u32 s4, s87, s2
	s_mul_i32 s2, s87, s2
	s_mul_i32 s3, s87, s3
	v_mov_b32_e32 v3, s2
	s_add_i32 s4, s4, s3
	v_sub_co_u32_e32 v3, vcc, s12, v3
	s_cmp_lg_u64 vcc, 0
	s_subb_u32 s2, s93, s4
	v_subrev_co_u32_e32 v4, vcc, s87, v3
	s_cmp_lg_u64 vcc, 0
	s_subb_u32 s3, s2, 0
	v_subrev_co_u32_e32 v5, vcc, s87, v4
	s_cmp_lg_u64 vcc, 0
	s_subb_u32 s4, s3, 0
	v_cmp_le_u32_e32 vcc, s87, v4
	s_cmp_eq_u32 s3, 0
	v_cndmask_b32_e64 v8, 0, -1, vcc
	s_cselect_b64 vcc, -1, 0
	v_cndmask_b32_e32 v8, -1, v8, vcc
	v_mov_b32_e32 v9, s3
	v_mov_b32_e32 v10, s4
	v_cmp_ne_u32_e32 vcc, 0, v8
	v_cndmask_b32_e32 v8, v9, v10, vcc
	v_cndmask_b32_e32 v4, v4, v5, vcc
	v_cmp_le_u32_e32 vcc, s87, v3
	s_cmp_eq_u32 s2, 0
	v_cndmask_b32_e64 v5, 0, -1, vcc
	s_cselect_b64 vcc, -1, 0
	v_cndmask_b32_e32 v5, -1, v5, vcc
	v_mov_b32_e32 v9, s2
	v_cmp_ne_u32_e32 vcc, 0, v5
	v_cndmask_b32_e32 v5, v9, v8, vcc
	v_cndmask_b32_e32 v4, v3, v4, vcc
	s_cbranch_execnz .LBB159_156
.LBB159_155:                            ;   in Loop: Header=BB159_12 Depth=1
	v_cvt_f32_u32_e32 v3, s87
	s_sub_i32 s2, 0, s87
	v_rcp_iflag_f32_e32 v3, v3
	v_mul_f32_e32 v3, 0x4f7ffffe, v3
	v_cvt_u32_f32_e32 v3, v3
	v_mul_lo_u32 v4, s2, v3
	v_mul_hi_u32 v4, v3, v4
	v_add_u32_e32 v3, v3, v4
	v_readlane_b32 s2, v54, 35
	v_mul_hi_u32 v3, s2, v3
	v_mul_lo_u32 v3, v3, s87
	v_sub_u32_e32 v3, s2, v3
	v_subrev_u32_e32 v4, s87, v3
	v_cmp_le_u32_e32 vcc, s87, v3
	v_cndmask_b32_e32 v3, v3, v4, vcc
	v_subrev_u32_e32 v4, s87, v3
	v_cmp_le_u32_e32 vcc, s87, v3
	v_cndmask_b32_e32 v20, v3, v4, vcc
	v_pk_mov_b32 v[4:5], v[20:21], v[20:21] op_sel:[0,1]
.LBB159_156:                            ;   in Loop: Header=BB159_12 Depth=1
	v_readlane_b32 s2, v54, 35
	v_mov_b32_e32 v3, s93
	v_sub_co_u32_e32 v32, vcc, s2, v4
	v_subb_co_u32_e32 v33, vcc, v3, v5, vcc
	v_cmp_gt_u64_e32 vcc, v[32:33], v[0:1]
	s_mov_b64 s[6:7], 0
                                        ; implicit-def: $vgpr10_vgpr11
	s_and_saveexec_b64 s[2:3], vcc
	s_cbranch_execz .LBB159_165
; %bb.157:                              ;   in Loop: Header=BB159_12 Depth=1
	s_mov_b64 s[12:13], 0
	v_pk_mov_b32 v[34:35], v[0:1], v[0:1] op_sel:[0,1]
                                        ; implicit-def: $sgpr4_sgpr5
	s_branch .LBB159_159
.LBB159_158:                            ;   in Loop: Header=BB159_159 Depth=2
	s_or_b64 exec, exec, s[6:7]
	s_waitcnt lgkmcnt(0)
	s_barrier
	ds_read_b128 v[8:11], v21 offset:3072
	v_mov_b32_e32 v3, s88
	v_add_co_u32_e32 v34, vcc, s87, v34
	v_addc_co_u32_e32 v35, vcc, v35, v3, vcc
	s_waitcnt lgkmcnt(0)
	v_readfirstlane_b32 s7, v9
	v_readfirstlane_b32 s6, v8
	s_cmp_lg_u64 s[6:7], 0
	s_cselect_b64 s[6:7], -1, 0
	v_cmp_ge_u64_e32 vcc, v[34:35], v[32:33]
	s_or_b64 s[36:37], vcc, s[6:7]
	s_and_b64 s[36:37], exec, s[36:37]
	s_or_b64 s[12:13], s[36:37], s[12:13]
	s_andn2_b64 s[4:5], s[4:5], exec
	s_and_b64 s[6:7], s[6:7], exec
	s_or_b64 s[4:5], s[4:5], s[6:7]
	s_barrier
	s_andn2_b64 exec, exec, s[12:13]
	s_cbranch_execz .LBB159_164
.LBB159_159:                            ;   Parent Loop BB159_12 Depth=1
                                        ; =>  This Inner Loop Header: Depth=2
	v_cmp_gt_u64_e32 vcc, s[60:61], v[34:35]
	s_waitcnt vmcnt(0)
	v_pk_mov_b32 v[4:5], 0, 0
	s_and_saveexec_b64 s[36:37], vcc
	s_cbranch_execz .LBB159_161
; %bb.160:                              ;   in Loop: Header=BB159_159 Depth=2
	v_mul_lo_u32 v3, v35, s58
	v_mul_lo_u32 v8, v34, s59
	v_mad_u64_u32 v[4:5], s[6:7], v34, s58, 0
	v_add3_u32 v5, v5, v8, v3
	v_lshlrev_b64 v[4:5], 3, v[4:5]
	v_mov_b32_e32 v3, s86
	v_add_co_u32_e64 v4, s[6:7], s33, v4
	v_addc_co_u32_e64 v5, s[6:7], v3, v5, s[6:7]
	global_load_dwordx2 v[4:5], v[4:5], off
.LBB159_161:                            ;   in Loop: Header=BB159_159 Depth=2
	s_or_b64 exec, exec, s[36:37]
	s_and_saveexec_b64 s[6:7], vcc
	s_cbranch_execz .LBB159_158
; %bb.162:                              ;   in Loop: Header=BB159_159 Depth=2
	s_waitcnt vmcnt(0)
	v_xor_b32_e32 v3, 0x80000000, v5
	v_and_b32_e32 v9, v3, v15
	v_and_b32_e32 v8, v4, v14
	v_cmp_eq_u64_e32 vcc, v[8:9], v[12:13]
	s_and_b64 exec, exec, vcc
	s_cbranch_execz .LBB159_158
; %bb.163:                              ;   in Loop: Header=BB159_159 Depth=2
	v_mov_b32_e32 v3, v21
	ds_write_b128 v21, v[2:5] offset:3072
	s_branch .LBB159_158
.LBB159_164:                            ;   in Loop: Header=BB159_12 Depth=1
	s_or_b64 exec, exec, s[12:13]
	s_and_b64 s[6:7], s[4:5], exec
.LBB159_165:                            ;   in Loop: Header=BB159_12 Depth=1
	s_or_b64 exec, exec, s[2:3]
	s_mov_b64 s[48:49], -1
	s_mov_b64 s[36:37], 0
	s_mov_b64 s[46:47], 0
.LBB159_166:                            ;   in Loop: Header=BB159_12 Depth=1
	s_orn2_b64 s[2:3], s[6:7], exec
.LBB159_167:                            ;   in Loop: Header=BB159_12 Depth=1
	s_or_b64 exec, exec, s[10:11]
	s_mov_b64 s[6:7], 0
                                        ; implicit-def: $vgpr3
	s_and_saveexec_b64 s[50:51], s[2:3]
	s_cbranch_execz .LBB159_280
; %bb.168:                              ;   in Loop: Header=BB159_12 Depth=1
	v_mov_b32_e32 v32, 1
	s_xor_b64 s[4:5], s[8:9], -1
	s_mov_b64 s[10:11], 0
	v_mov_b32_e32 v33, 0
	v_mov_b32_e32 v3, 1
	s_and_saveexec_b64 s[2:3], s[4:5]
	s_cbranch_execz .LBB159_178
; %bb.169:                              ;   in Loop: Header=BB159_12 Depth=1
	v_cmp_ge_u64_e32 vcc, s[22:23], v[30:31]
                                        ; implicit-def: $sgpr8
                                        ; implicit-def: $sgpr4_sgpr5
	s_and_saveexec_b64 s[6:7], vcc
	s_xor_b64 s[6:7], exec, s[6:7]
	s_cbranch_execz .LBB159_175
; %bb.170:                              ;   in Loop: Header=BB159_12 Depth=1
	s_waitcnt vmcnt(0)
	ds_read_b64 v[4:5], v21 offset:5120
	s_waitcnt lgkmcnt(0)
	v_cmp_ne_u64_e32 vcc, 0, v[4:5]
	s_cbranch_vccnz .LBB159_174
; %bb.171:                              ;   in Loop: Header=BB159_12 Depth=1
	s_mov_b64 s[4:5], exec
	v_readlane_b32 s8, v54, 12
	v_readlane_b32 s9, v54, 13
	s_and_b64 s[8:9], s[4:5], s[8:9]
	s_mov_b64 exec, s[8:9]
	s_cbranch_execz .LBB159_173
; %bb.172:                              ;   in Loop: Header=BB159_12 Depth=1
	v_pk_mov_b32 v[4:5], s[22:23], s[22:23] op_sel:[0,1]
	ds_write_b64 v21, v[4:5] offset:5128
.LBB159_173:                            ;   in Loop: Header=BB159_12 Depth=1
	s_or_b64 exec, exec, s[4:5]
	s_waitcnt lgkmcnt(0)
	s_barrier
.LBB159_174:                            ;   in Loop: Header=BB159_12 Depth=1
	s_lshl_b64 s[4:5], 1, s84
	v_and_b32_e32 v3, s21, v13
	v_and_b32_e32 v4, s20, v12
	v_or_b32_e32 v13, s5, v3
	v_or_b32_e32 v12, s4, v4
	;; [unrolled: 1-line block ×4, first 2 shown]
	s_mov_b64 s[4:5], 0
	s_mov_b32 s8, 8
.LBB159_175:                            ;   in Loop: Header=BB159_12 Depth=1
	s_or_saveexec_b64 s[6:7], s[6:7]
	v_mov_b32_e32 v3, s8
	s_xor_b64 exec, exec, s[6:7]
; %bb.176:                              ;   in Loop: Header=BB159_12 Depth=1
	v_mov_b32_e32 v3, s23
	v_subrev_co_u32_e32 v30, vcc, s22, v30
	v_subb_co_u32_e32 v31, vcc, v31, v3, vcc
	v_mov_b32_e32 v3, 0
	s_or_b64 s[4:5], s[4:5], exec
; %bb.177:                              ;   in Loop: Header=BB159_12 Depth=1
	s_or_b64 exec, exec, s[6:7]
	s_and_b64 s[10:11], s[4:5], exec
	v_pk_mov_b32 v[32:33], v[30:31], v[30:31] op_sel:[0,1]
.LBB159_178:                            ;   in Loop: Header=BB159_12 Depth=1
	s_or_b64 exec, exec, s[2:3]
	s_mov_b64 s[2:3], -1
                                        ; implicit-def: $sgpr4_sgpr5
                                        ; implicit-def: $sgpr6_sgpr7
                                        ; implicit-def: $sgpr8_sgpr9
	s_and_saveexec_b64 s[52:53], s[10:11]
	s_cbranch_execz .LBB159_279
; %bb.179:                              ;   in Loop: Header=BB159_12 Depth=1
	s_cmp_eq_u64 s[26:27], 1
	s_cselect_b64 s[2:3], -1, 0
	v_cmp_eq_u64_e32 vcc, 1, v[32:33]
	s_and_b64 s[90:91], s[2:3], vcc
	s_mov_b64 s[4:5], -1
                                        ; implicit-def: $sgpr8_sgpr9
                                        ; implicit-def: $sgpr10_sgpr11
                                        ; implicit-def: $sgpr2_sgpr3
                                        ; kill: killed $sgpr2_sgpr3
	s_and_saveexec_b64 s[56:57], s[90:91]
	s_cbranch_execz .LBB159_213
; %bb.180:                              ;   in Loop: Header=BB159_12 Depth=1
	s_waitcnt vmcnt(0)
	ds_read_b64 v[4:5], v21 offset:5120
	s_waitcnt lgkmcnt(0)
	s_barrier
	v_readfirstlane_b32 s2, v4
	v_readfirstlane_b32 s3, v5
	s_mov_b64 s[4:5], exec
	v_readlane_b32 s6, v54, 30
	v_readlane_b32 s7, v54, 31
	s_and_b64 s[6:7], s[4:5], s[6:7]
	s_mov_b64 exec, s[6:7]
	s_cbranch_execz .LBB159_182
; %bb.181:                              ;   in Loop: Header=BB159_12 Depth=1
	v_mov_b32_e32 v20, v21
	ds_write_b64 v40, v[20:21]
.LBB159_182:                            ;   in Loop: Header=BB159_12 Depth=1
	s_or_b64 exec, exec, s[4:5]
	s_lshl_b64 s[4:5], 2, s84
	v_and_b32_e32 v3, s21, v13
	v_and_b32_e32 v4, s20, v12
	v_or_b32_e32 v13, s5, v3
	v_or_b32_e32 v12, s4, v4
	;; [unrolled: 1-line block ×4, first 2 shown]
	s_cmp_eq_u64 s[2:3], 0
	s_waitcnt lgkmcnt(0)
	s_barrier
	s_cbranch_scc1 .LBB159_196
; %bb.183:                              ;   in Loop: Header=BB159_12 Depth=1
	v_readlane_b32 s4, v54, 34
	s_add_u32 s8, s4, s2
	v_readlane_b32 s4, v54, 36
	s_addc_u32 s5, s4, s3
	s_mov_b32 s4, s85
	s_cmp_lg_u64 s[4:5], 0
	s_cbranch_scc0 .LBB159_231
; %bb.184:                              ;   in Loop: Header=BB159_12 Depth=1
	v_cvt_f32_u32_e32 v3, s87
	s_sub_u32 s4, 0, s87
	s_subb_u32 s6, 0, 0
	v_mac_f32_e32 v3, 0, v43
	v_rcp_f32_e32 v3, v3
	v_mul_f32_e32 v3, 0x5f7ffffc, v3
	v_mul_f32_e32 v4, 0x2f800000, v3
	v_trunc_f32_e32 v4, v4
	v_mac_f32_e32 v3, 0xcf800000, v4
	v_cvt_u32_f32_e32 v4, v4
	v_cvt_u32_f32_e32 v3, v3
	v_readfirstlane_b32 s7, v4
	v_readfirstlane_b32 s9, v3
	s_mul_i32 s10, s4, s7
	s_mul_hi_u32 s12, s4, s9
	s_mul_i32 s11, s6, s9
	s_add_i32 s10, s12, s10
	s_mul_i32 s13, s4, s9
	s_add_i32 s10, s10, s11
	s_mul_hi_u32 s12, s9, s13
	s_mul_hi_u32 s11, s9, s10
	s_mul_i32 s9, s9, s10
	s_add_u32 s9, s12, s9
	s_addc_u32 s11, 0, s11
	s_mul_hi_u32 s54, s7, s13
	s_mul_i32 s13, s7, s13
	s_add_u32 s9, s9, s13
	s_mul_hi_u32 s12, s7, s10
	s_addc_u32 s9, s11, s54
	s_addc_u32 s11, s12, 0
	s_mul_i32 s10, s7, s10
	s_add_u32 s9, s9, s10
	s_addc_u32 s10, 0, s11
	v_add_co_u32_e32 v3, vcc, s9, v3
	s_cmp_lg_u64 vcc, 0
	s_addc_u32 s7, s7, s10
	v_readfirstlane_b32 s10, v3
	s_mul_i32 s9, s4, s7
	s_mul_hi_u32 s11, s4, s10
	s_add_i32 s9, s11, s9
	s_mul_i32 s6, s6, s10
	s_add_i32 s9, s9, s6
	s_mul_i32 s4, s4, s10
	s_mul_hi_u32 s11, s7, s4
	s_mul_i32 s12, s7, s4
	s_mul_i32 s54, s10, s9
	s_mul_hi_u32 s4, s10, s4
	s_mul_hi_u32 s13, s10, s9
	s_add_u32 s4, s4, s54
	s_addc_u32 s10, 0, s13
	s_add_u32 s4, s4, s12
	s_mul_hi_u32 s6, s7, s9
	s_addc_u32 s4, s10, s11
	s_addc_u32 s6, s6, 0
	s_mul_i32 s9, s7, s9
	s_add_u32 s4, s4, s9
	s_addc_u32 s6, 0, s6
	v_add_co_u32_e32 v3, vcc, s4, v3
	s_cmp_lg_u64 vcc, 0
	s_addc_u32 s4, s7, s6
	v_readfirstlane_b32 s9, v3
	s_mul_i32 s7, s8, s4
	s_mul_hi_u32 s10, s8, s9
	s_mul_hi_u32 s6, s8, s4
	s_add_u32 s7, s10, s7
	s_addc_u32 s6, 0, s6
	s_mul_hi_u32 s11, s5, s9
	s_mul_i32 s9, s5, s9
	s_add_u32 s7, s7, s9
	s_mul_hi_u32 s10, s5, s4
	s_addc_u32 s6, s6, s11
	s_addc_u32 s7, s10, 0
	s_mul_i32 s4, s5, s4
	s_add_u32 s4, s6, s4
	s_addc_u32 s6, 0, s7
	s_mul_hi_u32 s7, s87, s4
	s_mul_i32 s4, s87, s4
	s_mul_i32 s6, s87, s6
	v_mov_b32_e32 v3, s4
	s_add_i32 s7, s7, s6
	v_sub_co_u32_e32 v3, vcc, s8, v3
	s_cmp_lg_u64 vcc, 0
	s_subb_u32 s4, s5, s7
	v_subrev_co_u32_e32 v4, vcc, s87, v3
	s_cmp_lg_u64 vcc, 0
	s_subb_u32 s6, s4, 0
	v_subrev_co_u32_e32 v5, vcc, s87, v4
	s_cmp_lg_u64 vcc, 0
	s_subb_u32 s7, s6, 0
	v_cmp_le_u32_e32 vcc, s87, v4
	s_cmp_eq_u32 s6, 0
	v_cndmask_b32_e64 v8, 0, -1, vcc
	s_cselect_b64 vcc, -1, 0
	v_cndmask_b32_e32 v8, -1, v8, vcc
	v_mov_b32_e32 v9, s6
	v_mov_b32_e32 v10, s7
	v_cmp_ne_u32_e32 vcc, 0, v8
	v_cndmask_b32_e32 v8, v9, v10, vcc
	v_cndmask_b32_e32 v4, v4, v5, vcc
	v_cmp_le_u32_e32 vcc, s87, v3
	s_cmp_eq_u32 s4, 0
	v_cndmask_b32_e64 v5, 0, -1, vcc
	s_cselect_b64 vcc, -1, 0
	v_cndmask_b32_e32 v5, -1, v5, vcc
	v_mov_b32_e32 v9, s4
	v_cmp_ne_u32_e32 vcc, 0, v5
	v_cndmask_b32_e32 v5, v9, v8, vcc
	v_cndmask_b32_e32 v4, v3, v4, vcc
	s_cbranch_execnz .LBB159_186
.LBB159_185:                            ;   in Loop: Header=BB159_12 Depth=1
	v_cvt_f32_u32_e32 v3, s87
	s_sub_i32 s4, 0, s87
	v_rcp_iflag_f32_e32 v3, v3
	v_mul_f32_e32 v3, 0x4f7ffffe, v3
	v_cvt_u32_f32_e32 v3, v3
	v_mul_lo_u32 v4, s4, v3
	v_mul_hi_u32 v4, v3, v4
	v_add_u32_e32 v3, v3, v4
	v_mul_hi_u32 v3, s8, v3
	v_mul_lo_u32 v3, v3, s87
	v_sub_u32_e32 v3, s8, v3
	v_subrev_u32_e32 v4, s87, v3
	v_cmp_le_u32_e32 vcc, s87, v3
	v_cndmask_b32_e32 v3, v3, v4, vcc
	v_subrev_u32_e32 v4, s87, v3
	v_cmp_le_u32_e32 vcc, s87, v3
	v_cndmask_b32_e32 v20, v3, v4, vcc
	v_pk_mov_b32 v[4:5], v[20:21], v[20:21] op_sel:[0,1]
.LBB159_186:                            ;   in Loop: Header=BB159_12 Depth=1
	v_mov_b32_e32 v3, s5
	v_sub_co_u32_e32 v30, vcc, s8, v4
	v_subb_co_u32_e32 v31, vcc, v3, v5, vcc
	v_cmp_gt_u64_e32 vcc, v[30:31], v[0:1]
	s_mov_b64 s[6:7], 0
                                        ; implicit-def: $vgpr10_vgpr11
	s_and_saveexec_b64 s[4:5], vcc
	s_cbranch_execz .LBB159_198
; %bb.187:                              ;   in Loop: Header=BB159_12 Depth=1
	s_mov_b64 s[8:9], 0
	v_mov_b32_e32 v20, v39
	v_pk_mov_b32 v[34:35], v[0:1], v[0:1] op_sel:[0,1]
                                        ; implicit-def: $sgpr6_sgpr7
	s_branch .LBB159_189
.LBB159_188:                            ;   in Loop: Header=BB159_189 Depth=2
	s_or_b64 exec, exec, s[10:11]
	s_waitcnt lgkmcnt(0)
	s_barrier
	ds_read_b128 v[8:11], v21 offset:3072
	v_mov_b32_e32 v3, s88
	v_add_co_u32_e32 v34, vcc, s87, v34
	v_addc_co_u32_e32 v35, vcc, v35, v3, vcc
	s_waitcnt lgkmcnt(0)
	v_readfirstlane_b32 s11, v9
	v_readfirstlane_b32 s10, v8
	s_cmp_lg_u64 s[10:11], 0
	s_cselect_b64 s[10:11], -1, 0
	v_cmp_ge_u64_e32 vcc, v[34:35], v[30:31]
	s_or_b64 s[12:13], vcc, s[10:11]
	s_and_b64 s[12:13], exec, s[12:13]
	s_or_b64 s[8:9], s[12:13], s[8:9]
	s_andn2_b64 s[6:7], s[6:7], exec
	s_and_b64 s[10:11], s[10:11], exec
	v_add_u32_e32 v20, s95, v20
	s_or_b64 s[6:7], s[6:7], s[10:11]
	s_barrier
	s_andn2_b64 exec, exec, s[8:9]
	s_cbranch_execz .LBB159_197
.LBB159_189:                            ;   Parent Loop BB159_12 Depth=1
                                        ; =>  This Inner Loop Header: Depth=2
	v_cmp_gt_u64_e32 vcc, s[2:3], v[34:35]
	v_pk_mov_b32 v[4:5], 0, 0
	s_and_saveexec_b64 s[10:11], vcc
	s_cbranch_execz .LBB159_191
; %bb.190:                              ;   in Loop: Header=BB159_189 Depth=2
	ds_read_b64 v[4:5], v20
.LBB159_191:                            ;   in Loop: Header=BB159_189 Depth=2
	s_or_b64 exec, exec, s[10:11]
	s_and_saveexec_b64 s[10:11], vcc
	s_cbranch_execz .LBB159_188
; %bb.192:                              ;   in Loop: Header=BB159_189 Depth=2
	s_waitcnt lgkmcnt(0)
	v_xor_b32_e32 v3, 0x80000000, v5
	v_and_b32_e32 v9, v3, v15
	v_and_b32_e32 v8, v4, v14
	v_cmp_eq_u64_e32 vcc, v[8:9], v[12:13]
	s_and_b64 exec, exec, vcc
	s_cbranch_execz .LBB159_188
; %bb.193:                              ;   in Loop: Header=BB159_189 Depth=2
	v_mov_b32_e32 v3, v21
	ds_write_b128 v21, v[2:5] offset:3072
	s_branch .LBB159_188
.LBB159_194:                            ;   in Loop: Header=BB159_12 Depth=1
                                        ; implicit-def: $vgpr4_vgpr5
	s_branch .LBB159_139
.LBB159_195:                            ;   in Loop: Header=BB159_12 Depth=1
                                        ; implicit-def: $vgpr4_vgpr5
	s_branch .LBB159_155
.LBB159_196:                            ;   in Loop: Header=BB159_12 Depth=1
	s_mov_b64 s[8:9], -1
	s_mov_b64 s[6:7], 0
                                        ; implicit-def: $sgpr2_sgpr3
                                        ; implicit-def: $vgpr10_vgpr11
	s_mov_b64 s[10:11], s[8:9]
	s_cbranch_execnz .LBB159_199
	s_branch .LBB159_212
.LBB159_197:                            ;   in Loop: Header=BB159_12 Depth=1
	s_or_b64 exec, exec, s[8:9]
	s_and_b64 s[6:7], s[6:7], exec
.LBB159_198:                            ;   in Loop: Header=BB159_12 Depth=1
	s_or_b64 exec, exec, s[4:5]
	s_mov_b64 s[2:3], -1
	s_mov_b64 s[8:9], 0
	s_mov_b64 s[10:11], s[8:9]
	s_branch .LBB159_212
.LBB159_199:                            ;   in Loop: Header=BB159_12 Depth=1
	s_mov_b32 s92, s85
	s_cmp_lg_u64 s[92:93], 0
	s_cbranch_scc0 .LBB159_232
; %bb.200:                              ;   in Loop: Header=BB159_12 Depth=1
	v_cvt_f32_u32_e32 v3, s87
	s_sub_u32 s2, 0, s87
	s_subb_u32 s3, 0, 0
	v_mac_f32_e32 v3, 0, v43
	v_rcp_f32_e32 v3, v3
	v_mul_f32_e32 v3, 0x5f7ffffc, v3
	v_mul_f32_e32 v4, 0x2f800000, v3
	v_trunc_f32_e32 v4, v4
	v_mac_f32_e32 v3, 0xcf800000, v4
	v_cvt_u32_f32_e32 v4, v4
	v_cvt_u32_f32_e32 v3, v3
	v_readfirstlane_b32 s4, v4
	v_readfirstlane_b32 s5, v3
	s_mul_i32 s6, s2, s4
	s_mul_hi_u32 s8, s2, s5
	s_mul_i32 s7, s3, s5
	s_add_i32 s6, s8, s6
	s_mul_i32 s9, s2, s5
	s_add_i32 s6, s6, s7
	s_mul_hi_u32 s8, s5, s9
	s_mul_hi_u32 s7, s5, s6
	s_mul_i32 s5, s5, s6
	s_add_u32 s5, s8, s5
	s_addc_u32 s7, 0, s7
	s_mul_hi_u32 s10, s4, s9
	s_mul_i32 s9, s4, s9
	s_add_u32 s5, s5, s9
	s_mul_hi_u32 s8, s4, s6
	s_addc_u32 s5, s7, s10
	s_addc_u32 s7, s8, 0
	s_mul_i32 s6, s4, s6
	s_add_u32 s5, s5, s6
	s_addc_u32 s6, 0, s7
	v_add_co_u32_e32 v3, vcc, s5, v3
	s_cmp_lg_u64 vcc, 0
	s_addc_u32 s4, s4, s6
	v_readfirstlane_b32 s6, v3
	s_mul_i32 s5, s2, s4
	s_mul_hi_u32 s7, s2, s6
	s_add_i32 s5, s7, s5
	s_mul_i32 s3, s3, s6
	s_add_i32 s5, s5, s3
	s_mul_i32 s2, s2, s6
	s_mul_hi_u32 s7, s4, s2
	s_mul_i32 s8, s4, s2
	s_mul_i32 s10, s6, s5
	s_mul_hi_u32 s2, s6, s2
	s_mul_hi_u32 s9, s6, s5
	s_add_u32 s2, s2, s10
	s_addc_u32 s6, 0, s9
	s_add_u32 s2, s2, s8
	s_mul_hi_u32 s3, s4, s5
	s_addc_u32 s2, s6, s7
	s_addc_u32 s3, s3, 0
	s_mul_i32 s5, s4, s5
	s_add_u32 s2, s2, s5
	s_addc_u32 s3, 0, s3
	v_add_co_u32_e32 v3, vcc, s2, v3
	s_cmp_lg_u64 vcc, 0
	s_addc_u32 s2, s4, s3
	v_readlane_b32 s8, v54, 35
	v_readfirstlane_b32 s5, v3
	s_mul_i32 s4, s8, s2
	s_mul_hi_u32 s6, s8, s5
	s_mul_hi_u32 s3, s8, s2
	s_add_u32 s4, s6, s4
	s_addc_u32 s3, 0, s3
	s_mul_hi_u32 s7, s93, s5
	s_mul_i32 s5, s93, s5
	s_add_u32 s4, s4, s5
	s_mul_hi_u32 s6, s93, s2
	s_addc_u32 s3, s3, s7
	s_addc_u32 s4, s6, 0
	s_mul_i32 s2, s93, s2
	s_add_u32 s2, s3, s2
	s_addc_u32 s3, 0, s4
	s_mul_hi_u32 s4, s87, s2
	s_mul_i32 s2, s87, s2
	s_mul_i32 s3, s87, s3
	v_mov_b32_e32 v3, s2
	s_add_i32 s4, s4, s3
	v_sub_co_u32_e32 v3, vcc, s8, v3
	s_cmp_lg_u64 vcc, 0
	s_subb_u32 s2, s93, s4
	v_subrev_co_u32_e32 v4, vcc, s87, v3
	s_cmp_lg_u64 vcc, 0
	s_subb_u32 s3, s2, 0
	v_subrev_co_u32_e32 v5, vcc, s87, v4
	s_cmp_lg_u64 vcc, 0
	s_subb_u32 s4, s3, 0
	v_cmp_le_u32_e32 vcc, s87, v4
	s_cmp_eq_u32 s3, 0
	v_cndmask_b32_e64 v8, 0, -1, vcc
	s_cselect_b64 vcc, -1, 0
	v_cndmask_b32_e32 v8, -1, v8, vcc
	v_mov_b32_e32 v9, s3
	v_mov_b32_e32 v10, s4
	v_cmp_ne_u32_e32 vcc, 0, v8
	v_cndmask_b32_e32 v8, v9, v10, vcc
	v_cndmask_b32_e32 v4, v4, v5, vcc
	v_cmp_le_u32_e32 vcc, s87, v3
	s_cmp_eq_u32 s2, 0
	v_cndmask_b32_e64 v5, 0, -1, vcc
	s_cselect_b64 vcc, -1, 0
	v_cndmask_b32_e32 v5, -1, v5, vcc
	v_mov_b32_e32 v9, s2
	v_cmp_ne_u32_e32 vcc, 0, v5
	v_cndmask_b32_e32 v5, v9, v8, vcc
	v_cndmask_b32_e32 v4, v3, v4, vcc
	s_cbranch_execnz .LBB159_202
.LBB159_201:                            ;   in Loop: Header=BB159_12 Depth=1
	v_cvt_f32_u32_e32 v3, s87
	s_sub_i32 s2, 0, s87
	v_rcp_iflag_f32_e32 v3, v3
	v_mul_f32_e32 v3, 0x4f7ffffe, v3
	v_cvt_u32_f32_e32 v3, v3
	v_mul_lo_u32 v4, s2, v3
	v_mul_hi_u32 v4, v3, v4
	v_add_u32_e32 v3, v3, v4
	v_readlane_b32 s2, v54, 35
	v_mul_hi_u32 v3, s2, v3
	v_mul_lo_u32 v3, v3, s87
	v_sub_u32_e32 v3, s2, v3
	v_subrev_u32_e32 v4, s87, v3
	v_cmp_le_u32_e32 vcc, s87, v3
	v_cndmask_b32_e32 v3, v3, v4, vcc
	v_subrev_u32_e32 v4, s87, v3
	v_cmp_le_u32_e32 vcc, s87, v3
	v_cndmask_b32_e32 v20, v3, v4, vcc
	v_pk_mov_b32 v[4:5], v[20:21], v[20:21] op_sel:[0,1]
.LBB159_202:                            ;   in Loop: Header=BB159_12 Depth=1
	v_readlane_b32 s2, v54, 35
	v_mov_b32_e32 v3, s93
	v_sub_co_u32_e32 v30, vcc, s2, v4
	v_subb_co_u32_e32 v31, vcc, v3, v5, vcc
	v_cmp_gt_u64_e32 vcc, v[30:31], v[0:1]
	s_mov_b64 s[6:7], 0
                                        ; implicit-def: $vgpr10_vgpr11
	s_and_saveexec_b64 s[2:3], vcc
	s_cbranch_execz .LBB159_211
; %bb.203:                              ;   in Loop: Header=BB159_12 Depth=1
	s_mov_b64 s[8:9], 0
	v_pk_mov_b32 v[34:35], v[0:1], v[0:1] op_sel:[0,1]
                                        ; implicit-def: $sgpr4_sgpr5
	s_branch .LBB159_205
.LBB159_204:                            ;   in Loop: Header=BB159_205 Depth=2
	s_or_b64 exec, exec, s[6:7]
	s_waitcnt lgkmcnt(0)
	s_barrier
	ds_read_b128 v[8:11], v21 offset:3072
	v_mov_b32_e32 v3, s88
	v_add_co_u32_e32 v34, vcc, s87, v34
	v_addc_co_u32_e32 v35, vcc, v35, v3, vcc
	s_waitcnt lgkmcnt(0)
	v_readfirstlane_b32 s7, v9
	v_readfirstlane_b32 s6, v8
	s_cmp_lg_u64 s[6:7], 0
	s_cselect_b64 s[6:7], -1, 0
	v_cmp_ge_u64_e32 vcc, v[34:35], v[30:31]
	s_or_b64 s[10:11], vcc, s[6:7]
	s_and_b64 s[10:11], exec, s[10:11]
	s_or_b64 s[8:9], s[10:11], s[8:9]
	s_andn2_b64 s[4:5], s[4:5], exec
	s_and_b64 s[6:7], s[6:7], exec
	s_or_b64 s[4:5], s[4:5], s[6:7]
	s_barrier
	s_andn2_b64 exec, exec, s[8:9]
	s_cbranch_execz .LBB159_210
.LBB159_205:                            ;   Parent Loop BB159_12 Depth=1
                                        ; =>  This Inner Loop Header: Depth=2
	v_cmp_gt_u64_e32 vcc, s[60:61], v[34:35]
	s_waitcnt vmcnt(0)
	v_pk_mov_b32 v[4:5], 0, 0
	s_and_saveexec_b64 s[10:11], vcc
	s_cbranch_execz .LBB159_207
; %bb.206:                              ;   in Loop: Header=BB159_205 Depth=2
	v_mul_lo_u32 v3, v35, s58
	v_mul_lo_u32 v8, v34, s59
	v_mad_u64_u32 v[4:5], s[6:7], v34, s58, 0
	v_add3_u32 v5, v5, v8, v3
	v_lshlrev_b64 v[4:5], 3, v[4:5]
	v_mov_b32_e32 v3, s86
	v_add_co_u32_e64 v4, s[6:7], s33, v4
	v_addc_co_u32_e64 v5, s[6:7], v3, v5, s[6:7]
	global_load_dwordx2 v[4:5], v[4:5], off
.LBB159_207:                            ;   in Loop: Header=BB159_205 Depth=2
	s_or_b64 exec, exec, s[10:11]
	s_and_saveexec_b64 s[6:7], vcc
	s_cbranch_execz .LBB159_204
; %bb.208:                              ;   in Loop: Header=BB159_205 Depth=2
	s_waitcnt vmcnt(0)
	v_xor_b32_e32 v3, 0x80000000, v5
	v_and_b32_e32 v9, v3, v15
	v_and_b32_e32 v8, v4, v14
	v_cmp_eq_u64_e32 vcc, v[8:9], v[12:13]
	s_and_b64 exec, exec, vcc
	s_cbranch_execz .LBB159_204
; %bb.209:                              ;   in Loop: Header=BB159_205 Depth=2
	v_mov_b32_e32 v3, v21
	ds_write_b128 v21, v[2:5] offset:3072
	s_branch .LBB159_204
.LBB159_210:                            ;   in Loop: Header=BB159_12 Depth=1
	s_or_b64 exec, exec, s[8:9]
	s_and_b64 s[6:7], s[4:5], exec
.LBB159_211:                            ;   in Loop: Header=BB159_12 Depth=1
	s_or_b64 exec, exec, s[2:3]
	s_mov_b64 s[10:11], -1
	s_mov_b64 s[8:9], 0
	s_mov_b64 s[2:3], 0
.LBB159_212:                            ;   in Loop: Header=BB159_12 Depth=1
	v_writelane_b32 v54, s2, 53
	s_orn2_b64 s[4:5], s[6:7], exec
	v_writelane_b32 v54, s3, 54
.LBB159_213:                            ;   in Loop: Header=BB159_12 Depth=1
	s_or_b64 exec, exec, s[56:57]
	s_mov_b64 s[2:3], 0
                                        ; implicit-def: $vgpr3
	s_and_saveexec_b64 s[56:57], s[4:5]
	s_cbranch_execz .LBB159_278
; %bb.214:                              ;   in Loop: Header=BB159_12 Depth=1
	v_mov_b32_e32 v30, 1
	s_xor_b64 s[4:5], s[90:91], -1
	s_mov_b64 s[90:91], 0
	v_mov_b32_e32 v31, 0
	v_mov_b32_e32 v3, 1
	s_and_saveexec_b64 s[2:3], s[4:5]
	s_cbranch_execz .LBB159_224
; %bb.215:                              ;   in Loop: Header=BB159_12 Depth=1
	v_cmp_ge_u64_e32 vcc, s[26:27], v[32:33]
                                        ; implicit-def: $sgpr12
                                        ; implicit-def: $sgpr4_sgpr5
	s_and_saveexec_b64 s[6:7], vcc
	s_xor_b64 s[6:7], exec, s[6:7]
	s_cbranch_execz .LBB159_221
; %bb.216:                              ;   in Loop: Header=BB159_12 Depth=1
	s_waitcnt vmcnt(0)
	ds_read_b64 v[4:5], v21 offset:5120
	s_waitcnt lgkmcnt(0)
	v_cmp_ne_u64_e32 vcc, 0, v[4:5]
	s_cbranch_vccnz .LBB159_220
; %bb.217:                              ;   in Loop: Header=BB159_12 Depth=1
	s_mov_b64 s[4:5], exec
	v_readlane_b32 s12, v54, 12
	v_readlane_b32 s13, v54, 13
	s_and_b64 s[12:13], s[4:5], s[12:13]
	s_mov_b64 exec, s[12:13]
	s_cbranch_execz .LBB159_219
; %bb.218:                              ;   in Loop: Header=BB159_12 Depth=1
	v_pk_mov_b32 v[4:5], s[26:27], s[26:27] op_sel:[0,1]
	ds_write_b64 v21, v[4:5] offset:5128
.LBB159_219:                            ;   in Loop: Header=BB159_12 Depth=1
	s_or_b64 exec, exec, s[4:5]
	s_waitcnt lgkmcnt(0)
	s_barrier
.LBB159_220:                            ;   in Loop: Header=BB159_12 Depth=1
	s_lshl_b64 s[4:5], 2, s84
	v_and_b32_e32 v3, s21, v13
	v_and_b32_e32 v4, s20, v12
	v_or_b32_e32 v13, s5, v3
	v_or_b32_e32 v12, s4, v4
	v_or_b32_e32 v15, s19, v15
	v_or_b32_e32 v14, s18, v14
	s_mov_b64 s[4:5], 0
	s_mov_b32 s12, 8
.LBB159_221:                            ;   in Loop: Header=BB159_12 Depth=1
	s_or_saveexec_b64 s[6:7], s[6:7]
	v_mov_b32_e32 v3, s12
	s_xor_b64 exec, exec, s[6:7]
; %bb.222:                              ;   in Loop: Header=BB159_12 Depth=1
	v_mov_b32_e32 v3, s27
	v_subrev_co_u32_e32 v32, vcc, s26, v32
	v_subb_co_u32_e32 v33, vcc, v33, v3, vcc
	v_mov_b32_e32 v3, 0
	s_or_b64 s[4:5], s[4:5], exec
; %bb.223:                              ;   in Loop: Header=BB159_12 Depth=1
	s_or_b64 exec, exec, s[6:7]
	s_and_b64 s[90:91], s[4:5], exec
	v_pk_mov_b32 v[30:31], v[32:33], v[32:33] op_sel:[0,1]
.LBB159_224:                            ;   in Loop: Header=BB159_12 Depth=1
	s_or_b64 exec, exec, s[2:3]
	s_mov_b64 s[12:13], -1
                                        ; implicit-def: $sgpr2_sgpr3
                                        ; implicit-def: $sgpr6_sgpr7
                                        ; implicit-def: $sgpr4_sgpr5
	s_mov_b64 s[54:55], exec
	v_writelane_b32 v54, s54, 55
	v_writelane_b32 v54, s55, 56
	s_and_b64 s[54:55], s[54:55], s[90:91]
	s_mov_b64 exec, s[54:55]
	s_cbranch_execz .LBB159_277
; %bb.225:                              ;   in Loop: Header=BB159_12 Depth=1
	s_cmp_eq_u64 s[28:29], 1
	s_cselect_b64 s[2:3], -1, 0
	v_cmp_eq_u64_e32 vcc, 1, v[30:31]
	s_and_b64 s[12:13], s[2:3], vcc
	s_mov_b64 vcc, -1
                                        ; implicit-def: $sgpr2_sgpr3
                                        ; implicit-def: $sgpr6_sgpr7
                                        ; implicit-def: $sgpr4_sgpr5
	s_mov_b64 s[54:55], exec
	v_writelane_b32 v54, s12, 57
	v_writelane_b32 v54, s13, 58
	;; [unrolled: 1-line block ×3, first 2 shown]
	s_and_b64 s[12:13], s[54:55], s[12:13]
	v_writelane_b32 v54, s55, 60
	s_mov_b64 exec, s[12:13]
	s_cbranch_execz .LBB159_264
; %bb.226:                              ;   in Loop: Header=BB159_12 Depth=1
	s_waitcnt vmcnt(0)
	ds_read_b64 v[4:5], v21 offset:5120
	s_waitcnt lgkmcnt(0)
	s_barrier
	v_readfirstlane_b32 s2, v4
	v_readfirstlane_b32 s3, v5
	s_mov_b64 s[4:5], exec
	v_readlane_b32 s6, v54, 30
	v_readlane_b32 s7, v54, 31
	s_and_b64 s[6:7], s[4:5], s[6:7]
	s_mov_b64 exec, s[6:7]
	s_cbranch_execz .LBB159_228
; %bb.227:                              ;   in Loop: Header=BB159_12 Depth=1
	v_mov_b32_e32 v20, v21
	ds_write_b64 v40, v[20:21]
.LBB159_228:                            ;   in Loop: Header=BB159_12 Depth=1
	s_or_b64 exec, exec, s[4:5]
	v_or_b32_e32 v13, s19, v13
	v_or_b32_e32 v12, s18, v12
	;; [unrolled: 1-line block ×4, first 2 shown]
	s_cmp_eq_u64 s[2:3], 0
	s_waitcnt lgkmcnt(0)
	s_barrier
	s_cbranch_scc1 .LBB159_233
; %bb.229:                              ;   in Loop: Header=BB159_12 Depth=1
	v_readlane_b32 s4, v54, 34
	s_add_u32 s12, s4, s2
	v_readlane_b32 s4, v54, 36
	s_addc_u32 s5, s4, s3
	s_mov_b32 s4, s85
	s_cmp_lg_u64 s[4:5], 0
	s_cbranch_scc0 .LBB159_234
; %bb.230:                              ;   in Loop: Header=BB159_12 Depth=1
	v_cvt_f32_u32_e32 v3, s87
	s_sub_u32 s4, 0, s87
	s_subb_u32 s6, 0, 0
	v_mac_f32_e32 v3, 0, v43
	v_rcp_f32_e32 v3, v3
	v_mul_f32_e32 v3, 0x5f7ffffc, v3
	v_mul_f32_e32 v4, 0x2f800000, v3
	v_trunc_f32_e32 v4, v4
	v_mac_f32_e32 v3, 0xcf800000, v4
	v_cvt_u32_f32_e32 v4, v4
	v_cvt_u32_f32_e32 v3, v3
	v_readfirstlane_b32 s7, v4
	v_readfirstlane_b32 s13, v3
	s_mul_i32 s54, s4, s7
	s_mul_hi_u32 s90, s4, s13
	s_mul_i32 s55, s6, s13
	s_add_i32 s54, s90, s54
	s_mul_i32 s91, s4, s13
	s_add_i32 s54, s54, s55
	s_mul_hi_u32 s90, s13, s91
	s_mul_hi_u32 s55, s13, s54
	s_mul_i32 s13, s13, s54
	s_add_u32 s13, s90, s13
	s_addc_u32 s55, 0, s55
	s_mul_hi_u32 s92, s7, s91
	s_mul_i32 s91, s7, s91
	s_add_u32 s13, s13, s91
	s_mul_hi_u32 s90, s7, s54
	s_addc_u32 s13, s55, s92
	s_addc_u32 s55, s90, 0
	s_mul_i32 s54, s7, s54
	s_add_u32 s13, s13, s54
	s_addc_u32 s54, 0, s55
	v_add_co_u32_e32 v3, vcc, s13, v3
	s_cmp_lg_u64 vcc, 0
	s_addc_u32 s7, s7, s54
	v_readfirstlane_b32 s54, v3
	s_mul_i32 s13, s4, s7
	s_mul_hi_u32 s55, s4, s54
	s_add_i32 s13, s55, s13
	s_mul_i32 s6, s6, s54
	s_add_i32 s13, s13, s6
	s_mul_i32 s4, s4, s54
	s_mul_hi_u32 s55, s7, s4
	s_mul_i32 s90, s7, s4
	s_mul_i32 s92, s54, s13
	s_mul_hi_u32 s4, s54, s4
	s_mul_hi_u32 s91, s54, s13
	s_add_u32 s4, s4, s92
	s_addc_u32 s54, 0, s91
	s_add_u32 s4, s4, s90
	s_mul_hi_u32 s6, s7, s13
	s_addc_u32 s4, s54, s55
	s_addc_u32 s6, s6, 0
	s_mul_i32 s13, s7, s13
	s_add_u32 s4, s4, s13
	s_addc_u32 s6, 0, s6
	v_add_co_u32_e32 v3, vcc, s4, v3
	s_cmp_lg_u64 vcc, 0
	s_addc_u32 s4, s7, s6
	v_readfirstlane_b32 s13, v3
	s_mul_i32 s7, s12, s4
	s_mul_hi_u32 s54, s12, s13
	s_mul_hi_u32 s6, s12, s4
	s_add_u32 s7, s54, s7
	s_addc_u32 s6, 0, s6
	s_mul_hi_u32 s55, s5, s13
	s_mul_i32 s13, s5, s13
	s_add_u32 s7, s7, s13
	s_mul_hi_u32 s54, s5, s4
	s_addc_u32 s6, s6, s55
	s_addc_u32 s7, s54, 0
	s_mul_i32 s4, s5, s4
	s_add_u32 s4, s6, s4
	s_addc_u32 s6, 0, s7
	s_mul_hi_u32 s7, s87, s4
	s_mul_i32 s4, s87, s4
	s_mul_i32 s6, s87, s6
	v_mov_b32_e32 v3, s4
	s_add_i32 s7, s7, s6
	v_sub_co_u32_e32 v3, vcc, s12, v3
	s_cmp_lg_u64 vcc, 0
	s_subb_u32 s4, s5, s7
	v_subrev_co_u32_e32 v4, vcc, s87, v3
	s_cmp_lg_u64 vcc, 0
	s_subb_u32 s6, s4, 0
	v_subrev_co_u32_e32 v5, vcc, s87, v4
	s_cmp_lg_u64 vcc, 0
	s_subb_u32 s7, s6, 0
	v_cmp_le_u32_e32 vcc, s87, v4
	s_cmp_eq_u32 s6, 0
	v_cndmask_b32_e64 v8, 0, -1, vcc
	s_cselect_b64 vcc, -1, 0
	v_cndmask_b32_e32 v8, -1, v8, vcc
	v_mov_b32_e32 v9, s6
	v_mov_b32_e32 v10, s7
	v_cmp_ne_u32_e32 vcc, 0, v8
	v_cndmask_b32_e32 v8, v9, v10, vcc
	v_cndmask_b32_e32 v4, v4, v5, vcc
	v_cmp_le_u32_e32 vcc, s87, v3
	s_cmp_eq_u32 s4, 0
	v_cndmask_b32_e64 v5, 0, -1, vcc
	s_cselect_b64 vcc, -1, 0
	v_cndmask_b32_e32 v5, -1, v5, vcc
	v_mov_b32_e32 v9, s4
	v_cmp_ne_u32_e32 vcc, 0, v5
	v_cndmask_b32_e32 v5, v9, v8, vcc
	v_cndmask_b32_e32 v4, v3, v4, vcc
	s_mov_b64 s[6:7], 0
	s_branch .LBB159_235
.LBB159_231:                            ;   in Loop: Header=BB159_12 Depth=1
                                        ; implicit-def: $vgpr4_vgpr5
	s_branch .LBB159_185
.LBB159_232:                            ;   in Loop: Header=BB159_12 Depth=1
                                        ; implicit-def: $vgpr4_vgpr5
	s_branch .LBB159_201
.LBB159_233:                            ;   in Loop: Header=BB159_12 Depth=1
	s_mov_b64 s[2:3], -1
	s_mov_b64 s[12:13], 0
                                        ; implicit-def: $sgpr4_sgpr5
                                        ; implicit-def: $vgpr10_vgpr11
	s_branch .LBB159_247
.LBB159_234:                            ;   in Loop: Header=BB159_12 Depth=1
	s_mov_b64 s[6:7], -1
                                        ; implicit-def: $vgpr4_vgpr5
.LBB159_235:                            ;   in Loop: Header=BB159_12 Depth=1
	s_andn2_b64 vcc, exec, s[6:7]
	s_cbranch_vccnz .LBB159_237
; %bb.236:                              ;   in Loop: Header=BB159_12 Depth=1
	v_cvt_f32_u32_e32 v3, s87
	s_sub_i32 s4, 0, s87
	v_rcp_iflag_f32_e32 v3, v3
	v_mul_f32_e32 v3, 0x4f7ffffe, v3
	v_cvt_u32_f32_e32 v3, v3
	v_mul_lo_u32 v4, s4, v3
	v_mul_hi_u32 v4, v3, v4
	v_add_u32_e32 v3, v3, v4
	v_mul_hi_u32 v3, s12, v3
	v_mul_lo_u32 v3, v3, s87
	v_sub_u32_e32 v3, s12, v3
	v_subrev_u32_e32 v4, s87, v3
	v_cmp_le_u32_e32 vcc, s87, v3
	v_cndmask_b32_e32 v3, v3, v4, vcc
	v_subrev_u32_e32 v4, s87, v3
	v_cmp_le_u32_e32 vcc, s87, v3
	v_cndmask_b32_e32 v20, v3, v4, vcc
	v_pk_mov_b32 v[4:5], v[20:21], v[20:21] op_sel:[0,1]
.LBB159_237:                            ;   in Loop: Header=BB159_12 Depth=1
	v_mov_b32_e32 v3, s5
	v_sub_co_u32_e32 v32, vcc, s12, v4
	v_subb_co_u32_e32 v33, vcc, v3, v5, vcc
	v_cmp_gt_u64_e32 vcc, v[32:33], v[0:1]
	s_mov_b64 s[12:13], 0
                                        ; implicit-def: $vgpr10_vgpr11
	s_and_saveexec_b64 s[4:5], vcc
	s_cbranch_execz .LBB159_246
; %bb.238:                              ;   in Loop: Header=BB159_12 Depth=1
	v_mov_b32_e32 v20, v39
	v_pk_mov_b32 v[34:35], v[0:1], v[0:1] op_sel:[0,1]
                                        ; implicit-def: $sgpr6_sgpr7
	s_branch .LBB159_240
.LBB159_239:                            ;   in Loop: Header=BB159_240 Depth=2
	s_or_b64 exec, exec, s[54:55]
	s_waitcnt lgkmcnt(0)
	s_barrier
	ds_read_b128 v[8:11], v21 offset:3072
	v_mov_b32_e32 v3, s88
	v_add_co_u32_e32 v34, vcc, s87, v34
	v_addc_co_u32_e32 v35, vcc, v35, v3, vcc
	s_waitcnt lgkmcnt(0)
	v_readfirstlane_b32 s55, v9
	v_readfirstlane_b32 s54, v8
	s_cmp_lg_u64 s[54:55], 0
	s_cselect_b64 s[54:55], -1, 0
	v_cmp_ge_u64_e32 vcc, v[34:35], v[32:33]
	s_or_b64 s[90:91], vcc, s[54:55]
	s_and_b64 s[90:91], exec, s[90:91]
	s_or_b64 s[12:13], s[90:91], s[12:13]
	s_andn2_b64 s[6:7], s[6:7], exec
	s_and_b64 s[54:55], s[54:55], exec
	v_add_u32_e32 v20, s95, v20
	s_or_b64 s[6:7], s[6:7], s[54:55]
	s_barrier
	s_andn2_b64 exec, exec, s[12:13]
	s_cbranch_execz .LBB159_245
.LBB159_240:                            ;   Parent Loop BB159_12 Depth=1
                                        ; =>  This Inner Loop Header: Depth=2
	v_cmp_gt_u64_e32 vcc, s[2:3], v[34:35]
	v_pk_mov_b32 v[4:5], 0, 0
	s_and_saveexec_b64 s[54:55], vcc
	s_cbranch_execz .LBB159_242
; %bb.241:                              ;   in Loop: Header=BB159_240 Depth=2
	ds_read_b64 v[4:5], v20
.LBB159_242:                            ;   in Loop: Header=BB159_240 Depth=2
	s_or_b64 exec, exec, s[54:55]
	s_and_saveexec_b64 s[54:55], vcc
	s_cbranch_execz .LBB159_239
; %bb.243:                              ;   in Loop: Header=BB159_240 Depth=2
	s_waitcnt lgkmcnt(0)
	v_xor_b32_e32 v3, 0x80000000, v5
	v_and_b32_e32 v9, v3, v15
	v_and_b32_e32 v8, v4, v14
	v_cmp_eq_u64_e32 vcc, v[8:9], v[12:13]
	s_and_b64 exec, exec, vcc
	s_cbranch_execz .LBB159_239
; %bb.244:                              ;   in Loop: Header=BB159_240 Depth=2
	v_mov_b32_e32 v3, v21
	ds_write_b128 v21, v[2:5] offset:3072
	s_branch .LBB159_239
.LBB159_245:                            ;   in Loop: Header=BB159_12 Depth=1
	s_or_b64 exec, exec, s[12:13]
	s_and_b64 s[12:13], s[6:7], exec
.LBB159_246:                            ;   in Loop: Header=BB159_12 Depth=1
	s_or_b64 exec, exec, s[4:5]
	s_mov_b64 s[4:5], -1
	s_mov_b64 s[2:3], 0
.LBB159_247:                            ;   in Loop: Header=BB159_12 Depth=1
	s_and_b64 vcc, exec, s[2:3]
	s_mov_b64 s[6:7], s[2:3]
	s_cbranch_vccz .LBB159_263
; %bb.248:                              ;   in Loop: Header=BB159_12 Depth=1
	s_mov_b32 s92, s85
	s_cmp_lg_u64 s[92:93], 0
	s_cbranch_scc0 .LBB159_250
; %bb.249:                              ;   in Loop: Header=BB159_12 Depth=1
	v_cvt_f32_u32_e32 v3, s87
	s_sub_u32 s2, 0, s87
	s_subb_u32 s3, 0, 0
	v_mac_f32_e32 v3, 0, v43
	v_rcp_f32_e32 v3, v3
	v_mul_f32_e32 v3, 0x5f7ffffc, v3
	v_mul_f32_e32 v4, 0x2f800000, v3
	v_trunc_f32_e32 v4, v4
	v_mac_f32_e32 v3, 0xcf800000, v4
	v_cvt_u32_f32_e32 v4, v4
	v_cvt_u32_f32_e32 v3, v3
	v_readfirstlane_b32 s4, v4
	v_readfirstlane_b32 s5, v3
	s_mul_i32 s6, s2, s4
	s_mul_hi_u32 s12, s2, s5
	s_mul_i32 s7, s3, s5
	s_add_i32 s6, s12, s6
	s_mul_i32 s13, s2, s5
	s_add_i32 s6, s6, s7
	s_mul_hi_u32 s12, s5, s13
	s_mul_hi_u32 s7, s5, s6
	s_mul_i32 s5, s5, s6
	s_add_u32 s5, s12, s5
	s_addc_u32 s7, 0, s7
	s_mul_hi_u32 s54, s4, s13
	s_mul_i32 s13, s4, s13
	s_add_u32 s5, s5, s13
	s_mul_hi_u32 s12, s4, s6
	s_addc_u32 s5, s7, s54
	s_addc_u32 s7, s12, 0
	s_mul_i32 s6, s4, s6
	s_add_u32 s5, s5, s6
	s_addc_u32 s6, 0, s7
	v_add_co_u32_e32 v3, vcc, s5, v3
	s_cmp_lg_u64 vcc, 0
	s_addc_u32 s4, s4, s6
	v_readfirstlane_b32 s6, v3
	s_mul_i32 s5, s2, s4
	s_mul_hi_u32 s7, s2, s6
	s_add_i32 s5, s7, s5
	s_mul_i32 s3, s3, s6
	s_add_i32 s5, s5, s3
	s_mul_i32 s2, s2, s6
	s_mul_hi_u32 s7, s4, s2
	s_mul_i32 s12, s4, s2
	s_mul_i32 s54, s6, s5
	s_mul_hi_u32 s2, s6, s2
	s_mul_hi_u32 s13, s6, s5
	s_add_u32 s2, s2, s54
	s_addc_u32 s6, 0, s13
	s_add_u32 s2, s2, s12
	s_mul_hi_u32 s3, s4, s5
	s_addc_u32 s2, s6, s7
	s_addc_u32 s3, s3, 0
	s_mul_i32 s5, s4, s5
	s_add_u32 s2, s2, s5
	s_addc_u32 s3, 0, s3
	v_add_co_u32_e32 v3, vcc, s2, v3
	s_cmp_lg_u64 vcc, 0
	s_addc_u32 s2, s4, s3
	v_readlane_b32 s12, v54, 35
	v_readfirstlane_b32 s5, v3
	s_mul_i32 s4, s12, s2
	s_mul_hi_u32 s6, s12, s5
	s_mul_hi_u32 s3, s12, s2
	s_add_u32 s4, s6, s4
	s_addc_u32 s3, 0, s3
	s_mul_hi_u32 s7, s93, s5
	s_mul_i32 s5, s93, s5
	s_add_u32 s4, s4, s5
	s_mul_hi_u32 s6, s93, s2
	s_addc_u32 s3, s3, s7
	s_addc_u32 s4, s6, 0
	s_mul_i32 s2, s93, s2
	s_add_u32 s2, s3, s2
	s_addc_u32 s3, 0, s4
	s_mul_hi_u32 s4, s87, s2
	s_mul_i32 s2, s87, s2
	s_mul_i32 s3, s87, s3
	v_mov_b32_e32 v3, s2
	s_add_i32 s4, s4, s3
	v_sub_co_u32_e32 v3, vcc, s12, v3
	s_cmp_lg_u64 vcc, 0
	s_subb_u32 s2, s93, s4
	v_subrev_co_u32_e32 v4, vcc, s87, v3
	s_cmp_lg_u64 vcc, 0
	s_subb_u32 s3, s2, 0
	v_subrev_co_u32_e32 v5, vcc, s87, v4
	s_cmp_lg_u64 vcc, 0
	s_subb_u32 s4, s3, 0
	v_cmp_le_u32_e32 vcc, s87, v4
	s_cmp_eq_u32 s3, 0
	v_cndmask_b32_e64 v8, 0, -1, vcc
	s_cselect_b64 vcc, -1, 0
	v_cndmask_b32_e32 v8, -1, v8, vcc
	v_mov_b32_e32 v9, s3
	v_mov_b32_e32 v10, s4
	v_cmp_ne_u32_e32 vcc, 0, v8
	v_cndmask_b32_e32 v8, v9, v10, vcc
	v_cndmask_b32_e32 v4, v4, v5, vcc
	v_cmp_le_u32_e32 vcc, s87, v3
	s_cmp_eq_u32 s2, 0
	v_cndmask_b32_e64 v5, 0, -1, vcc
	s_cselect_b64 vcc, -1, 0
	v_cndmask_b32_e32 v5, -1, v5, vcc
	v_mov_b32_e32 v9, s2
	v_cmp_ne_u32_e32 vcc, 0, v5
	v_cndmask_b32_e32 v5, v9, v8, vcc
	v_cndmask_b32_e32 v4, v3, v4, vcc
	s_mov_b64 s[2:3], 0
	s_branch .LBB159_251
.LBB159_250:                            ;   in Loop: Header=BB159_12 Depth=1
	s_mov_b64 s[2:3], -1
                                        ; implicit-def: $vgpr4_vgpr5
.LBB159_251:                            ;   in Loop: Header=BB159_12 Depth=1
	s_andn2_b64 vcc, exec, s[2:3]
	s_cbranch_vccnz .LBB159_253
; %bb.252:                              ;   in Loop: Header=BB159_12 Depth=1
	v_cvt_f32_u32_e32 v3, s87
	s_sub_i32 s2, 0, s87
	v_rcp_iflag_f32_e32 v3, v3
	v_mul_f32_e32 v3, 0x4f7ffffe, v3
	v_cvt_u32_f32_e32 v3, v3
	v_mul_lo_u32 v4, s2, v3
	v_mul_hi_u32 v4, v3, v4
	v_add_u32_e32 v3, v3, v4
	v_readlane_b32 s2, v54, 35
	v_mul_hi_u32 v3, s2, v3
	v_mul_lo_u32 v3, v3, s87
	v_sub_u32_e32 v3, s2, v3
	v_subrev_u32_e32 v4, s87, v3
	v_cmp_le_u32_e32 vcc, s87, v3
	v_cndmask_b32_e32 v3, v3, v4, vcc
	v_subrev_u32_e32 v4, s87, v3
	v_cmp_le_u32_e32 vcc, s87, v3
	v_cndmask_b32_e32 v20, v3, v4, vcc
	v_pk_mov_b32 v[4:5], v[20:21], v[20:21] op_sel:[0,1]
.LBB159_253:                            ;   in Loop: Header=BB159_12 Depth=1
	v_readlane_b32 s2, v54, 35
	v_mov_b32_e32 v3, s93
	v_sub_co_u32_e32 v32, vcc, s2, v4
	v_subb_co_u32_e32 v33, vcc, v3, v5, vcc
	v_cmp_gt_u64_e32 vcc, v[32:33], v[0:1]
	s_mov_b64 s[12:13], 0
                                        ; implicit-def: $vgpr10_vgpr11
	s_and_saveexec_b64 s[2:3], vcc
	s_cbranch_execz .LBB159_262
; %bb.254:                              ;   in Loop: Header=BB159_12 Depth=1
	v_pk_mov_b32 v[34:35], v[0:1], v[0:1] op_sel:[0,1]
                                        ; implicit-def: $sgpr4_sgpr5
	s_branch .LBB159_256
.LBB159_255:                            ;   in Loop: Header=BB159_256 Depth=2
	s_or_b64 exec, exec, s[6:7]
	s_waitcnt lgkmcnt(0)
	s_barrier
	ds_read_b128 v[8:11], v21 offset:3072
	v_mov_b32_e32 v3, s88
	v_add_co_u32_e32 v34, vcc, s87, v34
	v_addc_co_u32_e32 v35, vcc, v35, v3, vcc
	s_waitcnt lgkmcnt(0)
	v_readfirstlane_b32 s7, v9
	v_readfirstlane_b32 s6, v8
	s_cmp_lg_u64 s[6:7], 0
	s_cselect_b64 s[6:7], -1, 0
	v_cmp_ge_u64_e32 vcc, v[34:35], v[32:33]
	s_or_b64 s[54:55], vcc, s[6:7]
	s_and_b64 s[54:55], exec, s[54:55]
	s_or_b64 s[12:13], s[54:55], s[12:13]
	s_andn2_b64 s[4:5], s[4:5], exec
	s_and_b64 s[6:7], s[6:7], exec
	s_or_b64 s[4:5], s[4:5], s[6:7]
	s_barrier
	s_andn2_b64 exec, exec, s[12:13]
	s_cbranch_execz .LBB159_261
.LBB159_256:                            ;   Parent Loop BB159_12 Depth=1
                                        ; =>  This Inner Loop Header: Depth=2
	v_cmp_gt_u64_e32 vcc, s[60:61], v[34:35]
	s_waitcnt vmcnt(0)
	v_pk_mov_b32 v[4:5], 0, 0
	s_and_saveexec_b64 s[54:55], vcc
	s_cbranch_execz .LBB159_258
; %bb.257:                              ;   in Loop: Header=BB159_256 Depth=2
	v_mul_lo_u32 v3, v35, s58
	v_mul_lo_u32 v8, v34, s59
	v_mad_u64_u32 v[4:5], s[6:7], v34, s58, 0
	v_add3_u32 v5, v5, v8, v3
	v_lshlrev_b64 v[4:5], 3, v[4:5]
	v_mov_b32_e32 v3, s86
	v_add_co_u32_e64 v4, s[6:7], s33, v4
	v_addc_co_u32_e64 v5, s[6:7], v3, v5, s[6:7]
	global_load_dwordx2 v[4:5], v[4:5], off
.LBB159_258:                            ;   in Loop: Header=BB159_256 Depth=2
	s_or_b64 exec, exec, s[54:55]
	s_and_saveexec_b64 s[6:7], vcc
	s_cbranch_execz .LBB159_255
; %bb.259:                              ;   in Loop: Header=BB159_256 Depth=2
	s_waitcnt vmcnt(0)
	v_xor_b32_e32 v3, 0x80000000, v5
	v_and_b32_e32 v9, v3, v15
	v_and_b32_e32 v8, v4, v14
	v_cmp_eq_u64_e32 vcc, v[8:9], v[12:13]
	s_and_b64 exec, exec, vcc
	s_cbranch_execz .LBB159_255
; %bb.260:                              ;   in Loop: Header=BB159_256 Depth=2
	v_mov_b32_e32 v3, v21
	ds_write_b128 v21, v[2:5] offset:3072
	s_branch .LBB159_255
.LBB159_261:                            ;   in Loop: Header=BB159_12 Depth=1
	s_or_b64 exec, exec, s[12:13]
	s_and_b64 s[12:13], s[4:5], exec
.LBB159_262:                            ;   in Loop: Header=BB159_12 Depth=1
	s_or_b64 exec, exec, s[2:3]
	s_mov_b64 s[6:7], -1
	s_mov_b64 s[2:3], 0
	s_mov_b64 s[4:5], 0
.LBB159_263:                            ;   in Loop: Header=BB159_12 Depth=1
	s_orn2_b64 vcc, s[12:13], exec
.LBB159_264:                            ;   in Loop: Header=BB159_12 Depth=1
	v_readlane_b32 s12, v54, 59
	v_readlane_b32 s13, v54, 60
	s_or_b64 exec, exec, s[12:13]
	s_mov_b64 s[54:55], 0
                                        ; implicit-def: $vgpr3
                                        ; implicit-def: $vgpr4_vgpr5
	s_and_saveexec_b64 s[12:13], vcc
	s_cbranch_execz .LBB159_276
; %bb.265:                              ;   in Loop: Header=BB159_12 Depth=1
	v_readlane_b32 s54, v54, 57
	v_readlane_b32 s55, v54, 58
	s_waitcnt vmcnt(0)
	v_mov_b32_e32 v4, 1
	s_xor_b64 s[54:55], s[54:55], -1
	v_mov_b32_e32 v3, 1
	v_mov_b32_e32 v5, 0
	s_and_saveexec_b64 s[90:91], s[54:55]
	s_cbranch_execz .LBB159_275
; %bb.266:                              ;   in Loop: Header=BB159_12 Depth=1
	v_cmp_ge_u64_e32 vcc, s[28:29], v[30:31]
                                        ; implicit-def: $sgpr92
	s_and_saveexec_b64 s[54:55], vcc
	s_xor_b64 s[54:55], exec, s[54:55]
	v_writelane_b32 v54, s54, 61
	v_writelane_b32 v54, s55, 62
	s_cbranch_execz .LBB159_272
; %bb.267:                              ;   in Loop: Header=BB159_12 Depth=1
	ds_read_b64 v[4:5], v21 offset:5120
	s_waitcnt lgkmcnt(0)
	v_cmp_ne_u64_e32 vcc, 0, v[4:5]
	s_cbranch_vccnz .LBB159_271
; %bb.268:                              ;   in Loop: Header=BB159_12 Depth=1
	s_mov_b64 s[54:55], exec
	v_readlane_b32 vcc_lo, v54, 12
	v_readlane_b32 vcc_hi, v54, 13
	s_and_b64 vcc, s[54:55], vcc
	s_mov_b64 exec, vcc
	s_cbranch_execz .LBB159_270
; %bb.269:                              ;   in Loop: Header=BB159_12 Depth=1
	v_pk_mov_b32 v[4:5], s[28:29], s[28:29] op_sel:[0,1]
	ds_write_b64 v21, v[4:5] offset:5128
.LBB159_270:                            ;   in Loop: Header=BB159_12 Depth=1
	s_or_b64 exec, exec, s[54:55]
	s_waitcnt lgkmcnt(0)
	s_barrier
.LBB159_271:                            ;   in Loop: Header=BB159_12 Depth=1
	v_or_b32_e32 v13, s19, v13
	v_or_b32_e32 v12, s18, v12
	;; [unrolled: 1-line block ×4, first 2 shown]
	s_mov_b32 s92, 8
.LBB159_272:                            ;   in Loop: Header=BB159_12 Depth=1
	v_readlane_b32 s54, v54, 61
	v_readlane_b32 s55, v54, 62
	s_or_saveexec_b64 s[54:55], s[54:55]
	v_mov_b32_e32 v3, s92
	s_xor_b64 exec, exec, s[54:55]
; %bb.273:                              ;   in Loop: Header=BB159_12 Depth=1
	v_mov_b32_e32 v3, s29
	v_subrev_co_u32_e32 v30, vcc, s28, v30
	v_subb_co_u32_e32 v31, vcc, v31, v3, vcc
	v_mov_b32_e32 v3, 8
; %bb.274:                              ;   in Loop: Header=BB159_12 Depth=1
	s_or_b64 exec, exec, s[54:55]
	v_pk_mov_b32 v[4:5], v[30:31], v[30:31] op_sel:[0,1]
.LBB159_275:                            ;   in Loop: Header=BB159_12 Depth=1
	s_or_b64 exec, exec, s[90:91]
	s_mov_b64 s[54:55], exec
.LBB159_276:                            ;   in Loop: Header=BB159_12 Depth=1
	s_or_b64 exec, exec, s[12:13]
	s_orn2_b64 s[12:13], s[54:55], exec
	s_waitcnt vmcnt(0)
	v_pk_mov_b32 v[30:31], v[4:5], v[4:5] op_sel:[0,1]
.LBB159_277:                            ;   in Loop: Header=BB159_12 Depth=1
	v_readlane_b32 s54, v54, 55
	v_readlane_b32 s55, v54, 56
	s_or_b64 exec, exec, s[54:55]
	s_andn2_b64 s[8:9], s[8:9], exec
	s_and_b64 s[2:3], s[2:3], exec
	s_or_b64 s[8:9], s[8:9], s[2:3]
	s_andn2_b64 s[2:3], s[10:11], exec
	s_and_b64 s[6:7], s[6:7], exec
	s_or_b64 s[10:11], s[2:3], s[6:7]
	v_readlane_b32 s2, v54, 53
	v_readlane_b32 s3, v54, 54
	s_andn2_b64 s[2:3], s[2:3], exec
	s_and_b64 s[4:5], s[4:5], exec
	s_or_b64 s[2:3], s[2:3], s[4:5]
	v_writelane_b32 v54, s2, 53
	v_writelane_b32 v54, s3, 54
	s_and_b64 s[2:3], s[12:13], exec
	v_pk_mov_b32 v[32:33], v[30:31], v[30:31] op_sel:[0,1]
.LBB159_278:                            ;   in Loop: Header=BB159_12 Depth=1
	s_or_b64 exec, exec, s[56:57]
	v_readlane_b32 s4, v54, 53
	v_readlane_b32 s5, v54, 54
	s_and_b64 s[8:9], s[8:9], exec
	s_and_b64 s[6:7], s[10:11], exec
	;; [unrolled: 1-line block ×3, first 2 shown]
	s_orn2_b64 s[2:3], s[2:3], exec
.LBB159_279:                            ;   in Loop: Header=BB159_12 Depth=1
	s_or_b64 exec, exec, s[52:53]
	s_andn2_b64 s[10:11], s[36:37], exec
	s_and_b64 s[8:9], s[8:9], exec
	s_or_b64 s[36:37], s[10:11], s[8:9]
	s_andn2_b64 s[8:9], s[48:49], exec
	s_and_b64 s[6:7], s[6:7], exec
	s_or_b64 s[48:49], s[8:9], s[6:7]
	;; [unrolled: 3-line block ×3, first 2 shown]
	s_and_b64 s[6:7], s[2:3], exec
	v_pk_mov_b32 v[30:31], v[32:33], v[32:33] op_sel:[0,1]
.LBB159_280:                            ;   in Loop: Header=BB159_12 Depth=1
	s_or_b64 exec, exec, s[50:51]
	s_and_b64 s[8:9], s[36:37], exec
	s_and_b64 s[4:5], s[48:49], exec
	;; [unrolled: 1-line block ×3, first 2 shown]
	s_orn2_b64 s[12:13], s[6:7], exec
.LBB159_281:                            ;   in Loop: Header=BB159_12 Depth=1
	s_or_b64 exec, exec, s[34:35]
	s_mov_b64 s[6:7], 0
	s_mov_b64 s[10:11], 0
	s_and_saveexec_b64 s[34:35], s[12:13]
	s_xor_b64 s[12:13], exec, s[34:35]
; %bb.282:                              ;   in Loop: Header=BB159_12 Depth=1
	v_cmp_eq_u32_e32 vcc, 8, v3
	v_cmp_ne_u32_e64 s[6:7], 8, v3
	s_andn2_b64 s[8:9], s[8:9], exec
	s_andn2_b64 s[4:5], s[4:5], exec
	;; [unrolled: 1-line block ×3, first 2 shown]
	s_and_b64 s[10:11], s[6:7], exec
	s_and_b64 s[6:7], vcc, exec
; %bb.283:                              ;   in Loop: Header=BB159_12 Depth=1
	s_or_b64 exec, exec, s[12:13]
	s_andn2_b64 s[12:13], s[24:25], exec
	s_and_b64 s[8:9], s[8:9], exec
	s_or_b64 s[24:25], s[12:13], s[8:9]
	s_andn2_b64 s[8:9], s[40:41], exec
	s_and_b64 s[4:5], s[4:5], exec
	s_or_b64 s[40:41], s[8:9], s[4:5]
	;; [unrolled: 3-line block ×3, first 2 shown]
	s_and_b64 s[34:35], s[10:11], exec
	s_and_b64 s[36:37], s[6:7], exec
.LBB159_284:                            ;   in Loop: Header=BB159_12 Depth=1
	s_or_b64 exec, exec, s[44:45]
	s_and_b64 vcc, exec, s[42:43]
	s_cbranch_vccz .LBB159_100
.LBB159_285:                            ;   in Loop: Header=BB159_12 Depth=1
	s_cmp_eq_u64 s[28:29], 1
	s_cselect_b64 s[2:3], -1, 0
	s_and_b64 s[8:9], s[2:3], s[14:15]
	s_mov_b64 s[2:3], -1
                                        ; implicit-def: $sgpr14_sgpr15
                                        ; implicit-def: $sgpr42_sgpr43
                                        ; implicit-def: $sgpr24_sgpr25
	s_and_saveexec_b64 s[10:11], s[8:9]
	s_cbranch_execz .LBB159_317
; %bb.286:                              ;   in Loop: Header=BB159_12 Depth=1
	s_waitcnt vmcnt(0)
	ds_read_b64 v[4:5], v21 offset:5120
	s_waitcnt lgkmcnt(0)
	s_barrier
	v_readfirstlane_b32 s2, v4
	v_readfirstlane_b32 s3, v5
	s_mov_b64 s[4:5], exec
	v_readlane_b32 s6, v54, 30
	v_readlane_b32 s7, v54, 31
	s_and_b64 s[6:7], s[4:5], s[6:7]
	s_mov_b64 exec, s[6:7]
	s_cbranch_execz .LBB159_288
; %bb.287:                              ;   in Loop: Header=BB159_12 Depth=1
	v_mov_b32_e32 v20, v21
	ds_write_b64 v40, v[20:21]
.LBB159_288:                            ;   in Loop: Header=BB159_12 Depth=1
	s_or_b64 exec, exec, s[4:5]
	v_or_b32_e32 v27, s19, v27
	v_or_b32_e32 v26, s18, v26
	;; [unrolled: 1-line block ×4, first 2 shown]
	s_cmp_eq_u64 s[2:3], 0
	s_waitcnt lgkmcnt(0)
	s_barrier
	s_cbranch_scc1 .LBB159_300
; %bb.289:                              ;   in Loop: Header=BB159_12 Depth=1
	v_readlane_b32 s4, v54, 34
	s_add_u32 s12, s4, s2
	v_readlane_b32 s4, v54, 36
	s_addc_u32 s5, s4, s3
	s_mov_b32 s4, s85
	s_cmp_lg_u64 s[4:5], 0
	s_cbranch_scc0 .LBB159_344
; %bb.290:                              ;   in Loop: Header=BB159_12 Depth=1
	v_cvt_f32_u32_e32 v3, s87
	s_sub_u32 s4, 0, s87
	s_subb_u32 s6, 0, 0
	v_mac_f32_e32 v3, 0, v43
	v_rcp_f32_e32 v3, v3
	v_mul_f32_e32 v3, 0x5f7ffffc, v3
	v_mul_f32_e32 v4, 0x2f800000, v3
	v_trunc_f32_e32 v4, v4
	v_mac_f32_e32 v3, 0xcf800000, v4
	v_cvt_u32_f32_e32 v4, v4
	v_cvt_u32_f32_e32 v3, v3
	v_readfirstlane_b32 s7, v4
	v_readfirstlane_b32 s13, v3
	s_mul_i32 s14, s4, s7
	s_mul_hi_u32 s24, s4, s13
	s_mul_i32 s15, s6, s13
	s_add_i32 s14, s24, s14
	s_mul_i32 s25, s4, s13
	s_add_i32 s14, s14, s15
	s_mul_hi_u32 s24, s13, s25
	s_mul_hi_u32 s15, s13, s14
	s_mul_i32 s13, s13, s14
	s_add_u32 s13, s24, s13
	s_addc_u32 s15, 0, s15
	s_mul_hi_u32 s38, s7, s25
	s_mul_i32 s25, s7, s25
	s_add_u32 s13, s13, s25
	s_mul_hi_u32 s24, s7, s14
	s_addc_u32 s13, s15, s38
	s_addc_u32 s15, s24, 0
	s_mul_i32 s14, s7, s14
	s_add_u32 s13, s13, s14
	s_addc_u32 s14, 0, s15
	v_add_co_u32_e32 v3, vcc, s13, v3
	s_cmp_lg_u64 vcc, 0
	s_addc_u32 s7, s7, s14
	v_readfirstlane_b32 s14, v3
	s_mul_i32 s13, s4, s7
	s_mul_hi_u32 s15, s4, s14
	s_add_i32 s13, s15, s13
	s_mul_i32 s6, s6, s14
	s_add_i32 s13, s13, s6
	s_mul_i32 s4, s4, s14
	s_mul_hi_u32 s15, s7, s4
	s_mul_i32 s24, s7, s4
	s_mul_i32 s38, s14, s13
	s_mul_hi_u32 s4, s14, s4
	s_mul_hi_u32 s25, s14, s13
	s_add_u32 s4, s4, s38
	s_addc_u32 s14, 0, s25
	s_add_u32 s4, s4, s24
	s_mul_hi_u32 s6, s7, s13
	s_addc_u32 s4, s14, s15
	s_addc_u32 s6, s6, 0
	s_mul_i32 s13, s7, s13
	s_add_u32 s4, s4, s13
	s_addc_u32 s6, 0, s6
	v_add_co_u32_e32 v3, vcc, s4, v3
	s_cmp_lg_u64 vcc, 0
	s_addc_u32 s4, s7, s6
	v_readfirstlane_b32 s13, v3
	s_mul_i32 s7, s12, s4
	s_mul_hi_u32 s14, s12, s13
	s_mul_hi_u32 s6, s12, s4
	s_add_u32 s7, s14, s7
	s_addc_u32 s6, 0, s6
	s_mul_hi_u32 s15, s5, s13
	s_mul_i32 s13, s5, s13
	s_add_u32 s7, s7, s13
	s_mul_hi_u32 s14, s5, s4
	s_addc_u32 s6, s6, s15
	s_addc_u32 s7, s14, 0
	s_mul_i32 s4, s5, s4
	s_add_u32 s4, s6, s4
	s_addc_u32 s6, 0, s7
	s_mul_hi_u32 s7, s87, s4
	s_mul_i32 s4, s87, s4
	s_mul_i32 s6, s87, s6
	v_mov_b32_e32 v3, s4
	s_add_i32 s7, s7, s6
	v_sub_co_u32_e32 v3, vcc, s12, v3
	s_cmp_lg_u64 vcc, 0
	s_subb_u32 s4, s5, s7
	v_subrev_co_u32_e32 v4, vcc, s87, v3
	s_cmp_lg_u64 vcc, 0
	s_subb_u32 s6, s4, 0
	v_subrev_co_u32_e32 v5, vcc, s87, v4
	s_cmp_lg_u64 vcc, 0
	s_subb_u32 s7, s6, 0
	v_cmp_le_u32_e32 vcc, s87, v4
	s_cmp_eq_u32 s6, 0
	v_cndmask_b32_e64 v6, 0, -1, vcc
	s_cselect_b64 vcc, -1, 0
	v_cndmask_b32_e32 v6, -1, v6, vcc
	v_mov_b32_e32 v7, s6
	v_mov_b32_e32 v8, s7
	v_cmp_ne_u32_e32 vcc, 0, v6
	v_cndmask_b32_e32 v6, v7, v8, vcc
	v_cndmask_b32_e32 v4, v4, v5, vcc
	v_cmp_le_u32_e32 vcc, s87, v3
	s_cmp_eq_u32 s4, 0
	v_cndmask_b32_e64 v5, 0, -1, vcc
	s_cselect_b64 vcc, -1, 0
	v_cndmask_b32_e32 v5, -1, v5, vcc
	v_mov_b32_e32 v7, s4
	v_cmp_ne_u32_e32 vcc, 0, v5
	v_cndmask_b32_e32 v5, v7, v6, vcc
	v_cndmask_b32_e32 v4, v3, v4, vcc
	s_cbranch_execnz .LBB159_292
.LBB159_291:                            ;   in Loop: Header=BB159_12 Depth=1
	v_cvt_f32_u32_e32 v3, s87
	s_sub_i32 s4, 0, s87
	v_rcp_iflag_f32_e32 v3, v3
	v_mul_f32_e32 v3, 0x4f7ffffe, v3
	v_cvt_u32_f32_e32 v3, v3
	v_mul_lo_u32 v4, s4, v3
	v_mul_hi_u32 v4, v3, v4
	v_add_u32_e32 v3, v3, v4
	v_mul_hi_u32 v3, s12, v3
	v_mul_lo_u32 v3, v3, s87
	v_sub_u32_e32 v3, s12, v3
	v_subrev_u32_e32 v4, s87, v3
	v_cmp_le_u32_e32 vcc, s87, v3
	v_cndmask_b32_e32 v3, v3, v4, vcc
	v_subrev_u32_e32 v4, s87, v3
	v_cmp_le_u32_e32 vcc, s87, v3
	v_cndmask_b32_e32 v20, v3, v4, vcc
	v_pk_mov_b32 v[4:5], v[20:21], v[20:21] op_sel:[0,1]
.LBB159_292:                            ;   in Loop: Header=BB159_12 Depth=1
	v_mov_b32_e32 v3, s5
	v_sub_co_u32_e32 v8, vcc, s12, v4
	v_subb_co_u32_e32 v9, vcc, v3, v5, vcc
	v_cmp_gt_u64_e32 vcc, v[8:9], v[0:1]
	s_mov_b64 s[6:7], 0
                                        ; implicit-def: $vgpr6_vgpr7
	s_and_saveexec_b64 s[4:5], vcc
	s_cbranch_execz .LBB159_302
; %bb.293:                              ;   in Loop: Header=BB159_12 Depth=1
	s_mov_b64 s[12:13], 0
	v_mov_b32_e32 v12, v39
	v_pk_mov_b32 v[10:11], v[0:1], v[0:1] op_sel:[0,1]
                                        ; implicit-def: $sgpr6_sgpr7
	s_branch .LBB159_295
.LBB159_294:                            ;   in Loop: Header=BB159_295 Depth=2
	s_or_b64 exec, exec, s[14:15]
	s_waitcnt lgkmcnt(0)
	s_barrier
	ds_read_b128 v[4:7], v21 offset:3072
	v_mov_b32_e32 v3, s88
	v_add_co_u32_e32 v10, vcc, s87, v10
	v_addc_co_u32_e32 v11, vcc, v11, v3, vcc
	s_waitcnt lgkmcnt(0)
	v_readfirstlane_b32 s15, v5
	v_readfirstlane_b32 s14, v4
	s_cmp_lg_u64 s[14:15], 0
	s_cselect_b64 s[14:15], -1, 0
	v_cmp_ge_u64_e32 vcc, v[10:11], v[8:9]
	s_or_b64 s[24:25], vcc, s[14:15]
	s_and_b64 s[24:25], exec, s[24:25]
	s_or_b64 s[12:13], s[24:25], s[12:13]
	s_andn2_b64 s[6:7], s[6:7], exec
	s_and_b64 s[14:15], s[14:15], exec
	v_add_u32_e32 v12, s95, v12
	s_or_b64 s[6:7], s[6:7], s[14:15]
	s_barrier
	s_andn2_b64 exec, exec, s[12:13]
	s_cbranch_execz .LBB159_301
.LBB159_295:                            ;   Parent Loop BB159_12 Depth=1
                                        ; =>  This Inner Loop Header: Depth=2
	v_cmp_gt_u64_e32 vcc, s[2:3], v[10:11]
	v_pk_mov_b32 v[4:5], 0, 0
	s_and_saveexec_b64 s[14:15], vcc
	s_cbranch_execz .LBB159_297
; %bb.296:                              ;   in Loop: Header=BB159_295 Depth=2
	ds_read_b64 v[4:5], v12
.LBB159_297:                            ;   in Loop: Header=BB159_295 Depth=2
	s_or_b64 exec, exec, s[14:15]
	s_and_saveexec_b64 s[14:15], vcc
	s_cbranch_execz .LBB159_294
; %bb.298:                              ;   in Loop: Header=BB159_295 Depth=2
	s_waitcnt lgkmcnt(0)
	v_xor_b32_e32 v3, 0x80000000, v5
	v_and_b32_e32 v7, v3, v25
	v_and_b32_e32 v6, v4, v24
	v_cmp_eq_u64_e32 vcc, v[6:7], v[26:27]
	s_and_b64 exec, exec, vcc
	s_cbranch_execz .LBB159_294
; %bb.299:                              ;   in Loop: Header=BB159_295 Depth=2
	v_mov_b32_e32 v3, v21
	ds_write_b128 v21, v[2:5] offset:3072
	s_branch .LBB159_294
.LBB159_300:                            ;   in Loop: Header=BB159_12 Depth=1
	s_mov_b64 s[14:15], -1
	s_mov_b64 s[6:7], 0
                                        ; implicit-def: $sgpr42_sgpr43
                                        ; implicit-def: $vgpr6_vgpr7
	s_mov_b64 s[24:25], s[14:15]
	s_cbranch_execnz .LBB159_303
	s_branch .LBB159_316
.LBB159_301:                            ;   in Loop: Header=BB159_12 Depth=1
	s_or_b64 exec, exec, s[12:13]
	s_and_b64 s[6:7], s[6:7], exec
.LBB159_302:                            ;   in Loop: Header=BB159_12 Depth=1
	s_or_b64 exec, exec, s[4:5]
	s_mov_b64 s[14:15], 0
	s_mov_b64 s[42:43], -1
	s_mov_b64 s[24:25], s[14:15]
	s_branch .LBB159_316
.LBB159_303:                            ;   in Loop: Header=BB159_12 Depth=1
	s_mov_b32 s92, s85
	s_cmp_lg_u64 s[92:93], 0
	s_cbranch_scc0 .LBB159_345
; %bb.304:                              ;   in Loop: Header=BB159_12 Depth=1
	v_cvt_f32_u32_e32 v3, s87
	s_sub_u32 s2, 0, s87
	s_subb_u32 s3, 0, 0
	v_mac_f32_e32 v3, 0, v43
	v_rcp_f32_e32 v3, v3
	v_mul_f32_e32 v3, 0x5f7ffffc, v3
	v_mul_f32_e32 v4, 0x2f800000, v3
	v_trunc_f32_e32 v4, v4
	v_mac_f32_e32 v3, 0xcf800000, v4
	v_cvt_u32_f32_e32 v4, v4
	v_cvt_u32_f32_e32 v3, v3
	v_readfirstlane_b32 s4, v4
	v_readfirstlane_b32 s5, v3
	s_mul_i32 s6, s2, s4
	s_mul_hi_u32 s12, s2, s5
	s_mul_i32 s7, s3, s5
	s_add_i32 s6, s12, s6
	s_mul_i32 s13, s2, s5
	s_add_i32 s6, s6, s7
	s_mul_hi_u32 s12, s5, s13
	s_mul_hi_u32 s7, s5, s6
	s_mul_i32 s5, s5, s6
	s_add_u32 s5, s12, s5
	s_addc_u32 s7, 0, s7
	s_mul_hi_u32 s14, s4, s13
	s_mul_i32 s13, s4, s13
	s_add_u32 s5, s5, s13
	s_mul_hi_u32 s12, s4, s6
	s_addc_u32 s5, s7, s14
	s_addc_u32 s7, s12, 0
	s_mul_i32 s6, s4, s6
	s_add_u32 s5, s5, s6
	s_addc_u32 s6, 0, s7
	v_add_co_u32_e32 v3, vcc, s5, v3
	s_cmp_lg_u64 vcc, 0
	s_addc_u32 s4, s4, s6
	v_readfirstlane_b32 s6, v3
	s_mul_i32 s5, s2, s4
	s_mul_hi_u32 s7, s2, s6
	s_add_i32 s5, s7, s5
	s_mul_i32 s3, s3, s6
	s_add_i32 s5, s5, s3
	s_mul_i32 s2, s2, s6
	s_mul_hi_u32 s7, s4, s2
	s_mul_i32 s12, s4, s2
	s_mul_i32 s14, s6, s5
	s_mul_hi_u32 s2, s6, s2
	s_mul_hi_u32 s13, s6, s5
	s_add_u32 s2, s2, s14
	s_addc_u32 s6, 0, s13
	s_add_u32 s2, s2, s12
	s_mul_hi_u32 s3, s4, s5
	s_addc_u32 s2, s6, s7
	s_addc_u32 s3, s3, 0
	s_mul_i32 s5, s4, s5
	s_add_u32 s2, s2, s5
	s_addc_u32 s3, 0, s3
	v_add_co_u32_e32 v3, vcc, s2, v3
	s_cmp_lg_u64 vcc, 0
	s_addc_u32 s2, s4, s3
	v_readlane_b32 s12, v54, 35
	v_readfirstlane_b32 s5, v3
	s_mul_i32 s4, s12, s2
	s_mul_hi_u32 s6, s12, s5
	s_mul_hi_u32 s3, s12, s2
	s_add_u32 s4, s6, s4
	s_addc_u32 s3, 0, s3
	s_mul_hi_u32 s7, s93, s5
	s_mul_i32 s5, s93, s5
	s_add_u32 s4, s4, s5
	s_mul_hi_u32 s6, s93, s2
	s_addc_u32 s3, s3, s7
	s_addc_u32 s4, s6, 0
	s_mul_i32 s2, s93, s2
	s_add_u32 s2, s3, s2
	s_addc_u32 s3, 0, s4
	s_mul_hi_u32 s4, s87, s2
	s_mul_i32 s2, s87, s2
	s_mul_i32 s3, s87, s3
	v_mov_b32_e32 v3, s2
	s_add_i32 s4, s4, s3
	v_sub_co_u32_e32 v3, vcc, s12, v3
	s_cmp_lg_u64 vcc, 0
	s_subb_u32 s2, s93, s4
	v_subrev_co_u32_e32 v4, vcc, s87, v3
	s_cmp_lg_u64 vcc, 0
	s_subb_u32 s3, s2, 0
	v_subrev_co_u32_e32 v5, vcc, s87, v4
	s_cmp_lg_u64 vcc, 0
	s_subb_u32 s4, s3, 0
	v_cmp_le_u32_e32 vcc, s87, v4
	s_cmp_eq_u32 s3, 0
	v_cndmask_b32_e64 v6, 0, -1, vcc
	s_cselect_b64 vcc, -1, 0
	v_cndmask_b32_e32 v6, -1, v6, vcc
	v_mov_b32_e32 v7, s3
	v_mov_b32_e32 v8, s4
	v_cmp_ne_u32_e32 vcc, 0, v6
	v_cndmask_b32_e32 v6, v7, v8, vcc
	v_cndmask_b32_e32 v4, v4, v5, vcc
	v_cmp_le_u32_e32 vcc, s87, v3
	s_cmp_eq_u32 s2, 0
	v_cndmask_b32_e64 v5, 0, -1, vcc
	s_cselect_b64 vcc, -1, 0
	v_cndmask_b32_e32 v5, -1, v5, vcc
	v_mov_b32_e32 v7, s2
	v_cmp_ne_u32_e32 vcc, 0, v5
	v_cndmask_b32_e32 v5, v7, v6, vcc
	v_cndmask_b32_e32 v4, v3, v4, vcc
	s_cbranch_execnz .LBB159_306
.LBB159_305:                            ;   in Loop: Header=BB159_12 Depth=1
	v_cvt_f32_u32_e32 v3, s87
	s_sub_i32 s2, 0, s87
	v_rcp_iflag_f32_e32 v3, v3
	v_mul_f32_e32 v3, 0x4f7ffffe, v3
	v_cvt_u32_f32_e32 v3, v3
	v_mul_lo_u32 v4, s2, v3
	v_mul_hi_u32 v4, v3, v4
	v_add_u32_e32 v3, v3, v4
	v_readlane_b32 s2, v54, 35
	v_mul_hi_u32 v3, s2, v3
	v_mul_lo_u32 v3, v3, s87
	v_sub_u32_e32 v3, s2, v3
	v_subrev_u32_e32 v4, s87, v3
	v_cmp_le_u32_e32 vcc, s87, v3
	v_cndmask_b32_e32 v3, v3, v4, vcc
	v_subrev_u32_e32 v4, s87, v3
	v_cmp_le_u32_e32 vcc, s87, v3
	v_cndmask_b32_e32 v20, v3, v4, vcc
	v_pk_mov_b32 v[4:5], v[20:21], v[20:21] op_sel:[0,1]
.LBB159_306:                            ;   in Loop: Header=BB159_12 Depth=1
	v_readlane_b32 s2, v54, 35
	v_mov_b32_e32 v3, s93
	v_sub_co_u32_e32 v8, vcc, s2, v4
	v_subb_co_u32_e32 v9, vcc, v3, v5, vcc
	v_cmp_gt_u64_e32 vcc, v[8:9], v[0:1]
	s_mov_b64 s[6:7], 0
                                        ; implicit-def: $vgpr6_vgpr7
	s_and_saveexec_b64 s[2:3], vcc
	s_cbranch_execz .LBB159_315
; %bb.307:                              ;   in Loop: Header=BB159_12 Depth=1
	s_mov_b64 s[12:13], 0
	v_pk_mov_b32 v[10:11], v[0:1], v[0:1] op_sel:[0,1]
                                        ; implicit-def: $sgpr4_sgpr5
	s_branch .LBB159_309
.LBB159_308:                            ;   in Loop: Header=BB159_309 Depth=2
	s_or_b64 exec, exec, s[6:7]
	s_waitcnt lgkmcnt(0)
	s_barrier
	s_waitcnt vmcnt(0)
	ds_read_b128 v[4:7], v21 offset:3072
	v_mov_b32_e32 v3, s88
	v_add_co_u32_e32 v10, vcc, s87, v10
	v_addc_co_u32_e32 v11, vcc, v11, v3, vcc
	s_waitcnt lgkmcnt(0)
	v_readfirstlane_b32 s7, v5
	v_readfirstlane_b32 s6, v4
	s_cmp_lg_u64 s[6:7], 0
	s_cselect_b64 s[6:7], -1, 0
	v_cmp_ge_u64_e32 vcc, v[10:11], v[8:9]
	s_or_b64 s[14:15], vcc, s[6:7]
	s_and_b64 s[14:15], exec, s[14:15]
	s_or_b64 s[12:13], s[14:15], s[12:13]
	s_andn2_b64 s[4:5], s[4:5], exec
	s_and_b64 s[6:7], s[6:7], exec
	s_or_b64 s[4:5], s[4:5], s[6:7]
	s_barrier
	s_andn2_b64 exec, exec, s[12:13]
	s_cbranch_execz .LBB159_314
.LBB159_309:                            ;   Parent Loop BB159_12 Depth=1
                                        ; =>  This Inner Loop Header: Depth=2
	v_cmp_gt_u64_e32 vcc, s[60:61], v[10:11]
	v_pk_mov_b32 v[4:5], 0, 0
	s_and_saveexec_b64 s[14:15], vcc
	s_cbranch_execz .LBB159_311
; %bb.310:                              ;   in Loop: Header=BB159_309 Depth=2
	v_mul_lo_u32 v3, v11, s58
	v_mul_lo_u32 v6, v10, s59
	v_mad_u64_u32 v[4:5], s[6:7], v10, s58, 0
	v_add3_u32 v5, v5, v6, v3
	v_lshlrev_b64 v[4:5], 3, v[4:5]
	v_mov_b32_e32 v3, s86
	v_add_co_u32_e64 v4, s[6:7], s33, v4
	v_addc_co_u32_e64 v5, s[6:7], v3, v5, s[6:7]
	global_load_dwordx2 v[4:5], v[4:5], off
.LBB159_311:                            ;   in Loop: Header=BB159_309 Depth=2
	s_or_b64 exec, exec, s[14:15]
	s_and_saveexec_b64 s[6:7], vcc
	s_cbranch_execz .LBB159_308
; %bb.312:                              ;   in Loop: Header=BB159_309 Depth=2
	s_waitcnt vmcnt(0)
	v_xor_b32_e32 v3, 0x80000000, v5
	v_and_b32_e32 v7, v3, v25
	v_and_b32_e32 v6, v4, v24
	v_cmp_eq_u64_e32 vcc, v[6:7], v[26:27]
	s_and_b64 exec, exec, vcc
	s_cbranch_execz .LBB159_308
; %bb.313:                              ;   in Loop: Header=BB159_309 Depth=2
	v_mov_b32_e32 v3, v21
	ds_write_b128 v21, v[2:5] offset:3072
	s_branch .LBB159_308
.LBB159_314:                            ;   in Loop: Header=BB159_12 Depth=1
	s_or_b64 exec, exec, s[12:13]
	s_and_b64 s[6:7], s[4:5], exec
.LBB159_315:                            ;   in Loop: Header=BB159_12 Depth=1
	s_or_b64 exec, exec, s[2:3]
	s_mov_b64 s[42:43], 0
	s_mov_b64 s[14:15], -1
	s_mov_b64 s[24:25], 0
.LBB159_316:                            ;   in Loop: Header=BB159_12 Depth=1
	s_orn2_b64 s[2:3], s[6:7], exec
.LBB159_317:                            ;   in Loop: Header=BB159_12 Depth=1
	s_or_b64 exec, exec, s[10:11]
                                        ; implicit-def: $vgpr3
                                        ; implicit-def: $vgpr30_vgpr31
                                        ; implicit-def: $vgpr12_vgpr13
                                        ; implicit-def: $vgpr14_vgpr15
                                        ; implicit-def: $vgpr10_vgpr11
	s_and_saveexec_b64 s[38:39], s[2:3]
	s_cbranch_execz .LBB159_480
; %bb.318:                              ;   in Loop: Header=BB159_12 Depth=1
	s_waitcnt vmcnt(0)
	v_mov_b32_e32 v30, 1
	s_xor_b64 s[4:5], s[8:9], -1
	s_mov_b64 s[6:7], 0
	v_mov_b32_e32 v31, 0
	v_mov_b32_e32 v3, 1
	s_and_saveexec_b64 s[2:3], s[4:5]
	s_cbranch_execz .LBB159_328
; %bb.319:                              ;   in Loop: Header=BB159_12 Depth=1
	v_cmp_ge_u64_e32 vcc, s[28:29], v[28:29]
                                        ; implicit-def: $sgpr8
                                        ; implicit-def: $sgpr4_sgpr5
	s_and_saveexec_b64 s[6:7], vcc
	s_xor_b64 s[6:7], exec, s[6:7]
	s_cbranch_execz .LBB159_325
; %bb.320:                              ;   in Loop: Header=BB159_12 Depth=1
	ds_read_b64 v[4:5], v21 offset:5120
	s_waitcnt lgkmcnt(0)
	v_cmp_ne_u64_e32 vcc, 0, v[4:5]
	s_cbranch_vccnz .LBB159_324
; %bb.321:                              ;   in Loop: Header=BB159_12 Depth=1
	s_mov_b64 s[4:5], exec
	v_readlane_b32 s8, v54, 12
	v_readlane_b32 s9, v54, 13
	s_and_b64 s[8:9], s[4:5], s[8:9]
	s_mov_b64 exec, s[8:9]
	s_cbranch_execz .LBB159_323
; %bb.322:                              ;   in Loop: Header=BB159_12 Depth=1
	v_pk_mov_b32 v[4:5], s[28:29], s[28:29] op_sel:[0,1]
	ds_write_b64 v21, v[4:5] offset:5128
.LBB159_323:                            ;   in Loop: Header=BB159_12 Depth=1
	s_or_b64 exec, exec, s[4:5]
	s_waitcnt lgkmcnt(0)
	s_barrier
.LBB159_324:                            ;   in Loop: Header=BB159_12 Depth=1
	v_or_b32_e32 v27, s19, v27
	v_or_b32_e32 v26, s18, v26
	;; [unrolled: 1-line block ×4, first 2 shown]
	s_mov_b64 s[4:5], 0
	s_mov_b32 s8, 5
.LBB159_325:                            ;   in Loop: Header=BB159_12 Depth=1
	s_or_saveexec_b64 s[6:7], s[6:7]
	v_mov_b32_e32 v3, s8
	s_xor_b64 exec, exec, s[6:7]
; %bb.326:                              ;   in Loop: Header=BB159_12 Depth=1
	v_mov_b32_e32 v3, s29
	v_subrev_co_u32_e32 v28, vcc, s28, v28
	v_subb_co_u32_e32 v29, vcc, v29, v3, vcc
	v_mov_b32_e32 v3, 0
	s_or_b64 s[4:5], s[4:5], exec
; %bb.327:                              ;   in Loop: Header=BB159_12 Depth=1
	s_or_b64 exec, exec, s[6:7]
	s_and_b64 s[6:7], s[4:5], exec
	v_pk_mov_b32 v[30:31], v[28:29], v[28:29] op_sel:[0,1]
.LBB159_328:                            ;   in Loop: Header=BB159_12 Depth=1
	s_or_b64 exec, exec, s[2:3]
	s_mov_b64 s[12:13], -1
                                        ; implicit-def: $sgpr2_sgpr3
                                        ; implicit-def: $sgpr4_sgpr5
                                        ; implicit-def: $sgpr8_sgpr9
	s_and_saveexec_b64 s[10:11], s[6:7]
	s_xor_b64 s[28:29], exec, s[10:11]
	s_cbranch_execz .LBB159_477
; %bb.329:                              ;   in Loop: Header=BB159_12 Depth=1
	s_cmp_eq_u64 s[26:27], 1
	s_cselect_b64 s[2:3], -1, 0
	v_cmp_eq_u64_e32 vcc, 1, v[30:31]
	s_and_b64 s[8:9], s[2:3], vcc
	s_mov_b64 s[2:3], -1
                                        ; implicit-def: $sgpr40_sgpr41
                                        ; implicit-def: $sgpr44_sgpr45
                                        ; implicit-def: $sgpr46_sgpr47
	s_and_saveexec_b64 s[10:11], s[8:9]
	s_cbranch_execz .LBB159_363
; %bb.330:                              ;   in Loop: Header=BB159_12 Depth=1
	ds_read_b64 v[4:5], v21 offset:5120
	s_waitcnt lgkmcnt(0)
	s_barrier
	v_readfirstlane_b32 s2, v4
	v_readfirstlane_b32 s3, v5
	s_mov_b64 s[4:5], exec
	v_readlane_b32 s6, v54, 30
	v_readlane_b32 s7, v54, 31
	s_and_b64 s[6:7], s[4:5], s[6:7]
	s_mov_b64 exec, s[6:7]
	s_cbranch_execz .LBB159_332
; %bb.331:                              ;   in Loop: Header=BB159_12 Depth=1
	v_mov_b32_e32 v20, v21
	ds_write_b64 v40, v[20:21]
.LBB159_332:                            ;   in Loop: Header=BB159_12 Depth=1
	s_or_b64 exec, exec, s[4:5]
	s_lshl_b64 s[4:5], 2, s84
	v_and_b32_e32 v3, s21, v27
	v_and_b32_e32 v4, s20, v26
	v_or_b32_e32 v27, s5, v3
	v_or_b32_e32 v26, s4, v4
	;; [unrolled: 1-line block ×4, first 2 shown]
	s_cmp_eq_u64 s[2:3], 0
	s_waitcnt lgkmcnt(0)
	s_barrier
	s_cbranch_scc1 .LBB159_346
; %bb.333:                              ;   in Loop: Header=BB159_12 Depth=1
	v_readlane_b32 s4, v54, 34
	s_add_u32 s12, s4, s2
	v_readlane_b32 s4, v54, 36
	s_addc_u32 s5, s4, s3
	s_mov_b32 s4, s85
	s_cmp_lg_u64 s[4:5], 0
	s_cbranch_scc0 .LBB159_390
; %bb.334:                              ;   in Loop: Header=BB159_12 Depth=1
	v_cvt_f32_u32_e32 v3, s87
	s_sub_u32 s4, 0, s87
	s_subb_u32 s6, 0, 0
	v_mac_f32_e32 v3, 0, v43
	v_rcp_f32_e32 v3, v3
	v_mul_f32_e32 v3, 0x5f7ffffc, v3
	v_mul_f32_e32 v4, 0x2f800000, v3
	v_trunc_f32_e32 v4, v4
	v_mac_f32_e32 v3, 0xcf800000, v4
	v_cvt_u32_f32_e32 v4, v4
	v_cvt_u32_f32_e32 v3, v3
	v_readfirstlane_b32 s7, v4
	v_readfirstlane_b32 s13, v3
	s_mul_i32 s40, s4, s7
	s_mul_hi_u32 s44, s4, s13
	s_mul_i32 s41, s6, s13
	s_add_i32 s40, s44, s40
	s_mul_i32 s45, s4, s13
	s_add_i32 s40, s40, s41
	s_mul_hi_u32 s44, s13, s45
	s_mul_hi_u32 s41, s13, s40
	s_mul_i32 s13, s13, s40
	s_add_u32 s13, s44, s13
	s_addc_u32 s41, 0, s41
	s_mul_hi_u32 s46, s7, s45
	s_mul_i32 s45, s7, s45
	s_add_u32 s13, s13, s45
	s_mul_hi_u32 s44, s7, s40
	s_addc_u32 s13, s41, s46
	s_addc_u32 s41, s44, 0
	s_mul_i32 s40, s7, s40
	s_add_u32 s13, s13, s40
	s_addc_u32 s40, 0, s41
	v_add_co_u32_e32 v3, vcc, s13, v3
	s_cmp_lg_u64 vcc, 0
	s_addc_u32 s7, s7, s40
	v_readfirstlane_b32 s40, v3
	s_mul_i32 s13, s4, s7
	s_mul_hi_u32 s41, s4, s40
	s_add_i32 s13, s41, s13
	s_mul_i32 s6, s6, s40
	s_add_i32 s13, s13, s6
	s_mul_i32 s4, s4, s40
	s_mul_hi_u32 s41, s7, s4
	s_mul_i32 s44, s7, s4
	s_mul_i32 s46, s40, s13
	s_mul_hi_u32 s4, s40, s4
	s_mul_hi_u32 s45, s40, s13
	s_add_u32 s4, s4, s46
	s_addc_u32 s40, 0, s45
	s_add_u32 s4, s4, s44
	s_mul_hi_u32 s6, s7, s13
	s_addc_u32 s4, s40, s41
	s_addc_u32 s6, s6, 0
	s_mul_i32 s13, s7, s13
	s_add_u32 s4, s4, s13
	s_addc_u32 s6, 0, s6
	v_add_co_u32_e32 v3, vcc, s4, v3
	s_cmp_lg_u64 vcc, 0
	s_addc_u32 s4, s7, s6
	v_readfirstlane_b32 s13, v3
	s_mul_i32 s7, s12, s4
	s_mul_hi_u32 s40, s12, s13
	s_mul_hi_u32 s6, s12, s4
	s_add_u32 s7, s40, s7
	s_addc_u32 s6, 0, s6
	s_mul_hi_u32 s41, s5, s13
	s_mul_i32 s13, s5, s13
	s_add_u32 s7, s7, s13
	s_mul_hi_u32 s40, s5, s4
	s_addc_u32 s6, s6, s41
	s_addc_u32 s7, s40, 0
	s_mul_i32 s4, s5, s4
	s_add_u32 s4, s6, s4
	s_addc_u32 s6, 0, s7
	s_mul_hi_u32 s7, s87, s4
	s_mul_i32 s4, s87, s4
	s_mul_i32 s6, s87, s6
	v_mov_b32_e32 v3, s4
	s_add_i32 s7, s7, s6
	v_sub_co_u32_e32 v3, vcc, s12, v3
	s_cmp_lg_u64 vcc, 0
	s_subb_u32 s4, s5, s7
	v_subrev_co_u32_e32 v4, vcc, s87, v3
	s_cmp_lg_u64 vcc, 0
	s_subb_u32 s6, s4, 0
	v_subrev_co_u32_e32 v5, vcc, s87, v4
	s_cmp_lg_u64 vcc, 0
	s_subb_u32 s7, s6, 0
	v_cmp_le_u32_e32 vcc, s87, v4
	s_cmp_eq_u32 s6, 0
	v_cndmask_b32_e64 v6, 0, -1, vcc
	s_cselect_b64 vcc, -1, 0
	v_cndmask_b32_e32 v6, -1, v6, vcc
	v_mov_b32_e32 v7, s6
	v_mov_b32_e32 v8, s7
	v_cmp_ne_u32_e32 vcc, 0, v6
	v_cndmask_b32_e32 v6, v7, v8, vcc
	v_cndmask_b32_e32 v4, v4, v5, vcc
	v_cmp_le_u32_e32 vcc, s87, v3
	s_cmp_eq_u32 s4, 0
	v_cndmask_b32_e64 v5, 0, -1, vcc
	s_cselect_b64 vcc, -1, 0
	v_cndmask_b32_e32 v5, -1, v5, vcc
	v_mov_b32_e32 v7, s4
	v_cmp_ne_u32_e32 vcc, 0, v5
	v_cndmask_b32_e32 v5, v7, v6, vcc
	v_cndmask_b32_e32 v4, v3, v4, vcc
	s_cbranch_execnz .LBB159_336
.LBB159_335:                            ;   in Loop: Header=BB159_12 Depth=1
	v_cvt_f32_u32_e32 v3, s87
	s_sub_i32 s4, 0, s87
	v_rcp_iflag_f32_e32 v3, v3
	v_mul_f32_e32 v3, 0x4f7ffffe, v3
	v_cvt_u32_f32_e32 v3, v3
	v_mul_lo_u32 v4, s4, v3
	v_mul_hi_u32 v4, v3, v4
	v_add_u32_e32 v3, v3, v4
	v_mul_hi_u32 v3, s12, v3
	v_mul_lo_u32 v3, v3, s87
	v_sub_u32_e32 v3, s12, v3
	v_subrev_u32_e32 v4, s87, v3
	v_cmp_le_u32_e32 vcc, s87, v3
	v_cndmask_b32_e32 v3, v3, v4, vcc
	v_subrev_u32_e32 v4, s87, v3
	v_cmp_le_u32_e32 vcc, s87, v3
	v_cndmask_b32_e32 v20, v3, v4, vcc
	v_pk_mov_b32 v[4:5], v[20:21], v[20:21] op_sel:[0,1]
.LBB159_336:                            ;   in Loop: Header=BB159_12 Depth=1
	v_mov_b32_e32 v3, s5
	v_sub_co_u32_e32 v8, vcc, s12, v4
	v_subb_co_u32_e32 v9, vcc, v3, v5, vcc
	v_cmp_gt_u64_e32 vcc, v[8:9], v[0:1]
	s_mov_b64 s[6:7], 0
                                        ; implicit-def: $vgpr6_vgpr7
	s_and_saveexec_b64 s[4:5], vcc
	s_cbranch_execz .LBB159_348
; %bb.337:                              ;   in Loop: Header=BB159_12 Depth=1
	s_mov_b64 s[12:13], 0
	v_mov_b32_e32 v12, v39
	v_pk_mov_b32 v[10:11], v[0:1], v[0:1] op_sel:[0,1]
                                        ; implicit-def: $sgpr6_sgpr7
	s_branch .LBB159_339
.LBB159_338:                            ;   in Loop: Header=BB159_339 Depth=2
	s_or_b64 exec, exec, s[40:41]
	s_waitcnt lgkmcnt(0)
	s_barrier
	ds_read_b128 v[4:7], v21 offset:3072
	v_mov_b32_e32 v3, s88
	v_add_co_u32_e32 v10, vcc, s87, v10
	v_addc_co_u32_e32 v11, vcc, v11, v3, vcc
	s_waitcnt lgkmcnt(0)
	v_readfirstlane_b32 s41, v5
	v_readfirstlane_b32 s40, v4
	s_cmp_lg_u64 s[40:41], 0
	s_cselect_b64 s[40:41], -1, 0
	v_cmp_ge_u64_e32 vcc, v[10:11], v[8:9]
	s_or_b64 s[44:45], vcc, s[40:41]
	s_and_b64 s[44:45], exec, s[44:45]
	s_or_b64 s[12:13], s[44:45], s[12:13]
	s_andn2_b64 s[6:7], s[6:7], exec
	s_and_b64 s[40:41], s[40:41], exec
	v_add_u32_e32 v12, s95, v12
	s_or_b64 s[6:7], s[6:7], s[40:41]
	s_barrier
	s_andn2_b64 exec, exec, s[12:13]
	s_cbranch_execz .LBB159_347
.LBB159_339:                            ;   Parent Loop BB159_12 Depth=1
                                        ; =>  This Inner Loop Header: Depth=2
	v_cmp_gt_u64_e32 vcc, s[2:3], v[10:11]
	v_pk_mov_b32 v[4:5], 0, 0
	s_and_saveexec_b64 s[40:41], vcc
	s_cbranch_execz .LBB159_341
; %bb.340:                              ;   in Loop: Header=BB159_339 Depth=2
	ds_read_b64 v[4:5], v12
.LBB159_341:                            ;   in Loop: Header=BB159_339 Depth=2
	s_or_b64 exec, exec, s[40:41]
	s_and_saveexec_b64 s[40:41], vcc
	s_cbranch_execz .LBB159_338
; %bb.342:                              ;   in Loop: Header=BB159_339 Depth=2
	s_waitcnt lgkmcnt(0)
	v_xor_b32_e32 v3, 0x80000000, v5
	v_and_b32_e32 v7, v3, v25
	v_and_b32_e32 v6, v4, v24
	v_cmp_eq_u64_e32 vcc, v[6:7], v[26:27]
	s_and_b64 exec, exec, vcc
	s_cbranch_execz .LBB159_338
; %bb.343:                              ;   in Loop: Header=BB159_339 Depth=2
	v_mov_b32_e32 v3, v21
	ds_write_b128 v21, v[2:5] offset:3072
	s_branch .LBB159_338
.LBB159_344:                            ;   in Loop: Header=BB159_12 Depth=1
                                        ; implicit-def: $vgpr4_vgpr5
	s_branch .LBB159_291
.LBB159_345:                            ;   in Loop: Header=BB159_12 Depth=1
                                        ; implicit-def: $vgpr4_vgpr5
	s_branch .LBB159_305
.LBB159_346:                            ;   in Loop: Header=BB159_12 Depth=1
	s_mov_b64 s[40:41], -1
	s_mov_b64 s[6:7], 0
                                        ; implicit-def: $sgpr44_sgpr45
                                        ; implicit-def: $vgpr6_vgpr7
	s_mov_b64 s[46:47], s[40:41]
	s_cbranch_execnz .LBB159_349
	s_branch .LBB159_362
.LBB159_347:                            ;   in Loop: Header=BB159_12 Depth=1
	s_or_b64 exec, exec, s[12:13]
	s_and_b64 s[6:7], s[6:7], exec
.LBB159_348:                            ;   in Loop: Header=BB159_12 Depth=1
	s_or_b64 exec, exec, s[4:5]
	s_mov_b64 s[40:41], 0
	s_mov_b64 s[44:45], -1
	s_mov_b64 s[46:47], s[40:41]
	s_branch .LBB159_362
.LBB159_349:                            ;   in Loop: Header=BB159_12 Depth=1
	s_mov_b32 s92, s85
	s_cmp_lg_u64 s[92:93], 0
	s_cbranch_scc0 .LBB159_391
; %bb.350:                              ;   in Loop: Header=BB159_12 Depth=1
	v_cvt_f32_u32_e32 v3, s87
	s_sub_u32 s2, 0, s87
	s_subb_u32 s3, 0, 0
	v_mac_f32_e32 v3, 0, v43
	v_rcp_f32_e32 v3, v3
	v_mul_f32_e32 v3, 0x5f7ffffc, v3
	v_mul_f32_e32 v4, 0x2f800000, v3
	v_trunc_f32_e32 v4, v4
	v_mac_f32_e32 v3, 0xcf800000, v4
	v_cvt_u32_f32_e32 v4, v4
	v_cvt_u32_f32_e32 v3, v3
	v_readfirstlane_b32 s4, v4
	v_readfirstlane_b32 s5, v3
	s_mul_i32 s6, s2, s4
	s_mul_hi_u32 s12, s2, s5
	s_mul_i32 s7, s3, s5
	s_add_i32 s6, s12, s6
	s_mul_i32 s13, s2, s5
	s_add_i32 s6, s6, s7
	s_mul_hi_u32 s12, s5, s13
	s_mul_hi_u32 s7, s5, s6
	s_mul_i32 s5, s5, s6
	s_add_u32 s5, s12, s5
	s_addc_u32 s7, 0, s7
	s_mul_hi_u32 s40, s4, s13
	s_mul_i32 s13, s4, s13
	s_add_u32 s5, s5, s13
	s_mul_hi_u32 s12, s4, s6
	s_addc_u32 s5, s7, s40
	s_addc_u32 s7, s12, 0
	s_mul_i32 s6, s4, s6
	s_add_u32 s5, s5, s6
	s_addc_u32 s6, 0, s7
	v_add_co_u32_e32 v3, vcc, s5, v3
	s_cmp_lg_u64 vcc, 0
	s_addc_u32 s4, s4, s6
	v_readfirstlane_b32 s6, v3
	s_mul_i32 s5, s2, s4
	s_mul_hi_u32 s7, s2, s6
	s_add_i32 s5, s7, s5
	s_mul_i32 s3, s3, s6
	s_add_i32 s5, s5, s3
	s_mul_i32 s2, s2, s6
	s_mul_hi_u32 s7, s4, s2
	s_mul_i32 s12, s4, s2
	s_mul_i32 s40, s6, s5
	s_mul_hi_u32 s2, s6, s2
	s_mul_hi_u32 s13, s6, s5
	s_add_u32 s2, s2, s40
	s_addc_u32 s6, 0, s13
	s_add_u32 s2, s2, s12
	s_mul_hi_u32 s3, s4, s5
	s_addc_u32 s2, s6, s7
	s_addc_u32 s3, s3, 0
	s_mul_i32 s5, s4, s5
	s_add_u32 s2, s2, s5
	s_addc_u32 s3, 0, s3
	v_add_co_u32_e32 v3, vcc, s2, v3
	s_cmp_lg_u64 vcc, 0
	s_addc_u32 s2, s4, s3
	v_readlane_b32 s12, v54, 35
	v_readfirstlane_b32 s5, v3
	s_mul_i32 s4, s12, s2
	s_mul_hi_u32 s6, s12, s5
	s_mul_hi_u32 s3, s12, s2
	s_add_u32 s4, s6, s4
	s_addc_u32 s3, 0, s3
	s_mul_hi_u32 s7, s93, s5
	s_mul_i32 s5, s93, s5
	s_add_u32 s4, s4, s5
	s_mul_hi_u32 s6, s93, s2
	s_addc_u32 s3, s3, s7
	s_addc_u32 s4, s6, 0
	s_mul_i32 s2, s93, s2
	s_add_u32 s2, s3, s2
	s_addc_u32 s3, 0, s4
	s_mul_hi_u32 s4, s87, s2
	s_mul_i32 s2, s87, s2
	s_mul_i32 s3, s87, s3
	v_mov_b32_e32 v3, s2
	s_add_i32 s4, s4, s3
	v_sub_co_u32_e32 v3, vcc, s12, v3
	s_cmp_lg_u64 vcc, 0
	s_subb_u32 s2, s93, s4
	v_subrev_co_u32_e32 v4, vcc, s87, v3
	s_cmp_lg_u64 vcc, 0
	s_subb_u32 s3, s2, 0
	v_subrev_co_u32_e32 v5, vcc, s87, v4
	s_cmp_lg_u64 vcc, 0
	s_subb_u32 s4, s3, 0
	v_cmp_le_u32_e32 vcc, s87, v4
	s_cmp_eq_u32 s3, 0
	v_cndmask_b32_e64 v6, 0, -1, vcc
	s_cselect_b64 vcc, -1, 0
	v_cndmask_b32_e32 v6, -1, v6, vcc
	v_mov_b32_e32 v7, s3
	v_mov_b32_e32 v8, s4
	v_cmp_ne_u32_e32 vcc, 0, v6
	v_cndmask_b32_e32 v6, v7, v8, vcc
	v_cndmask_b32_e32 v4, v4, v5, vcc
	v_cmp_le_u32_e32 vcc, s87, v3
	s_cmp_eq_u32 s2, 0
	v_cndmask_b32_e64 v5, 0, -1, vcc
	s_cselect_b64 vcc, -1, 0
	v_cndmask_b32_e32 v5, -1, v5, vcc
	v_mov_b32_e32 v7, s2
	v_cmp_ne_u32_e32 vcc, 0, v5
	v_cndmask_b32_e32 v5, v7, v6, vcc
	v_cndmask_b32_e32 v4, v3, v4, vcc
	s_cbranch_execnz .LBB159_352
.LBB159_351:                            ;   in Loop: Header=BB159_12 Depth=1
	v_cvt_f32_u32_e32 v3, s87
	s_sub_i32 s2, 0, s87
	v_rcp_iflag_f32_e32 v3, v3
	v_mul_f32_e32 v3, 0x4f7ffffe, v3
	v_cvt_u32_f32_e32 v3, v3
	v_mul_lo_u32 v4, s2, v3
	v_mul_hi_u32 v4, v3, v4
	v_add_u32_e32 v3, v3, v4
	v_readlane_b32 s2, v54, 35
	v_mul_hi_u32 v3, s2, v3
	v_mul_lo_u32 v3, v3, s87
	v_sub_u32_e32 v3, s2, v3
	v_subrev_u32_e32 v4, s87, v3
	v_cmp_le_u32_e32 vcc, s87, v3
	v_cndmask_b32_e32 v3, v3, v4, vcc
	v_subrev_u32_e32 v4, s87, v3
	v_cmp_le_u32_e32 vcc, s87, v3
	v_cndmask_b32_e32 v20, v3, v4, vcc
	v_pk_mov_b32 v[4:5], v[20:21], v[20:21] op_sel:[0,1]
.LBB159_352:                            ;   in Loop: Header=BB159_12 Depth=1
	v_readlane_b32 s2, v54, 35
	v_mov_b32_e32 v3, s93
	v_sub_co_u32_e32 v8, vcc, s2, v4
	v_subb_co_u32_e32 v9, vcc, v3, v5, vcc
	v_cmp_gt_u64_e32 vcc, v[8:9], v[0:1]
	s_mov_b64 s[6:7], 0
                                        ; implicit-def: $vgpr6_vgpr7
	s_and_saveexec_b64 s[2:3], vcc
	s_cbranch_execz .LBB159_361
; %bb.353:                              ;   in Loop: Header=BB159_12 Depth=1
	s_mov_b64 s[12:13], 0
	v_pk_mov_b32 v[10:11], v[0:1], v[0:1] op_sel:[0,1]
                                        ; implicit-def: $sgpr4_sgpr5
	s_branch .LBB159_355
.LBB159_354:                            ;   in Loop: Header=BB159_355 Depth=2
	s_or_b64 exec, exec, s[6:7]
	s_waitcnt lgkmcnt(0)
	s_barrier
	s_waitcnt vmcnt(0)
	ds_read_b128 v[4:7], v21 offset:3072
	v_mov_b32_e32 v3, s88
	v_add_co_u32_e32 v10, vcc, s87, v10
	v_addc_co_u32_e32 v11, vcc, v11, v3, vcc
	s_waitcnt lgkmcnt(0)
	v_readfirstlane_b32 s7, v5
	v_readfirstlane_b32 s6, v4
	s_cmp_lg_u64 s[6:7], 0
	s_cselect_b64 s[6:7], -1, 0
	v_cmp_ge_u64_e32 vcc, v[10:11], v[8:9]
	s_or_b64 s[40:41], vcc, s[6:7]
	s_and_b64 s[40:41], exec, s[40:41]
	s_or_b64 s[12:13], s[40:41], s[12:13]
	s_andn2_b64 s[4:5], s[4:5], exec
	s_and_b64 s[6:7], s[6:7], exec
	s_or_b64 s[4:5], s[4:5], s[6:7]
	s_barrier
	s_andn2_b64 exec, exec, s[12:13]
	s_cbranch_execz .LBB159_360
.LBB159_355:                            ;   Parent Loop BB159_12 Depth=1
                                        ; =>  This Inner Loop Header: Depth=2
	v_cmp_gt_u64_e32 vcc, s[60:61], v[10:11]
	v_pk_mov_b32 v[4:5], 0, 0
	s_and_saveexec_b64 s[40:41], vcc
	s_cbranch_execz .LBB159_357
; %bb.356:                              ;   in Loop: Header=BB159_355 Depth=2
	v_mul_lo_u32 v3, v11, s58
	v_mul_lo_u32 v6, v10, s59
	v_mad_u64_u32 v[4:5], s[6:7], v10, s58, 0
	v_add3_u32 v5, v5, v6, v3
	v_lshlrev_b64 v[4:5], 3, v[4:5]
	v_mov_b32_e32 v3, s86
	v_add_co_u32_e64 v4, s[6:7], s33, v4
	v_addc_co_u32_e64 v5, s[6:7], v3, v5, s[6:7]
	global_load_dwordx2 v[4:5], v[4:5], off
.LBB159_357:                            ;   in Loop: Header=BB159_355 Depth=2
	s_or_b64 exec, exec, s[40:41]
	s_and_saveexec_b64 s[6:7], vcc
	s_cbranch_execz .LBB159_354
; %bb.358:                              ;   in Loop: Header=BB159_355 Depth=2
	s_waitcnt vmcnt(0)
	v_xor_b32_e32 v3, 0x80000000, v5
	v_and_b32_e32 v7, v3, v25
	v_and_b32_e32 v6, v4, v24
	v_cmp_eq_u64_e32 vcc, v[6:7], v[26:27]
	s_and_b64 exec, exec, vcc
	s_cbranch_execz .LBB159_354
; %bb.359:                              ;   in Loop: Header=BB159_355 Depth=2
	v_mov_b32_e32 v3, v21
	ds_write_b128 v21, v[2:5] offset:3072
	s_branch .LBB159_354
.LBB159_360:                            ;   in Loop: Header=BB159_12 Depth=1
	s_or_b64 exec, exec, s[12:13]
	s_and_b64 s[6:7], s[4:5], exec
.LBB159_361:                            ;   in Loop: Header=BB159_12 Depth=1
	s_or_b64 exec, exec, s[2:3]
	s_mov_b64 s[44:45], 0
	s_mov_b64 s[40:41], -1
	s_mov_b64 s[46:47], 0
.LBB159_362:                            ;   in Loop: Header=BB159_12 Depth=1
	s_orn2_b64 s[2:3], s[6:7], exec
.LBB159_363:                            ;   in Loop: Header=BB159_12 Depth=1
	s_or_b64 exec, exec, s[10:11]
	s_mov_b64 s[6:7], 0
                                        ; implicit-def: $vgpr3
	s_and_saveexec_b64 s[48:49], s[2:3]
	s_cbranch_execz .LBB159_476
; %bb.364:                              ;   in Loop: Header=BB159_12 Depth=1
	v_mov_b32_e32 v8, 1
	s_xor_b64 s[4:5], s[8:9], -1
	s_mov_b64 s[10:11], 0
	v_mov_b32_e32 v9, 0
	v_mov_b32_e32 v3, 1
	s_and_saveexec_b64 s[2:3], s[4:5]
	s_cbranch_execz .LBB159_374
; %bb.365:                              ;   in Loop: Header=BB159_12 Depth=1
	v_cmp_ge_u64_e32 vcc, s[26:27], v[30:31]
                                        ; implicit-def: $sgpr8
                                        ; implicit-def: $sgpr4_sgpr5
	s_and_saveexec_b64 s[6:7], vcc
	s_xor_b64 s[6:7], exec, s[6:7]
	s_cbranch_execz .LBB159_371
; %bb.366:                              ;   in Loop: Header=BB159_12 Depth=1
	ds_read_b64 v[4:5], v21 offset:5120
	s_waitcnt lgkmcnt(0)
	v_cmp_ne_u64_e32 vcc, 0, v[4:5]
	s_cbranch_vccnz .LBB159_370
; %bb.367:                              ;   in Loop: Header=BB159_12 Depth=1
	s_mov_b64 s[4:5], exec
	v_readlane_b32 s8, v54, 12
	v_readlane_b32 s9, v54, 13
	s_and_b64 s[8:9], s[4:5], s[8:9]
	s_mov_b64 exec, s[8:9]
	s_cbranch_execz .LBB159_369
; %bb.368:                              ;   in Loop: Header=BB159_12 Depth=1
	v_pk_mov_b32 v[4:5], s[26:27], s[26:27] op_sel:[0,1]
	ds_write_b64 v21, v[4:5] offset:5128
.LBB159_369:                            ;   in Loop: Header=BB159_12 Depth=1
	s_or_b64 exec, exec, s[4:5]
	s_waitcnt lgkmcnt(0)
	s_barrier
.LBB159_370:                            ;   in Loop: Header=BB159_12 Depth=1
	s_lshl_b64 s[4:5], 2, s84
	v_and_b32_e32 v3, s21, v27
	v_and_b32_e32 v4, s20, v26
	v_or_b32_e32 v27, s5, v3
	v_or_b32_e32 v26, s4, v4
	;; [unrolled: 1-line block ×4, first 2 shown]
	s_mov_b64 s[4:5], 0
	s_mov_b32 s8, 5
.LBB159_371:                            ;   in Loop: Header=BB159_12 Depth=1
	s_or_saveexec_b64 s[6:7], s[6:7]
	v_mov_b32_e32 v3, s8
	s_xor_b64 exec, exec, s[6:7]
; %bb.372:                              ;   in Loop: Header=BB159_12 Depth=1
	v_mov_b32_e32 v3, s27
	v_subrev_co_u32_e32 v30, vcc, s26, v30
	v_subb_co_u32_e32 v31, vcc, v31, v3, vcc
	v_mov_b32_e32 v3, 0
	s_or_b64 s[4:5], s[4:5], exec
; %bb.373:                              ;   in Loop: Header=BB159_12 Depth=1
	s_or_b64 exec, exec, s[6:7]
	s_and_b64 s[10:11], s[4:5], exec
	v_pk_mov_b32 v[8:9], v[30:31], v[30:31] op_sel:[0,1]
.LBB159_374:                            ;   in Loop: Header=BB159_12 Depth=1
	s_or_b64 exec, exec, s[2:3]
	s_mov_b64 s[2:3], -1
                                        ; implicit-def: $sgpr4_sgpr5
                                        ; implicit-def: $sgpr6_sgpr7
                                        ; implicit-def: $sgpr8_sgpr9
	s_and_saveexec_b64 s[26:27], s[10:11]
	s_cbranch_execz .LBB159_475
; %bb.375:                              ;   in Loop: Header=BB159_12 Depth=1
	s_cmp_eq_u64 s[22:23], 1
	s_cselect_b64 s[2:3], -1, 0
	v_cmp_eq_u64_e32 vcc, 1, v[8:9]
	s_and_b64 s[54:55], s[2:3], vcc
	s_mov_b64 s[4:5], -1
                                        ; implicit-def: $sgpr8_sgpr9
                                        ; implicit-def: $sgpr50_sgpr51
                                        ; implicit-def: $sgpr10_sgpr11
	s_and_saveexec_b64 s[52:53], s[54:55]
	s_cbranch_execz .LBB159_409
; %bb.376:                              ;   in Loop: Header=BB159_12 Depth=1
	ds_read_b64 v[4:5], v21 offset:5120
	s_waitcnt lgkmcnt(0)
	s_barrier
	v_readfirstlane_b32 s2, v4
	v_readfirstlane_b32 s3, v5
	s_mov_b64 s[4:5], exec
	v_readlane_b32 s6, v54, 30
	v_readlane_b32 s7, v54, 31
	s_and_b64 s[6:7], s[4:5], s[6:7]
	s_mov_b64 exec, s[6:7]
	s_cbranch_execz .LBB159_378
; %bb.377:                              ;   in Loop: Header=BB159_12 Depth=1
	v_mov_b32_e32 v20, v21
	ds_write_b64 v40, v[20:21]
.LBB159_378:                            ;   in Loop: Header=BB159_12 Depth=1
	s_or_b64 exec, exec, s[4:5]
	s_lshl_b64 s[4:5], 1, s84
	v_and_b32_e32 v3, s21, v27
	v_and_b32_e32 v4, s20, v26
	v_or_b32_e32 v27, s5, v3
	v_or_b32_e32 v26, s4, v4
	;; [unrolled: 1-line block ×4, first 2 shown]
	s_cmp_eq_u64 s[2:3], 0
	s_waitcnt lgkmcnt(0)
	s_barrier
	s_cbranch_scc1 .LBB159_392
; %bb.379:                              ;   in Loop: Header=BB159_12 Depth=1
	v_readlane_b32 s4, v54, 34
	s_add_u32 s8, s4, s2
	v_readlane_b32 s4, v54, 36
	s_addc_u32 s5, s4, s3
	s_mov_b32 s4, s85
	s_cmp_lg_u64 s[4:5], 0
	s_cbranch_scc0 .LBB159_427
; %bb.380:                              ;   in Loop: Header=BB159_12 Depth=1
	v_cvt_f32_u32_e32 v3, s87
	s_sub_u32 s4, 0, s87
	s_subb_u32 s6, 0, 0
	v_mac_f32_e32 v3, 0, v43
	v_rcp_f32_e32 v3, v3
	v_mul_f32_e32 v3, 0x5f7ffffc, v3
	v_mul_f32_e32 v4, 0x2f800000, v3
	v_trunc_f32_e32 v4, v4
	v_mac_f32_e32 v3, 0xcf800000, v4
	v_cvt_u32_f32_e32 v4, v4
	v_cvt_u32_f32_e32 v3, v3
	v_readfirstlane_b32 s7, v4
	v_readfirstlane_b32 s9, v3
	s_mul_i32 s10, s4, s7
	s_mul_hi_u32 s12, s4, s9
	s_mul_i32 s11, s6, s9
	s_add_i32 s10, s12, s10
	s_mul_i32 s13, s4, s9
	s_add_i32 s10, s10, s11
	s_mul_hi_u32 s12, s9, s13
	s_mul_hi_u32 s11, s9, s10
	s_mul_i32 s9, s9, s10
	s_add_u32 s9, s12, s9
	s_addc_u32 s11, 0, s11
	s_mul_hi_u32 s50, s7, s13
	s_mul_i32 s13, s7, s13
	s_add_u32 s9, s9, s13
	s_mul_hi_u32 s12, s7, s10
	s_addc_u32 s9, s11, s50
	s_addc_u32 s11, s12, 0
	s_mul_i32 s10, s7, s10
	s_add_u32 s9, s9, s10
	s_addc_u32 s10, 0, s11
	v_add_co_u32_e32 v3, vcc, s9, v3
	s_cmp_lg_u64 vcc, 0
	s_addc_u32 s7, s7, s10
	v_readfirstlane_b32 s10, v3
	s_mul_i32 s9, s4, s7
	s_mul_hi_u32 s11, s4, s10
	s_add_i32 s9, s11, s9
	s_mul_i32 s6, s6, s10
	s_add_i32 s9, s9, s6
	s_mul_i32 s4, s4, s10
	s_mul_hi_u32 s11, s7, s4
	s_mul_i32 s12, s7, s4
	s_mul_i32 s50, s10, s9
	s_mul_hi_u32 s4, s10, s4
	s_mul_hi_u32 s13, s10, s9
	s_add_u32 s4, s4, s50
	s_addc_u32 s10, 0, s13
	s_add_u32 s4, s4, s12
	s_mul_hi_u32 s6, s7, s9
	s_addc_u32 s4, s10, s11
	s_addc_u32 s6, s6, 0
	s_mul_i32 s9, s7, s9
	s_add_u32 s4, s4, s9
	s_addc_u32 s6, 0, s6
	v_add_co_u32_e32 v3, vcc, s4, v3
	s_cmp_lg_u64 vcc, 0
	s_addc_u32 s4, s7, s6
	v_readfirstlane_b32 s9, v3
	s_mul_i32 s7, s8, s4
	s_mul_hi_u32 s10, s8, s9
	s_mul_hi_u32 s6, s8, s4
	s_add_u32 s7, s10, s7
	s_addc_u32 s6, 0, s6
	s_mul_hi_u32 s11, s5, s9
	s_mul_i32 s9, s5, s9
	s_add_u32 s7, s7, s9
	s_mul_hi_u32 s10, s5, s4
	s_addc_u32 s6, s6, s11
	s_addc_u32 s7, s10, 0
	s_mul_i32 s4, s5, s4
	s_add_u32 s4, s6, s4
	s_addc_u32 s6, 0, s7
	s_mul_hi_u32 s7, s87, s4
	s_mul_i32 s4, s87, s4
	s_mul_i32 s6, s87, s6
	v_mov_b32_e32 v3, s4
	s_add_i32 s7, s7, s6
	v_sub_co_u32_e32 v3, vcc, s8, v3
	s_cmp_lg_u64 vcc, 0
	s_subb_u32 s4, s5, s7
	v_subrev_co_u32_e32 v4, vcc, s87, v3
	s_cmp_lg_u64 vcc, 0
	s_subb_u32 s6, s4, 0
	v_subrev_co_u32_e32 v5, vcc, s87, v4
	s_cmp_lg_u64 vcc, 0
	s_subb_u32 s7, s6, 0
	v_cmp_le_u32_e32 vcc, s87, v4
	s_cmp_eq_u32 s6, 0
	v_cndmask_b32_e64 v6, 0, -1, vcc
	s_cselect_b64 vcc, -1, 0
	v_cndmask_b32_e32 v6, -1, v6, vcc
	v_mov_b32_e32 v7, s6
	v_mov_b32_e32 v10, s7
	v_cmp_ne_u32_e32 vcc, 0, v6
	v_cndmask_b32_e32 v6, v7, v10, vcc
	v_cndmask_b32_e32 v4, v4, v5, vcc
	v_cmp_le_u32_e32 vcc, s87, v3
	s_cmp_eq_u32 s4, 0
	v_cndmask_b32_e64 v5, 0, -1, vcc
	s_cselect_b64 vcc, -1, 0
	v_cndmask_b32_e32 v5, -1, v5, vcc
	v_mov_b32_e32 v7, s4
	v_cmp_ne_u32_e32 vcc, 0, v5
	v_cndmask_b32_e32 v5, v7, v6, vcc
	v_cndmask_b32_e32 v4, v3, v4, vcc
	s_cbranch_execnz .LBB159_382
.LBB159_381:                            ;   in Loop: Header=BB159_12 Depth=1
	v_cvt_f32_u32_e32 v3, s87
	s_sub_i32 s4, 0, s87
	v_rcp_iflag_f32_e32 v3, v3
	v_mul_f32_e32 v3, 0x4f7ffffe, v3
	v_cvt_u32_f32_e32 v3, v3
	v_mul_lo_u32 v4, s4, v3
	v_mul_hi_u32 v4, v3, v4
	v_add_u32_e32 v3, v3, v4
	v_mul_hi_u32 v3, s8, v3
	v_mul_lo_u32 v3, v3, s87
	v_sub_u32_e32 v3, s8, v3
	v_subrev_u32_e32 v4, s87, v3
	v_cmp_le_u32_e32 vcc, s87, v3
	v_cndmask_b32_e32 v3, v3, v4, vcc
	v_subrev_u32_e32 v4, s87, v3
	v_cmp_le_u32_e32 vcc, s87, v3
	v_cndmask_b32_e32 v20, v3, v4, vcc
	v_pk_mov_b32 v[4:5], v[20:21], v[20:21] op_sel:[0,1]
.LBB159_382:                            ;   in Loop: Header=BB159_12 Depth=1
	v_mov_b32_e32 v3, s5
	v_sub_co_u32_e32 v10, vcc, s8, v4
	v_subb_co_u32_e32 v11, vcc, v3, v5, vcc
	v_cmp_gt_u64_e32 vcc, v[10:11], v[0:1]
	s_mov_b64 s[6:7], 0
                                        ; implicit-def: $vgpr6_vgpr7
	s_and_saveexec_b64 s[4:5], vcc
	s_cbranch_execz .LBB159_394
; %bb.383:                              ;   in Loop: Header=BB159_12 Depth=1
	s_mov_b64 s[8:9], 0
	v_mov_b32_e32 v14, v39
	v_pk_mov_b32 v[12:13], v[0:1], v[0:1] op_sel:[0,1]
                                        ; implicit-def: $sgpr6_sgpr7
	s_branch .LBB159_385
.LBB159_384:                            ;   in Loop: Header=BB159_385 Depth=2
	s_or_b64 exec, exec, s[10:11]
	s_waitcnt lgkmcnt(0)
	s_barrier
	ds_read_b128 v[4:7], v21 offset:3072
	v_mov_b32_e32 v3, s88
	v_add_co_u32_e32 v12, vcc, s87, v12
	v_addc_co_u32_e32 v13, vcc, v13, v3, vcc
	s_waitcnt lgkmcnt(0)
	v_readfirstlane_b32 s11, v5
	v_readfirstlane_b32 s10, v4
	s_cmp_lg_u64 s[10:11], 0
	s_cselect_b64 s[10:11], -1, 0
	v_cmp_ge_u64_e32 vcc, v[12:13], v[10:11]
	s_or_b64 s[12:13], vcc, s[10:11]
	s_and_b64 s[12:13], exec, s[12:13]
	s_or_b64 s[8:9], s[12:13], s[8:9]
	s_andn2_b64 s[6:7], s[6:7], exec
	s_and_b64 s[10:11], s[10:11], exec
	v_add_u32_e32 v14, s95, v14
	s_or_b64 s[6:7], s[6:7], s[10:11]
	s_barrier
	s_andn2_b64 exec, exec, s[8:9]
	s_cbranch_execz .LBB159_393
.LBB159_385:                            ;   Parent Loop BB159_12 Depth=1
                                        ; =>  This Inner Loop Header: Depth=2
	v_cmp_gt_u64_e32 vcc, s[2:3], v[12:13]
	v_pk_mov_b32 v[4:5], 0, 0
	s_and_saveexec_b64 s[10:11], vcc
	s_cbranch_execz .LBB159_387
; %bb.386:                              ;   in Loop: Header=BB159_385 Depth=2
	ds_read_b64 v[4:5], v14
.LBB159_387:                            ;   in Loop: Header=BB159_385 Depth=2
	s_or_b64 exec, exec, s[10:11]
	s_and_saveexec_b64 s[10:11], vcc
	s_cbranch_execz .LBB159_384
; %bb.388:                              ;   in Loop: Header=BB159_385 Depth=2
	s_waitcnt lgkmcnt(0)
	v_xor_b32_e32 v3, 0x80000000, v5
	v_and_b32_e32 v7, v3, v25
	v_and_b32_e32 v6, v4, v24
	v_cmp_eq_u64_e32 vcc, v[6:7], v[26:27]
	s_and_b64 exec, exec, vcc
	s_cbranch_execz .LBB159_384
; %bb.389:                              ;   in Loop: Header=BB159_385 Depth=2
	v_mov_b32_e32 v3, v21
	ds_write_b128 v21, v[2:5] offset:3072
	s_branch .LBB159_384
.LBB159_390:                            ;   in Loop: Header=BB159_12 Depth=1
                                        ; implicit-def: $vgpr4_vgpr5
	s_branch .LBB159_335
.LBB159_391:                            ;   in Loop: Header=BB159_12 Depth=1
                                        ; implicit-def: $vgpr4_vgpr5
	s_branch .LBB159_351
.LBB159_392:                            ;   in Loop: Header=BB159_12 Depth=1
	s_mov_b64 s[8:9], -1
	s_mov_b64 s[6:7], 0
                                        ; implicit-def: $sgpr50_sgpr51
                                        ; implicit-def: $vgpr6_vgpr7
	s_mov_b64 s[10:11], s[8:9]
	s_cbranch_execnz .LBB159_395
	s_branch .LBB159_408
.LBB159_393:                            ;   in Loop: Header=BB159_12 Depth=1
	s_or_b64 exec, exec, s[8:9]
	s_and_b64 s[6:7], s[6:7], exec
.LBB159_394:                            ;   in Loop: Header=BB159_12 Depth=1
	s_or_b64 exec, exec, s[4:5]
	s_mov_b64 s[8:9], 0
	s_mov_b64 s[50:51], -1
	s_mov_b64 s[10:11], s[8:9]
	s_branch .LBB159_408
.LBB159_395:                            ;   in Loop: Header=BB159_12 Depth=1
	s_mov_b32 s92, s85
	s_cmp_lg_u64 s[92:93], 0
	s_cbranch_scc0 .LBB159_428
; %bb.396:                              ;   in Loop: Header=BB159_12 Depth=1
	v_cvt_f32_u32_e32 v3, s87
	s_sub_u32 s2, 0, s87
	s_subb_u32 s3, 0, 0
	v_mac_f32_e32 v3, 0, v43
	v_rcp_f32_e32 v3, v3
	v_mul_f32_e32 v3, 0x5f7ffffc, v3
	v_mul_f32_e32 v4, 0x2f800000, v3
	v_trunc_f32_e32 v4, v4
	v_mac_f32_e32 v3, 0xcf800000, v4
	v_cvt_u32_f32_e32 v4, v4
	v_cvt_u32_f32_e32 v3, v3
	v_readfirstlane_b32 s4, v4
	v_readfirstlane_b32 s5, v3
	s_mul_i32 s6, s2, s4
	s_mul_hi_u32 s8, s2, s5
	s_mul_i32 s7, s3, s5
	s_add_i32 s6, s8, s6
	s_mul_i32 s9, s2, s5
	s_add_i32 s6, s6, s7
	s_mul_hi_u32 s8, s5, s9
	s_mul_hi_u32 s7, s5, s6
	s_mul_i32 s5, s5, s6
	s_add_u32 s5, s8, s5
	s_addc_u32 s7, 0, s7
	s_mul_hi_u32 s10, s4, s9
	s_mul_i32 s9, s4, s9
	s_add_u32 s5, s5, s9
	s_mul_hi_u32 s8, s4, s6
	s_addc_u32 s5, s7, s10
	s_addc_u32 s7, s8, 0
	s_mul_i32 s6, s4, s6
	s_add_u32 s5, s5, s6
	s_addc_u32 s6, 0, s7
	v_add_co_u32_e32 v3, vcc, s5, v3
	s_cmp_lg_u64 vcc, 0
	s_addc_u32 s4, s4, s6
	v_readfirstlane_b32 s6, v3
	s_mul_i32 s5, s2, s4
	s_mul_hi_u32 s7, s2, s6
	s_add_i32 s5, s7, s5
	s_mul_i32 s3, s3, s6
	s_add_i32 s5, s5, s3
	s_mul_i32 s2, s2, s6
	s_mul_hi_u32 s7, s4, s2
	s_mul_i32 s8, s4, s2
	s_mul_i32 s10, s6, s5
	s_mul_hi_u32 s2, s6, s2
	s_mul_hi_u32 s9, s6, s5
	s_add_u32 s2, s2, s10
	s_addc_u32 s6, 0, s9
	s_add_u32 s2, s2, s8
	s_mul_hi_u32 s3, s4, s5
	s_addc_u32 s2, s6, s7
	s_addc_u32 s3, s3, 0
	s_mul_i32 s5, s4, s5
	s_add_u32 s2, s2, s5
	s_addc_u32 s3, 0, s3
	v_add_co_u32_e32 v3, vcc, s2, v3
	s_cmp_lg_u64 vcc, 0
	s_addc_u32 s2, s4, s3
	v_readlane_b32 s8, v54, 35
	v_readfirstlane_b32 s5, v3
	s_mul_i32 s4, s8, s2
	s_mul_hi_u32 s6, s8, s5
	s_mul_hi_u32 s3, s8, s2
	s_add_u32 s4, s6, s4
	s_addc_u32 s3, 0, s3
	s_mul_hi_u32 s7, s93, s5
	s_mul_i32 s5, s93, s5
	s_add_u32 s4, s4, s5
	s_mul_hi_u32 s6, s93, s2
	s_addc_u32 s3, s3, s7
	s_addc_u32 s4, s6, 0
	s_mul_i32 s2, s93, s2
	s_add_u32 s2, s3, s2
	s_addc_u32 s3, 0, s4
	s_mul_hi_u32 s4, s87, s2
	s_mul_i32 s2, s87, s2
	s_mul_i32 s3, s87, s3
	v_mov_b32_e32 v3, s2
	s_add_i32 s4, s4, s3
	v_sub_co_u32_e32 v3, vcc, s8, v3
	s_cmp_lg_u64 vcc, 0
	s_subb_u32 s2, s93, s4
	v_subrev_co_u32_e32 v4, vcc, s87, v3
	s_cmp_lg_u64 vcc, 0
	s_subb_u32 s3, s2, 0
	v_subrev_co_u32_e32 v5, vcc, s87, v4
	s_cmp_lg_u64 vcc, 0
	s_subb_u32 s4, s3, 0
	v_cmp_le_u32_e32 vcc, s87, v4
	s_cmp_eq_u32 s3, 0
	v_cndmask_b32_e64 v6, 0, -1, vcc
	s_cselect_b64 vcc, -1, 0
	v_cndmask_b32_e32 v6, -1, v6, vcc
	v_mov_b32_e32 v7, s3
	v_mov_b32_e32 v10, s4
	v_cmp_ne_u32_e32 vcc, 0, v6
	v_cndmask_b32_e32 v6, v7, v10, vcc
	v_cndmask_b32_e32 v4, v4, v5, vcc
	v_cmp_le_u32_e32 vcc, s87, v3
	s_cmp_eq_u32 s2, 0
	v_cndmask_b32_e64 v5, 0, -1, vcc
	s_cselect_b64 vcc, -1, 0
	v_cndmask_b32_e32 v5, -1, v5, vcc
	v_mov_b32_e32 v7, s2
	v_cmp_ne_u32_e32 vcc, 0, v5
	v_cndmask_b32_e32 v5, v7, v6, vcc
	v_cndmask_b32_e32 v4, v3, v4, vcc
	s_cbranch_execnz .LBB159_398
.LBB159_397:                            ;   in Loop: Header=BB159_12 Depth=1
	v_cvt_f32_u32_e32 v3, s87
	s_sub_i32 s2, 0, s87
	v_rcp_iflag_f32_e32 v3, v3
	v_mul_f32_e32 v3, 0x4f7ffffe, v3
	v_cvt_u32_f32_e32 v3, v3
	v_mul_lo_u32 v4, s2, v3
	v_mul_hi_u32 v4, v3, v4
	v_add_u32_e32 v3, v3, v4
	v_readlane_b32 s2, v54, 35
	v_mul_hi_u32 v3, s2, v3
	v_mul_lo_u32 v3, v3, s87
	v_sub_u32_e32 v3, s2, v3
	v_subrev_u32_e32 v4, s87, v3
	v_cmp_le_u32_e32 vcc, s87, v3
	v_cndmask_b32_e32 v3, v3, v4, vcc
	v_subrev_u32_e32 v4, s87, v3
	v_cmp_le_u32_e32 vcc, s87, v3
	v_cndmask_b32_e32 v20, v3, v4, vcc
	v_pk_mov_b32 v[4:5], v[20:21], v[20:21] op_sel:[0,1]
.LBB159_398:                            ;   in Loop: Header=BB159_12 Depth=1
	v_readlane_b32 s2, v54, 35
	v_mov_b32_e32 v3, s93
	v_sub_co_u32_e32 v10, vcc, s2, v4
	v_subb_co_u32_e32 v11, vcc, v3, v5, vcc
	v_cmp_gt_u64_e32 vcc, v[10:11], v[0:1]
	s_mov_b64 s[6:7], 0
                                        ; implicit-def: $vgpr6_vgpr7
	s_and_saveexec_b64 s[2:3], vcc
	s_cbranch_execz .LBB159_407
; %bb.399:                              ;   in Loop: Header=BB159_12 Depth=1
	s_mov_b64 s[8:9], 0
	v_pk_mov_b32 v[12:13], v[0:1], v[0:1] op_sel:[0,1]
                                        ; implicit-def: $sgpr4_sgpr5
	s_branch .LBB159_401
.LBB159_400:                            ;   in Loop: Header=BB159_401 Depth=2
	s_or_b64 exec, exec, s[6:7]
	s_waitcnt lgkmcnt(0)
	s_barrier
	s_waitcnt vmcnt(0)
	ds_read_b128 v[4:7], v21 offset:3072
	v_mov_b32_e32 v3, s88
	v_add_co_u32_e32 v12, vcc, s87, v12
	v_addc_co_u32_e32 v13, vcc, v13, v3, vcc
	s_waitcnt lgkmcnt(0)
	v_readfirstlane_b32 s7, v5
	v_readfirstlane_b32 s6, v4
	s_cmp_lg_u64 s[6:7], 0
	s_cselect_b64 s[6:7], -1, 0
	v_cmp_ge_u64_e32 vcc, v[12:13], v[10:11]
	s_or_b64 s[10:11], vcc, s[6:7]
	s_and_b64 s[10:11], exec, s[10:11]
	s_or_b64 s[8:9], s[10:11], s[8:9]
	s_andn2_b64 s[4:5], s[4:5], exec
	s_and_b64 s[6:7], s[6:7], exec
	s_or_b64 s[4:5], s[4:5], s[6:7]
	s_barrier
	s_andn2_b64 exec, exec, s[8:9]
	s_cbranch_execz .LBB159_406
.LBB159_401:                            ;   Parent Loop BB159_12 Depth=1
                                        ; =>  This Inner Loop Header: Depth=2
	v_cmp_gt_u64_e32 vcc, s[60:61], v[12:13]
	v_pk_mov_b32 v[4:5], 0, 0
	s_and_saveexec_b64 s[10:11], vcc
	s_cbranch_execz .LBB159_403
; %bb.402:                              ;   in Loop: Header=BB159_401 Depth=2
	v_mul_lo_u32 v3, v13, s58
	v_mul_lo_u32 v6, v12, s59
	v_mad_u64_u32 v[4:5], s[6:7], v12, s58, 0
	v_add3_u32 v5, v5, v6, v3
	v_lshlrev_b64 v[4:5], 3, v[4:5]
	v_mov_b32_e32 v3, s86
	v_add_co_u32_e64 v4, s[6:7], s33, v4
	v_addc_co_u32_e64 v5, s[6:7], v3, v5, s[6:7]
	global_load_dwordx2 v[4:5], v[4:5], off
.LBB159_403:                            ;   in Loop: Header=BB159_401 Depth=2
	s_or_b64 exec, exec, s[10:11]
	s_and_saveexec_b64 s[6:7], vcc
	s_cbranch_execz .LBB159_400
; %bb.404:                              ;   in Loop: Header=BB159_401 Depth=2
	s_waitcnt vmcnt(0)
	v_xor_b32_e32 v3, 0x80000000, v5
	v_and_b32_e32 v7, v3, v25
	v_and_b32_e32 v6, v4, v24
	v_cmp_eq_u64_e32 vcc, v[6:7], v[26:27]
	s_and_b64 exec, exec, vcc
	s_cbranch_execz .LBB159_400
; %bb.405:                              ;   in Loop: Header=BB159_401 Depth=2
	v_mov_b32_e32 v3, v21
	ds_write_b128 v21, v[2:5] offset:3072
	s_branch .LBB159_400
.LBB159_406:                            ;   in Loop: Header=BB159_12 Depth=1
	s_or_b64 exec, exec, s[8:9]
	s_and_b64 s[6:7], s[4:5], exec
.LBB159_407:                            ;   in Loop: Header=BB159_12 Depth=1
	s_or_b64 exec, exec, s[2:3]
	s_mov_b64 s[50:51], 0
	s_mov_b64 s[8:9], -1
	s_mov_b64 s[10:11], 0
.LBB159_408:                            ;   in Loop: Header=BB159_12 Depth=1
	s_orn2_b64 s[4:5], s[6:7], exec
.LBB159_409:                            ;   in Loop: Header=BB159_12 Depth=1
	s_or_b64 exec, exec, s[52:53]
	s_mov_b64 s[2:3], 0
                                        ; implicit-def: $vgpr3
	s_and_saveexec_b64 s[52:53], s[4:5]
	s_cbranch_execz .LBB159_474
; %bb.410:                              ;   in Loop: Header=BB159_12 Depth=1
	v_mov_b32_e32 v10, 1
	s_xor_b64 s[4:5], s[54:55], -1
	s_mov_b64 s[54:55], 0
	v_mov_b32_e32 v11, 0
	v_mov_b32_e32 v3, 1
	s_and_saveexec_b64 s[2:3], s[4:5]
	s_cbranch_execz .LBB159_420
; %bb.411:                              ;   in Loop: Header=BB159_12 Depth=1
	v_cmp_ge_u64_e32 vcc, s[22:23], v[8:9]
                                        ; implicit-def: $sgpr12
                                        ; implicit-def: $sgpr4_sgpr5
	s_and_saveexec_b64 s[6:7], vcc
	s_xor_b64 s[6:7], exec, s[6:7]
	s_cbranch_execz .LBB159_417
; %bb.412:                              ;   in Loop: Header=BB159_12 Depth=1
	ds_read_b64 v[4:5], v21 offset:5120
	s_waitcnt lgkmcnt(0)
	v_cmp_ne_u64_e32 vcc, 0, v[4:5]
	s_cbranch_vccnz .LBB159_416
; %bb.413:                              ;   in Loop: Header=BB159_12 Depth=1
	s_mov_b64 s[4:5], exec
	v_readlane_b32 s12, v54, 12
	v_readlane_b32 s13, v54, 13
	s_and_b64 s[12:13], s[4:5], s[12:13]
	s_mov_b64 exec, s[12:13]
	s_cbranch_execz .LBB159_415
; %bb.414:                              ;   in Loop: Header=BB159_12 Depth=1
	v_pk_mov_b32 v[4:5], s[22:23], s[22:23] op_sel:[0,1]
	ds_write_b64 v21, v[4:5] offset:5128
.LBB159_415:                            ;   in Loop: Header=BB159_12 Depth=1
	s_or_b64 exec, exec, s[4:5]
	s_waitcnt lgkmcnt(0)
	s_barrier
.LBB159_416:                            ;   in Loop: Header=BB159_12 Depth=1
	s_lshl_b64 s[4:5], 1, s84
	v_and_b32_e32 v3, s21, v27
	v_and_b32_e32 v4, s20, v26
	v_or_b32_e32 v27, s5, v3
	v_or_b32_e32 v26, s4, v4
	;; [unrolled: 1-line block ×4, first 2 shown]
	s_mov_b64 s[4:5], 0
	s_mov_b32 s12, 5
.LBB159_417:                            ;   in Loop: Header=BB159_12 Depth=1
	s_or_saveexec_b64 s[6:7], s[6:7]
	v_mov_b32_e32 v3, s12
	s_xor_b64 exec, exec, s[6:7]
; %bb.418:                              ;   in Loop: Header=BB159_12 Depth=1
	v_mov_b32_e32 v3, s23
	v_subrev_co_u32_e32 v8, vcc, s22, v8
	v_subb_co_u32_e32 v9, vcc, v9, v3, vcc
	v_mov_b32_e32 v3, 0
	s_or_b64 s[4:5], s[4:5], exec
; %bb.419:                              ;   in Loop: Header=BB159_12 Depth=1
	s_or_b64 exec, exec, s[6:7]
	s_and_b64 s[54:55], s[4:5], exec
	v_pk_mov_b32 v[10:11], v[8:9], v[8:9] op_sel:[0,1]
.LBB159_420:                            ;   in Loop: Header=BB159_12 Depth=1
	s_or_b64 exec, exec, s[2:3]
	s_mov_b64 s[12:13], -1
                                        ; implicit-def: $sgpr2_sgpr3
                                        ; implicit-def: $sgpr4_sgpr5
                                        ; implicit-def: $sgpr6_sgpr7
	s_and_saveexec_b64 s[22:23], s[54:55]
	s_cbranch_execz .LBB159_473
; %bb.421:                              ;   in Loop: Header=BB159_12 Depth=1
	s_cmp_eq_u64 s[16:17], 1
	s_cselect_b64 s[2:3], -1, 0
	v_cmp_eq_u64_e32 vcc, 1, v[10:11]
	s_and_b64 s[54:55], s[2:3], vcc
	s_mov_b64 s[90:91], -1
                                        ; implicit-def: $sgpr2_sgpr3
                                        ; implicit-def: $sgpr4_sgpr5
                                        ; implicit-def: $sgpr6_sgpr7
	s_and_saveexec_b64 s[56:57], s[54:55]
	s_cbranch_execz .LBB159_460
; %bb.422:                              ;   in Loop: Header=BB159_12 Depth=1
	ds_read_b64 v[4:5], v21 offset:5120
	s_waitcnt lgkmcnt(0)
	s_barrier
	v_readfirstlane_b32 s2, v4
	v_readfirstlane_b32 s3, v5
	s_mov_b64 s[4:5], exec
	v_readlane_b32 s6, v54, 30
	v_readlane_b32 s7, v54, 31
	s_and_b64 s[6:7], s[4:5], s[6:7]
	s_mov_b64 exec, s[6:7]
	s_cbranch_execz .LBB159_424
; %bb.423:                              ;   in Loop: Header=BB159_12 Depth=1
	v_mov_b32_e32 v20, v21
	ds_write_b64 v40, v[20:21]
.LBB159_424:                            ;   in Loop: Header=BB159_12 Depth=1
	s_or_b64 exec, exec, s[4:5]
	v_and_b32_e32 v27, s21, v27
	v_and_b32_e32 v26, s20, v26
	v_or_b32_e32 v25, s19, v25
	v_or_b32_e32 v24, s18, v24
	s_cmp_eq_u64 s[2:3], 0
	v_writelane_b32 v54, s54, 51
	s_waitcnt lgkmcnt(0)
	s_barrier
	v_writelane_b32 v54, s55, 52
	s_cbranch_scc1 .LBB159_429
; %bb.425:                              ;   in Loop: Header=BB159_12 Depth=1
	v_readlane_b32 s4, v54, 34
	s_add_u32 s12, s4, s2
	v_readlane_b32 s4, v54, 36
	s_addc_u32 s5, s4, s3
	s_mov_b32 s4, s85
	s_cmp_lg_u64 s[4:5], 0
	s_cbranch_scc0 .LBB159_430
; %bb.426:                              ;   in Loop: Header=BB159_12 Depth=1
	v_cvt_f32_u32_e32 v3, s87
	s_sub_u32 s4, 0, s87
	s_subb_u32 s6, 0, 0
	v_mac_f32_e32 v3, 0, v43
	v_rcp_f32_e32 v3, v3
	v_mul_f32_e32 v3, 0x5f7ffffc, v3
	v_mul_f32_e32 v4, 0x2f800000, v3
	v_trunc_f32_e32 v4, v4
	v_mac_f32_e32 v3, 0xcf800000, v4
	v_cvt_u32_f32_e32 v4, v4
	v_cvt_u32_f32_e32 v3, v3
	v_readfirstlane_b32 s7, v4
	v_readfirstlane_b32 s13, v3
	s_mul_i32 s54, s4, s7
	s_mul_hi_u32 s84, s4, s13
	s_mul_i32 s55, s6, s13
	s_add_i32 s54, s84, s54
	s_mul_i32 s90, s4, s13
	s_add_i32 s54, s54, s55
	s_mul_hi_u32 s84, s13, s90
	s_mul_hi_u32 s55, s13, s54
	s_mul_i32 s13, s13, s54
	s_add_u32 s13, s84, s13
	s_addc_u32 s55, 0, s55
	s_mul_hi_u32 s91, s7, s90
	s_mul_i32 s90, s7, s90
	s_add_u32 s13, s13, s90
	s_mul_hi_u32 s84, s7, s54
	s_addc_u32 s13, s55, s91
	s_addc_u32 s55, s84, 0
	s_mul_i32 s54, s7, s54
	s_add_u32 s13, s13, s54
	s_addc_u32 s54, 0, s55
	v_add_co_u32_e32 v3, vcc, s13, v3
	s_cmp_lg_u64 vcc, 0
	s_addc_u32 s7, s7, s54
	v_readfirstlane_b32 s54, v3
	s_mul_i32 s13, s4, s7
	s_mul_hi_u32 s55, s4, s54
	s_add_i32 s13, s55, s13
	s_mul_i32 s6, s6, s54
	s_add_i32 s13, s13, s6
	s_mul_i32 s4, s4, s54
	s_mul_hi_u32 s55, s7, s4
	s_mul_i32 s84, s7, s4
	s_mul_i32 s91, s54, s13
	s_mul_hi_u32 s4, s54, s4
	s_mul_hi_u32 s90, s54, s13
	s_add_u32 s4, s4, s91
	s_addc_u32 s54, 0, s90
	s_add_u32 s4, s4, s84
	s_mul_hi_u32 s6, s7, s13
	s_addc_u32 s4, s54, s55
	s_addc_u32 s6, s6, 0
	s_mul_i32 s13, s7, s13
	s_add_u32 s4, s4, s13
	s_addc_u32 s6, 0, s6
	v_add_co_u32_e32 v3, vcc, s4, v3
	s_cmp_lg_u64 vcc, 0
	s_addc_u32 s4, s7, s6
	v_readfirstlane_b32 s13, v3
	s_mul_i32 s7, s12, s4
	s_mul_hi_u32 s54, s12, s13
	s_mul_hi_u32 s6, s12, s4
	s_add_u32 s7, s54, s7
	s_addc_u32 s6, 0, s6
	s_mul_hi_u32 s55, s5, s13
	s_mul_i32 s13, s5, s13
	s_add_u32 s7, s7, s13
	s_mul_hi_u32 s54, s5, s4
	s_addc_u32 s6, s6, s55
	s_addc_u32 s7, s54, 0
	s_mul_i32 s4, s5, s4
	s_add_u32 s4, s6, s4
	s_addc_u32 s6, 0, s7
	s_mul_hi_u32 s7, s87, s4
	s_mul_i32 s4, s87, s4
	s_mul_i32 s6, s87, s6
	v_mov_b32_e32 v3, s4
	s_add_i32 s7, s7, s6
	v_sub_co_u32_e32 v3, vcc, s12, v3
	s_cmp_lg_u64 vcc, 0
	s_subb_u32 s4, s5, s7
	v_subrev_co_u32_e32 v4, vcc, s87, v3
	s_cmp_lg_u64 vcc, 0
	s_subb_u32 s6, s4, 0
	v_subrev_co_u32_e32 v5, vcc, s87, v4
	s_cmp_lg_u64 vcc, 0
	s_subb_u32 s7, s6, 0
	v_cmp_le_u32_e32 vcc, s87, v4
	s_cmp_eq_u32 s6, 0
	v_cndmask_b32_e64 v6, 0, -1, vcc
	s_cselect_b64 vcc, -1, 0
	v_cndmask_b32_e32 v6, -1, v6, vcc
	v_mov_b32_e32 v7, s6
	v_mov_b32_e32 v8, s7
	v_cmp_ne_u32_e32 vcc, 0, v6
	v_cndmask_b32_e32 v6, v7, v8, vcc
	v_cndmask_b32_e32 v4, v4, v5, vcc
	v_cmp_le_u32_e32 vcc, s87, v3
	s_cmp_eq_u32 s4, 0
	v_cndmask_b32_e64 v5, 0, -1, vcc
	s_cselect_b64 vcc, -1, 0
	v_cndmask_b32_e32 v5, -1, v5, vcc
	v_mov_b32_e32 v7, s4
	v_cmp_ne_u32_e32 vcc, 0, v5
	v_cndmask_b32_e32 v5, v7, v6, vcc
	v_cndmask_b32_e32 v4, v3, v4, vcc
	s_mov_b64 s[6:7], 0
	s_branch .LBB159_431
.LBB159_427:                            ;   in Loop: Header=BB159_12 Depth=1
                                        ; implicit-def: $vgpr4_vgpr5
	s_branch .LBB159_381
.LBB159_428:                            ;   in Loop: Header=BB159_12 Depth=1
                                        ; implicit-def: $vgpr4_vgpr5
	s_branch .LBB159_397
.LBB159_429:                            ;   in Loop: Header=BB159_12 Depth=1
	s_mov_b64 s[2:3], -1
	s_mov_b64 s[12:13], 0
                                        ; implicit-def: $sgpr4_sgpr5
                                        ; implicit-def: $vgpr6_vgpr7
	s_branch .LBB159_443
.LBB159_430:                            ;   in Loop: Header=BB159_12 Depth=1
	s_mov_b64 s[6:7], -1
                                        ; implicit-def: $vgpr4_vgpr5
.LBB159_431:                            ;   in Loop: Header=BB159_12 Depth=1
	s_andn2_b64 vcc, exec, s[6:7]
	s_cbranch_vccnz .LBB159_433
; %bb.432:                              ;   in Loop: Header=BB159_12 Depth=1
	v_cvt_f32_u32_e32 v3, s87
	s_sub_i32 s4, 0, s87
	v_rcp_iflag_f32_e32 v3, v3
	v_mul_f32_e32 v3, 0x4f7ffffe, v3
	v_cvt_u32_f32_e32 v3, v3
	v_mul_lo_u32 v4, s4, v3
	v_mul_hi_u32 v4, v3, v4
	v_add_u32_e32 v3, v3, v4
	v_mul_hi_u32 v3, s12, v3
	v_mul_lo_u32 v3, v3, s87
	v_sub_u32_e32 v3, s12, v3
	v_subrev_u32_e32 v4, s87, v3
	v_cmp_le_u32_e32 vcc, s87, v3
	v_cndmask_b32_e32 v3, v3, v4, vcc
	v_subrev_u32_e32 v4, s87, v3
	v_cmp_le_u32_e32 vcc, s87, v3
	v_cndmask_b32_e32 v20, v3, v4, vcc
	v_pk_mov_b32 v[4:5], v[20:21], v[20:21] op_sel:[0,1]
.LBB159_433:                            ;   in Loop: Header=BB159_12 Depth=1
	v_mov_b32_e32 v3, s5
	v_sub_co_u32_e32 v8, vcc, s12, v4
	v_subb_co_u32_e32 v9, vcc, v3, v5, vcc
	v_cmp_gt_u64_e32 vcc, v[8:9], v[0:1]
	s_mov_b64 s[12:13], 0
                                        ; implicit-def: $vgpr6_vgpr7
	s_and_saveexec_b64 s[4:5], vcc
	s_cbranch_execz .LBB159_442
; %bb.434:                              ;   in Loop: Header=BB159_12 Depth=1
	v_mov_b32_e32 v14, v39
	v_pk_mov_b32 v[12:13], v[0:1], v[0:1] op_sel:[0,1]
                                        ; implicit-def: $sgpr6_sgpr7
	s_branch .LBB159_436
.LBB159_435:                            ;   in Loop: Header=BB159_436 Depth=2
	s_or_b64 exec, exec, s[90:91]
	s_waitcnt lgkmcnt(0)
	s_barrier
	ds_read_b128 v[4:7], v21 offset:3072
	v_mov_b32_e32 v3, s88
	v_add_co_u32_e32 v12, vcc, s87, v12
	v_addc_co_u32_e32 v13, vcc, v13, v3, vcc
	s_waitcnt lgkmcnt(0)
	v_readfirstlane_b32 s55, v5
	v_readfirstlane_b32 s54, v4
	s_cmp_lg_u64 s[54:55], 0
	s_cselect_b64 s[54:55], -1, 0
	v_cmp_ge_u64_e32 vcc, v[12:13], v[8:9]
	s_or_b64 s[90:91], vcc, s[54:55]
	s_and_b64 s[90:91], exec, s[90:91]
	s_or_b64 s[12:13], s[90:91], s[12:13]
	s_andn2_b64 s[6:7], s[6:7], exec
	s_and_b64 s[54:55], s[54:55], exec
	v_add_u32_e32 v14, s95, v14
	s_or_b64 s[6:7], s[6:7], s[54:55]
	s_barrier
	s_andn2_b64 exec, exec, s[12:13]
	s_cbranch_execz .LBB159_441
.LBB159_436:                            ;   Parent Loop BB159_12 Depth=1
                                        ; =>  This Inner Loop Header: Depth=2
	v_cmp_gt_u64_e32 vcc, s[2:3], v[12:13]
	v_pk_mov_b32 v[4:5], 0, 0
	s_and_saveexec_b64 s[90:91], vcc
	s_cbranch_execz .LBB159_438
; %bb.437:                              ;   in Loop: Header=BB159_436 Depth=2
	ds_read_b64 v[4:5], v14
.LBB159_438:                            ;   in Loop: Header=BB159_436 Depth=2
	s_or_b64 exec, exec, s[90:91]
	s_and_saveexec_b64 s[90:91], vcc
	s_cbranch_execz .LBB159_435
; %bb.439:                              ;   in Loop: Header=BB159_436 Depth=2
	s_waitcnt lgkmcnt(0)
	v_xor_b32_e32 v3, 0x80000000, v5
	v_and_b32_e32 v7, v3, v25
	v_and_b32_e32 v6, v4, v24
	v_cmp_eq_u64_e32 vcc, v[6:7], v[26:27]
	s_and_b64 exec, exec, vcc
	s_cbranch_execz .LBB159_435
; %bb.440:                              ;   in Loop: Header=BB159_436 Depth=2
	v_mov_b32_e32 v3, v21
	ds_write_b128 v21, v[2:5] offset:3072
	s_branch .LBB159_435
.LBB159_441:                            ;   in Loop: Header=BB159_12 Depth=1
	s_or_b64 exec, exec, s[12:13]
	s_and_b64 s[12:13], s[6:7], exec
.LBB159_442:                            ;   in Loop: Header=BB159_12 Depth=1
	s_or_b64 exec, exec, s[4:5]
	s_mov_b64 s[2:3], 0
	s_mov_b64 s[4:5], -1
.LBB159_443:                            ;   in Loop: Header=BB159_12 Depth=1
	s_and_b64 vcc, exec, s[2:3]
	s_mov_b64 s[6:7], s[2:3]
	s_cbranch_vccz .LBB159_459
; %bb.444:                              ;   in Loop: Header=BB159_12 Depth=1
	s_mov_b32 s92, s85
	s_cmp_lg_u64 s[92:93], 0
	s_cbranch_scc0 .LBB159_446
; %bb.445:                              ;   in Loop: Header=BB159_12 Depth=1
	v_cvt_f32_u32_e32 v3, s87
	s_sub_u32 s2, 0, s87
	s_subb_u32 s3, 0, 0
	v_mac_f32_e32 v3, 0, v43
	v_rcp_f32_e32 v3, v3
	v_mul_f32_e32 v3, 0x5f7ffffc, v3
	v_mul_f32_e32 v4, 0x2f800000, v3
	v_trunc_f32_e32 v4, v4
	v_mac_f32_e32 v3, 0xcf800000, v4
	v_cvt_u32_f32_e32 v4, v4
	v_cvt_u32_f32_e32 v3, v3
	v_readfirstlane_b32 s4, v4
	v_readfirstlane_b32 s5, v3
	s_mul_i32 s6, s2, s4
	s_mul_hi_u32 s12, s2, s5
	s_mul_i32 s7, s3, s5
	s_add_i32 s6, s12, s6
	s_mul_i32 s13, s2, s5
	s_add_i32 s6, s6, s7
	s_mul_hi_u32 s12, s5, s13
	s_mul_hi_u32 s7, s5, s6
	s_mul_i32 s5, s5, s6
	s_add_u32 s5, s12, s5
	s_addc_u32 s7, 0, s7
	s_mul_hi_u32 s54, s4, s13
	s_mul_i32 s13, s4, s13
	s_add_u32 s5, s5, s13
	s_mul_hi_u32 s12, s4, s6
	s_addc_u32 s5, s7, s54
	s_addc_u32 s7, s12, 0
	s_mul_i32 s6, s4, s6
	s_add_u32 s5, s5, s6
	s_addc_u32 s6, 0, s7
	v_add_co_u32_e32 v3, vcc, s5, v3
	s_cmp_lg_u64 vcc, 0
	s_addc_u32 s4, s4, s6
	v_readfirstlane_b32 s6, v3
	s_mul_i32 s5, s2, s4
	s_mul_hi_u32 s7, s2, s6
	s_add_i32 s5, s7, s5
	s_mul_i32 s3, s3, s6
	s_add_i32 s5, s5, s3
	s_mul_i32 s2, s2, s6
	s_mul_hi_u32 s7, s4, s2
	s_mul_i32 s12, s4, s2
	s_mul_i32 s54, s6, s5
	s_mul_hi_u32 s2, s6, s2
	s_mul_hi_u32 s13, s6, s5
	s_add_u32 s2, s2, s54
	s_addc_u32 s6, 0, s13
	s_add_u32 s2, s2, s12
	s_mul_hi_u32 s3, s4, s5
	s_addc_u32 s2, s6, s7
	s_addc_u32 s3, s3, 0
	s_mul_i32 s5, s4, s5
	s_add_u32 s2, s2, s5
	s_addc_u32 s3, 0, s3
	v_add_co_u32_e32 v3, vcc, s2, v3
	s_cmp_lg_u64 vcc, 0
	s_addc_u32 s2, s4, s3
	v_readlane_b32 s12, v54, 35
	v_readfirstlane_b32 s5, v3
	s_mul_i32 s4, s12, s2
	s_mul_hi_u32 s6, s12, s5
	s_mul_hi_u32 s3, s12, s2
	s_add_u32 s4, s6, s4
	s_addc_u32 s3, 0, s3
	s_mul_hi_u32 s7, s93, s5
	s_mul_i32 s5, s93, s5
	s_add_u32 s4, s4, s5
	s_mul_hi_u32 s6, s93, s2
	s_addc_u32 s3, s3, s7
	s_addc_u32 s4, s6, 0
	s_mul_i32 s2, s93, s2
	s_add_u32 s2, s3, s2
	s_addc_u32 s3, 0, s4
	s_mul_hi_u32 s4, s87, s2
	s_mul_i32 s2, s87, s2
	s_mul_i32 s3, s87, s3
	v_mov_b32_e32 v3, s2
	s_add_i32 s4, s4, s3
	v_sub_co_u32_e32 v3, vcc, s12, v3
	s_cmp_lg_u64 vcc, 0
	s_subb_u32 s2, s93, s4
	v_subrev_co_u32_e32 v4, vcc, s87, v3
	s_cmp_lg_u64 vcc, 0
	s_subb_u32 s3, s2, 0
	v_subrev_co_u32_e32 v5, vcc, s87, v4
	s_cmp_lg_u64 vcc, 0
	s_subb_u32 s4, s3, 0
	v_cmp_le_u32_e32 vcc, s87, v4
	s_cmp_eq_u32 s3, 0
	v_cndmask_b32_e64 v6, 0, -1, vcc
	s_cselect_b64 vcc, -1, 0
	v_cndmask_b32_e32 v6, -1, v6, vcc
	v_mov_b32_e32 v7, s3
	v_mov_b32_e32 v8, s4
	v_cmp_ne_u32_e32 vcc, 0, v6
	v_cndmask_b32_e32 v6, v7, v8, vcc
	v_cndmask_b32_e32 v4, v4, v5, vcc
	v_cmp_le_u32_e32 vcc, s87, v3
	s_cmp_eq_u32 s2, 0
	v_cndmask_b32_e64 v5, 0, -1, vcc
	s_cselect_b64 vcc, -1, 0
	v_cndmask_b32_e32 v5, -1, v5, vcc
	v_mov_b32_e32 v7, s2
	v_cmp_ne_u32_e32 vcc, 0, v5
	v_cndmask_b32_e32 v5, v7, v6, vcc
	v_cndmask_b32_e32 v4, v3, v4, vcc
	s_mov_b64 s[2:3], 0
	s_branch .LBB159_447
.LBB159_446:                            ;   in Loop: Header=BB159_12 Depth=1
	s_mov_b64 s[2:3], -1
                                        ; implicit-def: $vgpr4_vgpr5
.LBB159_447:                            ;   in Loop: Header=BB159_12 Depth=1
	s_andn2_b64 vcc, exec, s[2:3]
	s_cbranch_vccnz .LBB159_449
; %bb.448:                              ;   in Loop: Header=BB159_12 Depth=1
	v_cvt_f32_u32_e32 v3, s87
	s_sub_i32 s2, 0, s87
	v_rcp_iflag_f32_e32 v3, v3
	v_mul_f32_e32 v3, 0x4f7ffffe, v3
	v_cvt_u32_f32_e32 v3, v3
	v_mul_lo_u32 v4, s2, v3
	v_mul_hi_u32 v4, v3, v4
	v_add_u32_e32 v3, v3, v4
	v_readlane_b32 s2, v54, 35
	v_mul_hi_u32 v3, s2, v3
	v_mul_lo_u32 v3, v3, s87
	v_sub_u32_e32 v3, s2, v3
	v_subrev_u32_e32 v4, s87, v3
	v_cmp_le_u32_e32 vcc, s87, v3
	v_cndmask_b32_e32 v3, v3, v4, vcc
	v_subrev_u32_e32 v4, s87, v3
	v_cmp_le_u32_e32 vcc, s87, v3
	v_cndmask_b32_e32 v20, v3, v4, vcc
	v_pk_mov_b32 v[4:5], v[20:21], v[20:21] op_sel:[0,1]
.LBB159_449:                            ;   in Loop: Header=BB159_12 Depth=1
	v_readlane_b32 s2, v54, 35
	v_mov_b32_e32 v3, s93
	v_sub_co_u32_e32 v8, vcc, s2, v4
	v_subb_co_u32_e32 v9, vcc, v3, v5, vcc
	v_cmp_gt_u64_e32 vcc, v[8:9], v[0:1]
	s_mov_b64 s[12:13], 0
                                        ; implicit-def: $vgpr6_vgpr7
	s_and_saveexec_b64 s[2:3], vcc
	s_cbranch_execz .LBB159_458
; %bb.450:                              ;   in Loop: Header=BB159_12 Depth=1
	v_pk_mov_b32 v[12:13], v[0:1], v[0:1] op_sel:[0,1]
                                        ; implicit-def: $sgpr4_sgpr5
	s_branch .LBB159_452
.LBB159_451:                            ;   in Loop: Header=BB159_452 Depth=2
	s_or_b64 exec, exec, s[6:7]
	s_waitcnt lgkmcnt(0)
	s_barrier
	s_waitcnt vmcnt(0)
	ds_read_b128 v[4:7], v21 offset:3072
	v_mov_b32_e32 v3, s88
	v_add_co_u32_e32 v12, vcc, s87, v12
	v_addc_co_u32_e32 v13, vcc, v13, v3, vcc
	s_waitcnt lgkmcnt(0)
	v_readfirstlane_b32 s7, v5
	v_readfirstlane_b32 s6, v4
	s_cmp_lg_u64 s[6:7], 0
	s_cselect_b64 s[6:7], -1, 0
	v_cmp_ge_u64_e32 vcc, v[12:13], v[8:9]
	s_or_b64 s[54:55], vcc, s[6:7]
	s_and_b64 s[54:55], exec, s[54:55]
	s_or_b64 s[12:13], s[54:55], s[12:13]
	s_andn2_b64 s[4:5], s[4:5], exec
	s_and_b64 s[6:7], s[6:7], exec
	s_or_b64 s[4:5], s[4:5], s[6:7]
	s_barrier
	s_andn2_b64 exec, exec, s[12:13]
	s_cbranch_execz .LBB159_457
.LBB159_452:                            ;   Parent Loop BB159_12 Depth=1
                                        ; =>  This Inner Loop Header: Depth=2
	v_cmp_gt_u64_e32 vcc, s[60:61], v[12:13]
	v_pk_mov_b32 v[4:5], 0, 0
	s_and_saveexec_b64 s[90:91], vcc
	s_cbranch_execz .LBB159_454
; %bb.453:                              ;   in Loop: Header=BB159_452 Depth=2
	v_mul_lo_u32 v3, v13, s58
	v_mul_lo_u32 v6, v12, s59
	v_mad_u64_u32 v[4:5], s[6:7], v12, s58, 0
	v_add3_u32 v5, v5, v6, v3
	v_lshlrev_b64 v[4:5], 3, v[4:5]
	v_mov_b32_e32 v3, s86
	v_add_co_u32_e64 v4, s[6:7], s33, v4
	v_addc_co_u32_e64 v5, s[6:7], v3, v5, s[6:7]
	global_load_dwordx2 v[4:5], v[4:5], off
.LBB159_454:                            ;   in Loop: Header=BB159_452 Depth=2
	s_or_b64 exec, exec, s[90:91]
	s_and_saveexec_b64 s[6:7], vcc
	s_cbranch_execz .LBB159_451
; %bb.455:                              ;   in Loop: Header=BB159_452 Depth=2
	s_waitcnt vmcnt(0)
	v_xor_b32_e32 v3, 0x80000000, v5
	v_and_b32_e32 v7, v3, v25
	v_and_b32_e32 v6, v4, v24
	v_cmp_eq_u64_e32 vcc, v[6:7], v[26:27]
	s_and_b64 exec, exec, vcc
	s_cbranch_execz .LBB159_451
; %bb.456:                              ;   in Loop: Header=BB159_452 Depth=2
	v_mov_b32_e32 v3, v21
	ds_write_b128 v21, v[2:5] offset:3072
	s_branch .LBB159_451
.LBB159_457:                            ;   in Loop: Header=BB159_12 Depth=1
	s_or_b64 exec, exec, s[12:13]
	s_and_b64 s[12:13], s[4:5], exec
.LBB159_458:                            ;   in Loop: Header=BB159_12 Depth=1
	s_or_b64 exec, exec, s[2:3]
	s_mov_b64 s[4:5], 0
	s_mov_b64 s[2:3], -1
	s_mov_b64 s[6:7], 0
.LBB159_459:                            ;   in Loop: Header=BB159_12 Depth=1
	v_readlane_b32 s54, v54, 51
	s_orn2_b64 s[90:91], s[12:13], exec
	v_readlane_b32 s55, v54, 52
.LBB159_460:                            ;   in Loop: Header=BB159_12 Depth=1
	s_or_b64 exec, exec, s[56:57]
	s_mov_b64 s[56:57], 0
                                        ; implicit-def: $vgpr3
                                        ; implicit-def: $vgpr4_vgpr5
	s_and_saveexec_b64 s[12:13], s[90:91]
	s_cbranch_execz .LBB159_472
; %bb.461:                              ;   in Loop: Header=BB159_12 Depth=1
	v_mov_b32_e32 v4, 1
	s_xor_b64 s[56:57], s[54:55], -1
	v_mov_b32_e32 v3, 1
	v_mov_b32_e32 v5, 0
	s_and_saveexec_b64 s[54:55], s[56:57]
	s_cbranch_execz .LBB159_471
; %bb.462:                              ;   in Loop: Header=BB159_12 Depth=1
	v_cmp_ge_u64_e32 vcc, s[16:17], v[10:11]
                                        ; implicit-def: $sgpr84
	s_and_saveexec_b64 s[56:57], vcc
	s_xor_b64 s[56:57], exec, s[56:57]
	s_cbranch_execz .LBB159_468
; %bb.463:                              ;   in Loop: Header=BB159_12 Depth=1
	ds_read_b64 v[4:5], v21 offset:5120
	s_waitcnt lgkmcnt(0)
	v_cmp_ne_u64_e32 vcc, 0, v[4:5]
	s_cbranch_vccnz .LBB159_467
; %bb.464:                              ;   in Loop: Header=BB159_12 Depth=1
	s_mov_b64 s[90:91], exec
	v_readlane_b32 vcc_lo, v54, 12
	v_readlane_b32 vcc_hi, v54, 13
	s_and_b64 vcc, s[90:91], vcc
	s_mov_b64 exec, vcc
	s_cbranch_execz .LBB159_466
; %bb.465:                              ;   in Loop: Header=BB159_12 Depth=1
	v_pk_mov_b32 v[4:5], s[16:17], s[16:17] op_sel:[0,1]
	ds_write_b64 v21, v[4:5] offset:5128
.LBB159_466:                            ;   in Loop: Header=BB159_12 Depth=1
	s_or_b64 exec, exec, s[90:91]
	s_waitcnt lgkmcnt(0)
	s_barrier
.LBB159_467:                            ;   in Loop: Header=BB159_12 Depth=1
	v_and_b32_e32 v27, s21, v27
	v_and_b32_e32 v26, s20, v26
	v_or_b32_e32 v25, s19, v25
	v_or_b32_e32 v24, s18, v24
	s_mov_b32 s84, 5
.LBB159_468:                            ;   in Loop: Header=BB159_12 Depth=1
	s_or_saveexec_b64 s[18:19], s[56:57]
	v_mov_b32_e32 v3, s84
	s_xor_b64 exec, exec, s[18:19]
; %bb.469:                              ;   in Loop: Header=BB159_12 Depth=1
	v_mov_b32_e32 v3, s17
	v_subrev_co_u32_e32 v10, vcc, s16, v10
	v_subb_co_u32_e32 v11, vcc, v11, v3, vcc
	v_mov_b32_e32 v3, 5
; %bb.470:                              ;   in Loop: Header=BB159_12 Depth=1
	s_or_b64 exec, exec, s[18:19]
	v_pk_mov_b32 v[4:5], v[10:11], v[10:11] op_sel:[0,1]
.LBB159_471:                            ;   in Loop: Header=BB159_12 Depth=1
	s_or_b64 exec, exec, s[54:55]
	s_mov_b64 s[56:57], exec
.LBB159_472:                            ;   in Loop: Header=BB159_12 Depth=1
	s_or_b64 exec, exec, s[12:13]
	s_orn2_b64 s[12:13], s[56:57], exec
	v_pk_mov_b32 v[10:11], v[4:5], v[4:5] op_sel:[0,1]
.LBB159_473:                            ;   in Loop: Header=BB159_12 Depth=1
	s_or_b64 exec, exec, s[22:23]
	s_andn2_b64 s[8:9], s[8:9], exec
	s_and_b64 s[2:3], s[2:3], exec
	s_or_b64 s[8:9], s[8:9], s[2:3]
	s_andn2_b64 s[2:3], s[50:51], exec
	s_and_b64 s[4:5], s[4:5], exec
	s_or_b64 s[50:51], s[2:3], s[4:5]
	;; [unrolled: 3-line block ×3, first 2 shown]
	s_and_b64 s[2:3], s[12:13], exec
	v_pk_mov_b32 v[8:9], v[10:11], v[10:11] op_sel:[0,1]
.LBB159_474:                            ;   in Loop: Header=BB159_12 Depth=1
	s_or_b64 exec, exec, s[52:53]
	s_and_b64 s[8:9], s[8:9], exec
	s_and_b64 s[6:7], s[50:51], exec
	;; [unrolled: 1-line block ×3, first 2 shown]
	s_orn2_b64 s[2:3], s[2:3], exec
.LBB159_475:                            ;   in Loop: Header=BB159_12 Depth=1
	s_or_b64 exec, exec, s[26:27]
	s_andn2_b64 s[10:11], s[40:41], exec
	s_and_b64 s[8:9], s[8:9], exec
	s_or_b64 s[40:41], s[10:11], s[8:9]
	s_andn2_b64 s[8:9], s[44:45], exec
	s_and_b64 s[6:7], s[6:7], exec
	s_or_b64 s[44:45], s[8:9], s[6:7]
	;; [unrolled: 3-line block ×3, first 2 shown]
	s_and_b64 s[6:7], s[2:3], exec
	v_pk_mov_b32 v[30:31], v[8:9], v[8:9] op_sel:[0,1]
.LBB159_476:                            ;   in Loop: Header=BB159_12 Depth=1
	s_or_b64 exec, exec, s[48:49]
	s_and_b64 s[8:9], s[40:41], exec
	s_and_b64 s[4:5], s[44:45], exec
	;; [unrolled: 1-line block ×3, first 2 shown]
	s_orn2_b64 s[12:13], s[6:7], exec
.LBB159_477:                            ;   in Loop: Header=BB159_12 Depth=1
	s_or_b64 exec, exec, s[28:29]
	s_mov_b64 s[6:7], s[36:37]
	s_mov_b64 s[10:11], s[34:35]
	s_and_saveexec_b64 s[16:17], s[12:13]
; %bb.478:                              ;   in Loop: Header=BB159_12 Depth=1
	v_cmp_ne_u32_e64 s[6:7], 5, v3
	v_cmp_eq_u32_e32 vcc, 5, v3
	s_andn2_b64 s[10:11], s[34:35], exec
	s_and_b64 s[6:7], s[6:7], exec
	s_or_b64 s[10:11], s[10:11], s[6:7]
	s_andn2_b64 s[6:7], s[36:37], exec
	s_and_b64 s[12:13], vcc, exec
	s_andn2_b64 s[8:9], s[8:9], exec
	s_andn2_b64 s[4:5], s[4:5], exec
	;; [unrolled: 1-line block ×3, first 2 shown]
	s_or_b64 s[6:7], s[6:7], s[12:13]
; %bb.479:                              ;   in Loop: Header=BB159_12 Depth=1
	s_or_b64 exec, exec, s[16:17]
	s_andn2_b64 s[12:13], s[14:15], exec
	s_and_b64 s[8:9], s[8:9], exec
	s_or_b64 s[14:15], s[12:13], s[8:9]
	s_andn2_b64 s[8:9], s[42:43], exec
	s_and_b64 s[4:5], s[4:5], exec
	s_or_b64 s[42:43], s[8:9], s[4:5]
	;; [unrolled: 3-line block ×5, first 2 shown]
	v_pk_mov_b32 v[12:13], v[26:27], v[26:27] op_sel:[0,1]
	v_pk_mov_b32 v[14:15], v[24:25], v[24:25] op_sel:[0,1]
	;; [unrolled: 1-line block ×3, first 2 shown]
.LBB159_480:                            ;   in Loop: Header=BB159_12 Depth=1
	s_or_b64 exec, exec, s[38:39]
	s_mov_b64 s[40:41], s[24:25]
	s_mov_b64 s[38:39], s[24:25]
	s_and_saveexec_b64 s[2:3], s[36:37]
.LBB159_481:                            ;   in Loop: Header=BB159_12 Depth=1
	v_mov_b32_e32 v3, 0
	s_andn2_b64 s[24:25], s[24:25], exec
	s_andn2_b64 s[14:15], s[14:15], exec
	s_andn2_b64 s[42:43], s[42:43], exec
	s_andn2_b64 s[40:41], s[40:41], exec
	s_andn2_b64 s[38:39], s[38:39], exec
	s_or_b64 s[34:35], s[34:35], exec
.LBB159_482:                            ;   in Loop: Header=BB159_12 Depth=1
	s_or_b64 exec, exec, s[2:3]
	s_andn2_b64 s[2:3], s[82:83], exec
	s_and_b64 s[6:7], s[24:25], exec
	s_or_b64 s[82:83], s[2:3], s[6:7]
	s_andn2_b64 s[2:3], s[80:81], exec
	s_and_b64 s[6:7], s[14:15], exec
	s_or_b64 s[80:81], s[2:3], s[6:7]
	;; [unrolled: 3-line block ×4, first 2 shown]
	s_andn2_b64 s[2:3], s[74:75], exec
	s_and_b64 s[6:7], s[38:39], exec
	s_mov_b64 s[4:5], -1
	s_or_b64 s[74:75], s[2:3], s[6:7]
                                        ; implicit-def: $vgpr24_vgpr25
                                        ; implicit-def: $vgpr26_vgpr27
                                        ; implicit-def: $vgpr28_vgpr29
                                        ; implicit-def: $vgpr6_vgpr7
	s_and_saveexec_b64 s[2:3], s[34:35]
	s_xor_b64 s[2:3], exec, s[2:3]
	s_cbranch_execz .LBB159_11
; %bb.483:                              ;   in Loop: Header=BB159_12 Depth=1
	v_cmp_eq_u32_e32 vcc, 0, v3
	s_mov_b64 s[6:7], -1
	s_and_saveexec_b64 s[8:9], vcc
	s_cbranch_execz .LBB159_10
; %bb.484:                              ;   in Loop: Header=BB159_12 Depth=1
	v_readlane_b32 s4, v54, 50
	s_xor_b32 s4, s4, 1
	s_add_i32 s10, s89, -2
	s_cmp_eq_u32 s89, 0
	v_writelane_b32 v54, s4, 50
	s_cselect_b64 s[4:5], -1, 0
	s_xor_b64 s[6:7], exec, -1
	s_orn2_b64 s[4:5], s[4:5], exec
	s_mov_b32 s89, s10
	s_branch .LBB159_10
.LBB159_485:
	s_or_b64 exec, exec, s[64:65]
	s_xor_b64 s[4:5], s[72:73], -1
	s_xor_b64 s[14:15], s[78:79], -1
	;; [unrolled: 1-line block ×5, first 2 shown]
	s_mov_b64 s[8:9], 0
	s_and_saveexec_b64 s[10:11], s[6:7]
	s_xor_b64 s[6:7], exec, s[10:11]
	s_cbranch_execnz .LBB159_490
; %bb.486:
	s_andn2_saveexec_b64 s[0:1], s[6:7]
	s_cbranch_execnz .LBB159_509
.LBB159_487:
	s_or_b64 exec, exec, s[0:1]
	s_and_saveexec_b64 s[0:1], s[8:9]
.LBB159_488:
	; divergent unreachable
.LBB159_489:
	s_endpgm
.LBB159_490:
	s_mov_b64 s[10:11], 0
	s_and_saveexec_b64 s[8:9], s[12:13]
	s_xor_b64 s[8:9], exec, s[8:9]
	s_cbranch_execz .LBB159_507
; %bb.491:
	s_mov_b64 s[12:13], 0
	s_and_saveexec_b64 s[10:11], s[14:15]
	s_xor_b64 s[10:11], exec, s[10:11]
	s_cbranch_execz .LBB159_505
; %bb.492:
	;; [unrolled: 5-line block ×3, first 2 shown]
	s_and_saveexec_b64 s[4:5], s[2:3]
	s_xor_b64 s[2:3], exec, s[4:5]
; %bb.494:
	v_xor_b32_e32 v13, 0x80000000, v13
	v_pk_mov_b32 v[10:11], v[12:13], v[12:13] op_sel:[0,1]
; %bb.495:
	s_or_b64 exec, exec, s[2:3]
	s_mov_b64 s[2:3], exec
	v_readlane_b32 s4, v54, 12
	v_readlane_b32 s5, v54, 13
	;; [unrolled: 1-line block ×4, first 2 shown]
	s_and_b64 s[4:5], s[2:3], s[4:5]
	v_readlane_b32 s39, v54, 21
	v_readlane_b32 s21, v54, 45
	;; [unrolled: 1-line block ×4, first 2 shown]
	s_mov_b64 exec, s[4:5]
	s_cbranch_execz .LBB159_497
; %bb.496:
	v_mov_b32_e32 v2, 0
	v_mov_b32_e32 v3, v2
	ds_write_b64 v2, v[2:3] offset:5136
.LBB159_497:
	s_or_b64 exec, exec, s[2:3]
	v_pk_mov_b32 v[2:3], 0, 0
	s_waitcnt lgkmcnt(0)
	s_barrier
	s_mov_b64 s[2:3], exec
	v_readlane_b32 s4, v54, 28
	v_readlane_b32 s5, v54, 29
	s_and_b64 s[4:5], s[2:3], s[4:5]
	s_mov_b64 exec, s[4:5]
	s_cbranch_execz .LBB159_499
; %bb.498:
	global_load_dwordx2 v[2:3], v[18:19], off
.LBB159_499:
	s_or_b64 exec, exec, s[2:3]
	s_add_u32 s2, s60, 63
	s_addc_u32 s15, s61, 0
	s_and_b32 s14, s2, 0xffffffc0
	v_readlane_b32 s4, v54, 2
	v_readlane_b32 s2, v54, 0
	;; [unrolled: 1-line block ×4, first 2 shown]
	s_mov_b32 s16, s2
	s_mul_i32 s2, s2, s5
	s_mul_hi_u32 s3, s16, s4
	s_add_i32 s3, s3, s2
	s_mul_i32 s2, s16, s4
	v_readlane_b32 s24, v54, 16
	s_sub_u32 s2, s18, s2
	v_readlane_b32 s26, v54, 18
	v_readlane_b32 s27, v54, 19
	s_subb_u32 s3, 0, s3
	s_mul_i32 s4, s2, s27
	s_mul_hi_u32 s5, s2, s26
	v_readlane_b32 s25, v54, 17
	s_add_i32 s4, s5, s4
	s_mul_i32 s3, s3, s26
	s_add_i32 s3, s4, s3
	s_mul_i32 s4, s16, s25
	s_mul_hi_u32 s5, s16, s24
	s_add_i32 s5, s5, s4
	s_mul_i32 s4, s16, s24
	v_readlane_b32 s22, v54, 6
	v_readlane_b32 s16, v54, 4
	;; [unrolled: 1-line block ×4, first 2 shown]
	s_mov_b32 s24, s16
	s_mul_i32 s16, s16, s23
	s_mul_hi_u32 s17, s24, s22
	s_add_i32 s17, s17, s16
	s_mul_i32 s16, s24, s22
	v_readlane_b32 s28, v54, 46
	s_sub_u32 s16, s18, s16
	v_readlane_b32 s30, v54, 48
	v_readlane_b32 s31, v54, 49
	s_subb_u32 s17, 0, s17
	s_mul_i32 s18, s16, s31
	s_mul_hi_u32 s19, s16, s30
	v_readlane_b32 s29, v54, 47
	s_add_i32 s18, s19, s18
	s_mul_i32 s17, s17, s30
	s_add_i32 s17, s18, s17
	s_mul_i32 s18, s24, s29
	s_mul_hi_u32 s19, s24, s28
	s_add_i32 s19, s19, s18
	s_lshl_b64 s[4:5], s[4:5], 3
	v_readlane_b32 s22, v54, 10
	s_mul_i32 s2, s2, s26
	v_readlane_b32 s23, v54, 11
	s_add_u32 s4, s22, s4
	s_addc_u32 s5, s23, s5
	s_lshl_b64 s[2:3], s[2:3], 3
	s_mul_i32 s18, s24, s28
	s_add_u32 s46, s4, s2
	s_addc_u32 s47, s5, s3
	s_lshl_b64 s[2:3], s[18:19], 3
	v_readlane_b32 s4, v54, 8
	s_mul_i32 s16, s16, s30
	v_readlane_b32 s5, v54, 9
	s_add_u32 s4, s4, s2
	s_addc_u32 s5, s5, s3
	s_lshl_b64 s[2:3], s[16:17], 3
	s_load_dwordx2 s[16:17], s[20:21], 0x368
	s_load_dwordx2 s[18:19], s[20:21], 0x510
	s_add_u32 s48, s4, s2
	s_addc_u32 s49, s5, s3
	v_cmp_gt_u64_e32 vcc, s[14:15], v[0:1]
	s_mov_b64 s[22:23], -1
	s_mov_b64 s[2:3], 0
	s_mov_b64 s[4:5], 0
	s_and_saveexec_b64 s[20:21], vcc
	s_cbranch_execnz .LBB159_510
; %bb.500:
	s_or_b64 exec, exec, s[20:21]
	s_and_saveexec_b64 s[20:21], s[22:23]
	s_cbranch_execnz .LBB159_525
.LBB159_501:
	s_or_b64 exec, exec, s[20:21]
	s_and_saveexec_b64 s[0:1], s[4:5]
	s_xor_b64 s[0:1], exec, s[0:1]
	s_cbranch_execnz .LBB159_547
.LBB159_502:
	s_or_b64 exec, exec, s[0:1]
	s_and_b64 s[14:15], s[2:3], exec
.LBB159_503:
	s_andn2_saveexec_b64 s[0:1], s[12:13]
	s_cbranch_execnz .LBB159_550
.LBB159_504:
	s_or_b64 exec, exec, s[0:1]
	s_and_b64 s[12:13], s[14:15], exec
.LBB159_505:
	s_andn2_saveexec_b64 s[0:1], s[10:11]
	s_cbranch_execnz .LBB159_549
.LBB159_506:
	s_or_b64 exec, exec, s[0:1]
	s_and_b64 s[10:11], s[12:13], exec
.LBB159_507:
	s_andn2_saveexec_b64 s[0:1], s[8:9]
	s_cbranch_execnz .LBB159_548
.LBB159_508:
	s_or_b64 exec, exec, s[0:1]
	s_and_b64 s[8:9], s[10:11], exec
	s_andn2_saveexec_b64 s[0:1], s[6:7]
	s_cbranch_execz .LBB159_487
.LBB159_509:
	s_or_b64 s[8:9], s[8:9], exec
	s_trap 2
	s_or_b64 exec, exec, s[0:1]
	s_and_saveexec_b64 s[0:1], s[8:9]
	s_cbranch_execnz .LBB159_488
	s_branch .LBB159_489
.LBB159_510:
	s_waitcnt vmcnt(0)
	v_xor_b32_e32 v5, 0x80000000, v11
	v_mov_b32_e32 v4, v10
	s_mov_b64 s[22:23], 0
	v_mov_b32_e32 v24, s88
	v_mov_b32_e32 v7, 0
	v_pk_mov_b32 v[20:21], v[0:1], v[0:1] op_sel:[0,1]
                                        ; implicit-def: $sgpr24_sgpr25
                                        ; implicit-def: $vgpr12_vgpr13
	s_branch .LBB159_512
.LBB159_511:                            ;   in Loop: Header=BB159_512 Depth=1
	s_or_b64 exec, exec, s[26:27]
	s_xor_b64 s[26:27], s[30:31], -1
	s_and_b64 s[4:5], exec, s[4:5]
	s_or_b64 s[22:23], s[4:5], s[22:23]
	s_andn2_b64 s[4:5], s[24:25], exec
	s_and_b64 s[24:25], s[26:27], exec
	s_or_b64 s[24:25], s[4:5], s[24:25]
	s_waitcnt vmcnt(0)
	v_pk_mov_b32 v[2:3], v[14:15], v[14:15] op_sel:[0,1]
	v_pk_mov_b32 v[20:21], v[8:9], v[8:9] op_sel:[0,1]
	s_andn2_b64 exec, exec, s[22:23]
	s_cbranch_execz .LBB159_524
.LBB159_512:                            ; =>This Inner Loop Header: Depth=1
	v_add_co_u32_e32 v8, vcc, s87, v20
	v_addc_co_u32_e32 v9, vcc, v21, v24, vcc
	v_cmp_gt_u64_e32 vcc, s[60:61], v[8:9]
	v_pk_mov_b32 v[14:15], 0, 0
	s_and_saveexec_b64 s[4:5], vcc
	s_cbranch_execz .LBB159_514
; %bb.513:                              ;   in Loop: Header=BB159_512 Depth=1
	v_mul_lo_u32 v6, v9, s58
	v_mul_lo_u32 v22, v8, s59
	v_mad_u64_u32 v[14:15], s[26:27], v8, s58, 0
	v_add3_u32 v15, v15, v22, v6
	v_lshlrev_b64 v[14:15], 3, v[14:15]
	v_mov_b32_e32 v6, s86
	v_add_co_u32_e32 v14, vcc, s33, v14
	v_addc_co_u32_e32 v15, vcc, v6, v15, vcc
	global_load_dwordx2 v[14:15], v[14:15], off
.LBB159_514:                            ;   in Loop: Header=BB159_512 Depth=1
	s_or_b64 exec, exec, s[4:5]
	v_xor_b32_e32 v23, 0x80000000, v3
	v_mov_b32_e32 v22, v2
	v_cmp_gt_u64_e64 s[4:5], v[22:23], v[4:5]
	v_cndmask_b32_e64 v6, 0, 1, s[4:5]
	v_cmp_lt_u64_e64 s[4:5], v[22:23], v[4:5]
	v_cndmask_b32_e64 v22, 0, 1, s[4:5]
	v_cndmask_b32_e64 v6, v22, v6, s[38:39]
	v_and_b32_e32 v6, 1, v6
	v_cmp_gt_u64_e32 vcc, s[60:61], v[20:21]
	v_cmp_eq_u32_e64 s[4:5], 1, v6
	s_and_b64 s[28:29], vcc, s[4:5]
	v_cndmask_b32_e64 v6, 0, 1, s[28:29]
	v_cmp_ne_u32_e32 vcc, 0, v6
	s_cmp_lg_u64 vcc, 0
	s_cselect_b64 s[4:5], -1, 0
	s_and_b64 s[4:5], s[0:1], s[4:5]
	s_and_saveexec_b64 s[26:27], s[4:5]
	s_cbranch_execz .LBB159_518
; %bb.515:                              ;   in Loop: Header=BB159_512 Depth=1
	s_mov_b64 s[34:35], exec
	v_mbcnt_lo_u32_b32 v6, s34, 0
	v_mbcnt_hi_u32_b32 v22, s35, v6
	s_bcnt1_i32_b64 s36, vcc
	v_cmp_eq_u32_e64 s[4:5], 0, v22
                                        ; implicit-def: $vgpr12_vgpr13
	s_and_saveexec_b64 s[30:31], s[4:5]
	s_cbranch_execz .LBB159_517
; %bb.516:                              ;   in Loop: Header=BB159_512 Depth=1
	s_bcnt1_i32_b64 s4, s[34:35]
	s_mul_i32 s4, s36, s4
	v_mov_b32_e32 v6, s4
	s_waitcnt lgkmcnt(0)
	ds_add_rtn_u64 v[12:13], v7, v[6:7] offset:5136
.LBB159_517:                            ;   in Loop: Header=BB159_512 Depth=1
	s_or_b64 exec, exec, s[30:31]
	s_waitcnt lgkmcnt(0)
	v_readfirstlane_b32 s4, v13
	v_readfirstlane_b32 s5, v12
	v_mov_b32_e32 v12, s5
	v_mov_b32_e32 v13, s4
	v_mad_u64_u32 v[12:13], s[4:5], s36, v22, v[12:13]
.LBB159_518:                            ;   in Loop: Header=BB159_512 Depth=1
	s_or_b64 exec, exec, s[26:27]
	s_waitcnt lgkmcnt(0)
	ds_bpermute_b32 v12, v36, v12
	ds_bpermute_b32 v13, v36, v13
	s_mov_b64 s[4:5], -1
	s_mov_b64 s[34:35], -1
                                        ; implicit-def: $sgpr30_sgpr31
	s_and_saveexec_b64 s[26:27], s[28:29]
	s_cbranch_execz .LBB159_522
; %bb.519:                              ;   in Loop: Header=BB159_512 Depth=1
	v_and_b32_e32 v22, vcc_lo, v16
	v_and_b32_e32 v6, vcc_hi, v17
	v_bcnt_u32_b32 v22, v22, 0
	v_bcnt_u32_b32 v6, v6, v22
	s_waitcnt lgkmcnt(0)
	v_add_co_u32_e32 v22, vcc, v12, v6
	v_addc_co_u32_e32 v23, vcc, 0, v13, vcc
	v_cmp_gt_u64_e32 vcc, s[62:63], v[22:23]
	s_mov_b64 s[28:29], 0
	s_and_saveexec_b64 s[30:31], vcc
	s_cbranch_execz .LBB159_521
; %bb.520:                              ;   in Loop: Header=BB159_512 Depth=1
	v_mul_lo_u32 v6, v23, s16
	v_mul_lo_u32 v25, v22, s17
	v_mad_u64_u32 v[26:27], s[34:35], v22, s16, 0
	v_add3_u32 v27, v27, v25, v6
	v_mul_lo_u32 v6, v23, s18
	v_mul_lo_u32 v25, v22, s19
	v_mad_u64_u32 v[22:23], s[34:35], v22, s18, 0
	v_lshlrev_b64 v[26:27], 3, v[26:27]
	v_add3_u32 v23, v23, v25, v6
	v_mov_b32_e32 v6, s47
	v_add_co_u32_e32 v26, vcc, s46, v26
	v_addc_co_u32_e32 v27, vcc, v6, v27, vcc
	global_store_dwordx2 v[26:27], v[2:3], off
	v_lshlrev_b64 v[2:3], 3, v[22:23]
	v_mov_b32_e32 v6, s49
	v_add_co_u32_e32 v2, vcc, s48, v2
	s_mov_b64 s[28:29], exec
	v_addc_co_u32_e32 v3, vcc, v6, v3, vcc
	global_store_dwordx2 v[2:3], v[20:21], off
.LBB159_521:                            ;   in Loop: Header=BB159_512 Depth=1
	s_or_b64 exec, exec, s[30:31]
	s_mov_b64 s[30:31], -1
	s_orn2_b64 s[34:35], s[28:29], exec
.LBB159_522:                            ;   in Loop: Header=BB159_512 Depth=1
	s_or_b64 exec, exec, s[26:27]
	s_and_saveexec_b64 s[26:27], s[34:35]
	s_cbranch_execz .LBB159_511
; %bb.523:                              ;   in Loop: Header=BB159_512 Depth=1
	v_cmp_le_u64_e32 vcc, s[14:15], v[8:9]
	s_andn2_b64 s[30:31], s[30:31], exec
	s_orn2_b64 s[4:5], vcc, exec
	s_branch .LBB159_511
.LBB159_524:
	s_or_b64 exec, exec, s[22:23]
	s_mov_b64 s[4:5], exec
	s_orn2_b64 s[22:23], s[24:25], exec
	s_or_b64 exec, exec, s[20:21]
	s_and_saveexec_b64 s[20:21], s[22:23]
	s_cbranch_execz .LBB159_501
.LBB159_525:
	v_pk_mov_b32 v[8:9], 0, 0
	s_waitcnt lgkmcnt(0)
	s_barrier
	s_mov_b64 s[2:3], exec
	v_readlane_b32 s22, v54, 28
	v_readlane_b32 s23, v54, 29
	s_and_b64 s[22:23], s[2:3], s[22:23]
	s_mov_b64 exec, s[22:23]
	s_cbranch_execz .LBB159_527
; %bb.526:
	global_load_dwordx2 v[8:9], v[18:19], off
.LBB159_527:
	s_or_b64 exec, exec, s[2:3]
	s_mov_b64 s[22:23], 0
	s_waitcnt vmcnt(0)
	v_mov_b32_e32 v3, 0
                                        ; implicit-def: $sgpr24_sgpr25
                                        ; implicit-def: $sgpr26_sgpr27
                                        ; implicit-def: $sgpr28_sgpr29
                                        ; implicit-def: $vgpr4_vgpr5
	s_branch .LBB159_530
.LBB159_528:                            ;   in Loop: Header=BB159_530 Depth=1
	s_or_b64 exec, exec, s[36:37]
	s_andn2_b64 s[28:29], s[28:29], exec
	s_and_b64 s[34:35], s[40:41], exec
	s_andn2_b64 s[26:27], s[26:27], exec
	s_and_b64 s[2:3], s[2:3], exec
	s_or_b64 s[28:29], s[28:29], s[34:35]
	s_or_b64 s[26:27], s[26:27], s[2:3]
	v_pk_mov_b32 v[0:1], v[6:7], v[6:7] op_sel:[0,1]
.LBB159_529:                            ;   in Loop: Header=BB159_530 Depth=1
	s_or_b64 exec, exec, s[30:31]
	s_xor_b64 s[2:3], s[28:29], -1
	s_and_b64 s[30:31], exec, s[26:27]
	s_or_b64 s[22:23], s[30:31], s[22:23]
	s_andn2_b64 s[24:25], s[24:25], exec
	s_and_b64 s[2:3], s[2:3], exec
	s_or_b64 s[24:25], s[24:25], s[2:3]
	s_andn2_b64 exec, exec, s[22:23]
	s_cbranch_execz .LBB159_545
.LBB159_530:                            ; =>This Inner Loop Header: Depth=1
	v_cmp_gt_u64_e32 vcc, s[14:15], v[0:1]
	s_or_b64 s[28:29], s[28:29], exec
	s_or_b64 s[26:27], s[26:27], exec
	s_and_saveexec_b64 s[30:31], vcc
	s_cbranch_execz .LBB159_529
; %bb.531:                              ;   in Loop: Header=BB159_530 Depth=1
	v_mov_b32_e32 v2, s88
	v_add_co_u32_e32 v6, vcc, s87, v0
	v_addc_co_u32_e32 v7, vcc, v1, v2, vcc
	v_cmp_gt_u64_e32 vcc, s[60:61], v[6:7]
	v_pk_mov_b32 v[12:13], 0, 0
	s_and_saveexec_b64 s[2:3], vcc
	s_cbranch_execz .LBB159_533
; %bb.532:                              ;   in Loop: Header=BB159_530 Depth=1
	v_mul_lo_u32 v2, v7, s58
	v_mul_lo_u32 v14, v6, s59
	v_mad_u64_u32 v[12:13], s[34:35], v6, s58, 0
	v_add3_u32 v13, v13, v14, v2
	v_lshlrev_b64 v[12:13], 3, v[12:13]
	v_mov_b32_e32 v2, s86
	v_add_co_u32_e32 v12, vcc, s33, v12
	v_addc_co_u32_e32 v13, vcc, v2, v13, vcc
	global_load_dwordx2 v[12:13], v[12:13], off
.LBB159_533:                            ;   in Loop: Header=BB159_530 Depth=1
	s_or_b64 exec, exec, s[2:3]
	v_cmp_gt_u64_e32 vcc, s[60:61], v[0:1]
	v_cmp_eq_u64_e64 s[2:3], v[8:9], v[10:11]
	s_and_b64 s[36:37], vcc, s[2:3]
	v_cndmask_b32_e64 v2, 0, 1, s[36:37]
	v_cmp_ne_u32_e32 vcc, 0, v2
	s_cmp_lg_u64 vcc, 0
	s_cselect_b64 s[2:3], -1, 0
	s_and_b64 s[2:3], s[0:1], s[2:3]
	s_and_saveexec_b64 s[34:35], s[2:3]
	s_cbranch_execz .LBB159_537
; %bb.534:                              ;   in Loop: Header=BB159_530 Depth=1
	s_mov_b64 s[40:41], exec
	v_mbcnt_lo_u32_b32 v2, s40, 0
	v_mbcnt_hi_u32_b32 v14, s41, v2
	s_bcnt1_i32_b64 s42, vcc
	v_cmp_eq_u32_e64 s[2:3], 0, v14
                                        ; implicit-def: $vgpr4_vgpr5
	s_and_saveexec_b64 s[38:39], s[2:3]
	s_cbranch_execz .LBB159_536
; %bb.535:                              ;   in Loop: Header=BB159_530 Depth=1
	s_bcnt1_i32_b64 s2, s[40:41]
	s_mul_i32 s2, s42, s2
	v_mov_b32_e32 v2, s2
	ds_add_rtn_u64 v[4:5], v3, v[2:3] offset:5136
.LBB159_536:                            ;   in Loop: Header=BB159_530 Depth=1
	s_or_b64 exec, exec, s[38:39]
	s_waitcnt lgkmcnt(0)
	v_readfirstlane_b32 s2, v5
	v_readfirstlane_b32 s3, v4
	v_mov_b32_e32 v4, s3
	v_mov_b32_e32 v5, s2
	v_mad_u64_u32 v[4:5], s[2:3], s42, v14, v[4:5]
.LBB159_537:                            ;   in Loop: Header=BB159_530 Depth=1
	s_or_b64 exec, exec, s[34:35]
	ds_bpermute_b32 v4, v36, v4
	ds_bpermute_b32 v5, v36, v5
	s_cmp_eq_u64 vcc, 0
	s_cselect_b64 s[34:35], -1, 0
	s_mov_b64 s[38:39], -1
	s_mov_b64 s[40:41], -1
	s_waitcnt lgkmcnt(0)
	v_cmp_gt_u64_e64 s[2:3], s[62:63], v[4:5]
	s_or_b64 s[34:35], s[34:35], s[2:3]
	s_waitcnt vmcnt(0)
	v_cndmask_b32_e64 v9, v9, v13, s[34:35]
	s_and_b64 s[42:43], s[36:37], s[34:35]
	v_cndmask_b32_e64 v8, v8, v12, s[34:35]
	s_mov_b64 s[2:3], -1
	s_and_saveexec_b64 s[36:37], s[42:43]
	s_cbranch_execz .LBB159_543
; %bb.538:                              ;   in Loop: Header=BB159_530 Depth=1
	v_and_b32_e32 v8, vcc_lo, v16
	v_and_b32_e32 v2, vcc_hi, v17
	v_bcnt_u32_b32 v8, v8, 0
	v_bcnt_u32_b32 v2, v2, v8
	v_mov_b32_e32 v9, s63
	v_sub_co_u32_e32 v8, vcc, s62, v4
	v_subb_co_u32_e32 v9, vcc, v9, v5, vcc
	v_cmp_le_u64_e64 s[38:39], v[8:9], v[2:3]
	v_cmp_gt_u64_e32 vcc, v[8:9], v[2:3]
	s_mov_b64 s[42:43], -1
	s_and_saveexec_b64 s[40:41], vcc
	s_cbranch_execz .LBB159_542
; %bb.539:                              ;   in Loop: Header=BB159_530 Depth=1
	v_add_co_u32_e32 v8, vcc, v4, v2
	v_addc_co_u32_e32 v9, vcc, 0, v5, vcc
	v_cmp_gt_u64_e32 vcc, s[62:63], v[8:9]
	s_mov_b64 s[44:45], s[38:39]
	s_and_saveexec_b64 s[42:43], vcc
	s_cbranch_execz .LBB159_541
; %bb.540:                              ;   in Loop: Header=BB159_530 Depth=1
	v_mul_lo_u32 v2, v9, s16
	v_mul_lo_u32 v18, v8, s17
	v_mad_u64_u32 v[14:15], s[44:45], v8, s16, 0
	v_add3_u32 v15, v15, v18, v2
	v_mul_lo_u32 v2, v9, s18
	v_mul_lo_u32 v18, v8, s19
	v_mad_u64_u32 v[8:9], s[44:45], v8, s18, 0
	v_lshlrev_b64 v[14:15], 3, v[14:15]
	v_add3_u32 v9, v9, v18, v2
	v_mov_b32_e32 v2, s47
	v_add_co_u32_e32 v14, vcc, s46, v14
	v_addc_co_u32_e32 v15, vcc, v2, v15, vcc
	v_lshlrev_b64 v[8:9], 3, v[8:9]
	v_mov_b32_e32 v2, s49
	v_add_co_u32_e32 v8, vcc, s48, v8
	v_addc_co_u32_e32 v9, vcc, v2, v9, vcc
	s_or_b64 s[44:45], s[38:39], exec
	global_store_dwordx2 v[14:15], v[10:11], off
	global_store_dwordx2 v[8:9], v[0:1], off
.LBB159_541:                            ;   in Loop: Header=BB159_530 Depth=1
	s_or_b64 exec, exec, s[42:43]
	s_andn2_b64 s[38:39], s[38:39], exec
	s_and_b64 s[44:45], s[44:45], exec
	s_xor_b64 s[42:43], exec, -1
	s_or_b64 s[38:39], s[38:39], s[44:45]
.LBB159_542:                            ;   in Loop: Header=BB159_530 Depth=1
	s_or_b64 exec, exec, s[40:41]
	s_orn2_b64 s[40:41], s[42:43], exec
	s_or_b64 s[34:35], s[34:35], exec
	s_orn2_b64 s[38:39], s[38:39], exec
	v_pk_mov_b32 v[8:9], v[12:13], v[12:13] op_sel:[0,1]
.LBB159_543:                            ;   in Loop: Header=BB159_530 Depth=1
	s_or_b64 exec, exec, s[36:37]
	s_and_saveexec_b64 s[36:37], s[38:39]
	s_cbranch_execz .LBB159_528
; %bb.544:                              ;   in Loop: Header=BB159_530 Depth=1
	s_xor_b64 s[2:3], s[34:35], -1
	s_or_b64 s[40:41], s[40:41], exec
	s_orn2_b64 s[2:3], s[2:3], exec
	s_branch .LBB159_528
.LBB159_545:
	s_or_b64 exec, exec, s[22:23]
	s_mov_b64 s[0:1], 0
	s_and_saveexec_b64 s[2:3], s[24:25]
	s_xor_b64 s[2:3], exec, s[2:3]
	s_cbranch_execnz .LBB159_551
.LBB159_546:
	s_or_b64 exec, exec, s[2:3]
	s_and_b64 s[2:3], s[0:1], exec
	s_andn2_b64 s[4:5], s[4:5], exec
	s_or_b64 exec, exec, s[20:21]
	s_and_saveexec_b64 s[0:1], s[4:5]
	s_xor_b64 s[0:1], exec, s[0:1]
	s_cbranch_execz .LBB159_502
.LBB159_547:
	s_or_b64 s[2:3], s[2:3], exec
	s_trap 2
	s_branch .LBB159_502
.LBB159_548:
	s_or_b64 s[10:11], s[10:11], exec
	s_trap 2
	s_branch .LBB159_508
.LBB159_549:
	s_or_b64 s[12:13], s[12:13], exec
	s_trap 2
	s_branch .LBB159_506
.LBB159_550:
	s_trap 2
	s_or_b64 s[14:15], s[14:15], exec
	s_branch .LBB159_504
.LBB159_551:
	s_mov_b64 s[0:1], exec
	s_trap 2
	s_branch .LBB159_546
	.section	.rodata,"a",@progbits
	.p2align	6, 0x0
	.amdhsa_kernel _ZN2at6native6sbtopk10gatherTopKIlmLi2ELb0EEEvNS_4cuda6detail10TensorInfoIKT_T0_EES8_S8_bS8_S8_NS5_IS6_S8_EES8_NS5_IlS8_EES8_PS6_
		.amdhsa_group_segment_fixed_size 5152
		.amdhsa_private_segment_fixed_size 0
		.amdhsa_kernarg_size 1568
		.amdhsa_user_sgpr_count 6
		.amdhsa_user_sgpr_private_segment_buffer 1
		.amdhsa_user_sgpr_dispatch_ptr 0
		.amdhsa_user_sgpr_queue_ptr 0
		.amdhsa_user_sgpr_kernarg_segment_ptr 1
		.amdhsa_user_sgpr_dispatch_id 0
		.amdhsa_user_sgpr_flat_scratch_init 0
		.amdhsa_user_sgpr_kernarg_preload_length 0
		.amdhsa_user_sgpr_kernarg_preload_offset 0
		.amdhsa_user_sgpr_private_segment_size 0
		.amdhsa_uses_dynamic_stack 0
		.amdhsa_system_sgpr_private_segment_wavefront_offset 0
		.amdhsa_system_sgpr_workgroup_id_x 1
		.amdhsa_system_sgpr_workgroup_id_y 1
		.amdhsa_system_sgpr_workgroup_id_z 1
		.amdhsa_system_sgpr_workgroup_info 0
		.amdhsa_system_vgpr_workitem_id 0
		.amdhsa_next_free_vgpr 55
		.amdhsa_next_free_sgpr 96
		.amdhsa_accum_offset 56
		.amdhsa_reserve_vcc 1
		.amdhsa_reserve_flat_scratch 0
		.amdhsa_float_round_mode_32 0
		.amdhsa_float_round_mode_16_64 0
		.amdhsa_float_denorm_mode_32 3
		.amdhsa_float_denorm_mode_16_64 3
		.amdhsa_dx10_clamp 1
		.amdhsa_ieee_mode 1
		.amdhsa_fp16_overflow 0
		.amdhsa_tg_split 0
		.amdhsa_exception_fp_ieee_invalid_op 0
		.amdhsa_exception_fp_denorm_src 0
		.amdhsa_exception_fp_ieee_div_zero 0
		.amdhsa_exception_fp_ieee_overflow 0
		.amdhsa_exception_fp_ieee_underflow 0
		.amdhsa_exception_fp_ieee_inexact 0
		.amdhsa_exception_int_div_zero 0
	.end_amdhsa_kernel
	.section	.text._ZN2at6native6sbtopk10gatherTopKIlmLi2ELb0EEEvNS_4cuda6detail10TensorInfoIKT_T0_EES8_S8_bS8_S8_NS5_IS6_S8_EES8_NS5_IlS8_EES8_PS6_,"axG",@progbits,_ZN2at6native6sbtopk10gatherTopKIlmLi2ELb0EEEvNS_4cuda6detail10TensorInfoIKT_T0_EES8_S8_bS8_S8_NS5_IS6_S8_EES8_NS5_IlS8_EES8_PS6_,comdat
.Lfunc_end159:
	.size	_ZN2at6native6sbtopk10gatherTopKIlmLi2ELb0EEEvNS_4cuda6detail10TensorInfoIKT_T0_EES8_S8_bS8_S8_NS5_IS6_S8_EES8_NS5_IlS8_EES8_PS6_, .Lfunc_end159-_ZN2at6native6sbtopk10gatherTopKIlmLi2ELb0EEEvNS_4cuda6detail10TensorInfoIKT_T0_EES8_S8_bS8_S8_NS5_IS6_S8_EES8_NS5_IlS8_EES8_PS6_
                                        ; -- End function
	.section	.AMDGPU.csdata,"",@progbits
; Kernel info:
; codeLenInByte = 27608
; NumSgprs: 100
; NumVgprs: 55
; NumAgprs: 0
; TotalNumVgprs: 55
; ScratchSize: 0
; MemoryBound: 0
; FloatMode: 240
; IeeeMode: 1
; LDSByteSize: 5152 bytes/workgroup (compile time only)
; SGPRBlocks: 12
; VGPRBlocks: 6
; NumSGPRsForWavesPerEU: 100
; NumVGPRsForWavesPerEU: 55
; AccumOffset: 56
; Occupancy: 8
; WaveLimiterHint : 1
; COMPUTE_PGM_RSRC2:SCRATCH_EN: 0
; COMPUTE_PGM_RSRC2:USER_SGPR: 6
; COMPUTE_PGM_RSRC2:TRAP_HANDLER: 0
; COMPUTE_PGM_RSRC2:TGID_X_EN: 1
; COMPUTE_PGM_RSRC2:TGID_Y_EN: 1
; COMPUTE_PGM_RSRC2:TGID_Z_EN: 1
; COMPUTE_PGM_RSRC2:TIDIG_COMP_CNT: 0
; COMPUTE_PGM_RSRC3_GFX90A:ACCUM_OFFSET: 13
; COMPUTE_PGM_RSRC3_GFX90A:TG_SPLIT: 0
	.section	.text._ZN2at6native6mbtopk23computeBlockDigitCountsIlmmLi3EEEvNS_4cuda6detail10TensorInfoIKT_T0_EEjPjjS8_iijT1_PSB_Ps,"axG",@progbits,_ZN2at6native6mbtopk23computeBlockDigitCountsIlmmLi3EEEvNS_4cuda6detail10TensorInfoIKT_T0_EEjPjjS8_iijT1_PSB_Ps,comdat
	.protected	_ZN2at6native6mbtopk23computeBlockDigitCountsIlmmLi3EEEvNS_4cuda6detail10TensorInfoIKT_T0_EEjPjjS8_iijT1_PSB_Ps ; -- Begin function _ZN2at6native6mbtopk23computeBlockDigitCountsIlmmLi3EEEvNS_4cuda6detail10TensorInfoIKT_T0_EEjPjjS8_iijT1_PSB_Ps
	.globl	_ZN2at6native6mbtopk23computeBlockDigitCountsIlmmLi3EEEvNS_4cuda6detail10TensorInfoIKT_T0_EEjPjjS8_iijT1_PSB_Ps
	.p2align	8
	.type	_ZN2at6native6mbtopk23computeBlockDigitCountsIlmmLi3EEEvNS_4cuda6detail10TensorInfoIKT_T0_EEjPjjS8_iijT1_PSB_Ps,@function
_ZN2at6native6mbtopk23computeBlockDigitCountsIlmmLi3EEEvNS_4cuda6detail10TensorInfoIKT_T0_EEjPjjS8_iijT1_PSB_Ps: ; @_ZN2at6native6mbtopk23computeBlockDigitCountsIlmmLi3EEEvNS_4cuda6detail10TensorInfoIKT_T0_EEjPjjS8_iijT1_PSB_Ps
; %bb.0:
	s_load_dwordx4 s[0:3], s[4:5], 0x1c0
	s_load_dwordx2 s[10:11], s[4:5], 0x1e8
	s_waitcnt lgkmcnt(0)
	s_load_dword s3, s[4:5], 0x1b0
	s_mov_b32 s23, 0
	v_cvt_f32_u32_e32 v1, s2
	s_mul_i32 s8, s11, s8
	s_add_i32 s7, s8, s7
	s_mul_i32 s26, s7, s10
	v_rcp_iflag_f32_e32 v1, v1
	s_sub_i32 s9, 0, s2
	s_add_i32 s26, s26, s6
	v_mul_f32_e32 v1, 0x4f7ffffe, v1
	v_cvt_u32_f32_e32 v1, v1
	v_readfirstlane_b32 s6, v1
	s_mul_i32 s9, s9, s6
	s_mul_hi_u32 s7, s6, s9
	s_add_i32 s6, s6, s7
	s_mul_hi_u32 s6, s26, s6
	s_mul_i32 s7, s6, s2
	s_sub_i32 s7, s26, s7
	s_add_i32 s8, s6, 1
	s_sub_i32 s9, s7, s2
	s_cmp_ge_u32 s7, s2
	s_cselect_b32 s6, s8, s6
	s_cselect_b32 s7, s9, s7
	s_add_i32 s8, s6, 1
	s_cmp_ge_u32 s7, s2
	s_cselect_b32 s22, s8, s6
	s_waitcnt lgkmcnt(0)
	s_cmp_ge_u32 s22, s3
	s_cbranch_scc1 .LBB160_27
; %bb.1:
	s_load_dwordx4 s[8:11], s[4:5], 0x1d0
	s_load_dwordx4 s[12:15], s[4:5], 0x10
	s_lshl_b64 s[6:7], s[22:23], 3
	s_mov_b64 s[20:21], 0
	s_waitcnt lgkmcnt(0)
	s_add_u32 s24, s10, s6
	v_pk_mov_b32 v[2:3], s[14:15], s[14:15] op_sel:[0,1]
	v_cmp_lt_u64_e32 vcc, s[22:23], v[2:3]
	s_addc_u32 s25, s11, s7
	s_mov_b64 s[10:11], 0
	s_cbranch_vccnz .LBB160_3
; %bb.2:
	v_cvt_f32_u32_e32 v1, s14
	s_sub_i32 s3, 0, s14
	s_mov_b32 s11, 0
	v_rcp_iflag_f32_e32 v1, v1
	v_mul_f32_e32 v1, 0x4f7ffffe, v1
	v_cvt_u32_f32_e32 v1, v1
	v_readfirstlane_b32 s6, v1
	s_mul_i32 s3, s3, s6
	s_mul_hi_u32 s3, s6, s3
	s_add_i32 s6, s6, s3
	s_mul_hi_u32 s3, s22, s6
	s_mul_i32 s7, s3, s14
	s_sub_i32 s7, s22, s7
	s_add_i32 s6, s3, 1
	s_sub_i32 s10, s7, s14
	s_cmp_ge_u32 s7, s14
	s_cselect_b32 s3, s6, s3
	s_cselect_b32 s7, s10, s7
	s_add_i32 s6, s3, 1
	s_cmp_ge_u32 s7, s14
	s_cselect_b32 s10, s6, s3
.LBB160_3:
	s_load_dwordx2 s[6:7], s[4:5], 0x1e0
	v_pk_mov_b32 v[2:3], s[12:13], s[12:13] op_sel:[0,1]
	v_cmp_lt_u64_e32 vcc, s[10:11], v[2:3]
	s_cbranch_vccnz .LBB160_5
; %bb.4:
	v_cvt_f32_u32_e32 v1, s12
	s_sub_i32 s3, 0, s12
	v_rcp_iflag_f32_e32 v1, v1
	v_mul_f32_e32 v1, 0x4f7ffffe, v1
	v_cvt_u32_f32_e32 v1, v1
	v_readfirstlane_b32 s16, v1
	s_mul_i32 s3, s3, s16
	s_mul_hi_u32 s3, s16, s3
	s_add_i32 s16, s16, s3
	s_mul_hi_u32 s3, s10, s16
	s_mul_i32 s17, s3, s12
	s_sub_i32 s17, s10, s17
	s_add_i32 s16, s3, 1
	s_sub_i32 s18, s17, s12
	s_cmp_ge_u32 s17, s12
	s_cselect_b32 s3, s16, s3
	s_cselect_b32 s17, s18, s17
	s_add_i32 s16, s3, 1
	s_cmp_ge_u32 s17, s12
	s_cselect_b32 s20, s16, s3
.LBB160_5:
	s_movk_i32 s3, 0x100
	v_cmp_gt_u32_e32 vcc, s3, v0
	v_lshlrev_b32_e32 v1, 2, v0
	s_and_saveexec_b64 s[16:17], vcc
	s_cbranch_execz .LBB160_7
; %bb.6:
	v_mov_b32_e32 v2, 0
	ds_write_b32 v1, v2
.LBB160_7:
	s_or_b64 exec, exec, s[16:17]
	s_load_dword s21, s[4:5], 0x1a0
	s_mul_i32 s3, s22, s2
	s_sub_i32 s3, s26, s3
	s_add_i32 s16, s3, 1
	s_mul_i32 s3, s1, s3
	s_lshl_b32 s27, s3, 8
	s_waitcnt lgkmcnt(0)
	s_sub_i32 s3, s21, s27
	s_add_u32 s3, s3, 0xff
	s_addc_u32 s17, 0, 0
	v_mov_b32_e32 v2, s3
	v_alignbit_b32 v2, s17, v2, 8
	s_cmp_lt_u32 s16, s2
	v_readfirstlane_b32 s2, v2
	s_cselect_b32 s23, s1, s2
	s_cmp_lt_i32 s23, 1
	s_mov_b32 s1, 0
	s_barrier
	s_cbranch_scc1 .LBB160_23
; %bb.8:
	s_load_dwordx4 s[16:19], s[4:5], 0xd0
	s_load_dwordx2 s[28:29], s[4:5], 0x0
	s_load_dwordx2 s[2:3], s[24:25], 0x0
	s_mul_i32 s15, s10, s15
	s_mul_hi_u32 s24, s10, s14
	s_add_i32 s15, s24, s15
	s_load_dwordx2 s[24:25], s[4:5], 0xe0
	s_mul_i32 s14, s10, s14
	s_sub_u32 s14, s22, s14
	s_subb_u32 s15, 0, s15
	s_mul_i32 s13, s20, s13
	s_waitcnt lgkmcnt(0)
	s_mul_i32 s22, s14, s25
	s_mul_hi_u32 s25, s14, s24
	s_add_i32 s22, s25, s22
	s_mul_i32 s15, s15, s24
	s_add_i32 s15, s22, s15
	s_mul_hi_u32 s22, s20, s12
	s_add_i32 s22, s22, s13
	s_mul_i32 s12, s20, s12
	s_sub_u32 s10, s10, s12
	s_subb_u32 s11, s11, s22
	s_mul_i32 s12, s10, s19
	s_mul_hi_u32 s13, s10, s18
	s_add_i32 s12, s13, s12
	s_mul_i32 s11, s11, s18
	s_add_i32 s11, s12, s11
	s_mul_i32 s12, s20, s17
	s_mul_hi_u32 s13, s20, s16
	s_add_i32 s13, s13, s12
	s_mul_i32 s12, s20, s16
	s_lshl_b64 s[12:13], s[12:13], 3
	s_mul_i32 s10, s10, s18
	s_add_u32 s12, s28, s12
	s_addc_u32 s13, s29, s13
	s_lshl_b64 s[10:11], s[10:11], 3
	s_load_dwordx2 s[4:5], s[4:5], 0x1b8
	s_mul_i32 s14, s14, s24
	s_add_u32 s12, s12, s10
	s_addc_u32 s16, s13, s11
	s_lshl_b64 s[10:11], s[14:15], 3
	s_add_u32 s13, s12, s10
	s_addc_u32 s14, s16, s11
	s_and_b32 s12, s0, 0xff
	s_cmp_eq_u32 s23, 1
	v_add_u32_e32 v4, s27, v0
	s_cbranch_scc1 .LBB160_18
; %bb.9:
	s_and_b32 s15, s23, 0x7ffffffe
	s_mov_b32 s16, 0
	v_mov_b32_e32 v5, 1
	v_mov_b32_e32 v6, 2
	;; [unrolled: 1-line block ×3, first 2 shown]
	s_branch .LBB160_11
.LBB160_10:                             ;   in Loop: Header=BB160_11 Depth=1
	s_or_b64 exec, exec, s[10:11]
	s_add_i32 s16, s16, 2
	s_cmp_eq_u32 s15, s16
	v_add_u32_e32 v7, 0x200, v7
	s_cbranch_scc1 .LBB160_17
.LBB160_11:                             ; =>This Inner Loop Header: Depth=1
	v_cmp_gt_u32_e64 s[0:1], s21, v7
	s_and_saveexec_b64 s[10:11], s[0:1]
	s_cbranch_execz .LBB160_14
; %bb.12:                               ;   in Loop: Header=BB160_11 Depth=1
	s_waitcnt lgkmcnt(0)
	v_mad_u64_u32 v[2:3], s[0:1], v7, s4, 0
	v_mov_b32_e32 v8, v3
	v_mad_u64_u32 v[8:9], s[0:1], v7, s5, v[8:9]
	v_mov_b32_e32 v3, v8
	v_lshlrev_b64 v[2:3], 3, v[2:3]
	v_mov_b32_e32 v8, s14
	v_add_co_u32_e64 v2, s[0:1], s13, v2
	v_addc_co_u32_e64 v3, s[0:1], v8, v3, s[0:1]
	global_load_dwordx2 v[2:3], v[2:3], off
	s_waitcnt vmcnt(0)
	v_xor_b32_e32 v3, 0x80000000, v3
	v_xor_b32_e32 v8, s2, v2
	;; [unrolled: 1-line block ×3, first 2 shown]
	v_and_b32_e32 v9, s9, v9
	v_and_b32_e32 v8, s8, v8
	v_cmp_eq_u64_e64 s[0:1], 0, v[8:9]
	s_and_b64 exec, exec, s[0:1]
	s_cbranch_execz .LBB160_14
; %bb.13:                               ;   in Loop: Header=BB160_11 Depth=1
	v_lshrrev_b64 v[2:3], s12, v[2:3]
	v_lshlrev_b32_sdwa v2, v6, v2 dst_sel:DWORD dst_unused:UNUSED_PAD src0_sel:DWORD src1_sel:BYTE_0
	ds_add_u32 v2, v5
.LBB160_14:                             ;   in Loop: Header=BB160_11 Depth=1
	s_or_b64 exec, exec, s[10:11]
	v_add_u32_e32 v2, 0x100, v7
	v_cmp_gt_u32_e64 s[0:1], s21, v2
	s_and_saveexec_b64 s[10:11], s[0:1]
	s_cbranch_execz .LBB160_10
; %bb.15:                               ;   in Loop: Header=BB160_11 Depth=1
	s_waitcnt lgkmcnt(0)
	v_mad_u64_u32 v[8:9], s[0:1], v2, s4, 0
	v_mov_b32_e32 v10, v9
	v_mad_u64_u32 v[2:3], s[0:1], v2, s5, v[10:11]
	v_mov_b32_e32 v9, v2
	v_lshlrev_b64 v[2:3], 3, v[8:9]
	v_mov_b32_e32 v8, s14
	v_add_co_u32_e64 v2, s[0:1], s13, v2
	v_addc_co_u32_e64 v3, s[0:1], v8, v3, s[0:1]
	global_load_dwordx2 v[2:3], v[2:3], off
	s_waitcnt vmcnt(0)
	v_xor_b32_e32 v3, 0x80000000, v3
	v_xor_b32_e32 v8, s2, v2
	;; [unrolled: 1-line block ×3, first 2 shown]
	v_and_b32_e32 v9, s9, v9
	v_and_b32_e32 v8, s8, v8
	v_cmp_eq_u64_e64 s[0:1], 0, v[8:9]
	s_and_b64 exec, exec, s[0:1]
	s_cbranch_execz .LBB160_10
; %bb.16:                               ;   in Loop: Header=BB160_11 Depth=1
	v_lshrrev_b64 v[2:3], s12, v[2:3]
	v_lshlrev_b32_sdwa v2, v6, v2 dst_sel:DWORD dst_unused:UNUSED_PAD src0_sel:DWORD src1_sel:BYTE_0
	ds_add_u32 v2, v5
	s_branch .LBB160_10
.LBB160_17:
	s_lshl_b32 s1, s15, 8
.LBB160_18:
	s_bitcmp0_b32 s23, 0
	s_cbranch_scc1 .LBB160_23
; %bb.19:
	v_add_u32_e32 v2, s1, v4
	v_cmp_gt_u32_e64 s[0:1], s21, v2
	s_and_saveexec_b64 s[10:11], s[0:1]
	s_cbranch_execz .LBB160_22
; %bb.20:
	s_waitcnt lgkmcnt(0)
	v_mad_u64_u32 v[4:5], s[0:1], v2, s4, 0
	v_mov_b32_e32 v6, v5
	v_mad_u64_u32 v[2:3], s[0:1], v2, s5, v[6:7]
	v_mov_b32_e32 v5, v2
	v_lshlrev_b64 v[2:3], 3, v[4:5]
	v_mov_b32_e32 v4, s14
	v_add_co_u32_e64 v2, s[0:1], s13, v2
	v_addc_co_u32_e64 v3, s[0:1], v4, v3, s[0:1]
	global_load_dwordx2 v[2:3], v[2:3], off
	s_waitcnt vmcnt(0)
	v_xor_b32_e32 v3, 0x80000000, v3
	v_xor_b32_e32 v4, s2, v2
	;; [unrolled: 1-line block ×3, first 2 shown]
	v_and_b32_e32 v5, s9, v5
	v_and_b32_e32 v4, s8, v4
	v_cmp_eq_u64_e64 s[0:1], 0, v[4:5]
	s_and_b64 exec, exec, s[0:1]
	s_cbranch_execz .LBB160_22
; %bb.21:
	v_lshrrev_b64 v[2:3], s12, v[2:3]
	v_mov_b32_e32 v3, 2
	v_lshlrev_b32_sdwa v2, v3, v2 dst_sel:DWORD dst_unused:UNUSED_PAD src0_sel:DWORD src1_sel:BYTE_0
	v_mov_b32_e32 v3, 1
	ds_add_u32 v2, v3
.LBB160_22:
	s_or_b64 exec, exec, s[10:11]
.LBB160_23:
	v_mov_b32_e32 v2, 0
	s_waitcnt lgkmcnt(0)
	s_barrier
	s_and_saveexec_b64 s[0:1], vcc
	s_cbranch_execz .LBB160_25
; %bb.24:
	ds_read_b32 v2, v1
.LBB160_25:
	s_or_b64 exec, exec, s[0:1]
	s_and_saveexec_b64 s[0:1], vcc
	s_cbranch_execz .LBB160_27
; %bb.26:
	v_lshl_or_b32 v0, s26, 8, v0
	v_mov_b32_e32 v1, 0
	v_lshlrev_b64 v[0:1], 1, v[0:1]
	v_mov_b32_e32 v3, s7
	v_add_co_u32_e32 v0, vcc, s6, v0
	v_addc_co_u32_e32 v1, vcc, v3, v1, vcc
	s_waitcnt lgkmcnt(0)
	global_store_short v[0:1], v2, off
.LBB160_27:
	s_endpgm
	.section	.rodata,"a",@progbits
	.p2align	6, 0x0
	.amdhsa_kernel _ZN2at6native6mbtopk23computeBlockDigitCountsIlmmLi3EEEvNS_4cuda6detail10TensorInfoIKT_T0_EEjPjjS8_iijT1_PSB_Ps
		.amdhsa_group_segment_fixed_size 1024
		.amdhsa_private_segment_fixed_size 0
		.amdhsa_kernarg_size 744
		.amdhsa_user_sgpr_count 6
		.amdhsa_user_sgpr_private_segment_buffer 1
		.amdhsa_user_sgpr_dispatch_ptr 0
		.amdhsa_user_sgpr_queue_ptr 0
		.amdhsa_user_sgpr_kernarg_segment_ptr 1
		.amdhsa_user_sgpr_dispatch_id 0
		.amdhsa_user_sgpr_flat_scratch_init 0
		.amdhsa_user_sgpr_kernarg_preload_length 0
		.amdhsa_user_sgpr_kernarg_preload_offset 0
		.amdhsa_user_sgpr_private_segment_size 0
		.amdhsa_uses_dynamic_stack 0
		.amdhsa_system_sgpr_private_segment_wavefront_offset 0
		.amdhsa_system_sgpr_workgroup_id_x 1
		.amdhsa_system_sgpr_workgroup_id_y 1
		.amdhsa_system_sgpr_workgroup_id_z 1
		.amdhsa_system_sgpr_workgroup_info 0
		.amdhsa_system_vgpr_workitem_id 0
		.amdhsa_next_free_vgpr 12
		.amdhsa_next_free_sgpr 30
		.amdhsa_accum_offset 12
		.amdhsa_reserve_vcc 1
		.amdhsa_reserve_flat_scratch 0
		.amdhsa_float_round_mode_32 0
		.amdhsa_float_round_mode_16_64 0
		.amdhsa_float_denorm_mode_32 3
		.amdhsa_float_denorm_mode_16_64 3
		.amdhsa_dx10_clamp 1
		.amdhsa_ieee_mode 1
		.amdhsa_fp16_overflow 0
		.amdhsa_tg_split 0
		.amdhsa_exception_fp_ieee_invalid_op 0
		.amdhsa_exception_fp_denorm_src 0
		.amdhsa_exception_fp_ieee_div_zero 0
		.amdhsa_exception_fp_ieee_overflow 0
		.amdhsa_exception_fp_ieee_underflow 0
		.amdhsa_exception_fp_ieee_inexact 0
		.amdhsa_exception_int_div_zero 0
	.end_amdhsa_kernel
	.section	.text._ZN2at6native6mbtopk23computeBlockDigitCountsIlmmLi3EEEvNS_4cuda6detail10TensorInfoIKT_T0_EEjPjjS8_iijT1_PSB_Ps,"axG",@progbits,_ZN2at6native6mbtopk23computeBlockDigitCountsIlmmLi3EEEvNS_4cuda6detail10TensorInfoIKT_T0_EEjPjjS8_iijT1_PSB_Ps,comdat
.Lfunc_end160:
	.size	_ZN2at6native6mbtopk23computeBlockDigitCountsIlmmLi3EEEvNS_4cuda6detail10TensorInfoIKT_T0_EEjPjjS8_iijT1_PSB_Ps, .Lfunc_end160-_ZN2at6native6mbtopk23computeBlockDigitCountsIlmmLi3EEEvNS_4cuda6detail10TensorInfoIKT_T0_EEjPjjS8_iijT1_PSB_Ps
                                        ; -- End function
	.section	.AMDGPU.csdata,"",@progbits
; Kernel info:
; codeLenInByte = 1360
; NumSgprs: 34
; NumVgprs: 12
; NumAgprs: 0
; TotalNumVgprs: 12
; ScratchSize: 0
; MemoryBound: 0
; FloatMode: 240
; IeeeMode: 1
; LDSByteSize: 1024 bytes/workgroup (compile time only)
; SGPRBlocks: 4
; VGPRBlocks: 1
; NumSGPRsForWavesPerEU: 34
; NumVGPRsForWavesPerEU: 12
; AccumOffset: 12
; Occupancy: 8
; WaveLimiterHint : 1
; COMPUTE_PGM_RSRC2:SCRATCH_EN: 0
; COMPUTE_PGM_RSRC2:USER_SGPR: 6
; COMPUTE_PGM_RSRC2:TRAP_HANDLER: 0
; COMPUTE_PGM_RSRC2:TGID_X_EN: 1
; COMPUTE_PGM_RSRC2:TGID_Y_EN: 1
; COMPUTE_PGM_RSRC2:TGID_Z_EN: 1
; COMPUTE_PGM_RSRC2:TIDIG_COMP_CNT: 0
; COMPUTE_PGM_RSRC3_GFX90A:ACCUM_OFFSET: 2
; COMPUTE_PGM_RSRC3_GFX90A:TG_SPLIT: 0
	.section	.text._ZN2at6native6mbtopk10gatherTopKIlmLi3EEEvNS_4cuda6detail10TensorInfoIKT_T0_EES8_S8_bjS8_NS5_IS6_S8_EES8_NS5_IlS8_EES8_jjPS6_PjSD_j,"axG",@progbits,_ZN2at6native6mbtopk10gatherTopKIlmLi3EEEvNS_4cuda6detail10TensorInfoIKT_T0_EES8_S8_bjS8_NS5_IS6_S8_EES8_NS5_IlS8_EES8_jjPS6_PjSD_j,comdat
	.protected	_ZN2at6native6mbtopk10gatherTopKIlmLi3EEEvNS_4cuda6detail10TensorInfoIKT_T0_EES8_S8_bjS8_NS5_IS6_S8_EES8_NS5_IlS8_EES8_jjPS6_PjSD_j ; -- Begin function _ZN2at6native6mbtopk10gatherTopKIlmLi3EEEvNS_4cuda6detail10TensorInfoIKT_T0_EES8_S8_bjS8_NS5_IS6_S8_EES8_NS5_IlS8_EES8_jjPS6_PjSD_j
	.globl	_ZN2at6native6mbtopk10gatherTopKIlmLi3EEEvNS_4cuda6detail10TensorInfoIKT_T0_EES8_S8_bjS8_NS5_IS6_S8_EES8_NS5_IlS8_EES8_jjPS6_PjSD_j
	.p2align	8
	.type	_ZN2at6native6mbtopk10gatherTopKIlmLi3EEEvNS_4cuda6detail10TensorInfoIKT_T0_EES8_S8_bjS8_NS5_IS6_S8_EES8_NS5_IlS8_EES8_jjPS6_PjSD_j,@function
_ZN2at6native6mbtopk10gatherTopKIlmLi3EEEvNS_4cuda6detail10TensorInfoIKT_T0_EES8_S8_bjS8_NS5_IS6_S8_EES8_NS5_IlS8_EES8_jjPS6_PjSD_j: ; @_ZN2at6native6mbtopk10gatherTopKIlmLi3EEEvNS_4cuda6detail10TensorInfoIKT_T0_EES8_S8_bjS8_NS5_IS6_S8_EES8_NS5_IlS8_EES8_jjPS6_PjSD_j
; %bb.0:
	s_load_dwordx2 s[0:1], s[4:5], 0x538
	s_load_dword s2, s[4:5], 0x530
	s_waitcnt lgkmcnt(0)
	s_mul_i32 s1, s1, s8
	s_add_i32 s1, s1, s7
	s_mul_i32 s0, s1, s0
	s_add_i32 s0, s0, s6
	s_cmp_ge_u32 s0, s2
	s_cbranch_scc1 .LBB161_54
; %bb.1:
	s_load_dwordx2 s[34:35], s[4:5], 0x510
	s_load_dwordx4 s[8:11], s[4:5], 0x1a0
	s_load_dwordx4 s[12:15], s[4:5], 0x10
	s_mov_b32 s7, 0
	s_waitcnt lgkmcnt(0)
	v_cvt_f32_u32_e32 v1, s35
	s_sub_i32 s2, 0, s35
	s_lshl_b32 s1, s34, 8
	v_rcp_iflag_f32_e32 v1, v1
	v_mul_f32_e32 v1, 0x4f7ffffe, v1
	v_cvt_u32_f32_e32 v1, v1
	v_readfirstlane_b32 s3, v1
	s_mul_i32 s2, s2, s3
	s_mul_hi_u32 s2, s3, s2
	s_add_i32 s3, s3, s2
	s_mul_hi_u32 s2, s0, s3
	s_mul_i32 s3, s2, s35
	s_sub_i32 s3, s0, s3
	s_add_i32 s6, s2, 1
	s_sub_i32 s16, s3, s35
	s_cmp_ge_u32 s3, s35
	s_cselect_b32 s2, s6, s2
	s_cselect_b32 s3, s16, s3
	s_add_i32 s6, s2, 1
	s_cmp_ge_u32 s3, s35
	s_cselect_b32 s6, s6, s2
	s_mul_i32 s54, s6, s35
	s_sub_i32 s78, s0, s54
	s_add_i32 s0, s78, 1
	s_cmp_lt_u32 s0, s35
	s_mul_i32 s33, s78, s1
	s_cbranch_scc1 .LBB161_3
; %bb.2:
	s_sub_u32 s0, s8, s33
	s_subb_u32 s1, s9, 0
	s_add_u32 s0, s0, 0xff
	s_addc_u32 s1, s1, 0
	s_ashr_i32 s2, s1, 31
	s_lshr_b32 s2, s2, 24
	s_add_u32 s0, s0, s2
	s_addc_u32 s1, s1, 0
	v_mov_b32_e32 v1, s0
	v_alignbit_b32 v1, s1, v1, 8
	v_readfirstlane_b32 s34, v1
.LBB161_3:
	v_pk_mov_b32 v[2:3], s[14:15], s[14:15] op_sel:[0,1]
	v_cmp_lt_u64_e32 vcc, s[6:7], v[2:3]
	s_mov_b64 s[52:53], 0
	s_mov_b64 s[50:51], 0
	s_cbranch_vccnz .LBB161_5
; %bb.4:
	v_cvt_f32_u32_e32 v1, s14
	s_sub_i32 s0, 0, s14
	s_mov_b32 s51, 0
	v_rcp_iflag_f32_e32 v1, v1
	v_mul_f32_e32 v1, 0x4f7ffffe, v1
	v_cvt_u32_f32_e32 v1, v1
	v_readfirstlane_b32 s1, v1
	s_mul_i32 s0, s0, s1
	s_mul_hi_u32 s0, s1, s0
	s_add_i32 s1, s1, s0
	s_mul_hi_u32 s0, s6, s1
	s_mul_i32 s2, s0, s14
	s_sub_i32 s2, s6, s2
	s_add_i32 s1, s0, 1
	s_sub_i32 s3, s2, s14
	s_cmp_ge_u32 s2, s14
	s_cselect_b32 s0, s1, s0
	s_cselect_b32 s2, s3, s2
	s_add_i32 s1, s0, 1
	s_cmp_ge_u32 s2, s14
	s_cselect_b32 s50, s1, s0
.LBB161_5:
	s_load_dwordx4 s[16:19], s[4:5], 0x1d0
	v_pk_mov_b32 v[2:3], s[12:13], s[12:13] op_sel:[0,1]
	v_cmp_lt_u64_e32 vcc, s[50:51], v[2:3]
	s_cbranch_vccnz .LBB161_7
; %bb.6:
	v_cvt_f32_u32_e32 v1, s12
	s_sub_i32 s0, 0, s12
	v_rcp_iflag_f32_e32 v1, v1
	v_mul_f32_e32 v1, 0x4f7ffffe, v1
	v_cvt_u32_f32_e32 v1, v1
	v_readfirstlane_b32 s1, v1
	s_mul_i32 s0, s0, s1
	s_mul_hi_u32 s0, s1, s0
	s_add_i32 s1, s1, s0
	s_mul_hi_u32 s0, s50, s1
	s_mul_i32 s2, s0, s12
	s_sub_i32 s2, s50, s2
	s_add_i32 s1, s0, 1
	s_sub_i32 s3, s2, s12
	s_cmp_ge_u32 s2, s12
	s_cselect_b32 s0, s1, s0
	s_cselect_b32 s2, s3, s2
	s_add_i32 s1, s0, 1
	s_cmp_ge_u32 s2, s12
	s_cselect_b32 s52, s1, s0
.LBB161_7:
	s_waitcnt lgkmcnt(0)
	v_pk_mov_b32 v[2:3], s[18:19], s[18:19] op_sel:[0,1]
	v_cmp_lt_u64_e32 vcc, s[6:7], v[2:3]
	s_mov_b64 s[58:59], 0
	s_mov_b64 s[56:57], 0
	s_cbranch_vccnz .LBB161_9
; %bb.8:
	v_cvt_f32_u32_e32 v1, s18
	s_sub_i32 s0, 0, s18
	s_mov_b32 s57, 0
	v_rcp_iflag_f32_e32 v1, v1
	v_mul_f32_e32 v1, 0x4f7ffffe, v1
	v_cvt_u32_f32_e32 v1, v1
	v_readfirstlane_b32 s1, v1
	s_mul_i32 s0, s0, s1
	s_mul_hi_u32 s0, s1, s0
	s_add_i32 s1, s1, s0
	s_mul_hi_u32 s0, s6, s1
	s_mul_i32 s2, s0, s18
	s_sub_i32 s2, s6, s2
	s_add_i32 s1, s0, 1
	s_sub_i32 s3, s2, s18
	s_cmp_ge_u32 s2, s18
	s_cselect_b32 s0, s1, s0
	s_cselect_b32 s2, s3, s2
	s_add_i32 s1, s0, 1
	s_cmp_ge_u32 s2, s18
	s_cselect_b32 s56, s1, s0
.LBB161_9:
	s_load_dwordx4 s[28:31], s[4:5], 0x378
	v_pk_mov_b32 v[2:3], s[16:17], s[16:17] op_sel:[0,1]
	v_cmp_lt_u64_e32 vcc, s[56:57], v[2:3]
	s_cbranch_vccnz .LBB161_11
; %bb.10:
	v_cvt_f32_u32_e32 v1, s16
	s_sub_i32 s0, 0, s16
	v_rcp_iflag_f32_e32 v1, v1
	v_mul_f32_e32 v1, 0x4f7ffffe, v1
	v_cvt_u32_f32_e32 v1, v1
	v_readfirstlane_b32 s1, v1
	s_mul_i32 s0, s0, s1
	s_mul_hi_u32 s0, s1, s0
	s_add_i32 s1, s1, s0
	s_mul_hi_u32 s0, s56, s1
	s_mul_i32 s2, s0, s16
	s_sub_i32 s2, s56, s2
	s_add_i32 s1, s0, 1
	s_sub_i32 s3, s2, s16
	s_cmp_ge_u32 s2, s16
	s_cselect_b32 s0, s1, s0
	s_cselect_b32 s2, s3, s2
	s_add_i32 s1, s0, 1
	s_cmp_ge_u32 s2, s16
	s_cselect_b32 s58, s1, s0
.LBB161_11:
	s_waitcnt lgkmcnt(0)
	v_pk_mov_b32 v[2:3], s[30:31], s[30:31] op_sel:[0,1]
	v_cmp_lt_u64_e32 vcc, s[6:7], v[2:3]
	s_mov_b64 s[60:61], 0
	s_mov_b64 s[62:63], 0
	s_cbranch_vccnz .LBB161_13
; %bb.12:
	v_cvt_f32_u32_e32 v1, s30
	s_sub_i32 s0, 0, s30
	s_mov_b32 s63, 0
	v_rcp_iflag_f32_e32 v1, v1
	v_mul_f32_e32 v1, 0x4f7ffffe, v1
	v_cvt_u32_f32_e32 v1, v1
	v_readfirstlane_b32 s1, v1
	s_mul_i32 s0, s0, s1
	s_mul_hi_u32 s0, s1, s0
	s_add_i32 s1, s1, s0
	s_mul_hi_u32 s0, s6, s1
	s_mul_i32 s2, s0, s30
	s_sub_i32 s2, s6, s2
	s_add_i32 s1, s0, 1
	s_sub_i32 s3, s2, s30
	s_cmp_ge_u32 s2, s30
	s_cselect_b32 s0, s1, s0
	s_cselect_b32 s2, s3, s2
	s_add_i32 s1, s0, 1
	s_cmp_ge_u32 s2, s30
	s_cselect_b32 s62, s1, s0
.LBB161_13:
	s_load_dwordx2 s[64:65], s[4:5], 0xe0
	s_load_dwordx4 s[40:43], s[4:5], 0xd0
	s_load_dwordx2 s[68:69], s[4:5], 0x2a0
	s_load_dwordx4 s[44:47], s[4:5], 0x290
	;; [unrolled: 2-line block ×3, first 2 shown]
	v_pk_mov_b32 v[2:3], s[28:29], s[28:29] op_sel:[0,1]
	v_cmp_lt_u64_e32 vcc, s[62:63], v[2:3]
	s_cbranch_vccnz .LBB161_15
; %bb.14:
	v_cvt_f32_u32_e32 v1, s28
	s_sub_i32 s0, 0, s28
	v_rcp_iflag_f32_e32 v1, v1
	v_mul_f32_e32 v1, 0x4f7ffffe, v1
	v_cvt_u32_f32_e32 v1, v1
	v_readfirstlane_b32 s1, v1
	s_mul_i32 s0, s0, s1
	s_mul_hi_u32 s0, s1, s0
	s_add_i32 s1, s1, s0
	s_mul_hi_u32 s0, s62, s1
	s_mul_i32 s2, s0, s28
	s_sub_i32 s2, s62, s2
	s_add_i32 s1, s0, 1
	s_sub_i32 s3, s2, s28
	s_cmp_ge_u32 s2, s28
	s_cselect_b32 s0, s1, s0
	s_cselect_b32 s2, s3, s2
	s_add_i32 s1, s0, 1
	s_cmp_ge_u32 s2, s28
	s_cselect_b32 s60, s1, s0
.LBB161_15:
	s_load_dwordx4 s[20:23], s[4:5], 0x518
	s_load_dwordx2 s[66:67], s[4:5], 0x0
	s_lshl_b64 s[0:1], s[6:7], 3
	s_mov_b32 s55, 0
	v_cmp_eq_u32_e64 s[2:3], 0, v0
	s_waitcnt lgkmcnt(0)
	s_add_u32 s0, s20, s0
	s_addc_u32 s1, s21, s1
	s_load_dwordx2 s[48:49], s[0:1], 0x0
	v_cmp_ne_u32_e64 s[0:1], 0, v0
	s_and_saveexec_b64 s[20:21], s[2:3]
	s_cbranch_execz .LBB161_31
; %bb.16:
	s_load_dwordx2 s[72:73], s[4:5], 0x528
	s_lshl_b64 s[74:75], s[54:55], 2
	s_add_u32 s24, s22, s74
	s_addc_u32 s25, s23, s75
	s_mov_b32 s53, 0
	s_waitcnt lgkmcnt(0)
	s_add_u32 s26, s72, s74
	s_addc_u32 s27, s73, s75
	s_cmp_lt_u32 s35, 4
	s_cbranch_scc1 .LBB161_28
; %bb.17:
	s_mov_b32 s54, 0
.LBB161_18:                             ; =>This Inner Loop Header: Depth=1
	s_add_u32 s24, s22, s74
	s_addc_u32 s25, s23, s75
	s_load_dwordx4 s[24:27], s[24:25], 0x0
	s_add_u32 s76, s72, s74
	s_addc_u32 s77, s73, s75
	s_cmp_ge_u32 s54, s78
	s_cbranch_scc0 .LBB161_25
; %bb.19:                               ;   in Loop: Header=BB161_18 Depth=1
	s_add_i32 s59, s54, 1
	s_cmp_ge_u32 s59, s78
	s_cbranch_scc0 .LBB161_26
.LBB161_20:                             ;   in Loop: Header=BB161_18 Depth=1
	s_add_i32 s59, s59, 1
	s_cmp_ge_u32 s59, s78
	s_cbranch_scc0 .LBB161_27
.LBB161_21:                             ;   in Loop: Header=BB161_18 Depth=1
	s_add_i32 s59, s59, 1
	s_cmp_ge_u32 s59, s78
	s_cbranch_scc1 .LBB161_23
.LBB161_22:                             ;   in Loop: Header=BB161_18 Depth=1
	s_load_dword s61, s[76:77], 0xc
	s_waitcnt lgkmcnt(0)
	s_add_i32 s55, s55, s27
	s_add_i32 s7, s61, s7
.LBB161_23:                             ;   in Loop: Header=BB161_18 Depth=1
	s_waitcnt lgkmcnt(0)
	s_add_i32 s24, s24, s53
	s_add_i32 s24, s24, s25
	;; [unrolled: 1-line block ×4, first 2 shown]
	s_add_u32 s22, s22, 16
	s_addc_u32 s23, s23, 0
	s_add_u32 s72, s72, 16
	s_addc_u32 s73, s73, 0
	s_add_i32 s61, s59, 4
	s_add_u32 s26, s72, s74
	s_addc_u32 s27, s73, s75
	s_add_u32 s24, s22, s74
	s_addc_u32 s25, s23, s75
	s_add_i32 s59, s59, 1
	s_cmp_ge_u32 s61, s35
	s_cbranch_scc1 .LBB161_29
; %bb.24:                               ;   in Loop: Header=BB161_18 Depth=1
	s_mov_b32 s54, s59
	s_branch .LBB161_18
.LBB161_25:                             ;   in Loop: Header=BB161_18 Depth=1
	s_load_dword s59, s[76:77], 0x0
	s_waitcnt lgkmcnt(0)
	s_add_i32 s55, s24, s55
	s_add_i32 s7, s59, s7
	;; [unrolled: 1-line block ×3, first 2 shown]
	s_cmp_ge_u32 s59, s78
	s_cbranch_scc1 .LBB161_20
.LBB161_26:                             ;   in Loop: Header=BB161_18 Depth=1
	s_load_dword s61, s[76:77], 0x4
	s_waitcnt lgkmcnt(0)
	s_add_i32 s55, s55, s25
	s_add_i32 s7, s61, s7
	;; [unrolled: 1-line block ×3, first 2 shown]
	s_cmp_ge_u32 s59, s78
	s_cbranch_scc1 .LBB161_21
.LBB161_27:                             ;   in Loop: Header=BB161_18 Depth=1
	s_load_dword s61, s[76:77], 0x8
	s_waitcnt lgkmcnt(0)
	s_add_i32 s55, s55, s26
	s_add_i32 s7, s61, s7
	;; [unrolled: 1-line block ×3, first 2 shown]
	s_cmp_ge_u32 s59, s78
	s_cbranch_scc0 .LBB161_22
	s_branch .LBB161_23
.LBB161_28:
	s_mov_b32 s22, 0
	s_cmp_ge_u32 s22, s35
	s_cbranch_scc0 .LBB161_52
	s_branch .LBB161_30
.LBB161_29:
	s_add_i32 s22, s54, 4
	s_cmp_ge_u32 s22, s35
	s_cbranch_scc0 .LBB161_52
.LBB161_30:
	v_mov_b32_e32 v2, s7
	v_mov_b32_e32 v3, s53
	v_mov_b32_e32 v4, s55
	v_mov_b32_e32 v1, 0
	ds_write_b96 v1, v[2:4] offset:1056
.LBB161_31:
	s_or_b64 exec, exec, s[20:21]
	s_load_dwordx4 s[20:23], s[4:5], 0x1b8
	s_load_dwordx4 s[24:27], s[4:5], 0x360
	s_cmp_eq_u32 s34, 0
	s_waitcnt lgkmcnt(0)
	s_barrier
	s_cbranch_scc1 .LBB161_54
; %bb.32:
	s_mul_i32 s7, s62, s31
	s_mul_hi_u32 s31, s62, s30
	s_add_i32 s31, s31, s7
	s_mul_i32 s7, s62, s30
	s_sub_u32 s7, s6, s7
	s_subb_u32 s30, 0, s31
	s_mul_i32 s31, s7, s71
	s_mul_hi_u32 s35, s7, s70
	s_add_i32 s31, s35, s31
	s_mul_i32 s30, s30, s70
	s_add_i32 s31, s31, s30
	s_mul_i32 s30, s7, s70
	s_mul_i32 s7, s58, s17
	s_mul_hi_u32 s17, s58, s16
	s_add_i32 s17, s17, s7
	s_mul_i32 s7, s58, s16
	s_sub_u32 s7, s56, s7
	s_subb_u32 s16, s57, s17
	s_mul_i32 s17, s7, s47
	s_mul_hi_u32 s35, s7, s46
	s_add_i32 s17, s35, s17
	s_mul_i32 s16, s16, s46
	s_add_i32 s17, s17, s16
	s_mul_i32 s16, s7, s46
	s_mul_i32 s7, s58, s45
	s_mul_hi_u32 s35, s58, s44
	s_add_i32 s45, s35, s7
	s_mul_i32 s7, s56, s19
	s_mul_hi_u32 s19, s56, s18
	s_add_i32 s19, s19, s7
	s_mul_i32 s7, s56, s18
	s_sub_u32 s7, s6, s7
	s_subb_u32 s18, 0, s19
	s_mul_i32 s19, s7, s69
	s_mul_hi_u32 s35, s7, s68
	s_add_i32 s19, s35, s19
	s_mul_i32 s18, s18, s68
	s_mul_i32 s46, s7, s68
	;; [unrolled: 1-line block ×3, first 2 shown]
	s_mul_hi_u32 s13, s52, s12
	s_add_i32 s47, s19, s18
	s_add_i32 s13, s13, s7
	s_mul_i32 s7, s52, s12
	s_sub_u32 s7, s50, s7
	s_subb_u32 s12, s51, s13
	s_mul_i32 s13, s7, s43
	s_mul_hi_u32 s18, s7, s42
	s_add_i32 s13, s18, s13
	s_mul_i32 s12, s12, s42
	s_add_i32 s13, s13, s12
	s_mul_i32 s12, s7, s42
	s_mul_i32 s7, s52, s41
	s_mul_hi_u32 s18, s52, s40
	s_add_i32 s19, s18, s7
	s_mul_i32 s7, s50, s15
	s_mul_hi_u32 s15, s50, s14
	s_add_i32 s15, s15, s7
	s_mul_i32 s7, s50, s14
	s_sub_u32 s6, s6, s7
	s_subb_u32 s7, 0, s15
	s_mul_i32 s14, s6, s65
	s_mul_hi_u32 s15, s6, s64
	s_add_i32 s14, s15, s14
	s_mul_i32 s7, s7, s64
	s_add_i32 s7, s14, s7
	s_mul_i32 s14, s60, s29
	s_mul_hi_u32 s15, s60, s28
	s_add_i32 s15, s15, s14
	s_mul_i32 s14, s60, s28
	s_sub_u32 s14, s62, s14
	s_subb_u32 s15, s63, s15
	s_mul_i32 s28, s14, s39
	s_mul_hi_u32 s29, s14, s38
	s_add_i32 s28, s29, s28
	s_mul_i32 s15, s15, s38
	s_mul_i32 s18, s52, s40
	s_add_i32 s15, s28, s15
	s_mul_i32 s28, s60, s37
	s_mul_hi_u32 s29, s60, s36
	s_add_i32 s29, s29, s28
	s_lshl_b64 s[18:19], s[18:19], 3
	s_add_u32 s18, s66, s18
	s_addc_u32 s19, s67, s19
	s_lshl_b64 s[12:13], s[12:13], 3
	s_mul_i32 s6, s6, s64
	s_add_u32 s12, s18, s12
	s_addc_u32 s13, s19, s13
	s_lshl_b64 s[6:7], s[6:7], 3
	s_mul_i32 s44, s58, s44
	s_add_u32 s18, s12, s6
	s_addc_u32 s19, s13, s7
	s_lshl_b64 s[6:7], s[44:45], 3
	s_add_u32 s12, s22, s6
	s_addc_u32 s13, s23, s7
	s_lshl_b64 s[6:7], s[16:17], 3
	s_add_u32 s12, s12, s6
	s_addc_u32 s13, s13, s7
	s_lshl_b64 s[6:7], s[46:47], 3
	s_mul_i32 s28, s60, s36
	s_add_u32 s22, s12, s6
	v_mov_b32_e32 v1, 0
	s_addc_u32 s23, s13, s7
	s_lshl_b64 s[6:7], s[28:29], 3
	ds_read_b96 v[2:4], v1 offset:1056
	s_mul_i32 s14, s14, s38
	s_add_u32 s12, s26, s6
	s_addc_u32 s13, s27, s7
	s_lshl_b64 s[6:7], s[14:15], 3
	s_add_u32 s12, s12, s6
	s_addc_u32 s13, s13, s7
	s_lshl_b64 s[6:7], s[30:31], 3
	s_add_u32 s26, s12, s6
	s_load_dword s6, s[4:5], 0x1b0
	s_load_dwordx2 s[14:15], s[4:5], 0x508
	s_waitcnt lgkmcnt(0)
	v_add_u32_e32 v2, v2, v3
	v_lshrrev_b32_e32 v3, 5, v0
	v_add_lshl_u32 v5, v3, v0, 2
	v_lshlrev_b32_e32 v3, 2, v0
	v_lshrrev_b32_e32 v6, 3, v0
	v_add_lshl_u32 v10, v6, v3, 2
	v_add_u32_e32 v3, -1, v0
	v_lshrrev_b32_e32 v6, 5, v3
	s_addc_u32 s27, s13, s7
	s_xor_b32 s13, s49, 0x80000000
	v_add_lshl_u32 v11, v6, v3, 2
	v_mbcnt_lo_u32_b32 v3, -1, 0
	s_bitcmp1_b32 s6, 0
	v_mbcnt_hi_u32_b32 v12, -1, v3
	s_mov_b32 s12, s48
	s_cselect_b64 s[4:5], -1, 0
	v_cmp_gt_u32_e64 s[6:7], 64, v0
	v_add_u32_e32 v0, s33, v0
	v_and_b32_e32 v13, 15, v12
	v_bfe_i32 v14, v12, 4, 1
	v_add_u32_e32 v15, -1, v12
	v_and_b32_e32 v16, 64, v12
                                        ; implicit-def: $vgpr6_vgpr7
	s_branch .LBB161_35
.LBB161_33:                             ;   in Loop: Header=BB161_35 Depth=1
	s_or_b64 exec, exec, s[16:17]
	v_add_u32_e32 v2, v3, v2
.LBB161_34:                             ;   in Loop: Header=BB161_35 Depth=1
	s_add_i32 s34, s34, -1
	v_add_u32_e32 v4, v17, v4
	s_cmp_lg_u32 s34, 0
	v_add_u32_e32 v0, 0x100, v0
	s_cbranch_scc0 .LBB161_54
.LBB161_35:                             ; =>This Inner Loop Header: Depth=1
	v_cmp_gt_u64_e32 vcc, s[8:9], v[0:1]
	v_mov_b32_e32 v3, v1
	v_mov_b32_e32 v8, v1
	s_and_saveexec_b64 s[16:17], vcc
	s_cbranch_execz .LBB161_37
; %bb.36:                               ;   in Loop: Header=BB161_35 Depth=1
	v_mad_u64_u32 v[6:7], s[28:29], v0, s20, 0
	v_mov_b32_e32 v8, v7
	v_mad_u64_u32 v[8:9], s[28:29], v0, s21, v[8:9]
	v_mov_b32_e32 v7, v8
	v_lshlrev_b64 v[6:7], 3, v[6:7]
	v_mov_b32_e32 v3, s19
	v_add_co_u32_e32 v6, vcc, s18, v6
	v_addc_co_u32_e32 v7, vcc, v3, v7, vcc
	global_load_dwordx2 v[6:7], v[6:7], off
	s_waitcnt vmcnt(0)
	v_xor_b32_e32 v9, 0x80000000, v7
	v_mov_b32_e32 v8, v6
	v_cmp_lt_u64_e32 vcc, s[12:13], v[8:9]
	v_cndmask_b32_e64 v3, 0, 1, vcc
	v_cmp_gt_u64_e32 vcc, s[12:13], v[8:9]
	v_cndmask_b32_e64 v8, 0, 1, vcc
	v_cndmask_b32_e64 v3, v8, v3, s[4:5]
	v_cmp_eq_u64_e32 vcc, s[48:49], v[6:7]
	v_and_b32_e32 v3, 1, v3
	v_cndmask_b32_e64 v8, 0, 1, vcc
.LBB161_37:                             ;   in Loop: Header=BB161_35 Depth=1
	s_or_b64 exec, exec, s[16:17]
	ds_write_b32 v5, v3
	s_waitcnt lgkmcnt(0)
	s_barrier
	s_and_saveexec_b64 s[16:17], s[6:7]
	s_cbranch_execz .LBB161_39
; %bb.38:                               ;   in Loop: Header=BB161_35 Depth=1
	ds_read2_b32 v[18:19], v10 offset1:1
	ds_read2_b32 v[20:21], v10 offset0:2 offset1:3
	v_cmp_ne_u32_e32 vcc, 0, v13
	; wave barrier
	s_waitcnt lgkmcnt(1)
	v_add_u32_e32 v9, v19, v18
	s_waitcnt lgkmcnt(0)
	v_add3_u32 v9, v9, v20, v21
	s_nop 1
	v_mov_b32_dpp v17, v9 row_shr:1 row_mask:0xf bank_mask:0xf
	v_cndmask_b32_e32 v17, 0, v17, vcc
	v_add_u32_e32 v9, v17, v9
	v_cmp_lt_u32_e32 vcc, 1, v13
	s_nop 0
	v_mov_b32_dpp v17, v9 row_shr:2 row_mask:0xf bank_mask:0xf
	v_cndmask_b32_e32 v17, 0, v17, vcc
	v_add_u32_e32 v9, v9, v17
	v_cmp_lt_u32_e32 vcc, 3, v13
	;; [unrolled: 5-line block ×4, first 2 shown]
	s_nop 0
	v_mov_b32_dpp v17, v9 row_bcast:15 row_mask:0xf bank_mask:0xf
	v_and_b32_e32 v17, v14, v17
	v_add_u32_e32 v9, v9, v17
	s_nop 1
	v_mov_b32_dpp v17, v9 row_bcast:31 row_mask:0xf bank_mask:0xf
	v_cndmask_b32_e32 v17, 0, v17, vcc
	v_cmp_lt_i32_e32 vcc, v15, v16
	v_add_u32_e32 v9, v9, v17
	v_cndmask_b32_e32 v17, v15, v12, vcc
	v_lshlrev_b32_e32 v17, 2, v17
	ds_bpermute_b32 v9, v17, v9
	s_waitcnt lgkmcnt(0)
	v_add_u32_e32 v9, v9, v18
	v_cndmask_b32_e64 v9, v9, v3, s[2:3]
	ds_write_b32 v10, v9
	; wave barrier
	ds_read2_b32 v[18:19], v10 offset0:1 offset1:2
	ds_read_b32 v17, v10 offset:12
	s_waitcnt lgkmcnt(1)
	v_add_u32_e32 v9, v18, v9
	v_add_u32_e32 v18, v19, v9
	ds_write2_b32 v10, v9, v18 offset0:1 offset1:2
	s_waitcnt lgkmcnt(1)
	v_add_u32_e32 v9, v17, v18
	ds_write_b32 v10, v9 offset:12
.LBB161_39:                             ;   in Loop: Header=BB161_35 Depth=1
	s_or_b64 exec, exec, s[16:17]
	v_mov_b32_e32 v9, 0
	s_waitcnt lgkmcnt(0)
	s_barrier
	s_and_saveexec_b64 s[16:17], s[0:1]
	s_cbranch_execz .LBB161_41
; %bb.40:                               ;   in Loop: Header=BB161_35 Depth=1
	ds_read_b32 v9, v11
.LBB161_41:                             ;   in Loop: Header=BB161_35 Depth=1
	s_or_b64 exec, exec, s[16:17]
	ds_read_b32 v17, v1 offset:1048
	v_cmp_ne_u32_e32 vcc, 0, v3
	s_waitcnt lgkmcnt(0)
	s_barrier
	s_and_saveexec_b64 s[16:17], vcc
	s_cbranch_execz .LBB161_43
; %bb.42:                               ;   in Loop: Header=BB161_35 Depth=1
	v_add_u32_e32 v3, v9, v4
	v_mad_u64_u32 v[18:19], s[28:29], v3, s24, 0
	v_mov_b32_e32 v20, v19
	v_mad_u64_u32 v[20:21], s[28:29], v3, s25, v[20:21]
	v_mov_b32_e32 v19, v20
	v_lshlrev_b64 v[18:19], 3, v[18:19]
	v_mov_b32_e32 v9, s23
	v_add_co_u32_e32 v18, vcc, s22, v18
	v_addc_co_u32_e32 v19, vcc, v9, v19, vcc
	global_store_dwordx2 v[18:19], v[6:7], off
	v_mad_u64_u32 v[18:19], s[28:29], v3, s14, 0
	v_mov_b32_e32 v20, v19
	v_mad_u64_u32 v[20:21], s[28:29], v3, s15, v[20:21]
	v_mov_b32_e32 v19, v20
	v_lshlrev_b64 v[18:19], 3, v[18:19]
	v_mov_b32_e32 v3, s27
	v_add_co_u32_e32 v18, vcc, s26, v18
	v_addc_co_u32_e32 v19, vcc, v3, v19, vcc
	global_store_dwordx2 v[18:19], v[0:1], off
.LBB161_43:                             ;   in Loop: Header=BB161_35 Depth=1
	s_or_b64 exec, exec, s[16:17]
	v_mov_b32_e32 v3, v1
	v_cmp_le_u64_e32 vcc, s[10:11], v[2:3]
	s_cbranch_vccnz .LBB161_34
; %bb.44:                               ;   in Loop: Header=BB161_35 Depth=1
	ds_write_b32 v5, v8
	s_waitcnt lgkmcnt(0)
	s_barrier
	s_and_saveexec_b64 s[16:17], s[6:7]
	s_cbranch_execz .LBB161_46
; %bb.45:                               ;   in Loop: Header=BB161_35 Depth=1
	ds_read2_b32 v[18:19], v10 offset1:1
	ds_read2_b32 v[20:21], v10 offset0:2 offset1:3
	v_cmp_ne_u32_e32 vcc, 0, v13
	; wave barrier
	s_waitcnt lgkmcnt(1)
	v_add_u32_e32 v3, v19, v18
	s_waitcnt lgkmcnt(0)
	v_add3_u32 v3, v3, v20, v21
	s_nop 1
	v_mov_b32_dpp v9, v3 row_shr:1 row_mask:0xf bank_mask:0xf
	v_cndmask_b32_e32 v9, 0, v9, vcc
	v_add_u32_e32 v3, v9, v3
	v_cmp_lt_u32_e32 vcc, 1, v13
	s_nop 0
	v_mov_b32_dpp v9, v3 row_shr:2 row_mask:0xf bank_mask:0xf
	v_cndmask_b32_e32 v9, 0, v9, vcc
	v_add_u32_e32 v3, v3, v9
	v_cmp_lt_u32_e32 vcc, 3, v13
	;; [unrolled: 5-line block ×4, first 2 shown]
	s_nop 0
	v_mov_b32_dpp v9, v3 row_bcast:15 row_mask:0xf bank_mask:0xf
	v_and_b32_e32 v9, v14, v9
	v_add_u32_e32 v3, v3, v9
	s_nop 1
	v_mov_b32_dpp v9, v3 row_bcast:31 row_mask:0xf bank_mask:0xf
	v_cndmask_b32_e32 v9, 0, v9, vcc
	v_cmp_lt_i32_e32 vcc, v15, v16
	v_add_u32_e32 v3, v3, v9
	v_cndmask_b32_e32 v9, v15, v12, vcc
	v_lshlrev_b32_e32 v9, 2, v9
	ds_bpermute_b32 v3, v9, v3
	s_waitcnt lgkmcnt(0)
	v_add_u32_e32 v3, v3, v18
	v_cndmask_b32_e64 v3, v3, v8, s[2:3]
	ds_write_b32 v10, v3
	; wave barrier
	ds_read2_b32 v[18:19], v10 offset0:1 offset1:2
	ds_read_b32 v9, v10 offset:12
	s_waitcnt lgkmcnt(1)
	v_add_u32_e32 v3, v18, v3
	v_add_u32_e32 v18, v19, v3
	ds_write2_b32 v10, v3, v18 offset0:1 offset1:2
	s_waitcnt lgkmcnt(1)
	v_add_u32_e32 v3, v9, v18
	ds_write_b32 v10, v3 offset:12
.LBB161_46:                             ;   in Loop: Header=BB161_35 Depth=1
	s_or_b64 exec, exec, s[16:17]
	v_mov_b32_e32 v9, 0
	s_waitcnt lgkmcnt(0)
	s_barrier
	s_and_saveexec_b64 s[16:17], s[0:1]
	s_cbranch_execz .LBB161_48
; %bb.47:                               ;   in Loop: Header=BB161_35 Depth=1
	ds_read_b32 v9, v11
.LBB161_48:                             ;   in Loop: Header=BB161_35 Depth=1
	s_or_b64 exec, exec, s[16:17]
	ds_read_b32 v3, v1 offset:1048
	v_cmp_ne_u32_e32 vcc, 0, v8
	s_waitcnt lgkmcnt(0)
	s_barrier
	s_and_saveexec_b64 s[16:17], vcc
	s_cbranch_execz .LBB161_33
; %bb.49:                               ;   in Loop: Header=BB161_35 Depth=1
	v_add_u32_e32 v8, v9, v2
	v_mov_b32_e32 v9, v1
	v_cmp_gt_u64_e32 vcc, s[10:11], v[8:9]
	s_and_b64 exec, exec, vcc
	s_cbranch_execz .LBB161_33
; %bb.50:                               ;   in Loop: Header=BB161_35 Depth=1
	v_mad_u64_u32 v[18:19], s[28:29], v8, s24, 0
	v_mov_b32_e32 v20, v19
	v_mad_u64_u32 v[20:21], s[28:29], v8, s25, v[20:21]
	v_mov_b32_e32 v19, v20
	v_lshlrev_b64 v[18:19], 3, v[18:19]
	v_mov_b32_e32 v9, s23
	v_add_co_u32_e32 v18, vcc, s22, v18
	v_addc_co_u32_e32 v19, vcc, v9, v19, vcc
	global_store_dwordx2 v[18:19], v[6:7], off
	v_mad_u64_u32 v[18:19], s[28:29], v8, s14, 0
	v_mov_b32_e32 v20, v19
	v_mad_u64_u32 v[8:9], s[28:29], v8, s15, v[20:21]
	v_mov_b32_e32 v19, v8
	v_lshlrev_b64 v[8:9], 3, v[18:19]
	v_mov_b32_e32 v18, s27
	v_add_co_u32_e32 v8, vcc, s26, v8
	v_addc_co_u32_e32 v9, vcc, v18, v9, vcc
	global_store_dwordx2 v[8:9], v[0:1], off
	s_branch .LBB161_33
.LBB161_51:                             ;   in Loop: Header=BB161_52 Depth=1
	s_add_u32 s24, s24, 4
	s_addc_u32 s25, s25, 0
	s_waitcnt lgkmcnt(0)
	s_add_i32 s53, s23, s53
	s_add_u32 s26, s26, 4
	s_addc_u32 s27, s27, 0
	s_add_i32 s22, s22, 1
	s_cmp_lt_u32 s22, s35
	s_cbranch_scc0 .LBB161_30
.LBB161_52:                             ; =>This Inner Loop Header: Depth=1
	s_load_dword s23, s[24:25], 0x0
	s_cmp_ge_u32 s22, s78
	s_cbranch_scc1 .LBB161_51
; %bb.53:                               ;   in Loop: Header=BB161_52 Depth=1
	s_load_dword s54, s[26:27], 0x0
	s_waitcnt lgkmcnt(0)
	s_add_i32 s55, s23, s55
	s_add_i32 s7, s54, s7
	s_branch .LBB161_51
.LBB161_54:
	s_endpgm
	.section	.rodata,"a",@progbits
	.p2align	6, 0x0
	.amdhsa_kernel _ZN2at6native6mbtopk10gatherTopKIlmLi3EEEvNS_4cuda6detail10TensorInfoIKT_T0_EES8_S8_bjS8_NS5_IS6_S8_EES8_NS5_IlS8_EES8_jjPS6_PjSD_j
		.amdhsa_group_segment_fixed_size 1068
		.amdhsa_private_segment_fixed_size 0
		.amdhsa_kernarg_size 1592
		.amdhsa_user_sgpr_count 6
		.amdhsa_user_sgpr_private_segment_buffer 1
		.amdhsa_user_sgpr_dispatch_ptr 0
		.amdhsa_user_sgpr_queue_ptr 0
		.amdhsa_user_sgpr_kernarg_segment_ptr 1
		.amdhsa_user_sgpr_dispatch_id 0
		.amdhsa_user_sgpr_flat_scratch_init 0
		.amdhsa_user_sgpr_kernarg_preload_length 0
		.amdhsa_user_sgpr_kernarg_preload_offset 0
		.amdhsa_user_sgpr_private_segment_size 0
		.amdhsa_uses_dynamic_stack 0
		.amdhsa_system_sgpr_private_segment_wavefront_offset 0
		.amdhsa_system_sgpr_workgroup_id_x 1
		.amdhsa_system_sgpr_workgroup_id_y 1
		.amdhsa_system_sgpr_workgroup_id_z 1
		.amdhsa_system_sgpr_workgroup_info 0
		.amdhsa_system_vgpr_workitem_id 0
		.amdhsa_next_free_vgpr 22
		.amdhsa_next_free_sgpr 79
		.amdhsa_accum_offset 24
		.amdhsa_reserve_vcc 1
		.amdhsa_reserve_flat_scratch 0
		.amdhsa_float_round_mode_32 0
		.amdhsa_float_round_mode_16_64 0
		.amdhsa_float_denorm_mode_32 3
		.amdhsa_float_denorm_mode_16_64 3
		.amdhsa_dx10_clamp 1
		.amdhsa_ieee_mode 1
		.amdhsa_fp16_overflow 0
		.amdhsa_tg_split 0
		.amdhsa_exception_fp_ieee_invalid_op 0
		.amdhsa_exception_fp_denorm_src 0
		.amdhsa_exception_fp_ieee_div_zero 0
		.amdhsa_exception_fp_ieee_overflow 0
		.amdhsa_exception_fp_ieee_underflow 0
		.amdhsa_exception_fp_ieee_inexact 0
		.amdhsa_exception_int_div_zero 0
	.end_amdhsa_kernel
	.section	.text._ZN2at6native6mbtopk10gatherTopKIlmLi3EEEvNS_4cuda6detail10TensorInfoIKT_T0_EES8_S8_bjS8_NS5_IS6_S8_EES8_NS5_IlS8_EES8_jjPS6_PjSD_j,"axG",@progbits,_ZN2at6native6mbtopk10gatherTopKIlmLi3EEEvNS_4cuda6detail10TensorInfoIKT_T0_EES8_S8_bjS8_NS5_IS6_S8_EES8_NS5_IlS8_EES8_jjPS6_PjSD_j,comdat
.Lfunc_end161:
	.size	_ZN2at6native6mbtopk10gatherTopKIlmLi3EEEvNS_4cuda6detail10TensorInfoIKT_T0_EES8_S8_bjS8_NS5_IS6_S8_EES8_NS5_IlS8_EES8_jjPS6_PjSD_j, .Lfunc_end161-_ZN2at6native6mbtopk10gatherTopKIlmLi3EEEvNS_4cuda6detail10TensorInfoIKT_T0_EES8_S8_bjS8_NS5_IS6_S8_EES8_NS5_IlS8_EES8_jjPS6_PjSD_j
                                        ; -- End function
	.section	.AMDGPU.csdata,"",@progbits
; Kernel info:
; codeLenInByte = 3236
; NumSgprs: 83
; NumVgprs: 22
; NumAgprs: 0
; TotalNumVgprs: 22
; ScratchSize: 0
; MemoryBound: 0
; FloatMode: 240
; IeeeMode: 1
; LDSByteSize: 1068 bytes/workgroup (compile time only)
; SGPRBlocks: 10
; VGPRBlocks: 2
; NumSGPRsForWavesPerEU: 83
; NumVGPRsForWavesPerEU: 22
; AccumOffset: 24
; Occupancy: 8
; WaveLimiterHint : 1
; COMPUTE_PGM_RSRC2:SCRATCH_EN: 0
; COMPUTE_PGM_RSRC2:USER_SGPR: 6
; COMPUTE_PGM_RSRC2:TRAP_HANDLER: 0
; COMPUTE_PGM_RSRC2:TGID_X_EN: 1
; COMPUTE_PGM_RSRC2:TGID_Y_EN: 1
; COMPUTE_PGM_RSRC2:TGID_Z_EN: 1
; COMPUTE_PGM_RSRC2:TIDIG_COMP_CNT: 0
; COMPUTE_PGM_RSRC3_GFX90A:ACCUM_OFFSET: 5
; COMPUTE_PGM_RSRC3_GFX90A:TG_SPLIT: 0
	.section	.text._ZN2at6native6sbtopk10gatherTopKIlmLi3ELb0EEEvNS_4cuda6detail10TensorInfoIKT_T0_EES8_S8_bS8_S8_NS5_IS6_S8_EES8_NS5_IlS8_EES8_PS6_,"axG",@progbits,_ZN2at6native6sbtopk10gatherTopKIlmLi3ELb0EEEvNS_4cuda6detail10TensorInfoIKT_T0_EES8_S8_bS8_S8_NS5_IS6_S8_EES8_NS5_IlS8_EES8_PS6_,comdat
	.protected	_ZN2at6native6sbtopk10gatherTopKIlmLi3ELb0EEEvNS_4cuda6detail10TensorInfoIKT_T0_EES8_S8_bS8_S8_NS5_IS6_S8_EES8_NS5_IlS8_EES8_PS6_ ; -- Begin function _ZN2at6native6sbtopk10gatherTopKIlmLi3ELb0EEEvNS_4cuda6detail10TensorInfoIKT_T0_EES8_S8_bS8_S8_NS5_IS6_S8_EES8_NS5_IlS8_EES8_PS6_
	.globl	_ZN2at6native6sbtopk10gatherTopKIlmLi3ELb0EEEvNS_4cuda6detail10TensorInfoIKT_T0_EES8_S8_bS8_S8_NS5_IS6_S8_EES8_NS5_IlS8_EES8_PS6_
	.p2align	8
	.type	_ZN2at6native6sbtopk10gatherTopKIlmLi3ELb0EEEvNS_4cuda6detail10TensorInfoIKT_T0_EES8_S8_bS8_S8_NS5_IS6_S8_EES8_NS5_IlS8_EES8_PS6_,@function
_ZN2at6native6sbtopk10gatherTopKIlmLi3ELb0EEEvNS_4cuda6detail10TensorInfoIKT_T0_EES8_S8_bS8_S8_NS5_IS6_S8_EES8_NS5_IlS8_EES8_PS6_: ; @_ZN2at6native6sbtopk10gatherTopKIlmLi3ELb0EEEvNS_4cuda6detail10TensorInfoIKT_T0_EES8_S8_bS8_S8_NS5_IS6_S8_EES8_NS5_IlS8_EES8_PS6_
; %bb.0:
	s_load_dwordx4 s[56:59], s[4:5], 0x1b8
	s_load_dwordx2 s[16:17], s[4:5], 0x520
	s_mov_b64 s[26:27], s[4:5]
	s_add_u32 s10, s26, 0x520
	s_addc_u32 s11, s27, 0
	s_waitcnt lgkmcnt(0)
	v_mov_b32_e32 v2, s56
	s_mul_i32 s0, s17, s8
	s_add_i32 s0, s0, s7
	s_mul_i32 s0, s0, s16
	v_mov_b32_e32 v3, s57
	s_add_i32 s28, s0, s6
	s_mov_b32 s29, 0
	v_cmp_ge_u64_e32 vcc, s[28:29], v[2:3]
	s_cbranch_vccnz .LBB162_495
; %bb.1:
	s_load_dwordx4 s[0:3], s[26:27], 0x10
	s_mov_b64 s[8:9], 0
	s_mov_b64 s[4:5], 0
	s_waitcnt lgkmcnt(0)
	v_pk_mov_b32 v[2:3], s[2:3], s[2:3] op_sel:[0,1]
	v_cmp_lt_u64_e32 vcc, s[28:29], v[2:3]
	s_cbranch_vccnz .LBB162_3
; %bb.2:
	v_cvt_f32_u32_e32 v1, s2
	s_sub_i32 s4, 0, s2
	s_mov_b32 s5, 0
	v_rcp_iflag_f32_e32 v1, v1
	v_mul_f32_e32 v1, 0x4f7ffffe, v1
	v_cvt_u32_f32_e32 v1, v1
	v_readfirstlane_b32 s7, v1
	s_mul_i32 s4, s4, s7
	s_mul_hi_u32 s4, s7, s4
	s_add_i32 s7, s7, s4
	s_mul_hi_u32 s4, s28, s7
	s_mul_i32 s9, s4, s2
	s_sub_i32 s9, s28, s9
	s_add_i32 s7, s4, 1
	s_sub_i32 s12, s9, s2
	s_cmp_ge_u32 s9, s2
	s_cselect_b32 s4, s7, s4
	s_cselect_b32 s9, s12, s9
	s_add_i32 s7, s4, 1
	s_cmp_ge_u32 s9, s2
	s_cselect_b32 s4, s7, s4
.LBB162_3:
	s_load_dwordx4 s[20:23], s[26:27], 0x1d8
	v_pk_mov_b32 v[2:3], s[0:1], s[0:1] op_sel:[0,1]
	v_cmp_lt_u64_e32 vcc, s[4:5], v[2:3]
	s_cbranch_vccnz .LBB162_5
; %bb.4:
	v_cvt_f32_u32_e32 v1, s0
	s_sub_i32 s7, 0, s0
	v_rcp_iflag_f32_e32 v1, v1
	v_mul_f32_e32 v1, 0x4f7ffffe, v1
	v_cvt_u32_f32_e32 v1, v1
	v_readfirstlane_b32 s8, v1
	s_mul_i32 s7, s7, s8
	s_mul_hi_u32 s7, s8, s7
	s_add_i32 s8, s8, s7
	s_mul_hi_u32 s7, s4, s8
	s_mul_i32 s9, s7, s0
	s_sub_i32 s9, s4, s9
	s_add_i32 s8, s7, 1
	s_sub_i32 s12, s9, s0
	s_cmp_ge_u32 s9, s0
	s_cselect_b32 s7, s8, s7
	s_cselect_b32 s9, s12, s9
	s_add_i32 s8, s7, 1
	s_cmp_ge_u32 s9, s0
	s_cselect_b32 s8, s8, s7
.LBB162_5:
	s_waitcnt lgkmcnt(0)
	v_pk_mov_b32 v[2:3], s[22:23], s[22:23] op_sel:[0,1]
	v_cmp_lt_u64_e32 vcc, s[28:29], v[2:3]
	s_mov_b64 s[12:13], 0
                                        ; implicit-def: $vgpr55 : SGPR spill to VGPR lane
	v_writelane_b32 v55, s12, 0
	s_mov_b64 s[24:25], 0
	v_writelane_b32 v55, s13, 1
	s_cbranch_vccnz .LBB162_7
; %bb.6:
	v_cvt_f32_u32_e32 v1, s22
	s_sub_i32 s7, 0, s22
	s_mov_b32 s25, 0
	v_rcp_iflag_f32_e32 v1, v1
	v_mul_f32_e32 v1, 0x4f7ffffe, v1
	v_cvt_u32_f32_e32 v1, v1
	v_readfirstlane_b32 s9, v1
	s_mul_i32 s7, s7, s9
	s_mul_hi_u32 s7, s9, s7
	s_add_i32 s9, s9, s7
	s_mul_hi_u32 s7, s28, s9
	s_mul_i32 s12, s7, s22
	s_sub_i32 s12, s28, s12
	s_add_i32 s9, s7, 1
	s_sub_i32 s13, s12, s22
	s_cmp_ge_u32 s12, s22
	s_cselect_b32 s7, s9, s7
	s_cselect_b32 s12, s13, s12
	s_add_i32 s9, s7, 1
	s_cmp_ge_u32 s12, s22
	s_cselect_b32 s24, s9, s7
.LBB162_7:
	s_load_dwordx4 s[36:39], s[26:27], 0x380
	v_pk_mov_b32 v[2:3], s[20:21], s[20:21] op_sel:[0,1]
	v_cmp_lt_u64_e32 vcc, s[24:25], v[2:3]
	s_cbranch_vccnz .LBB162_9
; %bb.8:
	v_cvt_f32_u32_e32 v1, s20
	s_sub_i32 s7, 0, s20
	v_rcp_iflag_f32_e32 v1, v1
	v_mul_f32_e32 v1, 0x4f7ffffe, v1
	v_cvt_u32_f32_e32 v1, v1
	v_readfirstlane_b32 s9, v1
	s_mul_i32 s7, s7, s9
	s_mul_hi_u32 s7, s9, s7
	s_add_i32 s9, s9, s7
	s_mul_hi_u32 s7, s24, s9
	s_mul_i32 s12, s7, s20
	s_sub_i32 s12, s24, s12
	s_add_i32 s9, s7, 1
	s_sub_i32 s13, s12, s20
	s_cmp_ge_u32 s12, s20
	s_cselect_b32 s7, s9, s7
	s_cselect_b32 s12, s13, s12
	s_add_i32 s9, s7, 1
	s_cmp_ge_u32 s12, s20
	s_cselect_b32 s12, s9, s7
	v_writelane_b32 v55, s12, 0
	v_writelane_b32 v55, s13, 1
.LBB162_9:
	v_writelane_b32 v55, s20, 2
	v_writelane_b32 v55, s21, 3
	s_load_dwordx2 s[18:19], s[26:27], 0xe0
	s_load_dwordx4 s[12:15], s[26:27], 0xd0
	v_writelane_b32 v55, s22, 4
	v_writelane_b32 v55, s23, 5
	s_waitcnt lgkmcnt(0)
	v_pk_mov_b32 v[2:3], s[38:39], s[38:39] op_sel:[0,1]
	s_mov_b64 s[20:21], 0
	v_cmp_lt_u64_e32 vcc, s[28:29], v[2:3]
	v_writelane_b32 v55, s20, 6
	v_writelane_b32 v55, s21, 7
	s_mov_b64 s[20:21], 0
	s_cbranch_vccnz .LBB162_11
; %bb.10:
	v_cvt_f32_u32_e32 v1, s38
	s_sub_i32 s7, 0, s38
	s_mov_b32 s21, 0
	v_rcp_iflag_f32_e32 v1, v1
	v_mul_f32_e32 v1, 0x4f7ffffe, v1
	v_cvt_u32_f32_e32 v1, v1
	v_readfirstlane_b32 s9, v1
	s_mul_i32 s7, s7, s9
	s_mul_hi_u32 s7, s9, s7
	s_add_i32 s9, s9, s7
	s_mul_hi_u32 s7, s28, s9
	s_mul_i32 s17, s7, s38
	s_sub_i32 s17, s28, s17
	s_add_i32 s9, s7, 1
	s_sub_i32 s20, s17, s38
	s_cmp_ge_u32 s17, s38
	s_cselect_b32 s7, s9, s7
	s_cselect_b32 s17, s20, s17
	s_add_i32 s9, s7, 1
	s_cmp_ge_u32 s17, s38
	s_cselect_b32 s20, s9, s7
.LBB162_11:
	s_load_dwordx2 s[22:23], s[26:27], 0x450
	s_load_dwordx4 s[40:43], s[26:27], 0x440
	v_writelane_b32 v55, s24, 8
	v_writelane_b32 v55, s25, 9
	v_pk_mov_b32 v[2:3], s[36:37], s[36:37] op_sel:[0,1]
	s_waitcnt lgkmcnt(0)
	v_writelane_b32 v55, s22, 10
	v_writelane_b32 v55, s23, 11
	s_load_dwordx2 s[22:23], s[26:27], 0x2a8
	v_writelane_b32 v55, s40, 12
	v_writelane_b32 v55, s41, 13
	;; [unrolled: 1-line block ×4, first 2 shown]
	s_load_dwordx4 s[40:43], s[26:27], 0x298
	s_waitcnt lgkmcnt(0)
	v_writelane_b32 v55, s22, 16
	v_writelane_b32 v55, s23, 17
	s_mov_b64 s[22:23], s[20:21]
	s_load_dwordx2 s[20:21], s[26:27], 0x0
	v_writelane_b32 v55, s40, 18
	v_writelane_b32 v55, s41, 19
	;; [unrolled: 1-line block ×5, first 2 shown]
	v_cmp_lt_u64_e32 vcc, s[22:23], v[2:3]
	v_writelane_b32 v55, s23, 23
	s_cbranch_vccnz .LBB162_13
; %bb.12:
	v_cvt_f32_u32_e32 v1, s36
	s_sub_i32 s7, 0, s36
	v_readlane_b32 s22, v55, 22
	v_readlane_b32 s23, v55, 23
	v_rcp_iflag_f32_e32 v1, v1
	v_mul_f32_e32 v1, 0x4f7ffffe, v1
	v_cvt_u32_f32_e32 v1, v1
	v_readfirstlane_b32 s9, v1
	s_mul_i32 s7, s7, s9
	s_mul_hi_u32 s7, s9, s7
	s_add_i32 s9, s9, s7
	s_mul_hi_u32 s7, s22, s9
	s_mul_i32 s17, s7, s36
	s_sub_i32 s17, s22, s17
	s_add_i32 s9, s7, 1
	s_sub_i32 s22, s17, s36
	s_cmp_ge_u32 s17, s36
	s_cselect_b32 s7, s9, s7
	s_cselect_b32 s17, s22, s17
	s_add_i32 s9, s7, 1
	s_cmp_ge_u32 s17, s36
	s_cselect_b32 s22, s9, s7
	v_writelane_b32 v55, s22, 6
	v_writelane_b32 v55, s23, 7
.LBB162_13:
	s_load_dwordx2 s[22:23], s[26:27], 0x370
	v_writelane_b32 v55, s36, 24
	v_writelane_b32 v55, s37, 25
	;; [unrolled: 1-line block ×4, first 2 shown]
	s_waitcnt lgkmcnt(0)
	v_writelane_b32 v55, s22, 28
	v_writelane_b32 v55, s23, 29
	s_load_dwordx2 s[22:23], s[26:27], 0x1c8
	s_load_dwordx4 s[60:63], s[26:27], 0x1a0
	s_mov_b32 s91, 0
	v_cmp_eq_u32_e64 s[24:25], 0, v0
	s_waitcnt lgkmcnt(0)
	v_writelane_b32 v55, s22, 30
	v_writelane_b32 v55, s23, 31
	s_mov_b64 s[22:23], exec
	v_writelane_b32 v55, s24, 32
	v_writelane_b32 v55, s25, 33
	s_and_b64 s[24:25], s[22:23], s[24:25]
	s_mov_b64 exec, s[24:25]
	s_cbranch_execz .LBB162_15
; %bb.14:
	v_mov_b32_e32 v2, 0
	v_mov_b32_e32 v4, s60
	;; [unrolled: 1-line block ×4, first 2 shown]
	ds_write_b32 v2, v2 offset:5144
	ds_write_b128 v2, v[2:5] offset:5120
.LBB162_15:
	s_or_b64 exec, exec, s[22:23]
	s_mul_i32 s1, s8, s1
	s_mul_hi_u32 s7, s8, s0
	s_add_i32 s7, s7, s1
	s_mul_i32 s0, s8, s0
	s_sub_u32 s0, s4, s0
	s_subb_u32 s1, s5, s7
	s_mul_i32 s5, s0, s15
	s_mul_hi_u32 s7, s0, s14
	s_add_i32 s5, s7, s5
	s_mul_i32 s1, s1, s14
	s_add_i32 s1, s5, s1
	s_mul_i32 s5, s8, s13
	s_mul_hi_u32 s7, s8, s12
	s_add_i32 s9, s7, s5
	s_mul_i32 s3, s4, s3
	s_mul_hi_u32 s5, s4, s2
	s_add_i32 s5, s5, s3
	s_mul_i32 s2, s4, s2
	s_mov_b32 s4, s28
	v_writelane_b32 v55, s4, 34
	s_sub_u32 s2, s28, s2
	v_writelane_b32 v55, s5, 35
	s_subb_u32 s3, 0, s5
	s_mul_i32 s4, s2, s19
	s_mul_hi_u32 s5, s2, s18
	s_mul_i32 s8, s8, s12
	s_add_i32 s4, s5, s4
	s_mul_i32 s3, s3, s18
	s_add_i32 s3, s4, s3
	s_lshl_b64 s[4:5], s[8:9], 3
	s_mul_i32 s0, s0, s14
	s_add_u32 s4, s20, s4
	s_addc_u32 s5, s21, s5
	s_lshl_b64 s[0:1], s[0:1], 3
	v_writelane_b32 v55, s26, 36
	s_load_dword s7, s[26:27], 0x1b0
	s_mul_i32 s2, s2, s18
	s_add_u32 s4, s4, s0
	s_addc_u32 s5, s5, s1
	s_lshl_b64 s[0:1], s[2:3], 3
	s_add_u32 s33, s4, s0
	s_addc_u32 s88, s5, s1
	s_waitcnt lgkmcnt(0)
	s_bitcmp1_b32 s7, 0
	v_writelane_b32 v55, s27, 37
	s_cselect_b64 s[0:1], -1, 0
	v_writelane_b32 v55, s0, 38
	v_mbcnt_lo_u32_b32 v1, -1, 0
	v_writelane_b32 v55, s1, 39
	s_xor_b64 s[0:1], s[0:1], -1
	v_mbcnt_hi_u32_b32 v37, -1, v1
	v_writelane_b32 v55, s0, 40
	v_cmp_gt_u32_e32 vcc, 64, v0
	v_cmp_gt_i32_e64 s[2:3], 4, v37
	v_writelane_b32 v55, s1, 41
	s_and_b64 s[2:3], vcc, s[2:3]
	v_mov_b32_e32 v2, 0x180
	v_writelane_b32 v55, s2, 42
	v_mov_b32_e32 v3, 0
	v_mov_b32_e32 v21, 0
	v_writelane_b32 v55, s3, 43
	v_cmp_gt_u64_e64 s[2:3], s[60:61], v[2:3]
	v_writelane_b32 v55, s2, 44
	v_mov_b32_e32 v1, v21
	v_writelane_b32 v55, s3, 45
	v_cmp_gt_u64_e64 s[2:3], s[60:61], v[0:1]
	v_writelane_b32 v55, s2, 46
	v_writelane_b32 v55, s3, 47
	v_mad_u64_u32 v[2:3], s[2:3], v0, s58, 0
	v_mov_b32_e32 v4, v3
	v_mad_u64_u32 v[4:5], s[2:3], v0, s59, v[4:5]
	v_cmp_gt_u32_e64 s[2:3], 2, v0
	v_writelane_b32 v55, s2, 48
	s_barrier
	v_writelane_b32 v55, s3, 49
	s_load_dword s2, s[10:11], 0xc
	v_mov_b32_e32 v3, v4
	v_lshlrev_b64 v[2:3], 3, v[2:3]
	v_add_co_u32_e32 v18, vcc, s33, v2
	s_waitcnt lgkmcnt(0)
	s_and_b32 s89, s2, 0xffff
	s_bfe_u32 s3, s2, 0xa0006
	v_cmp_gt_u16_e64 s[4:5], s2, 63
	v_writelane_b32 v55, s4, 50
	s_add_u32 s2, s89, -1
	v_writelane_b32 v55, s5, 51
	s_addc_u32 s4, 0, -1
	v_writelane_b32 v55, s2, 52
	s_add_u32 s2, s2, s60
	s_addc_u32 s73, s4, s61
	s_cmp_lt_u32 s6, s16
	v_writelane_b32 v55, s2, 53
	s_cselect_b32 s2, 12, 18
	v_writelane_b32 v55, s4, 54
	s_add_u32 s4, s10, s2
	s_addc_u32 s5, s11, 0
	v_writelane_b32 v55, s4, 55
	v_writelane_b32 v55, s5, 56
	s_add_i32 s2, s3, -1
	s_bfe_u32 s5, s89, 0x30006
	s_cmp_gt_u32 s2, 6
	s_cselect_b64 s[6:7], -1, 0
	v_lshrrev_b32_e32 v2, 4, v0
	v_writelane_b32 v55, s6, 57
	s_and_b32 s4, s3, 0x3f8
	v_mov_b32_e32 v4, s88
	v_and_b32_e32 v38, 60, v2
	v_lshlrev_b32_e32 v2, 2, v37
	v_writelane_b32 v55, s7, 58
	s_cmp_lg_u32 s5, 0
	v_addc_co_u32_e32 v19, vcc, v4, v3, vcc
	v_and_b32_e32 v36, 0x100, v2
	v_lshlrev_b64 v[2:3], v37, -1
	v_writelane_b32 v55, s5, 59
	s_cselect_b64 s[2:3], -1, 0
	v_lshlrev_b32_e32 v39, 3, v0
	v_not_b32_e32 v16, v2
	v_writelane_b32 v55, s2, 60
	v_mov_b32_e32 v2, 0xc00
	v_pk_mov_b32 v[6:7], 0, 0
	v_cmp_eq_u32_e64 s[0:1], 0, v37
	v_lshlrev_b32_e32 v22, 2, v0
	v_mov_b32_e32 v23, v21
	v_add_u32_e32 v40, 0xc00, v39
	v_not_b32_e32 v17, v3
	s_mov_b32 s74, s91
	v_writelane_b32 v55, s3, 61
	v_lshlrev_b32_e32 v41, 5, v0
	v_lshl_or_b32 v42, v37, 3, v2
	s_lshl_b32 s5, s89, 3
	s_mov_b32 s75, 62
	s_mov_b64 s[82:83], 0
	v_pk_mov_b32 v[28:29], s[62:63], s[62:63] op_sel:[0,1]
	v_mov_b32_e32 v2, 1
	v_mov_b32_e32 v43, 0x4f800000
	v_pk_mov_b32 v[26:27], v[6:7], v[6:7] op_sel:[0,1]
	v_pk_mov_b32 v[24:25], v[6:7], v[6:7] op_sel:[0,1]
	s_mov_b32 s2, 0
                                        ; implicit-def: $sgpr84_sgpr85
                                        ; implicit-def: $sgpr30_sgpr31
                                        ; implicit-def: $sgpr66_sgpr67
                                        ; implicit-def: $sgpr68_sgpr69
                                        ; implicit-def: $sgpr64_sgpr65
                                        ; implicit-def: $sgpr70_sgpr71
                                        ; implicit-def: $sgpr80_sgpr81
                                        ; implicit-def: $sgpr86_sgpr87
	v_writelane_b32 v55, s2, 62
                                        ; implicit-def: $sgpr76_sgpr77
                                        ; implicit-def: $sgpr78_sgpr79
	s_branch .LBB162_18
.LBB162_16:                             ;   in Loop: Header=BB162_18 Depth=1
	s_or_b64 exec, exec, s[10:11]
	s_andn2_b64 s[10:11], s[78:79], exec
	s_and_b64 s[8:9], s[8:9], exec
	s_or_b64 s[78:79], s[10:11], s[8:9]
	s_andn2_b64 s[76:77], s[76:77], exec
	s_andn2_b64 s[86:87], s[86:87], exec
	;; [unrolled: 1-line block ×4, first 2 shown]
	s_orn2_b64 s[6:7], s[6:7], exec
	v_pk_mov_b32 v[24:25], v[14:15], v[14:15] op_sel:[0,1]
	v_pk_mov_b32 v[26:27], v[12:13], v[12:13] op_sel:[0,1]
	s_waitcnt vmcnt(0)
	v_pk_mov_b32 v[28:29], v[30:31], v[30:31] op_sel:[0,1]
	v_pk_mov_b32 v[6:7], v[10:11], v[10:11] op_sel:[0,1]
.LBB162_17:                             ;   in Loop: Header=BB162_18 Depth=1
	s_or_b64 exec, exec, s[2:3]
	s_and_b64 s[2:3], exec, s[6:7]
	s_or_b64 s[82:83], s[2:3], s[82:83]
	s_andn2_b64 s[2:3], s[64:65], exec
	s_and_b64 s[6:7], s[78:79], exec
	s_or_b64 s[64:65], s[2:3], s[6:7]
	s_andn2_b64 s[2:3], s[68:69], exec
	s_and_b64 s[6:7], s[76:77], exec
	;; [unrolled: 3-line block ×5, first 2 shown]
	s_or_b64 s[84:85], s[2:3], s[6:7]
	s_andn2_b64 exec, exec, s[82:83]
	s_cbranch_execz .LBB162_491
.LBB162_18:                             ; =>This Loop Header: Depth=1
                                        ;     Child Loop BB162_26 Depth 2
                                        ;     Child Loop BB162_41 Depth 2
	;; [unrolled: 1-line block ×24, first 2 shown]
	ds_read_b128 v[8:11], v21 offset:5120
	s_waitcnt lgkmcnt(0)
	v_readfirstlane_b32 s9, v9
	v_readfirstlane_b32 s8, v8
	s_cmp_lg_u64 s[8:9], 0
	s_cbranch_scc1 .LBB162_48
; %bb.19:                               ;   in Loop: Header=BB162_18 Depth=1
	v_readlane_b32 s2, v55, 44
	v_readlane_b32 s3, v55, 45
	s_and_b64 vcc, exec, s[2:3]
	s_cbranch_vccz .LBB162_34
; %bb.20:                               ;   in Loop: Header=BB162_18 Depth=1
	s_mov_b64 s[2:3], 0x181
	v_cmp_gt_u64_e32 vcc, s[2:3], v[10:11]
	s_mov_b64 s[8:9], 0
	s_mov_b64 s[2:3], 0
	s_cbranch_vccz .LBB162_35
; %bb.21:                               ;   in Loop: Header=BB162_18 Depth=1
	s_waitcnt vmcnt(0)
	v_pk_mov_b32 v[4:5], 0, 0
	s_mov_b64 s[2:3], exec
	v_readlane_b32 s6, v55, 46
	v_readlane_b32 s7, v55, 47
	s_and_b64 s[6:7], s[2:3], s[6:7]
	s_mov_b64 exec, s[6:7]
	s_cbranch_execz .LBB162_23
; %bb.22:                               ;   in Loop: Header=BB162_18 Depth=1
	global_load_dwordx2 v[4:5], v[18:19], off
.LBB162_23:                             ;   in Loop: Header=BB162_18 Depth=1
	s_or_b64 exec, exec, s[2:3]
	s_mov_b64 s[2:3], exec
	v_readlane_b32 s6, v55, 46
	v_readlane_b32 s7, v55, 47
	s_and_b64 s[6:7], s[2:3], s[6:7]
	s_mov_b64 exec, s[6:7]
	s_cbranch_execz .LBB162_107
; %bb.24:                               ;   in Loop: Header=BB162_18 Depth=1
	v_readlane_b32 s6, v55, 55
	v_readlane_b32 s7, v55, 56
	s_mov_b64 s[10:11], 0
	v_pk_mov_b32 v[8:9], v[0:1], v[0:1] op_sel:[0,1]
	s_nop 2
	global_load_ushort v3, v21, s[6:7]
	s_branch .LBB162_26
.LBB162_25:                             ;   in Loop: Header=BB162_26 Depth=2
	s_or_b64 exec, exec, s[6:7]
	s_waitcnt vmcnt(0)
	v_pk_mov_b32 v[4:5], v[10:11], v[10:11] op_sel:[0,1]
	s_andn2_b64 exec, exec, s[10:11]
	s_cbranch_execz .LBB162_107
.LBB162_26:                             ;   Parent Loop BB162_18 Depth=1
                                        ; =>  This Inner Loop Header: Depth=2
	s_waitcnt vmcnt(0)
	v_add_co_u32_sdwa v8, vcc, v8, v3 dst_sel:DWORD dst_unused:UNUSED_PAD src0_sel:DWORD src1_sel:WORD_0
	v_addc_co_u32_e32 v9, vcc, 0, v9, vcc
	v_cmp_gt_u64_e64 s[6:7], s[60:61], v[8:9]
	v_cmp_le_u64_e32 vcc, s[60:61], v[8:9]
	v_pk_mov_b32 v[10:11], 0, 0
	s_and_saveexec_b64 s[12:13], s[6:7]
	s_cbranch_execz .LBB162_28
; %bb.27:                               ;   in Loop: Header=BB162_26 Depth=2
	s_waitcnt lgkmcnt(0)
	v_mul_lo_u32 v12, v9, s58
	v_mul_lo_u32 v13, v8, s59
	v_mad_u64_u32 v[10:11], s[6:7], v8, s58, 0
	v_add3_u32 v11, v11, v13, v12
	v_lshlrev_b64 v[10:11], 3, v[10:11]
	v_mov_b32_e32 v12, s88
	v_add_co_u32_e64 v10, s[6:7], s33, v10
	v_addc_co_u32_e64 v11, s[6:7], v12, v11, s[6:7]
	global_load_dwordx2 v[10:11], v[10:11], off
.LBB162_28:                             ;   in Loop: Header=BB162_26 Depth=2
	s_or_b64 exec, exec, s[12:13]
	s_waitcnt lgkmcnt(0)
	v_xor_b32_e32 v12, 0x80000000, v5
	v_and_b32_e32 v13, v12, v25
	v_and_b32_e32 v12, v4, v24
	v_cmp_eq_u64_e64 s[14:15], v[12:13], v[26:27]
	s_cmp_lg_u64 s[14:15], 0
	s_cselect_b64 s[6:7], -1, 0
	s_and_b64 s[6:7], s[0:1], s[6:7]
	v_mov_b32_e32 v12, 0
	s_and_saveexec_b64 s[12:13], s[6:7]
	s_cbranch_execz .LBB162_32
; %bb.29:                               ;   in Loop: Header=BB162_26 Depth=2
	s_mov_b64 s[18:19], exec
	v_mbcnt_lo_u32_b32 v12, s18, 0
	v_mbcnt_hi_u32_b32 v12, s19, v12
	s_bcnt1_i32_b64 s20, s[14:15]
	v_cmp_eq_u32_e64 s[6:7], 0, v12
                                        ; implicit-def: $vgpr13
	s_and_saveexec_b64 s[16:17], s[6:7]
	s_cbranch_execz .LBB162_31
; %bb.30:                               ;   in Loop: Header=BB162_26 Depth=2
	s_bcnt1_i32_b64 s6, s[18:19]
	s_mul_i32 s6, s20, s6
	v_mov_b32_e32 v13, s6
	ds_add_rtn_u32 v13, v21, v13 offset:5144
.LBB162_31:                             ;   in Loop: Header=BB162_26 Depth=2
	s_or_b64 exec, exec, s[16:17]
	s_waitcnt lgkmcnt(0)
	v_readfirstlane_b32 s6, v13
	v_mov_b32_e32 v13, s6
	v_mad_u32_u24 v12, s20, v12, v13
.LBB162_32:                             ;   in Loop: Header=BB162_26 Depth=2
	s_or_b64 exec, exec, s[12:13]
	ds_bpermute_b32 v12, v36, v12
	s_and_b64 s[6:7], exec, vcc
	s_or_b64 s[10:11], s[6:7], s[10:11]
	s_and_saveexec_b64 s[6:7], s[14:15]
	s_cbranch_execz .LBB162_25
; %bb.33:                               ;   in Loop: Header=BB162_26 Depth=2
	v_and_b32_e32 v14, s14, v16
	v_and_b32_e32 v13, s15, v17
	v_bcnt_u32_b32 v14, v14, 0
	v_bcnt_u32_b32 v13, v13, v14
	v_lshlrev_b32_e32 v13, 3, v13
	s_waitcnt lgkmcnt(0)
	v_lshl_add_u32 v12, v12, 3, v13
	ds_write_b64 v12, v[4:5]
	s_branch .LBB162_25
.LBB162_34:                             ;   in Loop: Header=BB162_18 Depth=1
	s_mov_b64 s[8:9], -1
	s_mov_b64 s[2:3], 0
.LBB162_35:                             ;   in Loop: Header=BB162_18 Depth=1
	s_and_b64 vcc, exec, s[8:9]
	s_cbranch_vccz .LBB162_46
.LBB162_36:                             ;   in Loop: Header=BB162_18 Depth=1
	s_waitcnt vmcnt(0)
	v_pk_mov_b32 v[4:5], 0, 0
	s_mov_b64 s[2:3], exec
	v_readlane_b32 s6, v55, 46
	v_readlane_b32 s7, v55, 47
	s_and_b64 s[6:7], s[2:3], s[6:7]
	s_mov_b64 exec, s[6:7]
	s_cbranch_execz .LBB162_38
; %bb.37:                               ;   in Loop: Header=BB162_18 Depth=1
	global_load_dwordx2 v[4:5], v[18:19], off
.LBB162_38:                             ;   in Loop: Header=BB162_18 Depth=1
	s_or_b64 exec, exec, s[2:3]
	s_mov_b64 s[2:3], exec
	v_readlane_b32 s6, v55, 46
	v_readlane_b32 s7, v55, 47
	s_and_b64 s[6:7], s[2:3], s[6:7]
	s_mov_b64 exec, s[6:7]
	s_cbranch_execz .LBB162_43
; %bb.39:                               ;   in Loop: Header=BB162_18 Depth=1
	v_readlane_b32 s6, v55, 55
	v_readlane_b32 s7, v55, 56
	s_mov_b64 s[8:9], 0
	v_mov_b32_e32 v3, v39
	s_nop 2
	global_load_ushort v8, v21, s[6:7]
	s_waitcnt vmcnt(0)
	v_and_b32_e32 v12, 0xffff, v8
	v_lshlrev_b32_e32 v13, 3, v12
	v_pk_mov_b32 v[8:9], v[0:1], v[0:1] op_sel:[0,1]
	s_branch .LBB162_41
.LBB162_40:                             ;   in Loop: Header=BB162_41 Depth=2
	s_or_b64 exec, exec, s[10:11]
	s_and_b64 s[6:7], exec, vcc
	s_or_b64 s[8:9], s[6:7], s[8:9]
	ds_write_b64 v3, v[4:5]
	v_add_u32_e32 v3, v3, v13
	s_waitcnt vmcnt(0)
	v_pk_mov_b32 v[4:5], v[10:11], v[10:11] op_sel:[0,1]
	s_andn2_b64 exec, exec, s[8:9]
	s_cbranch_execz .LBB162_43
.LBB162_41:                             ;   Parent Loop BB162_18 Depth=1
                                        ; =>  This Inner Loop Header: Depth=2
	v_add_co_u32_e32 v8, vcc, v8, v12
	v_addc_co_u32_e32 v9, vcc, 0, v9, vcc
	v_cmp_gt_u64_e64 s[6:7], s[60:61], v[8:9]
	v_cmp_le_u64_e32 vcc, s[60:61], v[8:9]
	v_pk_mov_b32 v[10:11], 0, 0
	s_and_saveexec_b64 s[10:11], s[6:7]
	s_cbranch_execz .LBB162_40
; %bb.42:                               ;   in Loop: Header=BB162_41 Depth=2
	v_mul_lo_u32 v14, v9, s58
	v_mul_lo_u32 v15, v8, s59
	v_mad_u64_u32 v[10:11], s[6:7], v8, s58, 0
	v_add3_u32 v11, v11, v15, v14
	v_lshlrev_b64 v[10:11], 3, v[10:11]
	v_mov_b32_e32 v14, s88
	v_add_co_u32_e64 v10, s[6:7], s33, v10
	v_addc_co_u32_e64 v11, s[6:7], v14, v11, s[6:7]
	global_load_dwordx2 v[10:11], v[10:11], off
	s_branch .LBB162_40
.LBB162_43:                             ;   in Loop: Header=BB162_18 Depth=1
	s_or_b64 exec, exec, s[2:3]
	s_waitcnt lgkmcnt(0)
	s_barrier
	s_mov_b64 s[2:3], exec
	v_readlane_b32 s6, v55, 32
	v_readlane_b32 s7, v55, 33
	s_and_b64 s[6:7], s[2:3], s[6:7]
	s_mov_b64 exec, s[6:7]
	s_cbranch_execz .LBB162_45
; %bb.44:                               ;   in Loop: Header=BB162_18 Depth=1
	s_waitcnt vmcnt(0)
	v_pk_mov_b32 v[4:5], s[60:61], s[60:61] op_sel:[0,1]
	ds_write_b64 v21, v[4:5] offset:5120
.LBB162_45:                             ;   in Loop: Header=BB162_18 Depth=1
	s_or_b64 exec, exec, s[2:3]
	s_mov_b64 s[2:3], -1
	s_waitcnt lgkmcnt(0)
	s_barrier
                                        ; implicit-def: $sgpr8_sgpr9
.LBB162_46:                             ;   in Loop: Header=BB162_18 Depth=1
	s_and_b64 vcc, exec, s[2:3]
	s_cbranch_vccz .LBB162_48
; %bb.47:                               ;   in Loop: Header=BB162_18 Depth=1
	s_waitcnt vmcnt(0)
	ds_read_b64 v[4:5], v21 offset:5120
	s_waitcnt lgkmcnt(0)
	v_readfirstlane_b32 s8, v4
.LBB162_48:                             ;   in Loop: Header=BB162_18 Depth=1
	s_cmp_lt_i32 s8, 1
	s_cbranch_scc0 .LBB162_63
; %bb.49:                               ;   in Loop: Header=BB162_18 Depth=1
	v_readlane_b32 s2, v55, 55
	v_readlane_b32 s3, v55, 56
	s_nop 4
	global_load_ushort v3, v21, s[2:3]
	s_mov_b32 s2, s91
	s_waitcnt vmcnt(0)
	v_readfirstlane_b32 s3, v3
	s_and_b32 s3, 0xffff, s3
	s_lshl_b32 s9, s3, 2
	s_mov_b32 s3, s61
	s_cmp_lg_u64 s[2:3], 0
	s_cbranch_scc0 .LBB162_83
; %bb.50:                               ;   in Loop: Header=BB162_18 Depth=1
	v_cvt_f32_u32_e32 v4, s9
	s_sub_u32 s2, 0, s9
	s_subb_u32 s3, 0, 0
	v_mac_f32_e32 v4, 0, v43
	v_rcp_f32_e32 v4, v4
	v_mul_f32_e32 v4, 0x5f7ffffc, v4
	v_mul_f32_e32 v5, 0x2f800000, v4
	v_trunc_f32_e32 v5, v5
	v_mac_f32_e32 v4, 0xcf800000, v5
	v_cvt_u32_f32_e32 v5, v5
	v_cvt_u32_f32_e32 v4, v4
	v_readfirstlane_b32 s6, v5
	v_readfirstlane_b32 s7, v4
	s_mul_i32 s10, s2, s6
	s_mul_hi_u32 s12, s2, s7
	s_mul_i32 s11, s3, s7
	s_add_i32 s10, s12, s10
	s_mul_i32 s13, s2, s7
	s_add_i32 s10, s10, s11
	s_mul_hi_u32 s12, s7, s13
	s_mul_hi_u32 s11, s7, s10
	s_mul_i32 s7, s7, s10
	s_add_u32 s7, s12, s7
	s_addc_u32 s11, 0, s11
	s_mul_hi_u32 s14, s6, s13
	s_mul_i32 s13, s6, s13
	s_add_u32 s7, s7, s13
	s_mul_hi_u32 s12, s6, s10
	s_addc_u32 s7, s11, s14
	s_addc_u32 s11, s12, 0
	s_mul_i32 s10, s6, s10
	s_add_u32 s7, s7, s10
	s_addc_u32 s10, 0, s11
	v_add_co_u32_e32 v4, vcc, s7, v4
	s_cmp_lg_u64 vcc, 0
	s_addc_u32 s6, s6, s10
	v_readfirstlane_b32 s10, v4
	s_mul_i32 s7, s2, s6
	s_mul_hi_u32 s11, s2, s10
	s_add_i32 s7, s11, s7
	s_mul_i32 s3, s3, s10
	s_add_i32 s7, s7, s3
	s_mul_i32 s2, s2, s10
	s_mul_hi_u32 s11, s6, s2
	s_mul_i32 s12, s6, s2
	s_mul_i32 s14, s10, s7
	s_mul_hi_u32 s2, s10, s2
	s_mul_hi_u32 s13, s10, s7
	s_add_u32 s2, s2, s14
	s_addc_u32 s10, 0, s13
	s_add_u32 s2, s2, s12
	s_mul_hi_u32 s3, s6, s7
	s_addc_u32 s2, s10, s11
	s_addc_u32 s3, s3, 0
	s_mul_i32 s7, s6, s7
	s_add_u32 s2, s2, s7
	s_addc_u32 s3, 0, s3
	v_add_co_u32_e32 v4, vcc, s2, v4
	s_cmp_lg_u64 vcc, 0
	s_addc_u32 s2, s6, s3
	v_readfirstlane_b32 s7, v4
	s_mul_i32 s6, s60, s2
	s_mul_hi_u32 s10, s60, s7
	s_mul_hi_u32 s3, s60, s2
	s_add_u32 s6, s10, s6
	s_addc_u32 s3, 0, s3
	s_mul_hi_u32 s11, s61, s7
	s_mul_i32 s7, s61, s7
	s_add_u32 s6, s6, s7
	s_mul_hi_u32 s10, s61, s2
	s_addc_u32 s3, s3, s11
	s_addc_u32 s6, s10, 0
	s_mul_i32 s2, s61, s2
	s_add_u32 s2, s3, s2
	s_addc_u32 s3, 0, s6
	s_mul_hi_u32 s6, s9, s2
	s_mul_i32 s2, s9, s2
	s_mul_i32 s3, s9, s3
	v_mov_b32_e32 v4, s2
	s_add_i32 s6, s6, s3
	v_sub_co_u32_e32 v4, vcc, s60, v4
	s_cmp_lg_u64 vcc, 0
	s_subb_u32 s2, s61, s6
	v_subrev_co_u32_e32 v5, vcc, s9, v4
	s_cmp_lg_u64 vcc, 0
	s_subb_u32 s3, s2, 0
	v_subrev_co_u32_e32 v8, vcc, s9, v5
	s_cmp_lg_u64 vcc, 0
	s_subb_u32 s6, s3, 0
	v_cmp_le_u32_e32 vcc, s9, v5
	s_cmp_eq_u32 s3, 0
	v_cndmask_b32_e64 v9, 0, -1, vcc
	s_cselect_b64 vcc, -1, 0
	v_cndmask_b32_e32 v9, -1, v9, vcc
	v_mov_b32_e32 v10, s3
	v_mov_b32_e32 v11, s6
	v_cmp_ne_u32_e32 vcc, 0, v9
	v_cndmask_b32_e32 v9, v10, v11, vcc
	v_cndmask_b32_e32 v8, v5, v8, vcc
	v_cmp_le_u32_e32 vcc, s9, v4
	s_cmp_eq_u32 s2, 0
	v_cndmask_b32_e64 v5, 0, -1, vcc
	s_cselect_b64 vcc, -1, 0
	v_cndmask_b32_e32 v5, -1, v5, vcc
	v_mov_b32_e32 v10, s2
	v_cmp_ne_u32_e32 vcc, 0, v5
	v_cndmask_b32_e32 v5, v10, v9, vcc
	v_cndmask_b32_e32 v4, v4, v8, vcc
	s_cbranch_execnz .LBB162_52
.LBB162_51:                             ;   in Loop: Header=BB162_18 Depth=1
	v_cvt_f32_u32_e32 v4, s9
	s_sub_i32 s2, 0, s9
	v_rcp_iflag_f32_e32 v4, v4
	v_mul_f32_e32 v4, 0x4f7ffffe, v4
	v_cvt_u32_f32_e32 v4, v4
	v_mul_lo_u32 v5, s2, v4
	v_mul_hi_u32 v5, v4, v5
	v_add_u32_e32 v4, v4, v5
	v_mul_hi_u32 v4, s60, v4
	v_mul_lo_u32 v4, v4, s9
	v_sub_u32_e32 v4, s60, v4
	v_subrev_u32_e32 v5, s9, v4
	v_cmp_le_u32_e32 vcc, s9, v4
	v_cndmask_b32_e32 v4, v4, v5, vcc
	v_subrev_u32_e32 v5, s9, v4
	v_cmp_le_u32_e32 vcc, s9, v4
	v_cndmask_b32_e32 v20, v4, v5, vcc
	v_pk_mov_b32 v[4:5], v[20:21], v[20:21] op_sel:[0,1]
.LBB162_52:                             ;   in Loop: Header=BB162_18 Depth=1
	v_mov_b32_e32 v8, s61
	v_sub_co_u32_e32 v4, vcc, s60, v4
	v_subb_co_u32_e32 v5, vcc, v8, v5, vcc
	v_pk_mov_b32 v[8:9], 0, 0
	v_cmp_gt_u64_e32 vcc, v[4:5], v[22:23]
	s_mov_b64 s[54:55], 0
	v_pk_mov_b32 v[10:11], v[8:9], v[8:9] op_sel:[0,1]
	v_pk_mov_b32 v[12:13], v[8:9], v[8:9] op_sel:[0,1]
	v_pk_mov_b32 v[14:15], v[8:9], v[8:9] op_sel:[0,1]
	s_and_saveexec_b64 s[10:11], vcc
	s_cbranch_execz .LBB162_56
; %bb.53:                               ;   in Loop: Header=BB162_18 Depth=1
	s_and_b32 s72, s75, 0xfe
	s_mov_b64 s[56:57], 0
	s_mov_b64 s[94:95], 0
	;; [unrolled: 1-line block ×4, first 2 shown]
	v_pk_mov_b32 v[30:31], v[22:23], v[22:23] op_sel:[0,1]
.LBB162_54:                             ;   Parent Loop BB162_18 Depth=1
                                        ; =>  This Inner Loop Header: Depth=2
	v_mul_lo_u32 v10, v31, s58
	v_mul_lo_u32 v12, v30, s59
	v_mad_u64_u32 v[8:9], s[6:7], v30, s58, 0
	v_add3_u32 v9, v9, v12, v10
	v_lshlrev_b64 v[8:9], 3, v[8:9]
	v_mov_b32_e32 v14, s88
	v_add_co_u32_e64 v8, s[6:7], s33, v8
	s_lshl_b64 s[14:15], s[58:59], 3
	v_addc_co_u32_e64 v9, s[6:7], v14, v9, s[6:7]
	v_mov_b32_e32 v10, s15
	v_add_co_u32_e64 v32, s[6:7], s14, v8
	v_addc_co_u32_e64 v33, s[6:7], v9, v10, s[6:7]
	global_load_dwordx2 v[8:9], v[8:9], off
	s_nop 0
	global_load_dwordx2 v[34:35], v[32:33], off
	v_add_co_u32_e64 v32, s[6:7], s14, v32
	v_addc_co_u32_e64 v33, s[6:7], v33, v10, s[6:7]
	global_load_dwordx2 v[44:45], v[32:33], off
	v_add_co_u32_e64 v32, s[6:7], s14, v32
	v_addc_co_u32_e64 v33, s[6:7], v33, v10, s[6:7]
	global_load_dwordx2 v[32:33], v[32:33], off
	v_mov_b32_e32 v15, v21
	v_mov_b32_e32 v13, v21
	;; [unrolled: 1-line block ×3, first 2 shown]
	v_add_co_u32_e32 v30, vcc, s9, v30
	v_addc_co_u32_e32 v31, vcc, 0, v31, vcc
	v_cmp_ge_u64_e32 vcc, v[30:31], v[4:5]
	s_waitcnt vmcnt(3)
	v_xor_b32_e32 v9, 0x80000000, v9
	v_and_b32_e32 v46, v8, v24
	s_waitcnt vmcnt(2)
	v_xor_b32_e32 v35, 0x80000000, v35
	v_and_b32_e32 v47, v9, v25
	v_lshrrev_b64 v[8:9], s72, v[8:9]
	v_and_b32_e32 v20, 3, v8
	s_waitcnt vmcnt(1)
	v_xor_b32_e32 v45, 0x80000000, v45
	v_lshrrev_b64 v[8:9], s72, v[34:35]
	v_and_b32_e32 v48, v34, v24
	v_cmp_eq_u64_e64 s[16:17], v[46:47], v[26:27]
	v_and_b32_e32 v49, v35, v25
	s_waitcnt vmcnt(0)
	v_xor_b32_e32 v33, 0x80000000, v33
	v_and_b32_e32 v14, 3, v8
	v_lshrrev_b64 v[8:9], s72, v[44:45]
	v_cmp_eq_u64_e64 s[6:7], 0, v[20:21]
	v_cmp_eq_u64_e64 s[14:15], v[48:49], v[26:27]
	v_and_b32_e32 v12, 3, v8
	v_lshrrev_b64 v[8:9], s72, v[32:33]
	v_cmp_eq_u64_e64 s[28:29], 0, v[14:15]
	s_and_b64 s[6:7], s[16:17], s[6:7]
	v_and_b32_e32 v46, v44, v24
	v_and_b32_e32 v47, v45, v25
	v_cndmask_b32_e64 v9, 0, 1, s[6:7]
	s_and_b64 s[28:29], s[14:15], s[28:29]
	v_and_b32_e32 v34, v32, v24
	v_cmp_eq_u64_e64 s[18:19], v[46:47], v[26:27]
	v_and_b32_e32 v35, v33, v25
	v_and_b32_e32 v10, 3, v8
	v_cmp_eq_u64_e64 s[6:7], 0, v[12:13]
	v_cmp_ne_u32_e64 s[46:47], 0, v9
	v_cndmask_b32_e64 v8, 0, 1, s[28:29]
	v_cmp_eq_u64_e64 s[22:23], v[34:35], v[26:27]
	v_cmp_eq_u64_e64 s[48:49], 0, v[10:11]
	s_bcnt1_i32_b64 s90, s[46:47]
	v_cmp_ne_u32_e64 s[46:47], 0, v8
	s_and_b64 s[6:7], s[18:19], s[6:7]
	v_cndmask_b32_e64 v8, 0, 1, s[6:7]
	s_bcnt1_i32_b64 s92, s[46:47]
	s_and_b64 s[46:47], s[22:23], s[48:49]
	v_cmp_ne_u32_e64 s[6:7], 0, v8
	v_cndmask_b32_e64 v8, 0, 1, s[46:47]
	s_bcnt1_i32_b64 s46, s[6:7]
	v_cmp_ne_u32_e64 s[6:7], 0, v8
	s_bcnt1_i32_b64 s6, s[6:7]
	s_add_u32 s7, s90, s12
	s_addc_u32 s12, 0, s13
	s_add_u32 s7, s7, s92
	s_addc_u32 s12, s12, 0
	;; [unrolled: 2-line block ×3, first 2 shown]
	v_cmp_eq_u64_e64 s[34:35], 1, v[20:21]
	s_add_u32 s12, s7, s6
	v_cmp_eq_u64_e64 s[38:39], 1, v[14:15]
	s_addc_u32 s13, s13, 0
	s_and_b64 s[6:7], s[16:17], s[34:35]
	v_cmp_eq_u64_e64 s[42:43], 1, v[12:13]
	v_cmp_eq_u64_e64 s[50:51], 1, v[10:11]
	;; [unrolled: 1-line block ×4, first 2 shown]
	v_cndmask_b32_e64 v10, 0, 1, s[6:7]
	s_and_b64 s[6:7], s[14:15], s[38:39]
	v_cndmask_b32_e64 v11, 0, 1, s[6:7]
	s_and_b64 s[6:7], s[18:19], s[42:43]
	v_cmp_eq_u64_e64 s[44:45], 2, v[12:13]
	v_cmp_eq_u64_e64 s[26:27], 3, v[12:13]
	v_cndmask_b32_e64 v12, 0, 1, s[6:7]
	s_and_b64 s[6:7], s[22:23], s[50:51]
	v_cndmask_b32_e64 v13, 0, 1, s[6:7]
	v_cmp_ne_u32_e64 s[6:7], 0, v10
	v_cmp_ne_u32_e64 s[34:35], 0, v11
	;; [unrolled: 1-line block ×4, first 2 shown]
	s_bcnt1_i32_b64 s6, s[6:7]
	s_bcnt1_i32_b64 s7, s[34:35]
	;; [unrolled: 1-line block ×4, first 2 shown]
	s_add_u32 s2, s6, s2
	s_addc_u32 s3, 0, s3
	s_add_u32 s2, s2, s7
	s_addc_u32 s3, s3, 0
	;; [unrolled: 2-line block ×3, first 2 shown]
	v_cmp_eq_u64_e64 s[36:37], 2, v[20:21]
	s_add_u32 s2, s2, s35
	v_cmp_eq_u64_e64 s[40:41], 2, v[14:15]
	s_addc_u32 s3, s3, 0
	s_and_b64 s[6:7], s[16:17], s[36:37]
	v_cndmask_b32_e64 v12, 0, 1, s[6:7]
	s_and_b64 s[6:7], s[14:15], s[40:41]
	v_cndmask_b32_e64 v13, 0, 1, s[6:7]
	s_and_b64 s[6:7], s[18:19], s[44:45]
	v_cmp_eq_u64_e64 s[24:25], 3, v[14:15]
	v_cndmask_b32_e64 v14, 0, 1, s[6:7]
	s_and_b64 s[6:7], s[22:23], s[52:53]
	v_cndmask_b32_e64 v15, 0, 1, s[6:7]
	v_cmp_ne_u32_e64 s[6:7], 0, v12
	v_cmp_ne_u32_e64 s[34:35], 0, v13
	;; [unrolled: 1-line block ×4, first 2 shown]
	s_bcnt1_i32_b64 s6, s[6:7]
	s_bcnt1_i32_b64 s7, s[34:35]
	;; [unrolled: 1-line block ×4, first 2 shown]
	s_add_u32 s6, s6, s94
	s_addc_u32 s36, 0, s95
	s_add_u32 s6, s6, s7
	s_addc_u32 s7, s36, 0
	;; [unrolled: 2-line block ×3, first 2 shown]
	v_cmp_eq_u64_e64 s[20:21], 3, v[20:21]
	s_add_u32 s94, s6, s35
	s_addc_u32 s95, s7, 0
	s_and_b64 s[6:7], s[16:17], s[20:21]
	v_cndmask_b32_e64 v14, 0, 1, s[6:7]
	s_and_b64 s[6:7], s[14:15], s[24:25]
	v_cndmask_b32_e64 v15, 0, 1, s[6:7]
	s_and_b64 s[6:7], s[18:19], s[26:27]
	v_cndmask_b32_e64 v20, 0, 1, s[6:7]
	s_and_b64 s[6:7], s[22:23], s[28:29]
	v_cndmask_b32_e64 v32, 0, 1, s[6:7]
	v_cmp_ne_u32_e64 s[6:7], 0, v14
	v_cmp_ne_u32_e64 s[14:15], 0, v15
	;; [unrolled: 1-line block ×4, first 2 shown]
	s_bcnt1_i32_b64 s6, s[6:7]
	s_bcnt1_i32_b64 s7, s[14:15]
	;; [unrolled: 1-line block ×4, first 2 shown]
	s_add_u32 s6, s6, s56
	s_addc_u32 s16, 0, s57
	s_add_u32 s6, s6, s7
	s_addc_u32 s7, s16, 0
	;; [unrolled: 2-line block ×4, first 2 shown]
	v_pk_mov_b32 v[8:9], s[12:13], s[12:13] op_sel:[0,1]
	v_pk_mov_b32 v[10:11], s[2:3], s[2:3] op_sel:[0,1]
	;; [unrolled: 1-line block ×3, first 2 shown]
	s_or_b64 s[54:55], vcc, s[54:55]
	v_pk_mov_b32 v[14:15], s[56:57], s[56:57] op_sel:[0,1]
	s_andn2_b64 exec, exec, s[54:55]
	s_cbranch_execnz .LBB162_54
; %bb.55:                               ;   in Loop: Header=BB162_18 Depth=1
	s_or_b64 exec, exec, s[54:55]
.LBB162_56:                             ;   in Loop: Header=BB162_18 Depth=1
	s_or_b64 exec, exec, s[10:11]
	v_add_co_u32_e32 v4, vcc, v4, v0
	v_addc_co_u32_e32 v5, vcc, 0, v5, vcc
	v_cmp_gt_u64_e32 vcc, s[60:61], v[4:5]
	v_pk_mov_b32 v[30:31], 0, 0
	s_and_saveexec_b64 s[2:3], vcc
	s_cbranch_execz .LBB162_58
; %bb.57:                               ;   in Loop: Header=BB162_18 Depth=1
	v_mul_lo_u32 v20, v5, s58
	v_mul_lo_u32 v32, v4, s59
	v_mad_u64_u32 v[30:31], s[6:7], v4, s58, 0
	v_add3_u32 v31, v31, v32, v20
	v_lshlrev_b64 v[30:31], 3, v[30:31]
	v_mov_b32_e32 v20, s88
	v_add_co_u32_e64 v30, s[6:7], s33, v30
	v_addc_co_u32_e64 v31, s[6:7], v20, v31, s[6:7]
	global_load_dwordx2 v[30:31], v[30:31], off
.LBB162_58:                             ;   in Loop: Header=BB162_18 Depth=1
	s_or_b64 exec, exec, s[2:3]
	s_and_saveexec_b64 s[2:3], vcc
	s_cbranch_execz .LBB162_65
; %bb.59:                               ;   in Loop: Header=BB162_18 Depth=1
	s_and_b32 s9, s75, 0xfe
	s_mov_b64 s[10:11], 0
	s_branch .LBB162_61
.LBB162_60:                             ;   in Loop: Header=BB162_61 Depth=2
	s_or_b64 exec, exec, s[12:13]
	s_waitcnt vmcnt(0)
	v_xor_b32_e32 v31, 0x80000000, v31
	v_and_b32_e32 v35, v31, v25
	v_and_b32_e32 v34, v30, v24
	v_lshrrev_b64 v[30:31], s9, v[30:31]
	s_and_b64 s[6:7], exec, vcc
	v_and_b32_e32 v20, 3, v30
	s_or_b64 s[10:11], s[6:7], s[10:11]
	v_cmp_eq_u64_e32 vcc, v[34:35], v[26:27]
	v_cmp_eq_u64_e64 s[6:7], 0, v[20:21]
	s_and_b64 s[6:7], vcc, s[6:7]
	v_cndmask_b32_e64 v30, 0, 1, s[6:7]
	v_cmp_ne_u32_e64 s[6:7], 0, v30
	s_bcnt1_i32_b64 s6, s[6:7]
	v_add_co_u32_e64 v8, s[6:7], s6, v8
	v_addc_co_u32_e64 v9, s[6:7], 0, v9, s[6:7]
	v_cmp_eq_u64_e64 s[6:7], 1, v[20:21]
	s_and_b64 s[6:7], vcc, s[6:7]
	v_cndmask_b32_e64 v30, 0, 1, s[6:7]
	v_cmp_ne_u32_e64 s[6:7], 0, v30
	s_bcnt1_i32_b64 s6, s[6:7]
	v_add_co_u32_e64 v10, s[6:7], s6, v10
	v_addc_co_u32_e64 v11, s[6:7], 0, v11, s[6:7]
	;; [unrolled: 7-line block ×3, first 2 shown]
	v_cmp_eq_u64_e64 s[6:7], 3, v[20:21]
	s_and_b64 s[6:7], vcc, s[6:7]
	v_cndmask_b32_e64 v20, 0, 1, s[6:7]
	v_cmp_ne_u32_e32 vcc, 0, v20
	s_bcnt1_i32_b64 s6, vcc
	v_add_co_u32_e32 v14, vcc, s6, v14
	v_addc_co_u32_e32 v15, vcc, 0, v15, vcc
	v_pk_mov_b32 v[30:31], v[32:33], v[32:33] op_sel:[0,1]
	s_andn2_b64 exec, exec, s[10:11]
	s_cbranch_execz .LBB162_64
.LBB162_61:                             ;   Parent Loop BB162_18 Depth=1
                                        ; =>  This Inner Loop Header: Depth=2
	v_add_co_u32_sdwa v4, vcc, v4, v3 dst_sel:DWORD dst_unused:UNUSED_PAD src0_sel:DWORD src1_sel:WORD_0
	v_addc_co_u32_e32 v5, vcc, 0, v5, vcc
	v_cmp_gt_u64_e64 s[6:7], s[60:61], v[4:5]
	v_cmp_le_u64_e32 vcc, s[60:61], v[4:5]
	v_pk_mov_b32 v[32:33], 0, 0
	s_and_saveexec_b64 s[12:13], s[6:7]
	s_cbranch_execz .LBB162_60
; %bb.62:                               ;   in Loop: Header=BB162_61 Depth=2
	v_mul_lo_u32 v20, v5, s58
	v_mul_lo_u32 v34, v4, s59
	v_mad_u64_u32 v[32:33], s[6:7], v4, s58, 0
	v_add3_u32 v33, v33, v34, v20
	v_lshlrev_b64 v[32:33], 3, v[32:33]
	v_mov_b32_e32 v20, s88
	v_add_co_u32_e64 v32, s[6:7], s33, v32
	v_addc_co_u32_e64 v33, s[6:7], v20, v33, s[6:7]
	global_load_dwordx2 v[32:33], v[32:33], off
	s_branch .LBB162_60
.LBB162_63:                             ;   in Loop: Header=BB162_18 Depth=1
                                        ; implicit-def: $vgpr14_vgpr15
                                        ; implicit-def: $vgpr10_vgpr11
	s_cbranch_execnz .LBB162_66
	s_branch .LBB162_75
.LBB162_64:                             ;   in Loop: Header=BB162_18 Depth=1
	s_or_b64 exec, exec, s[10:11]
.LBB162_65:                             ;   in Loop: Header=BB162_18 Depth=1
	s_or_b64 exec, exec, s[2:3]
	s_branch .LBB162_75
.LBB162_66:                             ;   in Loop: Header=BB162_18 Depth=1
	v_readlane_b32 s2, v55, 55
	v_readlane_b32 s3, v55, 56
	v_pk_mov_b32 v[8:9], 0, 0
	s_mov_b64 s[10:11], 0
	v_pk_mov_b32 v[10:11], v[8:9], v[8:9] op_sel:[0,1]
	v_pk_mov_b32 v[12:13], v[8:9], v[8:9] op_sel:[0,1]
	;; [unrolled: 1-line block ×3, first 2 shown]
	global_load_ushort v3, v21, s[2:3]
	s_waitcnt vmcnt(0)
	v_readfirstlane_b32 s2, v3
	s_and_b32 s2, 0xffff, s2
	s_lshl_b32 s9, s2, 2
	v_cvt_f32_u32_e32 v4, s9
	s_sub_i32 s2, 0, s9
	v_and_b32_e32 v3, 0xffff, v3
	v_rcp_iflag_f32_e32 v4, v4
	v_mul_f32_e32 v4, 0x4f7ffffe, v4
	v_cvt_u32_f32_e32 v4, v4
	v_readfirstlane_b32 s3, v4
	s_mul_i32 s2, s2, s3
	s_mul_hi_u32 s2, s3, s2
	s_add_i32 s3, s3, s2
	s_mul_hi_u32 s2, s8, s3
	s_mul_i32 s2, s2, s9
	s_sub_i32 s2, s8, s2
	s_sub_i32 s3, s2, s9
	s_cmp_ge_u32 s2, s9
	s_cselect_b32 s2, s3, s2
	s_sub_i32 s3, s2, s9
	s_cmp_ge_u32 s2, s9
	s_cselect_b32 s2, s3, s2
	s_sub_i32 s90, s8, s2
	v_cmp_gt_u32_e32 vcc, s90, v22
	s_and_saveexec_b64 s[2:3], vcc
	s_cbranch_execz .LBB162_70
; %bb.67:                               ;   in Loop: Header=BB162_18 Depth=1
	s_and_b32 s72, s75, 0xfe
	v_lshlrev_b32_e32 v44, 5, v3
	v_mov_b32_e32 v45, v41
	s_mov_b64 s[12:13], 0
	s_mov_b64 s[56:57], 0
	;; [unrolled: 1-line block ×4, first 2 shown]
	v_pk_mov_b32 v[4:5], v[22:23], v[22:23] op_sel:[0,1]
.LBB162_68:                             ;   Parent Loop BB162_18 Depth=1
                                        ; =>  This Inner Loop Header: Depth=2
	ds_read_b128 v[12:15], v45
	ds_read_b128 v[8:11], v45 offset:16
	v_mov_b32_e32 v31, v21
	v_mov_b32_e32 v33, v21
	;; [unrolled: 1-line block ×3, first 2 shown]
	s_waitcnt lgkmcnt(1)
	v_xor_b32_e32 v13, 0x80000000, v13
	v_xor_b32_e32 v15, 0x80000000, v15
	v_and_b32_e32 v46, v12, v24
	v_and_b32_e32 v47, v13, v25
	v_lshrrev_b64 v[12:13], s72, v[12:13]
	s_waitcnt lgkmcnt(0)
	v_xor_b32_e32 v9, 0x80000000, v9
	v_and_b32_e32 v48, v14, v24
	v_and_b32_e32 v49, v15, v25
	v_lshrrev_b64 v[14:15], s72, v[14:15]
	v_and_b32_e32 v20, 3, v12
	v_xor_b32_e32 v11, 0x80000000, v11
	v_and_b32_e32 v50, v8, v24
	v_and_b32_e32 v51, v9, v25
	v_lshrrev_b64 v[8:9], s72, v[8:9]
	v_cmp_eq_u64_e64 s[20:21], v[46:47], v[26:27]
	v_and_b32_e32 v30, 3, v14
	v_cmp_eq_u64_e64 s[6:7], 0, v[20:21]
	v_and_b32_e32 v52, v10, v24
	v_and_b32_e32 v53, v11, v25
	v_lshrrev_b64 v[10:11], s72, v[10:11]
	v_cmp_eq_u64_e64 s[18:19], v[48:49], v[26:27]
	v_and_b32_e32 v32, 3, v8
	v_cmp_eq_u64_e64 s[34:35], 0, v[30:31]
	s_and_b64 s[6:7], s[20:21], s[6:7]
	v_cmp_eq_u64_e64 s[16:17], v[50:51], v[26:27]
	v_and_b32_e32 v34, 3, v10
	v_cmp_eq_u64_e64 s[36:37], 0, v[32:33]
	v_cndmask_b32_e64 v8, 0, 1, s[6:7]
	s_and_b64 s[6:7], s[18:19], s[34:35]
	v_cmp_eq_u64_e64 s[14:15], v[52:53], v[26:27]
	v_cmp_eq_u64_e64 s[38:39], 0, v[34:35]
	v_cndmask_b32_e64 v9, 0, 1, s[6:7]
	s_and_b64 s[6:7], s[16:17], s[36:37]
	v_cndmask_b32_e64 v10, 0, 1, s[6:7]
	s_and_b64 s[6:7], s[14:15], s[38:39]
	v_cndmask_b32_e64 v11, 0, 1, s[6:7]
	v_cmp_ne_u32_e64 s[6:7], 0, v8
	v_cmp_ne_u32_e64 s[34:35], 0, v9
	v_cmp_ne_u32_e64 s[36:37], 0, v10
	v_cmp_ne_u32_e64 s[38:39], 0, v11
	s_bcnt1_i32_b64 s6, s[6:7]
	s_bcnt1_i32_b64 s7, s[34:35]
	s_bcnt1_i32_b64 s34, s[36:37]
	s_bcnt1_i32_b64 s35, s[38:39]
	s_add_u32 s6, s6, s92
	s_addc_u32 s36, 0, s93
	s_add_u32 s6, s6, s7
	s_addc_u32 s7, s36, 0
	s_add_u32 s6, s6, s34
	s_addc_u32 s7, s7, 0
	v_cmp_eq_u64_e64 s[40:41], 1, v[20:21]
	s_add_u32 s92, s6, s35
	v_cmp_eq_u64_e64 s[42:43], 1, v[30:31]
	s_addc_u32 s93, s7, 0
	s_and_b64 s[6:7], s[20:21], s[40:41]
	v_cmp_eq_u64_e64 s[44:45], 1, v[32:33]
	v_cndmask_b32_e64 v10, 0, 1, s[6:7]
	s_and_b64 s[6:7], s[18:19], s[42:43]
	v_cmp_eq_u64_e64 s[46:47], 1, v[34:35]
	v_cndmask_b32_e64 v11, 0, 1, s[6:7]
	s_and_b64 s[6:7], s[16:17], s[44:45]
	v_cndmask_b32_e64 v12, 0, 1, s[6:7]
	s_and_b64 s[6:7], s[14:15], s[46:47]
	v_cndmask_b32_e64 v13, 0, 1, s[6:7]
	v_cmp_ne_u32_e64 s[6:7], 0, v10
	v_cmp_ne_u32_e64 s[34:35], 0, v11
	v_cmp_ne_u32_e64 s[36:37], 0, v12
	v_cmp_ne_u32_e64 s[38:39], 0, v13
	s_bcnt1_i32_b64 s6, s[6:7]
	s_bcnt1_i32_b64 s7, s[34:35]
	s_bcnt1_i32_b64 s34, s[36:37]
	s_bcnt1_i32_b64 s35, s[38:39]
	s_add_u32 s6, s6, s94
	s_addc_u32 s36, 0, s95
	s_add_u32 s6, s6, s7
	s_addc_u32 s7, s36, 0
	s_add_u32 s6, s6, s34
	s_addc_u32 s7, s7, 0
	v_cmp_eq_u64_e64 s[48:49], 2, v[20:21]
	s_add_u32 s94, s6, s35
	v_cmp_eq_u64_e64 s[50:51], 2, v[30:31]
	s_addc_u32 s95, s7, 0
	s_and_b64 s[6:7], s[20:21], s[48:49]
	v_cmp_eq_u64_e64 s[52:53], 2, v[32:33]
	v_cndmask_b32_e64 v12, 0, 1, s[6:7]
	s_and_b64 s[6:7], s[18:19], s[50:51]
	v_cmp_eq_u64_e64 s[54:55], 2, v[34:35]
	v_cndmask_b32_e64 v13, 0, 1, s[6:7]
	s_and_b64 s[6:7], s[16:17], s[52:53]
	v_cndmask_b32_e64 v14, 0, 1, s[6:7]
	s_and_b64 s[6:7], s[14:15], s[54:55]
	v_cndmask_b32_e64 v15, 0, 1, s[6:7]
	v_cmp_ne_u32_e64 s[6:7], 0, v12
	v_cmp_ne_u32_e64 s[34:35], 0, v13
	v_cmp_ne_u32_e64 s[36:37], 0, v14
	v_cmp_ne_u32_e64 s[38:39], 0, v15
	s_bcnt1_i32_b64 s6, s[6:7]
	s_bcnt1_i32_b64 s7, s[34:35]
	s_bcnt1_i32_b64 s34, s[36:37]
	s_bcnt1_i32_b64 s35, s[38:39]
	s_add_u32 s6, s6, s56
	s_addc_u32 s36, 0, s57
	s_add_u32 s6, s6, s7
	s_addc_u32 s7, s36, 0
	s_add_u32 s6, s6, s34
	s_addc_u32 s7, s7, 0
	v_cmp_eq_u64_e64 s[28:29], 3, v[20:21]
	s_add_u32 s56, s6, s35
	v_cmp_eq_u64_e64 s[26:27], 3, v[30:31]
	s_addc_u32 s57, s7, 0
	s_and_b64 s[6:7], s[20:21], s[28:29]
	v_cmp_eq_u64_e64 s[24:25], 3, v[32:33]
	v_cndmask_b32_e64 v14, 0, 1, s[6:7]
	s_and_b64 s[6:7], s[18:19], s[26:27]
	v_cmp_eq_u64_e64 s[22:23], 3, v[34:35]
	v_cndmask_b32_e64 v15, 0, 1, s[6:7]
	s_and_b64 s[6:7], s[16:17], s[24:25]
	v_cndmask_b32_e64 v20, 0, 1, s[6:7]
	s_and_b64 s[6:7], s[14:15], s[22:23]
	v_cndmask_b32_e64 v30, 0, 1, s[6:7]
	v_cmp_ne_u32_e64 s[6:7], 0, v14
	v_cmp_ne_u32_e64 s[14:15], 0, v15
	;; [unrolled: 1-line block ×4, first 2 shown]
	s_bcnt1_i32_b64 s6, s[6:7]
	s_bcnt1_i32_b64 s7, s[14:15]
	s_bcnt1_i32_b64 s14, s[16:17]
	s_bcnt1_i32_b64 s15, s[18:19]
	s_add_u32 s6, s6, s12
	s_addc_u32 s12, 0, s13
	s_add_u32 s6, s6, s7
	s_addc_u32 s7, s12, 0
	s_add_u32 s6, s6, s14
	v_add_co_u32_e32 v4, vcc, s9, v4
	s_addc_u32 s7, s7, 0
	v_addc_co_u32_e32 v5, vcc, 0, v5, vcc
	s_add_u32 s12, s6, s15
	v_cmp_le_u64_e32 vcc, s[90:91], v[4:5]
	s_addc_u32 s13, s7, 0
	v_add_u32_e32 v45, v45, v44
	v_pk_mov_b32 v[8:9], s[92:93], s[92:93] op_sel:[0,1]
	v_pk_mov_b32 v[10:11], s[94:95], s[94:95] op_sel:[0,1]
	;; [unrolled: 1-line block ×3, first 2 shown]
	s_or_b64 s[10:11], vcc, s[10:11]
	v_pk_mov_b32 v[14:15], s[12:13], s[12:13] op_sel:[0,1]
	s_andn2_b64 exec, exec, s[10:11]
	s_cbranch_execnz .LBB162_68
; %bb.69:                               ;   in Loop: Header=BB162_18 Depth=1
	s_or_b64 exec, exec, s[10:11]
.LBB162_70:                             ;   in Loop: Header=BB162_18 Depth=1
	s_or_b64 exec, exec, s[2:3]
	v_add_u32_e32 v20, s90, v0
	v_cmp_gt_u32_e32 vcc, s8, v20
	s_and_saveexec_b64 s[2:3], vcc
	s_cbranch_execz .LBB162_74
; %bb.71:                               ;   in Loop: Header=BB162_18 Depth=1
	s_and_b32 s90, s8, 0x7fffffff
	s_and_b32 s10, s75, 0xfe
	v_lshlrev_b32_e32 v30, 3, v20
	v_lshlrev_b32_e32 v31, 3, v3
	s_mov_b64 s[8:9], 0
	v_pk_mov_b32 v[4:5], v[20:21], v[20:21] op_sel:[0,1]
.LBB162_72:                             ;   Parent Loop BB162_18 Depth=1
                                        ; =>  This Inner Loop Header: Depth=2
	ds_read_b64 v[32:33], v30
	v_add_co_u32_e32 v4, vcc, v4, v3
	v_addc_co_u32_e32 v5, vcc, 0, v5, vcc
	s_waitcnt lgkmcnt(0)
	v_xor_b32_e32 v33, 0x80000000, v33
	v_and_b32_e32 v34, v32, v24
	v_and_b32_e32 v35, v33, v25
	v_lshrrev_b64 v[32:33], s10, v[32:33]
	v_and_b32_e32 v20, 3, v32
	v_cmp_eq_u64_e64 s[6:7], v[34:35], v[26:27]
	v_cmp_eq_u64_e64 s[14:15], 0, v[20:21]
	;; [unrolled: 1-line block ×3, first 2 shown]
	s_and_b64 s[12:13], s[6:7], s[14:15]
	v_cmp_eq_u64_e64 s[18:19], 2, v[20:21]
	v_cmp_eq_u64_e64 s[20:21], 3, v[20:21]
	v_cndmask_b32_e64 v20, 0, 1, s[12:13]
	s_and_b64 s[12:13], s[6:7], s[16:17]
	v_cndmask_b32_e64 v32, 0, 1, s[12:13]
	s_and_b64 s[12:13], s[6:7], s[18:19]
	s_and_b64 s[6:7], s[6:7], s[20:21]
	v_cndmask_b32_e64 v33, 0, 1, s[12:13]
	v_cndmask_b32_e64 v34, 0, 1, s[6:7]
	v_cmp_ne_u32_e64 s[6:7], 0, v20
	v_cmp_ne_u32_e64 s[14:15], 0, v32
	;; [unrolled: 1-line block ×4, first 2 shown]
	v_cmp_le_u64_e32 vcc, s[90:91], v[4:5]
	s_bcnt1_i32_b64 s6, s[6:7]
	s_bcnt1_i32_b64 s7, s[14:15]
	;; [unrolled: 1-line block ×4, first 2 shown]
	s_or_b64 s[8:9], vcc, s[8:9]
	v_add_co_u32_e32 v8, vcc, s6, v8
	v_addc_co_u32_e32 v9, vcc, 0, v9, vcc
	v_add_co_u32_e32 v10, vcc, s7, v10
	v_addc_co_u32_e32 v11, vcc, 0, v11, vcc
	;; [unrolled: 2-line block ×3, first 2 shown]
	v_add_co_u32_e32 v14, vcc, s12, v14
	v_add_u32_e32 v30, v30, v31
	v_addc_co_u32_e32 v15, vcc, 0, v15, vcc
	s_andn2_b64 exec, exec, s[8:9]
	s_cbranch_execnz .LBB162_72
; %bb.73:                               ;   in Loop: Header=BB162_18 Depth=1
	s_or_b64 exec, exec, s[8:9]
.LBB162_74:                             ;   in Loop: Header=BB162_18 Depth=1
	s_or_b64 exec, exec, s[2:3]
.LBB162_75:                             ;   in Loop: Header=BB162_18 Depth=1
	v_readlane_b32 s2, v55, 62
	s_lshl_b32 s6, s2, 6
	s_and_saveexec_b64 s[2:3], s[0:1]
	s_cbranch_execz .LBB162_77
; %bb.76:                               ;   in Loop: Header=BB162_18 Depth=1
	v_or_b32_e32 v3, s6, v38
	v_lshlrev_b32_e32 v3, 3, v3
	ds_write_b128 v3, v[8:11] offset:3072
	ds_write_b128 v3, v[12:15] offset:3088
.LBB162_77:                             ;   in Loop: Header=BB162_18 Depth=1
	s_or_b64 exec, exec, s[2:3]
	s_waitcnt lgkmcnt(0)
	s_barrier
	s_mov_b64 s[2:3], exec
	v_readlane_b32 s8, v55, 42
	v_readlane_b32 s9, v55, 43
	s_and_b64 s[8:9], s[2:3], s[8:9]
	s_mov_b64 exec, s[8:9]
	s_cbranch_execz .LBB162_89
; %bb.78:                               ;   in Loop: Header=BB162_18 Depth=1
	v_readlane_b32 s8, v55, 50
	v_readlane_b32 s9, v55, 51
	s_andn2_b64 vcc, exec, s[8:9]
	s_waitcnt vmcnt(0)
	v_pk_mov_b32 v[4:5], 0, 0
	s_cbranch_vccnz .LBB162_88
; %bb.79:                               ;   in Loop: Header=BB162_18 Depth=1
	v_readlane_b32 s8, v55, 57
	v_readlane_b32 s9, v55, 58
	s_andn2_b64 vcc, exec, s[8:9]
	s_cbranch_vccnz .LBB162_84
; %bb.80:                               ;   in Loop: Header=BB162_18 Depth=1
	v_readlane_b32 s7, v55, 62
	v_lshl_add_u32 v3, s7, 9, v42
	s_mov_b32 s7, 0
	v_pk_mov_b32 v[4:5], 0, 0
.LBB162_81:                             ;   Parent Loop BB162_18 Depth=1
                                        ; =>  This Inner Loop Header: Depth=2
	ds_read2_b64 v[8:11], v3 offset1:4
	ds_read2_b64 v[12:15], v3 offset0:8 offset1:12
	ds_read2_b64 v[30:33], v3 offset0:16 offset1:20
	;; [unrolled: 1-line block ×3, first 2 shown]
	s_add_i32 s7, s7, 8
	s_waitcnt lgkmcnt(3)
	v_add_co_u32_e32 v4, vcc, v8, v4
	v_addc_co_u32_e32 v5, vcc, v9, v5, vcc
	v_add_co_u32_e32 v4, vcc, v10, v4
	v_addc_co_u32_e32 v5, vcc, v11, v5, vcc
	s_waitcnt lgkmcnt(2)
	v_add_co_u32_e32 v4, vcc, v12, v4
	v_addc_co_u32_e32 v5, vcc, v13, v5, vcc
	v_add_co_u32_e32 v4, vcc, v14, v4
	v_addc_co_u32_e32 v5, vcc, v15, v5, vcc
	;; [unrolled: 5-line block ×3, first 2 shown]
	s_waitcnt lgkmcnt(0)
	v_add_co_u32_e32 v4, vcc, v44, v4
	v_addc_co_u32_e32 v5, vcc, v45, v5, vcc
	v_add_co_u32_e32 v4, vcc, v46, v4
	v_add_u32_e32 v3, 0x100, v3
	s_cmp_eq_u32 s4, s7
	v_addc_co_u32_e32 v5, vcc, v47, v5, vcc
	s_cbranch_scc0 .LBB162_81
; %bb.82:                               ;   in Loop: Header=BB162_18 Depth=1
	s_mov_b32 s7, s4
	s_branch .LBB162_85
.LBB162_83:                             ;   in Loop: Header=BB162_18 Depth=1
                                        ; implicit-def: $vgpr4_vgpr5
	s_branch .LBB162_51
.LBB162_84:                             ;   in Loop: Header=BB162_18 Depth=1
	s_mov_b32 s7, 0
	v_pk_mov_b32 v[4:5], 0, 0
.LBB162_85:                             ;   in Loop: Header=BB162_18 Depth=1
	v_readlane_b32 s8, v55, 60
	v_readlane_b32 s9, v55, 61
	s_andn2_b64 vcc, exec, s[8:9]
	s_cbranch_vccnz .LBB162_88
; %bb.86:                               ;   in Loop: Header=BB162_18 Depth=1
	v_readlane_b32 s8, v55, 62
	s_lshl_b32 s8, s8, 9
	s_lshl_b32 s7, s7, 5
	s_add_i32 s8, s8, s7
	v_add_u32_e32 v3, s8, v42
	v_readlane_b32 s7, v55, 59
.LBB162_87:                             ;   Parent Loop BB162_18 Depth=1
                                        ; =>  This Inner Loop Header: Depth=2
	ds_read_b64 v[8:9], v3
	s_add_i32 s7, s7, -1
	v_add_u32_e32 v3, 32, v3
	s_cmp_lg_u32 s7, 0
	s_waitcnt lgkmcnt(0)
	v_add_co_u32_e32 v4, vcc, v8, v4
	v_addc_co_u32_e32 v5, vcc, v9, v5, vcc
	s_cbranch_scc1 .LBB162_87
.LBB162_88:                             ;   in Loop: Header=BB162_18 Depth=1
	v_add_lshl_u32 v3, s6, v37, 3
	ds_write_b64 v3, v[4:5] offset:3072
.LBB162_89:                             ;   in Loop: Header=BB162_18 Depth=1
	s_or_b64 exec, exec, s[2:3]
	s_lshl_b32 s2, s6, 3
	v_mov_b32_e32 v3, s2
	s_waitcnt lgkmcnt(0)
	s_barrier
	ds_read_b128 v[8:11], v3 offset:3072
	ds_read_b128 v[12:15], v3 offset:3088
	s_and_b32 s90, s75, 0xfe
	v_readlane_b32 s2, v55, 40
	s_lshl_b64 s[18:19], 3, s90
	v_readlane_b32 s3, v55, 41
	s_waitcnt lgkmcnt(1)
	v_readfirstlane_b32 s17, v9
	v_readfirstlane_b32 s16, v8
	;; [unrolled: 1-line block ×4, first 2 shown]
	s_waitcnt lgkmcnt(0)
	v_readfirstlane_b32 s27, v13
	v_readfirstlane_b32 s26, v12
	;; [unrolled: 1-line block ×4, first 2 shown]
	s_not_b64 s[20:21], s[18:19]
	s_andn2_b64 vcc, exec, s[2:3]
	v_cmp_eq_u64_e64 s[14:15], 1, v[28:29]
                                        ; implicit-def: $vgpr54 : SGPR spill to VGPR lane
	s_cbranch_vccnz .LBB162_105
; %bb.90:                               ;   in Loop: Header=BB162_18 Depth=1
	s_cmp_eq_u64 s[16:17], 1
	s_cselect_b64 s[2:3], -1, 0
	s_and_b64 s[8:9], s[2:3], s[14:15]
	s_mov_b64 s[2:3], -1
	v_pk_mov_b32 v[12:13], v[26:27], v[26:27] op_sel:[0,1]
	v_pk_mov_b32 v[14:15], v[24:25], v[24:25] op_sel:[0,1]
	;; [unrolled: 1-line block ×3, first 2 shown]
                                        ; implicit-def: $sgpr24_sgpr25
                                        ; implicit-def: $sgpr40_sgpr41
                                        ; implicit-def: $sgpr38_sgpr39
	s_and_saveexec_b64 s[10:11], s[8:9]
	s_cbranch_execz .LBB162_127
; %bb.91:                               ;   in Loop: Header=BB162_18 Depth=1
	s_waitcnt vmcnt(0)
	ds_read_b64 v[4:5], v21 offset:5120
	s_waitcnt lgkmcnt(0)
	s_barrier
	v_readfirstlane_b32 s2, v4
	v_readfirstlane_b32 s3, v5
	s_mov_b64 s[6:7], exec
	v_readlane_b32 s12, v55, 48
	v_readlane_b32 s13, v55, 49
	s_and_b64 s[12:13], s[6:7], s[12:13]
	s_mov_b64 exec, s[12:13]
	s_cbranch_execz .LBB162_93
; %bb.92:                               ;   in Loop: Header=BB162_18 Depth=1
	v_mov_b32_e32 v20, v21
	ds_write_b64 v40, v[20:21]
.LBB162_93:                             ;   in Loop: Header=BB162_18 Depth=1
	s_or_b64 exec, exec, s[6:7]
	v_and_b32_e32 v13, s21, v27
	v_and_b32_e32 v12, s20, v26
	v_or_b32_e32 v15, s19, v25
	v_or_b32_e32 v14, s18, v24
	s_cmp_eq_u64 s[2:3], 0
	s_waitcnt lgkmcnt(0)
	s_barrier
	s_cbranch_scc1 .LBB162_110
; %bb.94:                               ;   in Loop: Header=BB162_18 Depth=1
	v_readlane_b32 s6, v55, 52
	s_add_u32 s24, s6, s2
	v_readlane_b32 s6, v55, 54
	s_addc_u32 s7, s6, s3
	s_mov_b32 s6, s91
	s_cmp_lg_u64 s[6:7], 0
	s_cbranch_scc0 .LBB162_154
; %bb.95:                               ;   in Loop: Header=BB162_18 Depth=1
	v_cvt_f32_u32_e32 v3, s89
	s_sub_u32 s6, 0, s89
	s_subb_u32 s12, 0, 0
	v_mac_f32_e32 v3, 0, v43
	v_rcp_f32_e32 v3, v3
	v_mul_f32_e32 v3, 0x5f7ffffc, v3
	v_mul_f32_e32 v4, 0x2f800000, v3
	v_trunc_f32_e32 v4, v4
	v_mac_f32_e32 v3, 0xcf800000, v4
	v_cvt_u32_f32_e32 v4, v4
	v_cvt_u32_f32_e32 v3, v3
	v_readfirstlane_b32 s13, v4
	v_readfirstlane_b32 s25, v3
	s_mul_i32 s34, s6, s13
	s_mul_hi_u32 s36, s6, s25
	s_mul_i32 s35, s12, s25
	s_add_i32 s34, s36, s34
	s_mul_i32 s37, s6, s25
	s_add_i32 s34, s34, s35
	s_mul_hi_u32 s36, s25, s37
	s_mul_hi_u32 s35, s25, s34
	s_mul_i32 s25, s25, s34
	s_add_u32 s25, s36, s25
	s_addc_u32 s35, 0, s35
	s_mul_hi_u32 s38, s13, s37
	s_mul_i32 s37, s13, s37
	s_add_u32 s25, s25, s37
	s_mul_hi_u32 s36, s13, s34
	s_addc_u32 s25, s35, s38
	s_addc_u32 s35, s36, 0
	s_mul_i32 s34, s13, s34
	s_add_u32 s25, s25, s34
	s_addc_u32 s34, 0, s35
	v_add_co_u32_e32 v3, vcc, s25, v3
	s_cmp_lg_u64 vcc, 0
	s_addc_u32 s13, s13, s34
	v_readfirstlane_b32 s34, v3
	s_mul_i32 s25, s6, s13
	s_mul_hi_u32 s35, s6, s34
	s_add_i32 s25, s35, s25
	s_mul_i32 s12, s12, s34
	s_add_i32 s25, s25, s12
	s_mul_i32 s6, s6, s34
	s_mul_hi_u32 s35, s13, s6
	s_mul_i32 s36, s13, s6
	s_mul_i32 s38, s34, s25
	s_mul_hi_u32 s6, s34, s6
	s_mul_hi_u32 s37, s34, s25
	s_add_u32 s6, s6, s38
	s_addc_u32 s34, 0, s37
	s_add_u32 s6, s6, s36
	s_mul_hi_u32 s12, s13, s25
	s_addc_u32 s6, s34, s35
	s_addc_u32 s12, s12, 0
	s_mul_i32 s25, s13, s25
	s_add_u32 s6, s6, s25
	s_addc_u32 s12, 0, s12
	v_add_co_u32_e32 v3, vcc, s6, v3
	s_cmp_lg_u64 vcc, 0
	s_addc_u32 s6, s13, s12
	v_readfirstlane_b32 s25, v3
	s_mul_i32 s13, s24, s6
	s_mul_hi_u32 s34, s24, s25
	s_mul_hi_u32 s12, s24, s6
	s_add_u32 s13, s34, s13
	s_addc_u32 s12, 0, s12
	s_mul_hi_u32 s35, s7, s25
	s_mul_i32 s25, s7, s25
	s_add_u32 s13, s13, s25
	s_mul_hi_u32 s34, s7, s6
	s_addc_u32 s12, s12, s35
	s_addc_u32 s13, s34, 0
	s_mul_i32 s6, s7, s6
	s_add_u32 s6, s12, s6
	s_addc_u32 s12, 0, s13
	s_mul_hi_u32 s13, s89, s6
	s_mul_i32 s6, s89, s6
	s_mul_i32 s12, s89, s12
	v_mov_b32_e32 v3, s6
	s_add_i32 s13, s13, s12
	v_sub_co_u32_e32 v3, vcc, s24, v3
	s_cmp_lg_u64 vcc, 0
	s_subb_u32 s6, s7, s13
	v_subrev_co_u32_e32 v4, vcc, s89, v3
	s_cmp_lg_u64 vcc, 0
	s_subb_u32 s12, s6, 0
	v_subrev_co_u32_e32 v5, vcc, s89, v4
	s_cmp_lg_u64 vcc, 0
	s_subb_u32 s13, s12, 0
	v_cmp_le_u32_e32 vcc, s89, v4
	s_cmp_eq_u32 s12, 0
	v_cndmask_b32_e64 v8, 0, -1, vcc
	s_cselect_b64 vcc, -1, 0
	v_cndmask_b32_e32 v8, -1, v8, vcc
	v_mov_b32_e32 v9, s12
	v_mov_b32_e32 v10, s13
	v_cmp_ne_u32_e32 vcc, 0, v8
	v_cndmask_b32_e32 v8, v9, v10, vcc
	v_cndmask_b32_e32 v4, v4, v5, vcc
	v_cmp_le_u32_e32 vcc, s89, v3
	s_cmp_eq_u32 s6, 0
	v_cndmask_b32_e64 v5, 0, -1, vcc
	s_cselect_b64 vcc, -1, 0
	v_cndmask_b32_e32 v5, -1, v5, vcc
	v_mov_b32_e32 v9, s6
	v_cmp_ne_u32_e32 vcc, 0, v5
	v_cndmask_b32_e32 v5, v9, v8, vcc
	v_cndmask_b32_e32 v4, v3, v4, vcc
	s_cbranch_execnz .LBB162_97
.LBB162_96:                             ;   in Loop: Header=BB162_18 Depth=1
	v_cvt_f32_u32_e32 v3, s89
	s_sub_i32 s6, 0, s89
	v_rcp_iflag_f32_e32 v3, v3
	v_mul_f32_e32 v3, 0x4f7ffffe, v3
	v_cvt_u32_f32_e32 v3, v3
	v_mul_lo_u32 v4, s6, v3
	v_mul_hi_u32 v4, v3, v4
	v_add_u32_e32 v3, v3, v4
	v_mul_hi_u32 v3, s24, v3
	v_mul_lo_u32 v3, v3, s89
	v_sub_u32_e32 v3, s24, v3
	v_subrev_u32_e32 v4, s89, v3
	v_cmp_le_u32_e32 vcc, s89, v3
	v_cndmask_b32_e32 v3, v3, v4, vcc
	v_subrev_u32_e32 v4, s89, v3
	v_cmp_le_u32_e32 vcc, s89, v3
	v_cndmask_b32_e32 v20, v3, v4, vcc
	v_pk_mov_b32 v[4:5], v[20:21], v[20:21] op_sel:[0,1]
.LBB162_97:                             ;   in Loop: Header=BB162_18 Depth=1
	v_mov_b32_e32 v3, s7
	v_sub_co_u32_e32 v30, vcc, s24, v4
	v_subb_co_u32_e32 v31, vcc, v3, v5, vcc
	v_cmp_gt_u64_e32 vcc, v[30:31], v[0:1]
	s_mov_b64 s[12:13], 0
                                        ; implicit-def: $vgpr10_vgpr11
	s_and_saveexec_b64 s[6:7], vcc
	s_cbranch_execz .LBB162_112
; %bb.98:                               ;   in Loop: Header=BB162_18 Depth=1
	s_mov_b64 s[24:25], 0
	v_mov_b32_e32 v20, v39
	v_pk_mov_b32 v[32:33], v[0:1], v[0:1] op_sel:[0,1]
                                        ; implicit-def: $sgpr12_sgpr13
	s_branch .LBB162_100
.LBB162_99:                             ;   in Loop: Header=BB162_100 Depth=2
	s_or_b64 exec, exec, s[34:35]
	s_waitcnt lgkmcnt(0)
	s_barrier
	ds_read_b128 v[8:11], v21 offset:3072
	v_mov_b32_e32 v3, s74
	v_add_co_u32_e32 v32, vcc, s89, v32
	v_addc_co_u32_e32 v33, vcc, v33, v3, vcc
	s_waitcnt lgkmcnt(0)
	v_readfirstlane_b32 s35, v9
	v_readfirstlane_b32 s34, v8
	s_cmp_lg_u64 s[34:35], 0
	s_cselect_b64 s[34:35], -1, 0
	v_cmp_ge_u64_e32 vcc, v[32:33], v[30:31]
	s_or_b64 s[36:37], vcc, s[34:35]
	s_and_b64 s[36:37], exec, s[36:37]
	s_or_b64 s[24:25], s[36:37], s[24:25]
	s_andn2_b64 s[12:13], s[12:13], exec
	s_and_b64 s[34:35], s[34:35], exec
	v_add_u32_e32 v20, s5, v20
	s_or_b64 s[12:13], s[12:13], s[34:35]
	s_barrier
	s_andn2_b64 exec, exec, s[24:25]
	s_cbranch_execz .LBB162_111
.LBB162_100:                            ;   Parent Loop BB162_18 Depth=1
                                        ; =>  This Inner Loop Header: Depth=2
	v_cmp_gt_u64_e32 vcc, s[2:3], v[32:33]
	v_pk_mov_b32 v[4:5], 0, 0
	s_and_saveexec_b64 s[34:35], vcc
	s_cbranch_execz .LBB162_102
; %bb.101:                              ;   in Loop: Header=BB162_100 Depth=2
	ds_read_b64 v[4:5], v20
.LBB162_102:                            ;   in Loop: Header=BB162_100 Depth=2
	s_or_b64 exec, exec, s[34:35]
	s_and_saveexec_b64 s[34:35], vcc
	s_cbranch_execz .LBB162_99
; %bb.103:                              ;   in Loop: Header=BB162_100 Depth=2
	s_waitcnt lgkmcnt(0)
	v_xor_b32_e32 v3, 0x80000000, v5
	v_and_b32_e32 v9, v3, v15
	v_and_b32_e32 v8, v4, v14
	v_cmp_eq_u64_e32 vcc, v[8:9], v[12:13]
	s_and_b64 exec, exec, vcc
	s_cbranch_execz .LBB162_99
; %bb.104:                              ;   in Loop: Header=BB162_100 Depth=2
	v_mov_b32_e32 v3, v21
	ds_write_b128 v21, v[2:5] offset:3072
	s_branch .LBB162_99
.LBB162_105:                            ;   in Loop: Header=BB162_18 Depth=1
	s_mov_b64 s[36:37], 0
	s_mov_b64 s[34:35], 0
                                        ; implicit-def: $sgpr38_sgpr39
                                        ; implicit-def: $sgpr40_sgpr41
                                        ; implicit-def: $sgpr24_sgpr25
                                        ; implicit-def: $vgpr3
                                        ; implicit-def: $vgpr30_vgpr31
                                        ; implicit-def: $vgpr12_vgpr13
                                        ; implicit-def: $vgpr14_vgpr15
                                        ; implicit-def: $vgpr10_vgpr11
	s_cbranch_execnz .LBB162_291
.LBB162_106:                            ;   in Loop: Header=BB162_18 Depth=1
	s_mov_b64 s[14:15], s[24:25]
	s_mov_b64 s[42:43], s[24:25]
	s_and_saveexec_b64 s[2:3], s[36:37]
	s_cbranch_execnz .LBB162_487
	s_branch .LBB162_488
.LBB162_107:                            ;   in Loop: Header=BB162_18 Depth=1
	s_or_b64 exec, exec, s[2:3]
	s_waitcnt lgkmcnt(0)
	s_barrier
	s_mov_b64 s[2:3], exec
	v_readlane_b32 s6, v55, 32
	v_readlane_b32 s7, v55, 33
	s_and_b64 s[6:7], s[2:3], s[6:7]
	s_mov_b64 exec, s[6:7]
	s_cbranch_execz .LBB162_109
; %bb.108:                              ;   in Loop: Header=BB162_18 Depth=1
	s_waitcnt vmcnt(0)
	ds_read_b32 v4, v21 offset:5144
	s_waitcnt lgkmcnt(0)
	v_ashrrev_i32_e32 v5, 31, v4
	ds_write_b64 v21, v[4:5] offset:5120
.LBB162_109:                            ;   in Loop: Header=BB162_18 Depth=1
	s_or_b64 exec, exec, s[2:3]
	s_waitcnt lgkmcnt(0)
	s_barrier
	s_mov_b64 s[2:3], -1
	s_and_b64 vcc, exec, s[8:9]
	s_cbranch_vccnz .LBB162_36
	s_branch .LBB162_46
.LBB162_110:                            ;   in Loop: Header=BB162_18 Depth=1
	s_mov_b64 s[24:25], -1
	s_mov_b64 s[12:13], 0
                                        ; implicit-def: $sgpr38_sgpr39
                                        ; implicit-def: $vgpr10_vgpr11
	s_mov_b64 s[40:41], s[24:25]
	s_cbranch_execnz .LBB162_113
	s_branch .LBB162_126
.LBB162_111:                            ;   in Loop: Header=BB162_18 Depth=1
	s_or_b64 exec, exec, s[24:25]
	s_and_b64 s[12:13], s[12:13], exec
.LBB162_112:                            ;   in Loop: Header=BB162_18 Depth=1
	s_or_b64 exec, exec, s[6:7]
	s_mov_b64 s[38:39], -1
	s_mov_b64 s[24:25], 0
	s_mov_b64 s[40:41], s[24:25]
	s_branch .LBB162_126
.LBB162_113:                            ;   in Loop: Header=BB162_18 Depth=1
	s_mov_b32 s72, s91
	s_cmp_lg_u64 s[72:73], 0
	s_cbranch_scc0 .LBB162_155
; %bb.114:                              ;   in Loop: Header=BB162_18 Depth=1
	v_cvt_f32_u32_e32 v3, s89
	s_sub_u32 s2, 0, s89
	s_subb_u32 s3, 0, 0
	v_mac_f32_e32 v3, 0, v43
	v_rcp_f32_e32 v3, v3
	v_mul_f32_e32 v3, 0x5f7ffffc, v3
	v_mul_f32_e32 v4, 0x2f800000, v3
	v_trunc_f32_e32 v4, v4
	v_mac_f32_e32 v3, 0xcf800000, v4
	v_cvt_u32_f32_e32 v4, v4
	v_cvt_u32_f32_e32 v3, v3
	v_readfirstlane_b32 s6, v4
	v_readfirstlane_b32 s7, v3
	s_mul_i32 s12, s2, s6
	s_mul_hi_u32 s24, s2, s7
	s_mul_i32 s13, s3, s7
	s_add_i32 s12, s24, s12
	s_mul_i32 s25, s2, s7
	s_add_i32 s12, s12, s13
	s_mul_hi_u32 s24, s7, s25
	s_mul_hi_u32 s13, s7, s12
	s_mul_i32 s7, s7, s12
	s_add_u32 s7, s24, s7
	s_addc_u32 s13, 0, s13
	s_mul_hi_u32 s34, s6, s25
	s_mul_i32 s25, s6, s25
	s_add_u32 s7, s7, s25
	s_mul_hi_u32 s24, s6, s12
	s_addc_u32 s7, s13, s34
	s_addc_u32 s13, s24, 0
	s_mul_i32 s12, s6, s12
	s_add_u32 s7, s7, s12
	s_addc_u32 s12, 0, s13
	v_add_co_u32_e32 v3, vcc, s7, v3
	s_cmp_lg_u64 vcc, 0
	s_addc_u32 s6, s6, s12
	v_readfirstlane_b32 s12, v3
	s_mul_i32 s7, s2, s6
	s_mul_hi_u32 s13, s2, s12
	s_add_i32 s7, s13, s7
	s_mul_i32 s3, s3, s12
	s_add_i32 s7, s7, s3
	s_mul_i32 s2, s2, s12
	s_mul_hi_u32 s13, s6, s2
	s_mul_i32 s24, s6, s2
	s_mul_i32 s34, s12, s7
	s_mul_hi_u32 s2, s12, s2
	s_mul_hi_u32 s25, s12, s7
	s_add_u32 s2, s2, s34
	s_addc_u32 s12, 0, s25
	s_add_u32 s2, s2, s24
	s_mul_hi_u32 s3, s6, s7
	s_addc_u32 s2, s12, s13
	s_addc_u32 s3, s3, 0
	s_mul_i32 s7, s6, s7
	s_add_u32 s2, s2, s7
	s_addc_u32 s3, 0, s3
	v_add_co_u32_e32 v3, vcc, s2, v3
	s_cmp_lg_u64 vcc, 0
	s_addc_u32 s2, s6, s3
	v_readlane_b32 s24, v55, 53
	v_readfirstlane_b32 s7, v3
	s_mul_i32 s6, s24, s2
	s_mul_hi_u32 s12, s24, s7
	s_mul_hi_u32 s3, s24, s2
	s_add_u32 s6, s12, s6
	s_addc_u32 s3, 0, s3
	s_mul_hi_u32 s13, s73, s7
	s_mul_i32 s7, s73, s7
	s_add_u32 s6, s6, s7
	s_mul_hi_u32 s12, s73, s2
	s_addc_u32 s3, s3, s13
	s_addc_u32 s6, s12, 0
	s_mul_i32 s2, s73, s2
	s_add_u32 s2, s3, s2
	s_addc_u32 s3, 0, s6
	s_mul_hi_u32 s6, s89, s2
	s_mul_i32 s2, s89, s2
	s_mul_i32 s3, s89, s3
	v_mov_b32_e32 v3, s2
	s_add_i32 s6, s6, s3
	v_sub_co_u32_e32 v3, vcc, s24, v3
	s_cmp_lg_u64 vcc, 0
	s_subb_u32 s2, s73, s6
	v_subrev_co_u32_e32 v4, vcc, s89, v3
	s_cmp_lg_u64 vcc, 0
	s_subb_u32 s3, s2, 0
	v_subrev_co_u32_e32 v5, vcc, s89, v4
	s_cmp_lg_u64 vcc, 0
	s_subb_u32 s6, s3, 0
	v_cmp_le_u32_e32 vcc, s89, v4
	s_cmp_eq_u32 s3, 0
	v_cndmask_b32_e64 v8, 0, -1, vcc
	s_cselect_b64 vcc, -1, 0
	v_cndmask_b32_e32 v8, -1, v8, vcc
	v_mov_b32_e32 v9, s3
	v_mov_b32_e32 v10, s6
	v_cmp_ne_u32_e32 vcc, 0, v8
	v_cndmask_b32_e32 v8, v9, v10, vcc
	v_cndmask_b32_e32 v4, v4, v5, vcc
	v_cmp_le_u32_e32 vcc, s89, v3
	s_cmp_eq_u32 s2, 0
	v_cndmask_b32_e64 v5, 0, -1, vcc
	s_cselect_b64 vcc, -1, 0
	v_cndmask_b32_e32 v5, -1, v5, vcc
	v_mov_b32_e32 v9, s2
	v_cmp_ne_u32_e32 vcc, 0, v5
	v_cndmask_b32_e32 v5, v9, v8, vcc
	v_cndmask_b32_e32 v4, v3, v4, vcc
	s_cbranch_execnz .LBB162_116
.LBB162_115:                            ;   in Loop: Header=BB162_18 Depth=1
	v_cvt_f32_u32_e32 v3, s89
	s_sub_i32 s2, 0, s89
	v_rcp_iflag_f32_e32 v3, v3
	v_mul_f32_e32 v3, 0x4f7ffffe, v3
	v_cvt_u32_f32_e32 v3, v3
	v_mul_lo_u32 v4, s2, v3
	v_mul_hi_u32 v4, v3, v4
	v_add_u32_e32 v3, v3, v4
	v_readlane_b32 s2, v55, 53
	v_mul_hi_u32 v3, s2, v3
	v_mul_lo_u32 v3, v3, s89
	v_sub_u32_e32 v3, s2, v3
	v_subrev_u32_e32 v4, s89, v3
	v_cmp_le_u32_e32 vcc, s89, v3
	v_cndmask_b32_e32 v3, v3, v4, vcc
	v_subrev_u32_e32 v4, s89, v3
	v_cmp_le_u32_e32 vcc, s89, v3
	v_cndmask_b32_e32 v20, v3, v4, vcc
	v_pk_mov_b32 v[4:5], v[20:21], v[20:21] op_sel:[0,1]
.LBB162_116:                            ;   in Loop: Header=BB162_18 Depth=1
	v_readlane_b32 s2, v55, 53
	v_mov_b32_e32 v3, s73
	v_sub_co_u32_e32 v30, vcc, s2, v4
	v_subb_co_u32_e32 v31, vcc, v3, v5, vcc
	v_cmp_gt_u64_e32 vcc, v[30:31], v[0:1]
	s_mov_b64 s[12:13], 0
                                        ; implicit-def: $vgpr10_vgpr11
	s_and_saveexec_b64 s[2:3], vcc
	s_cbranch_execz .LBB162_125
; %bb.117:                              ;   in Loop: Header=BB162_18 Depth=1
	s_mov_b64 s[24:25], 0
	v_pk_mov_b32 v[32:33], v[0:1], v[0:1] op_sel:[0,1]
                                        ; implicit-def: $sgpr12_sgpr13
	s_branch .LBB162_119
.LBB162_118:                            ;   in Loop: Header=BB162_119 Depth=2
	s_or_b64 exec, exec, s[6:7]
	s_waitcnt lgkmcnt(0)
	s_barrier
	ds_read_b128 v[8:11], v21 offset:3072
	v_mov_b32_e32 v3, s74
	v_add_co_u32_e32 v32, vcc, s89, v32
	v_addc_co_u32_e32 v33, vcc, v33, v3, vcc
	s_waitcnt lgkmcnt(0)
	v_readfirstlane_b32 s7, v9
	v_readfirstlane_b32 s6, v8
	s_cmp_lg_u64 s[6:7], 0
	s_cselect_b64 s[6:7], -1, 0
	v_cmp_ge_u64_e32 vcc, v[32:33], v[30:31]
	s_or_b64 s[34:35], vcc, s[6:7]
	s_and_b64 s[34:35], exec, s[34:35]
	s_or_b64 s[24:25], s[34:35], s[24:25]
	s_andn2_b64 s[12:13], s[12:13], exec
	s_and_b64 s[6:7], s[6:7], exec
	s_or_b64 s[12:13], s[12:13], s[6:7]
	s_barrier
	s_andn2_b64 exec, exec, s[24:25]
	s_cbranch_execz .LBB162_124
.LBB162_119:                            ;   Parent Loop BB162_18 Depth=1
                                        ; =>  This Inner Loop Header: Depth=2
	v_cmp_gt_u64_e32 vcc, s[60:61], v[32:33]
	s_waitcnt vmcnt(0)
	v_pk_mov_b32 v[4:5], 0, 0
	s_and_saveexec_b64 s[34:35], vcc
	s_cbranch_execz .LBB162_121
; %bb.120:                              ;   in Loop: Header=BB162_119 Depth=2
	v_mul_lo_u32 v3, v33, s58
	v_mul_lo_u32 v8, v32, s59
	v_mad_u64_u32 v[4:5], s[6:7], v32, s58, 0
	v_add3_u32 v5, v5, v8, v3
	v_lshlrev_b64 v[4:5], 3, v[4:5]
	v_mov_b32_e32 v3, s88
	v_add_co_u32_e64 v4, s[6:7], s33, v4
	v_addc_co_u32_e64 v5, s[6:7], v3, v5, s[6:7]
	global_load_dwordx2 v[4:5], v[4:5], off
.LBB162_121:                            ;   in Loop: Header=BB162_119 Depth=2
	s_or_b64 exec, exec, s[34:35]
	s_and_saveexec_b64 s[6:7], vcc
	s_cbranch_execz .LBB162_118
; %bb.122:                              ;   in Loop: Header=BB162_119 Depth=2
	s_waitcnt vmcnt(0)
	v_xor_b32_e32 v3, 0x80000000, v5
	v_and_b32_e32 v9, v3, v15
	v_and_b32_e32 v8, v4, v14
	v_cmp_eq_u64_e32 vcc, v[8:9], v[12:13]
	s_and_b64 exec, exec, vcc
	s_cbranch_execz .LBB162_118
; %bb.123:                              ;   in Loop: Header=BB162_119 Depth=2
	v_mov_b32_e32 v3, v21
	ds_write_b128 v21, v[2:5] offset:3072
	s_branch .LBB162_118
.LBB162_124:                            ;   in Loop: Header=BB162_18 Depth=1
	s_or_b64 exec, exec, s[24:25]
	s_and_b64 s[12:13], s[12:13], exec
.LBB162_125:                            ;   in Loop: Header=BB162_18 Depth=1
	s_or_b64 exec, exec, s[2:3]
	s_mov_b64 s[40:41], -1
	s_mov_b64 s[24:25], 0
	s_mov_b64 s[38:39], 0
.LBB162_126:                            ;   in Loop: Header=BB162_18 Depth=1
	s_orn2_b64 s[2:3], s[12:13], exec
.LBB162_127:                            ;   in Loop: Header=BB162_18 Depth=1
	s_or_b64 exec, exec, s[10:11]
	s_mov_b64 s[42:43], 0
	s_mov_b64 s[36:37], 0
	;; [unrolled: 1-line block ×3, first 2 shown]
                                        ; implicit-def: $vgpr3
                                        ; implicit-def: $vgpr30_vgpr31
	s_and_saveexec_b64 s[44:45], s[2:3]
	s_cbranch_execz .LBB162_290
; %bb.128:                              ;   in Loop: Header=BB162_18 Depth=1
	s_waitcnt vmcnt(0)
	v_mov_b32_e32 v30, 1
	s_xor_b64 s[8:9], s[8:9], -1
	s_mov_b64 s[6:7], 0
	v_mov_b32_e32 v31, 0
	v_mov_b32_e32 v3, 1
	s_and_saveexec_b64 s[2:3], s[8:9]
	s_cbranch_execz .LBB162_138
; %bb.129:                              ;   in Loop: Header=BB162_18 Depth=1
	v_cmp_ge_u64_e32 vcc, s[16:17], v[28:29]
                                        ; implicit-def: $sgpr10
                                        ; implicit-def: $sgpr6_sgpr7
	s_and_saveexec_b64 s[8:9], vcc
	s_xor_b64 s[8:9], exec, s[8:9]
	s_cbranch_execz .LBB162_135
; %bb.130:                              ;   in Loop: Header=BB162_18 Depth=1
	ds_read_b64 v[4:5], v21 offset:5120
	s_waitcnt lgkmcnt(0)
	v_cmp_ne_u64_e32 vcc, 0, v[4:5]
	s_cbranch_vccnz .LBB162_134
; %bb.131:                              ;   in Loop: Header=BB162_18 Depth=1
	s_mov_b64 s[6:7], exec
	v_readlane_b32 s10, v55, 32
	v_readlane_b32 s11, v55, 33
	s_and_b64 s[10:11], s[6:7], s[10:11]
	s_mov_b64 exec, s[10:11]
	s_cbranch_execz .LBB162_133
; %bb.132:                              ;   in Loop: Header=BB162_18 Depth=1
	v_pk_mov_b32 v[4:5], s[16:17], s[16:17] op_sel:[0,1]
	ds_write_b64 v21, v[4:5] offset:5128
.LBB162_133:                            ;   in Loop: Header=BB162_18 Depth=1
	s_or_b64 exec, exec, s[6:7]
	s_waitcnt lgkmcnt(0)
	s_barrier
.LBB162_134:                            ;   in Loop: Header=BB162_18 Depth=1
	v_and_b32_e32 v13, s21, v13
	v_and_b32_e32 v12, s20, v12
	v_or_b32_e32 v15, s19, v15
	v_or_b32_e32 v14, s18, v14
	s_mov_b64 s[6:7], 0
	s_mov_b32 s10, 8
.LBB162_135:                            ;   in Loop: Header=BB162_18 Depth=1
	s_or_saveexec_b64 s[8:9], s[8:9]
	v_mov_b32_e32 v3, s10
	v_pk_mov_b32 v[30:31], v[28:29], v[28:29] op_sel:[0,1]
	s_xor_b64 exec, exec, s[8:9]
; %bb.136:                              ;   in Loop: Header=BB162_18 Depth=1
	v_mov_b32_e32 v3, s17
	v_subrev_co_u32_e32 v30, vcc, s16, v28
	v_subb_co_u32_e32 v31, vcc, v29, v3, vcc
	v_mov_b32_e32 v3, 0
	s_or_b64 s[6:7], s[6:7], exec
; %bb.137:                              ;   in Loop: Header=BB162_18 Depth=1
	s_or_b64 exec, exec, s[8:9]
	s_and_b64 s[6:7], s[6:7], exec
.LBB162_138:                            ;   in Loop: Header=BB162_18 Depth=1
	s_or_b64 exec, exec, s[2:3]
	s_mov_b64 s[36:37], -1
                                        ; implicit-def: $sgpr2_sgpr3
                                        ; implicit-def: $sgpr8_sgpr9
                                        ; implicit-def: $sgpr10_sgpr11
	s_and_saveexec_b64 s[12:13], s[6:7]
	s_xor_b64 s[34:35], exec, s[12:13]
	s_cbranch_execz .LBB162_287
; %bb.139:                              ;   in Loop: Header=BB162_18 Depth=1
	s_cmp_eq_u64 s[22:23], 1
	s_cselect_b64 s[2:3], -1, 0
	v_cmp_eq_u64_e32 vcc, 1, v[30:31]
	s_and_b64 s[8:9], s[2:3], vcc
	s_mov_b64 s[2:3], -1
                                        ; implicit-def: $sgpr36_sgpr37
                                        ; implicit-def: $sgpr48_sgpr49
                                        ; implicit-def: $sgpr46_sgpr47
	s_and_saveexec_b64 s[10:11], s[8:9]
	s_cbranch_execz .LBB162_173
; %bb.140:                              ;   in Loop: Header=BB162_18 Depth=1
	ds_read_b64 v[4:5], v21 offset:5120
	s_waitcnt lgkmcnt(0)
	s_barrier
	v_readfirstlane_b32 s2, v4
	v_readfirstlane_b32 s3, v5
	s_mov_b64 s[6:7], exec
	v_readlane_b32 s12, v55, 48
	v_readlane_b32 s13, v55, 49
	s_and_b64 s[12:13], s[6:7], s[12:13]
	s_mov_b64 exec, s[12:13]
	s_cbranch_execz .LBB162_142
; %bb.141:                              ;   in Loop: Header=BB162_18 Depth=1
	v_mov_b32_e32 v20, v21
	ds_write_b64 v40, v[20:21]
.LBB162_142:                            ;   in Loop: Header=BB162_18 Depth=1
	s_or_b64 exec, exec, s[6:7]
	s_lshl_b64 s[6:7], 1, s90
	v_and_b32_e32 v3, s21, v13
	v_and_b32_e32 v4, s20, v12
	v_or_b32_e32 v13, s7, v3
	v_or_b32_e32 v12, s6, v4
	;; [unrolled: 1-line block ×4, first 2 shown]
	s_cmp_eq_u64 s[2:3], 0
	s_waitcnt lgkmcnt(0)
	s_barrier
	s_cbranch_scc1 .LBB162_156
; %bb.143:                              ;   in Loop: Header=BB162_18 Depth=1
	v_readlane_b32 s6, v55, 52
	s_add_u32 s36, s6, s2
	v_readlane_b32 s6, v55, 54
	s_addc_u32 s7, s6, s3
	s_mov_b32 s6, s91
	s_cmp_lg_u64 s[6:7], 0
	s_cbranch_scc0 .LBB162_200
; %bb.144:                              ;   in Loop: Header=BB162_18 Depth=1
	v_cvt_f32_u32_e32 v3, s89
	s_sub_u32 s6, 0, s89
	s_subb_u32 s12, 0, 0
	v_mac_f32_e32 v3, 0, v43
	v_rcp_f32_e32 v3, v3
	v_mul_f32_e32 v3, 0x5f7ffffc, v3
	v_mul_f32_e32 v4, 0x2f800000, v3
	v_trunc_f32_e32 v4, v4
	v_mac_f32_e32 v3, 0xcf800000, v4
	v_cvt_u32_f32_e32 v4, v4
	v_cvt_u32_f32_e32 v3, v3
	v_readfirstlane_b32 s13, v4
	v_readfirstlane_b32 s37, v3
	s_mul_i32 s46, s6, s13
	s_mul_hi_u32 s48, s6, s37
	s_mul_i32 s47, s12, s37
	s_add_i32 s46, s48, s46
	s_mul_i32 s49, s6, s37
	s_add_i32 s46, s46, s47
	s_mul_hi_u32 s48, s37, s49
	s_mul_hi_u32 s47, s37, s46
	s_mul_i32 s37, s37, s46
	s_add_u32 s37, s48, s37
	s_addc_u32 s47, 0, s47
	s_mul_hi_u32 s50, s13, s49
	s_mul_i32 s49, s13, s49
	s_add_u32 s37, s37, s49
	s_mul_hi_u32 s48, s13, s46
	s_addc_u32 s37, s47, s50
	s_addc_u32 s47, s48, 0
	s_mul_i32 s46, s13, s46
	s_add_u32 s37, s37, s46
	s_addc_u32 s46, 0, s47
	v_add_co_u32_e32 v3, vcc, s37, v3
	s_cmp_lg_u64 vcc, 0
	s_addc_u32 s13, s13, s46
	v_readfirstlane_b32 s46, v3
	s_mul_i32 s37, s6, s13
	s_mul_hi_u32 s47, s6, s46
	s_add_i32 s37, s47, s37
	s_mul_i32 s12, s12, s46
	s_add_i32 s37, s37, s12
	s_mul_i32 s6, s6, s46
	s_mul_hi_u32 s47, s13, s6
	s_mul_i32 s48, s13, s6
	s_mul_i32 s50, s46, s37
	s_mul_hi_u32 s6, s46, s6
	s_mul_hi_u32 s49, s46, s37
	s_add_u32 s6, s6, s50
	s_addc_u32 s46, 0, s49
	s_add_u32 s6, s6, s48
	s_mul_hi_u32 s12, s13, s37
	s_addc_u32 s6, s46, s47
	s_addc_u32 s12, s12, 0
	s_mul_i32 s37, s13, s37
	s_add_u32 s6, s6, s37
	s_addc_u32 s12, 0, s12
	v_add_co_u32_e32 v3, vcc, s6, v3
	s_cmp_lg_u64 vcc, 0
	s_addc_u32 s6, s13, s12
	v_readfirstlane_b32 s37, v3
	s_mul_i32 s13, s36, s6
	s_mul_hi_u32 s46, s36, s37
	s_mul_hi_u32 s12, s36, s6
	s_add_u32 s13, s46, s13
	s_addc_u32 s12, 0, s12
	s_mul_hi_u32 s47, s7, s37
	s_mul_i32 s37, s7, s37
	s_add_u32 s13, s13, s37
	s_mul_hi_u32 s46, s7, s6
	s_addc_u32 s12, s12, s47
	s_addc_u32 s13, s46, 0
	s_mul_i32 s6, s7, s6
	s_add_u32 s6, s12, s6
	s_addc_u32 s12, 0, s13
	s_mul_hi_u32 s13, s89, s6
	s_mul_i32 s6, s89, s6
	s_mul_i32 s12, s89, s12
	v_mov_b32_e32 v3, s6
	s_add_i32 s13, s13, s12
	v_sub_co_u32_e32 v3, vcc, s36, v3
	s_cmp_lg_u64 vcc, 0
	s_subb_u32 s6, s7, s13
	v_subrev_co_u32_e32 v4, vcc, s89, v3
	s_cmp_lg_u64 vcc, 0
	s_subb_u32 s12, s6, 0
	v_subrev_co_u32_e32 v5, vcc, s89, v4
	s_cmp_lg_u64 vcc, 0
	s_subb_u32 s13, s12, 0
	v_cmp_le_u32_e32 vcc, s89, v4
	s_cmp_eq_u32 s12, 0
	v_cndmask_b32_e64 v8, 0, -1, vcc
	s_cselect_b64 vcc, -1, 0
	v_cndmask_b32_e32 v8, -1, v8, vcc
	v_mov_b32_e32 v9, s12
	v_mov_b32_e32 v10, s13
	v_cmp_ne_u32_e32 vcc, 0, v8
	v_cndmask_b32_e32 v8, v9, v10, vcc
	v_cndmask_b32_e32 v4, v4, v5, vcc
	v_cmp_le_u32_e32 vcc, s89, v3
	s_cmp_eq_u32 s6, 0
	v_cndmask_b32_e64 v5, 0, -1, vcc
	s_cselect_b64 vcc, -1, 0
	v_cndmask_b32_e32 v5, -1, v5, vcc
	v_mov_b32_e32 v9, s6
	v_cmp_ne_u32_e32 vcc, 0, v5
	v_cndmask_b32_e32 v5, v9, v8, vcc
	v_cndmask_b32_e32 v4, v3, v4, vcc
	s_cbranch_execnz .LBB162_146
.LBB162_145:                            ;   in Loop: Header=BB162_18 Depth=1
	v_cvt_f32_u32_e32 v3, s89
	s_sub_i32 s6, 0, s89
	v_rcp_iflag_f32_e32 v3, v3
	v_mul_f32_e32 v3, 0x4f7ffffe, v3
	v_cvt_u32_f32_e32 v3, v3
	v_mul_lo_u32 v4, s6, v3
	v_mul_hi_u32 v4, v3, v4
	v_add_u32_e32 v3, v3, v4
	v_mul_hi_u32 v3, s36, v3
	v_mul_lo_u32 v3, v3, s89
	v_sub_u32_e32 v3, s36, v3
	v_subrev_u32_e32 v4, s89, v3
	v_cmp_le_u32_e32 vcc, s89, v3
	v_cndmask_b32_e32 v3, v3, v4, vcc
	v_subrev_u32_e32 v4, s89, v3
	v_cmp_le_u32_e32 vcc, s89, v3
	v_cndmask_b32_e32 v20, v3, v4, vcc
	v_pk_mov_b32 v[4:5], v[20:21], v[20:21] op_sel:[0,1]
.LBB162_146:                            ;   in Loop: Header=BB162_18 Depth=1
	v_mov_b32_e32 v3, s7
	v_sub_co_u32_e32 v32, vcc, s36, v4
	v_subb_co_u32_e32 v33, vcc, v3, v5, vcc
	v_cmp_gt_u64_e32 vcc, v[32:33], v[0:1]
	s_mov_b64 s[12:13], 0
                                        ; implicit-def: $vgpr10_vgpr11
	s_and_saveexec_b64 s[6:7], vcc
	s_cbranch_execz .LBB162_158
; %bb.147:                              ;   in Loop: Header=BB162_18 Depth=1
	s_mov_b64 s[36:37], 0
	v_mov_b32_e32 v20, v39
	v_pk_mov_b32 v[34:35], v[0:1], v[0:1] op_sel:[0,1]
                                        ; implicit-def: $sgpr12_sgpr13
	s_branch .LBB162_149
.LBB162_148:                            ;   in Loop: Header=BB162_149 Depth=2
	s_or_b64 exec, exec, s[46:47]
	s_waitcnt lgkmcnt(0)
	s_barrier
	ds_read_b128 v[8:11], v21 offset:3072
	v_mov_b32_e32 v3, s74
	v_add_co_u32_e32 v34, vcc, s89, v34
	v_addc_co_u32_e32 v35, vcc, v35, v3, vcc
	s_waitcnt lgkmcnt(0)
	v_readfirstlane_b32 s47, v9
	v_readfirstlane_b32 s46, v8
	s_cmp_lg_u64 s[46:47], 0
	s_cselect_b64 s[46:47], -1, 0
	v_cmp_ge_u64_e32 vcc, v[34:35], v[32:33]
	s_or_b64 s[48:49], vcc, s[46:47]
	s_and_b64 s[48:49], exec, s[48:49]
	s_or_b64 s[36:37], s[48:49], s[36:37]
	s_andn2_b64 s[12:13], s[12:13], exec
	s_and_b64 s[46:47], s[46:47], exec
	v_add_u32_e32 v20, s5, v20
	s_or_b64 s[12:13], s[12:13], s[46:47]
	s_barrier
	s_andn2_b64 exec, exec, s[36:37]
	s_cbranch_execz .LBB162_157
.LBB162_149:                            ;   Parent Loop BB162_18 Depth=1
                                        ; =>  This Inner Loop Header: Depth=2
	v_cmp_gt_u64_e32 vcc, s[2:3], v[34:35]
	v_pk_mov_b32 v[4:5], 0, 0
	s_and_saveexec_b64 s[46:47], vcc
	s_cbranch_execz .LBB162_151
; %bb.150:                              ;   in Loop: Header=BB162_149 Depth=2
	ds_read_b64 v[4:5], v20
.LBB162_151:                            ;   in Loop: Header=BB162_149 Depth=2
	s_or_b64 exec, exec, s[46:47]
	s_and_saveexec_b64 s[46:47], vcc
	s_cbranch_execz .LBB162_148
; %bb.152:                              ;   in Loop: Header=BB162_149 Depth=2
	s_waitcnt lgkmcnt(0)
	v_xor_b32_e32 v3, 0x80000000, v5
	v_and_b32_e32 v9, v3, v15
	v_and_b32_e32 v8, v4, v14
	v_cmp_eq_u64_e32 vcc, v[8:9], v[12:13]
	s_and_b64 exec, exec, vcc
	s_cbranch_execz .LBB162_148
; %bb.153:                              ;   in Loop: Header=BB162_149 Depth=2
	v_mov_b32_e32 v3, v21
	ds_write_b128 v21, v[2:5] offset:3072
	s_branch .LBB162_148
.LBB162_154:                            ;   in Loop: Header=BB162_18 Depth=1
                                        ; implicit-def: $vgpr4_vgpr5
	s_branch .LBB162_96
.LBB162_155:                            ;   in Loop: Header=BB162_18 Depth=1
                                        ; implicit-def: $vgpr4_vgpr5
	s_branch .LBB162_115
.LBB162_156:                            ;   in Loop: Header=BB162_18 Depth=1
	s_mov_b64 s[36:37], -1
	s_mov_b64 s[12:13], 0
                                        ; implicit-def: $sgpr46_sgpr47
                                        ; implicit-def: $vgpr10_vgpr11
	s_mov_b64 s[48:49], s[36:37]
	s_cbranch_execnz .LBB162_159
	s_branch .LBB162_172
.LBB162_157:                            ;   in Loop: Header=BB162_18 Depth=1
	s_or_b64 exec, exec, s[36:37]
	s_and_b64 s[12:13], s[12:13], exec
.LBB162_158:                            ;   in Loop: Header=BB162_18 Depth=1
	s_or_b64 exec, exec, s[6:7]
	s_mov_b64 s[46:47], -1
	s_mov_b64 s[36:37], 0
	s_mov_b64 s[48:49], s[36:37]
	s_branch .LBB162_172
.LBB162_159:                            ;   in Loop: Header=BB162_18 Depth=1
	s_mov_b32 s72, s91
	s_cmp_lg_u64 s[72:73], 0
	s_cbranch_scc0 .LBB162_201
; %bb.160:                              ;   in Loop: Header=BB162_18 Depth=1
	v_cvt_f32_u32_e32 v3, s89
	s_sub_u32 s2, 0, s89
	s_subb_u32 s3, 0, 0
	v_mac_f32_e32 v3, 0, v43
	v_rcp_f32_e32 v3, v3
	v_mul_f32_e32 v3, 0x5f7ffffc, v3
	v_mul_f32_e32 v4, 0x2f800000, v3
	v_trunc_f32_e32 v4, v4
	v_mac_f32_e32 v3, 0xcf800000, v4
	v_cvt_u32_f32_e32 v4, v4
	v_cvt_u32_f32_e32 v3, v3
	v_readfirstlane_b32 s6, v4
	v_readfirstlane_b32 s7, v3
	s_mul_i32 s12, s2, s6
	s_mul_hi_u32 s36, s2, s7
	s_mul_i32 s13, s3, s7
	s_add_i32 s12, s36, s12
	s_mul_i32 s37, s2, s7
	s_add_i32 s12, s12, s13
	s_mul_hi_u32 s36, s7, s37
	s_mul_hi_u32 s13, s7, s12
	s_mul_i32 s7, s7, s12
	s_add_u32 s7, s36, s7
	s_addc_u32 s13, 0, s13
	s_mul_hi_u32 s46, s6, s37
	s_mul_i32 s37, s6, s37
	s_add_u32 s7, s7, s37
	s_mul_hi_u32 s36, s6, s12
	s_addc_u32 s7, s13, s46
	s_addc_u32 s13, s36, 0
	s_mul_i32 s12, s6, s12
	s_add_u32 s7, s7, s12
	s_addc_u32 s12, 0, s13
	v_add_co_u32_e32 v3, vcc, s7, v3
	s_cmp_lg_u64 vcc, 0
	s_addc_u32 s6, s6, s12
	v_readfirstlane_b32 s12, v3
	s_mul_i32 s7, s2, s6
	s_mul_hi_u32 s13, s2, s12
	s_add_i32 s7, s13, s7
	s_mul_i32 s3, s3, s12
	s_add_i32 s7, s7, s3
	s_mul_i32 s2, s2, s12
	s_mul_hi_u32 s13, s6, s2
	s_mul_i32 s36, s6, s2
	s_mul_i32 s46, s12, s7
	s_mul_hi_u32 s2, s12, s2
	s_mul_hi_u32 s37, s12, s7
	s_add_u32 s2, s2, s46
	s_addc_u32 s12, 0, s37
	s_add_u32 s2, s2, s36
	s_mul_hi_u32 s3, s6, s7
	s_addc_u32 s2, s12, s13
	s_addc_u32 s3, s3, 0
	s_mul_i32 s7, s6, s7
	s_add_u32 s2, s2, s7
	s_addc_u32 s3, 0, s3
	v_add_co_u32_e32 v3, vcc, s2, v3
	s_cmp_lg_u64 vcc, 0
	s_addc_u32 s2, s6, s3
	v_readlane_b32 s36, v55, 53
	v_readfirstlane_b32 s7, v3
	s_mul_i32 s6, s36, s2
	s_mul_hi_u32 s12, s36, s7
	s_mul_hi_u32 s3, s36, s2
	s_add_u32 s6, s12, s6
	s_addc_u32 s3, 0, s3
	s_mul_hi_u32 s13, s73, s7
	s_mul_i32 s7, s73, s7
	s_add_u32 s6, s6, s7
	s_mul_hi_u32 s12, s73, s2
	s_addc_u32 s3, s3, s13
	s_addc_u32 s6, s12, 0
	s_mul_i32 s2, s73, s2
	s_add_u32 s2, s3, s2
	s_addc_u32 s3, 0, s6
	s_mul_hi_u32 s6, s89, s2
	s_mul_i32 s2, s89, s2
	s_mul_i32 s3, s89, s3
	v_mov_b32_e32 v3, s2
	s_add_i32 s6, s6, s3
	v_sub_co_u32_e32 v3, vcc, s36, v3
	s_cmp_lg_u64 vcc, 0
	s_subb_u32 s2, s73, s6
	v_subrev_co_u32_e32 v4, vcc, s89, v3
	s_cmp_lg_u64 vcc, 0
	s_subb_u32 s3, s2, 0
	v_subrev_co_u32_e32 v5, vcc, s89, v4
	s_cmp_lg_u64 vcc, 0
	s_subb_u32 s6, s3, 0
	v_cmp_le_u32_e32 vcc, s89, v4
	s_cmp_eq_u32 s3, 0
	v_cndmask_b32_e64 v8, 0, -1, vcc
	s_cselect_b64 vcc, -1, 0
	v_cndmask_b32_e32 v8, -1, v8, vcc
	v_mov_b32_e32 v9, s3
	v_mov_b32_e32 v10, s6
	v_cmp_ne_u32_e32 vcc, 0, v8
	v_cndmask_b32_e32 v8, v9, v10, vcc
	v_cndmask_b32_e32 v4, v4, v5, vcc
	v_cmp_le_u32_e32 vcc, s89, v3
	s_cmp_eq_u32 s2, 0
	v_cndmask_b32_e64 v5, 0, -1, vcc
	s_cselect_b64 vcc, -1, 0
	v_cndmask_b32_e32 v5, -1, v5, vcc
	v_mov_b32_e32 v9, s2
	v_cmp_ne_u32_e32 vcc, 0, v5
	v_cndmask_b32_e32 v5, v9, v8, vcc
	v_cndmask_b32_e32 v4, v3, v4, vcc
	s_cbranch_execnz .LBB162_162
.LBB162_161:                            ;   in Loop: Header=BB162_18 Depth=1
	v_cvt_f32_u32_e32 v3, s89
	s_sub_i32 s2, 0, s89
	v_rcp_iflag_f32_e32 v3, v3
	v_mul_f32_e32 v3, 0x4f7ffffe, v3
	v_cvt_u32_f32_e32 v3, v3
	v_mul_lo_u32 v4, s2, v3
	v_mul_hi_u32 v4, v3, v4
	v_add_u32_e32 v3, v3, v4
	v_readlane_b32 s2, v55, 53
	v_mul_hi_u32 v3, s2, v3
	v_mul_lo_u32 v3, v3, s89
	v_sub_u32_e32 v3, s2, v3
	v_subrev_u32_e32 v4, s89, v3
	v_cmp_le_u32_e32 vcc, s89, v3
	v_cndmask_b32_e32 v3, v3, v4, vcc
	v_subrev_u32_e32 v4, s89, v3
	v_cmp_le_u32_e32 vcc, s89, v3
	v_cndmask_b32_e32 v20, v3, v4, vcc
	v_pk_mov_b32 v[4:5], v[20:21], v[20:21] op_sel:[0,1]
.LBB162_162:                            ;   in Loop: Header=BB162_18 Depth=1
	v_readlane_b32 s2, v55, 53
	v_mov_b32_e32 v3, s73
	v_sub_co_u32_e32 v32, vcc, s2, v4
	v_subb_co_u32_e32 v33, vcc, v3, v5, vcc
	v_cmp_gt_u64_e32 vcc, v[32:33], v[0:1]
	s_mov_b64 s[12:13], 0
                                        ; implicit-def: $vgpr10_vgpr11
	s_and_saveexec_b64 s[2:3], vcc
	s_cbranch_execz .LBB162_171
; %bb.163:                              ;   in Loop: Header=BB162_18 Depth=1
	s_mov_b64 s[36:37], 0
	v_pk_mov_b32 v[34:35], v[0:1], v[0:1] op_sel:[0,1]
                                        ; implicit-def: $sgpr12_sgpr13
	s_branch .LBB162_165
.LBB162_164:                            ;   in Loop: Header=BB162_165 Depth=2
	s_or_b64 exec, exec, s[6:7]
	s_waitcnt lgkmcnt(0)
	s_barrier
	ds_read_b128 v[8:11], v21 offset:3072
	v_mov_b32_e32 v3, s74
	v_add_co_u32_e32 v34, vcc, s89, v34
	v_addc_co_u32_e32 v35, vcc, v35, v3, vcc
	s_waitcnt lgkmcnt(0)
	v_readfirstlane_b32 s7, v9
	v_readfirstlane_b32 s6, v8
	s_cmp_lg_u64 s[6:7], 0
	s_cselect_b64 s[6:7], -1, 0
	v_cmp_ge_u64_e32 vcc, v[34:35], v[32:33]
	s_or_b64 s[46:47], vcc, s[6:7]
	s_and_b64 s[46:47], exec, s[46:47]
	s_or_b64 s[36:37], s[46:47], s[36:37]
	s_andn2_b64 s[12:13], s[12:13], exec
	s_and_b64 s[6:7], s[6:7], exec
	s_or_b64 s[12:13], s[12:13], s[6:7]
	s_barrier
	s_andn2_b64 exec, exec, s[36:37]
	s_cbranch_execz .LBB162_170
.LBB162_165:                            ;   Parent Loop BB162_18 Depth=1
                                        ; =>  This Inner Loop Header: Depth=2
	v_cmp_gt_u64_e32 vcc, s[60:61], v[34:35]
	s_waitcnt vmcnt(0)
	v_pk_mov_b32 v[4:5], 0, 0
	s_and_saveexec_b64 s[46:47], vcc
	s_cbranch_execz .LBB162_167
; %bb.166:                              ;   in Loop: Header=BB162_165 Depth=2
	v_mul_lo_u32 v3, v35, s58
	v_mul_lo_u32 v8, v34, s59
	v_mad_u64_u32 v[4:5], s[6:7], v34, s58, 0
	v_add3_u32 v5, v5, v8, v3
	v_lshlrev_b64 v[4:5], 3, v[4:5]
	v_mov_b32_e32 v3, s88
	v_add_co_u32_e64 v4, s[6:7], s33, v4
	v_addc_co_u32_e64 v5, s[6:7], v3, v5, s[6:7]
	global_load_dwordx2 v[4:5], v[4:5], off
.LBB162_167:                            ;   in Loop: Header=BB162_165 Depth=2
	s_or_b64 exec, exec, s[46:47]
	s_and_saveexec_b64 s[6:7], vcc
	s_cbranch_execz .LBB162_164
; %bb.168:                              ;   in Loop: Header=BB162_165 Depth=2
	s_waitcnt vmcnt(0)
	v_xor_b32_e32 v3, 0x80000000, v5
	v_and_b32_e32 v9, v3, v15
	v_and_b32_e32 v8, v4, v14
	v_cmp_eq_u64_e32 vcc, v[8:9], v[12:13]
	s_and_b64 exec, exec, vcc
	s_cbranch_execz .LBB162_164
; %bb.169:                              ;   in Loop: Header=BB162_165 Depth=2
	v_mov_b32_e32 v3, v21
	ds_write_b128 v21, v[2:5] offset:3072
	s_branch .LBB162_164
.LBB162_170:                            ;   in Loop: Header=BB162_18 Depth=1
	s_or_b64 exec, exec, s[36:37]
	s_and_b64 s[12:13], s[12:13], exec
.LBB162_171:                            ;   in Loop: Header=BB162_18 Depth=1
	s_or_b64 exec, exec, s[2:3]
	s_mov_b64 s[48:49], -1
	s_mov_b64 s[36:37], 0
	s_mov_b64 s[46:47], 0
.LBB162_172:                            ;   in Loop: Header=BB162_18 Depth=1
	s_orn2_b64 s[2:3], s[12:13], exec
.LBB162_173:                            ;   in Loop: Header=BB162_18 Depth=1
	s_or_b64 exec, exec, s[10:11]
	s_mov_b64 s[6:7], 0
                                        ; implicit-def: $vgpr3
	s_and_saveexec_b64 s[50:51], s[2:3]
	s_cbranch_execz .LBB162_286
; %bb.174:                              ;   in Loop: Header=BB162_18 Depth=1
	v_mov_b32_e32 v32, 1
	s_xor_b64 s[6:7], s[8:9], -1
	s_mov_b64 s[10:11], 0
	v_mov_b32_e32 v33, 0
	v_mov_b32_e32 v3, 1
	s_and_saveexec_b64 s[2:3], s[6:7]
	s_cbranch_execz .LBB162_184
; %bb.175:                              ;   in Loop: Header=BB162_18 Depth=1
	v_cmp_ge_u64_e32 vcc, s[22:23], v[30:31]
                                        ; implicit-def: $sgpr10
                                        ; implicit-def: $sgpr6_sgpr7
	s_and_saveexec_b64 s[8:9], vcc
	s_xor_b64 s[8:9], exec, s[8:9]
	s_cbranch_execz .LBB162_181
; %bb.176:                              ;   in Loop: Header=BB162_18 Depth=1
	s_waitcnt vmcnt(0)
	ds_read_b64 v[4:5], v21 offset:5120
	s_waitcnt lgkmcnt(0)
	v_cmp_ne_u64_e32 vcc, 0, v[4:5]
	s_cbranch_vccnz .LBB162_180
; %bb.177:                              ;   in Loop: Header=BB162_18 Depth=1
	s_mov_b64 s[6:7], exec
	v_readlane_b32 s10, v55, 32
	v_readlane_b32 s11, v55, 33
	s_and_b64 s[10:11], s[6:7], s[10:11]
	s_mov_b64 exec, s[10:11]
	s_cbranch_execz .LBB162_179
; %bb.178:                              ;   in Loop: Header=BB162_18 Depth=1
	v_pk_mov_b32 v[4:5], s[22:23], s[22:23] op_sel:[0,1]
	ds_write_b64 v21, v[4:5] offset:5128
.LBB162_179:                            ;   in Loop: Header=BB162_18 Depth=1
	s_or_b64 exec, exec, s[6:7]
	s_waitcnt lgkmcnt(0)
	s_barrier
.LBB162_180:                            ;   in Loop: Header=BB162_18 Depth=1
	s_lshl_b64 s[6:7], 1, s90
	v_and_b32_e32 v3, s21, v13
	v_and_b32_e32 v4, s20, v12
	v_or_b32_e32 v13, s7, v3
	v_or_b32_e32 v12, s6, v4
	;; [unrolled: 1-line block ×4, first 2 shown]
	s_mov_b64 s[6:7], 0
	s_mov_b32 s10, 8
.LBB162_181:                            ;   in Loop: Header=BB162_18 Depth=1
	s_or_saveexec_b64 s[8:9], s[8:9]
	v_mov_b32_e32 v3, s10
	s_xor_b64 exec, exec, s[8:9]
; %bb.182:                              ;   in Loop: Header=BB162_18 Depth=1
	v_mov_b32_e32 v3, s23
	v_subrev_co_u32_e32 v30, vcc, s22, v30
	v_subb_co_u32_e32 v31, vcc, v31, v3, vcc
	v_mov_b32_e32 v3, 0
	s_or_b64 s[6:7], s[6:7], exec
; %bb.183:                              ;   in Loop: Header=BB162_18 Depth=1
	s_or_b64 exec, exec, s[8:9]
	s_and_b64 s[10:11], s[6:7], exec
	v_pk_mov_b32 v[32:33], v[30:31], v[30:31] op_sel:[0,1]
.LBB162_184:                            ;   in Loop: Header=BB162_18 Depth=1
	s_or_b64 exec, exec, s[2:3]
	s_mov_b64 s[2:3], -1
                                        ; implicit-def: $sgpr6_sgpr7
                                        ; implicit-def: $sgpr8_sgpr9
                                        ; implicit-def: $sgpr12_sgpr13
	s_and_saveexec_b64 s[52:53], s[10:11]
	s_cbranch_execz .LBB162_285
; %bb.185:                              ;   in Loop: Header=BB162_18 Depth=1
	s_cmp_eq_u64 s[26:27], 1
	s_cselect_b64 s[2:3], -1, 0
	v_cmp_eq_u64_e32 vcc, 1, v[32:33]
	s_and_b64 s[94:95], s[2:3], vcc
	s_mov_b64 s[6:7], -1
                                        ; implicit-def: $sgpr8_sgpr9
                                        ; implicit-def: $sgpr10_sgpr11
                                        ; implicit-def: $sgpr2_sgpr3
                                        ; kill: killed $sgpr2_sgpr3
	s_and_saveexec_b64 s[56:57], s[94:95]
	s_cbranch_execz .LBB162_219
; %bb.186:                              ;   in Loop: Header=BB162_18 Depth=1
	s_waitcnt vmcnt(0)
	ds_read_b64 v[4:5], v21 offset:5120
	s_waitcnt lgkmcnt(0)
	s_barrier
	v_readfirstlane_b32 s2, v4
	v_readfirstlane_b32 s3, v5
	s_mov_b64 s[6:7], exec
	v_readlane_b32 s8, v55, 48
	v_readlane_b32 s9, v55, 49
	s_and_b64 s[8:9], s[6:7], s[8:9]
	s_mov_b64 exec, s[8:9]
	s_cbranch_execz .LBB162_188
; %bb.187:                              ;   in Loop: Header=BB162_18 Depth=1
	v_mov_b32_e32 v20, v21
	ds_write_b64 v40, v[20:21]
.LBB162_188:                            ;   in Loop: Header=BB162_18 Depth=1
	s_or_b64 exec, exec, s[6:7]
	s_lshl_b64 s[6:7], 2, s90
	v_and_b32_e32 v3, s21, v13
	v_and_b32_e32 v4, s20, v12
	v_or_b32_e32 v13, s7, v3
	v_or_b32_e32 v12, s6, v4
	;; [unrolled: 1-line block ×4, first 2 shown]
	s_cmp_eq_u64 s[2:3], 0
	s_waitcnt lgkmcnt(0)
	s_barrier
	s_cbranch_scc1 .LBB162_202
; %bb.189:                              ;   in Loop: Header=BB162_18 Depth=1
	v_readlane_b32 s6, v55, 52
	s_add_u32 s10, s6, s2
	v_readlane_b32 s6, v55, 54
	s_addc_u32 s7, s6, s3
	s_mov_b32 s6, s91
	s_cmp_lg_u64 s[6:7], 0
	s_cbranch_scc0 .LBB162_237
; %bb.190:                              ;   in Loop: Header=BB162_18 Depth=1
	v_cvt_f32_u32_e32 v3, s89
	s_sub_u32 s6, 0, s89
	s_subb_u32 s8, 0, 0
	v_mac_f32_e32 v3, 0, v43
	v_rcp_f32_e32 v3, v3
	v_mul_f32_e32 v3, 0x5f7ffffc, v3
	v_mul_f32_e32 v4, 0x2f800000, v3
	v_trunc_f32_e32 v4, v4
	v_mac_f32_e32 v3, 0xcf800000, v4
	v_cvt_u32_f32_e32 v4, v4
	v_cvt_u32_f32_e32 v3, v3
	v_readfirstlane_b32 s9, v4
	v_readfirstlane_b32 s11, v3
	s_mul_i32 s12, s6, s9
	s_mul_hi_u32 s54, s6, s11
	s_mul_i32 s13, s8, s11
	s_add_i32 s12, s54, s12
	s_mul_i32 s55, s6, s11
	s_add_i32 s12, s12, s13
	s_mul_hi_u32 s54, s11, s55
	s_mul_hi_u32 s13, s11, s12
	s_mul_i32 s11, s11, s12
	s_add_u32 s11, s54, s11
	s_addc_u32 s13, 0, s13
	s_mul_hi_u32 s72, s9, s55
	s_mul_i32 s55, s9, s55
	s_add_u32 s11, s11, s55
	s_mul_hi_u32 s54, s9, s12
	s_addc_u32 s11, s13, s72
	s_addc_u32 s13, s54, 0
	s_mul_i32 s12, s9, s12
	s_add_u32 s11, s11, s12
	s_addc_u32 s12, 0, s13
	v_add_co_u32_e32 v3, vcc, s11, v3
	s_cmp_lg_u64 vcc, 0
	s_addc_u32 s9, s9, s12
	v_readfirstlane_b32 s12, v3
	s_mul_i32 s11, s6, s9
	s_mul_hi_u32 s13, s6, s12
	s_add_i32 s11, s13, s11
	s_mul_i32 s8, s8, s12
	s_add_i32 s11, s11, s8
	s_mul_i32 s6, s6, s12
	s_mul_hi_u32 s13, s9, s6
	s_mul_i32 s54, s9, s6
	s_mul_i32 s72, s12, s11
	s_mul_hi_u32 s6, s12, s6
	s_mul_hi_u32 s55, s12, s11
	s_add_u32 s6, s6, s72
	s_addc_u32 s12, 0, s55
	s_add_u32 s6, s6, s54
	s_mul_hi_u32 s8, s9, s11
	s_addc_u32 s6, s12, s13
	s_addc_u32 s8, s8, 0
	s_mul_i32 s11, s9, s11
	s_add_u32 s6, s6, s11
	s_addc_u32 s8, 0, s8
	v_add_co_u32_e32 v3, vcc, s6, v3
	s_cmp_lg_u64 vcc, 0
	s_addc_u32 s6, s9, s8
	v_readfirstlane_b32 s11, v3
	s_mul_i32 s9, s10, s6
	s_mul_hi_u32 s12, s10, s11
	s_mul_hi_u32 s8, s10, s6
	s_add_u32 s9, s12, s9
	s_addc_u32 s8, 0, s8
	s_mul_hi_u32 s13, s7, s11
	s_mul_i32 s11, s7, s11
	s_add_u32 s9, s9, s11
	s_mul_hi_u32 s12, s7, s6
	s_addc_u32 s8, s8, s13
	s_addc_u32 s9, s12, 0
	s_mul_i32 s6, s7, s6
	s_add_u32 s6, s8, s6
	s_addc_u32 s8, 0, s9
	s_mul_hi_u32 s9, s89, s6
	s_mul_i32 s6, s89, s6
	s_mul_i32 s8, s89, s8
	v_mov_b32_e32 v3, s6
	s_add_i32 s9, s9, s8
	v_sub_co_u32_e32 v3, vcc, s10, v3
	s_cmp_lg_u64 vcc, 0
	s_subb_u32 s6, s7, s9
	v_subrev_co_u32_e32 v4, vcc, s89, v3
	s_cmp_lg_u64 vcc, 0
	s_subb_u32 s8, s6, 0
	v_subrev_co_u32_e32 v5, vcc, s89, v4
	s_cmp_lg_u64 vcc, 0
	s_subb_u32 s9, s8, 0
	v_cmp_le_u32_e32 vcc, s89, v4
	s_cmp_eq_u32 s8, 0
	v_cndmask_b32_e64 v8, 0, -1, vcc
	s_cselect_b64 vcc, -1, 0
	v_cndmask_b32_e32 v8, -1, v8, vcc
	v_mov_b32_e32 v9, s8
	v_mov_b32_e32 v10, s9
	v_cmp_ne_u32_e32 vcc, 0, v8
	v_cndmask_b32_e32 v8, v9, v10, vcc
	v_cndmask_b32_e32 v4, v4, v5, vcc
	v_cmp_le_u32_e32 vcc, s89, v3
	s_cmp_eq_u32 s6, 0
	v_cndmask_b32_e64 v5, 0, -1, vcc
	s_cselect_b64 vcc, -1, 0
	v_cndmask_b32_e32 v5, -1, v5, vcc
	v_mov_b32_e32 v9, s6
	v_cmp_ne_u32_e32 vcc, 0, v5
	v_cndmask_b32_e32 v5, v9, v8, vcc
	v_cndmask_b32_e32 v4, v3, v4, vcc
	s_cbranch_execnz .LBB162_192
.LBB162_191:                            ;   in Loop: Header=BB162_18 Depth=1
	v_cvt_f32_u32_e32 v3, s89
	s_sub_i32 s6, 0, s89
	v_rcp_iflag_f32_e32 v3, v3
	v_mul_f32_e32 v3, 0x4f7ffffe, v3
	v_cvt_u32_f32_e32 v3, v3
	v_mul_lo_u32 v4, s6, v3
	v_mul_hi_u32 v4, v3, v4
	v_add_u32_e32 v3, v3, v4
	v_mul_hi_u32 v3, s10, v3
	v_mul_lo_u32 v3, v3, s89
	v_sub_u32_e32 v3, s10, v3
	v_subrev_u32_e32 v4, s89, v3
	v_cmp_le_u32_e32 vcc, s89, v3
	v_cndmask_b32_e32 v3, v3, v4, vcc
	v_subrev_u32_e32 v4, s89, v3
	v_cmp_le_u32_e32 vcc, s89, v3
	v_cndmask_b32_e32 v20, v3, v4, vcc
	v_pk_mov_b32 v[4:5], v[20:21], v[20:21] op_sel:[0,1]
.LBB162_192:                            ;   in Loop: Header=BB162_18 Depth=1
	v_mov_b32_e32 v3, s7
	v_sub_co_u32_e32 v30, vcc, s10, v4
	v_subb_co_u32_e32 v31, vcc, v3, v5, vcc
	v_cmp_gt_u64_e32 vcc, v[30:31], v[0:1]
	s_mov_b64 s[12:13], 0
                                        ; implicit-def: $vgpr10_vgpr11
	s_and_saveexec_b64 s[6:7], vcc
	s_cbranch_execz .LBB162_204
; %bb.193:                              ;   in Loop: Header=BB162_18 Depth=1
	s_mov_b64 s[10:11], 0
	v_mov_b32_e32 v20, v39
	v_pk_mov_b32 v[34:35], v[0:1], v[0:1] op_sel:[0,1]
                                        ; implicit-def: $sgpr8_sgpr9
	s_branch .LBB162_195
.LBB162_194:                            ;   in Loop: Header=BB162_195 Depth=2
	s_or_b64 exec, exec, s[12:13]
	s_waitcnt lgkmcnt(0)
	s_barrier
	ds_read_b128 v[8:11], v21 offset:3072
	v_mov_b32_e32 v3, s74
	v_add_co_u32_e32 v34, vcc, s89, v34
	v_addc_co_u32_e32 v35, vcc, v35, v3, vcc
	s_waitcnt lgkmcnt(0)
	v_readfirstlane_b32 s13, v9
	v_readfirstlane_b32 s12, v8
	s_cmp_lg_u64 s[12:13], 0
	s_cselect_b64 s[12:13], -1, 0
	v_cmp_ge_u64_e32 vcc, v[34:35], v[30:31]
	s_or_b64 s[54:55], vcc, s[12:13]
	s_and_b64 s[54:55], exec, s[54:55]
	s_or_b64 s[10:11], s[54:55], s[10:11]
	s_andn2_b64 s[8:9], s[8:9], exec
	s_and_b64 s[12:13], s[12:13], exec
	v_add_u32_e32 v20, s5, v20
	s_or_b64 s[8:9], s[8:9], s[12:13]
	s_barrier
	s_andn2_b64 exec, exec, s[10:11]
	s_cbranch_execz .LBB162_203
.LBB162_195:                            ;   Parent Loop BB162_18 Depth=1
                                        ; =>  This Inner Loop Header: Depth=2
	v_cmp_gt_u64_e32 vcc, s[2:3], v[34:35]
	v_pk_mov_b32 v[4:5], 0, 0
	s_and_saveexec_b64 s[12:13], vcc
	s_cbranch_execz .LBB162_197
; %bb.196:                              ;   in Loop: Header=BB162_195 Depth=2
	ds_read_b64 v[4:5], v20
.LBB162_197:                            ;   in Loop: Header=BB162_195 Depth=2
	s_or_b64 exec, exec, s[12:13]
	s_and_saveexec_b64 s[12:13], vcc
	s_cbranch_execz .LBB162_194
; %bb.198:                              ;   in Loop: Header=BB162_195 Depth=2
	s_waitcnt lgkmcnt(0)
	v_xor_b32_e32 v3, 0x80000000, v5
	v_and_b32_e32 v9, v3, v15
	v_and_b32_e32 v8, v4, v14
	v_cmp_eq_u64_e32 vcc, v[8:9], v[12:13]
	s_and_b64 exec, exec, vcc
	s_cbranch_execz .LBB162_194
; %bb.199:                              ;   in Loop: Header=BB162_195 Depth=2
	v_mov_b32_e32 v3, v21
	ds_write_b128 v21, v[2:5] offset:3072
	s_branch .LBB162_194
.LBB162_200:                            ;   in Loop: Header=BB162_18 Depth=1
                                        ; implicit-def: $vgpr4_vgpr5
	s_branch .LBB162_145
.LBB162_201:                            ;   in Loop: Header=BB162_18 Depth=1
                                        ; implicit-def: $vgpr4_vgpr5
	s_branch .LBB162_161
.LBB162_202:                            ;   in Loop: Header=BB162_18 Depth=1
	s_mov_b64 s[8:9], -1
	s_mov_b64 s[12:13], 0
                                        ; implicit-def: $sgpr2_sgpr3
                                        ; implicit-def: $vgpr10_vgpr11
	s_mov_b64 s[10:11], s[8:9]
	s_cbranch_execnz .LBB162_205
	s_branch .LBB162_218
.LBB162_203:                            ;   in Loop: Header=BB162_18 Depth=1
	s_or_b64 exec, exec, s[10:11]
	s_and_b64 s[12:13], s[8:9], exec
.LBB162_204:                            ;   in Loop: Header=BB162_18 Depth=1
	s_or_b64 exec, exec, s[6:7]
	s_mov_b64 s[2:3], -1
	s_mov_b64 s[8:9], 0
	s_mov_b64 s[10:11], s[8:9]
	s_branch .LBB162_218
.LBB162_205:                            ;   in Loop: Header=BB162_18 Depth=1
	s_mov_b32 s72, s91
	s_cmp_lg_u64 s[72:73], 0
	s_cbranch_scc0 .LBB162_238
; %bb.206:                              ;   in Loop: Header=BB162_18 Depth=1
	v_cvt_f32_u32_e32 v3, s89
	s_sub_u32 s2, 0, s89
	s_subb_u32 s3, 0, 0
	v_mac_f32_e32 v3, 0, v43
	v_rcp_f32_e32 v3, v3
	v_mul_f32_e32 v3, 0x5f7ffffc, v3
	v_mul_f32_e32 v4, 0x2f800000, v3
	v_trunc_f32_e32 v4, v4
	v_mac_f32_e32 v3, 0xcf800000, v4
	v_cvt_u32_f32_e32 v4, v4
	v_cvt_u32_f32_e32 v3, v3
	v_readfirstlane_b32 s6, v4
	v_readfirstlane_b32 s7, v3
	s_mul_i32 s8, s2, s6
	s_mul_hi_u32 s10, s2, s7
	s_mul_i32 s9, s3, s7
	s_add_i32 s8, s10, s8
	s_mul_i32 s11, s2, s7
	s_add_i32 s8, s8, s9
	s_mul_hi_u32 s10, s7, s11
	s_mul_hi_u32 s9, s7, s8
	s_mul_i32 s7, s7, s8
	s_add_u32 s7, s10, s7
	s_addc_u32 s9, 0, s9
	s_mul_hi_u32 s12, s6, s11
	s_mul_i32 s11, s6, s11
	s_add_u32 s7, s7, s11
	s_mul_hi_u32 s10, s6, s8
	s_addc_u32 s7, s9, s12
	s_addc_u32 s9, s10, 0
	s_mul_i32 s8, s6, s8
	s_add_u32 s7, s7, s8
	s_addc_u32 s8, 0, s9
	v_add_co_u32_e32 v3, vcc, s7, v3
	s_cmp_lg_u64 vcc, 0
	s_addc_u32 s6, s6, s8
	v_readfirstlane_b32 s8, v3
	s_mul_i32 s7, s2, s6
	s_mul_hi_u32 s9, s2, s8
	s_add_i32 s7, s9, s7
	s_mul_i32 s3, s3, s8
	s_add_i32 s7, s7, s3
	s_mul_i32 s2, s2, s8
	s_mul_hi_u32 s9, s6, s2
	s_mul_i32 s10, s6, s2
	s_mul_i32 s12, s8, s7
	s_mul_hi_u32 s2, s8, s2
	s_mul_hi_u32 s11, s8, s7
	s_add_u32 s2, s2, s12
	s_addc_u32 s8, 0, s11
	s_add_u32 s2, s2, s10
	s_mul_hi_u32 s3, s6, s7
	s_addc_u32 s2, s8, s9
	s_addc_u32 s3, s3, 0
	s_mul_i32 s7, s6, s7
	s_add_u32 s2, s2, s7
	s_addc_u32 s3, 0, s3
	v_add_co_u32_e32 v3, vcc, s2, v3
	s_cmp_lg_u64 vcc, 0
	s_addc_u32 s2, s6, s3
	v_readlane_b32 s10, v55, 53
	v_readfirstlane_b32 s7, v3
	s_mul_i32 s6, s10, s2
	s_mul_hi_u32 s8, s10, s7
	s_mul_hi_u32 s3, s10, s2
	s_add_u32 s6, s8, s6
	s_addc_u32 s3, 0, s3
	s_mul_hi_u32 s9, s73, s7
	s_mul_i32 s7, s73, s7
	s_add_u32 s6, s6, s7
	s_mul_hi_u32 s8, s73, s2
	s_addc_u32 s3, s3, s9
	s_addc_u32 s6, s8, 0
	s_mul_i32 s2, s73, s2
	s_add_u32 s2, s3, s2
	s_addc_u32 s3, 0, s6
	s_mul_hi_u32 s6, s89, s2
	s_mul_i32 s2, s89, s2
	s_mul_i32 s3, s89, s3
	v_mov_b32_e32 v3, s2
	s_add_i32 s6, s6, s3
	v_sub_co_u32_e32 v3, vcc, s10, v3
	s_cmp_lg_u64 vcc, 0
	s_subb_u32 s2, s73, s6
	v_subrev_co_u32_e32 v4, vcc, s89, v3
	s_cmp_lg_u64 vcc, 0
	s_subb_u32 s3, s2, 0
	v_subrev_co_u32_e32 v5, vcc, s89, v4
	s_cmp_lg_u64 vcc, 0
	s_subb_u32 s6, s3, 0
	v_cmp_le_u32_e32 vcc, s89, v4
	s_cmp_eq_u32 s3, 0
	v_cndmask_b32_e64 v8, 0, -1, vcc
	s_cselect_b64 vcc, -1, 0
	v_cndmask_b32_e32 v8, -1, v8, vcc
	v_mov_b32_e32 v9, s3
	v_mov_b32_e32 v10, s6
	v_cmp_ne_u32_e32 vcc, 0, v8
	v_cndmask_b32_e32 v8, v9, v10, vcc
	v_cndmask_b32_e32 v4, v4, v5, vcc
	v_cmp_le_u32_e32 vcc, s89, v3
	s_cmp_eq_u32 s2, 0
	v_cndmask_b32_e64 v5, 0, -1, vcc
	s_cselect_b64 vcc, -1, 0
	v_cndmask_b32_e32 v5, -1, v5, vcc
	v_mov_b32_e32 v9, s2
	v_cmp_ne_u32_e32 vcc, 0, v5
	v_cndmask_b32_e32 v5, v9, v8, vcc
	v_cndmask_b32_e32 v4, v3, v4, vcc
	s_cbranch_execnz .LBB162_208
.LBB162_207:                            ;   in Loop: Header=BB162_18 Depth=1
	v_cvt_f32_u32_e32 v3, s89
	s_sub_i32 s2, 0, s89
	v_rcp_iflag_f32_e32 v3, v3
	v_mul_f32_e32 v3, 0x4f7ffffe, v3
	v_cvt_u32_f32_e32 v3, v3
	v_mul_lo_u32 v4, s2, v3
	v_mul_hi_u32 v4, v3, v4
	v_add_u32_e32 v3, v3, v4
	v_readlane_b32 s2, v55, 53
	v_mul_hi_u32 v3, s2, v3
	v_mul_lo_u32 v3, v3, s89
	v_sub_u32_e32 v3, s2, v3
	v_subrev_u32_e32 v4, s89, v3
	v_cmp_le_u32_e32 vcc, s89, v3
	v_cndmask_b32_e32 v3, v3, v4, vcc
	v_subrev_u32_e32 v4, s89, v3
	v_cmp_le_u32_e32 vcc, s89, v3
	v_cndmask_b32_e32 v20, v3, v4, vcc
	v_pk_mov_b32 v[4:5], v[20:21], v[20:21] op_sel:[0,1]
.LBB162_208:                            ;   in Loop: Header=BB162_18 Depth=1
	v_readlane_b32 s2, v55, 53
	v_mov_b32_e32 v3, s73
	v_sub_co_u32_e32 v30, vcc, s2, v4
	v_subb_co_u32_e32 v31, vcc, v3, v5, vcc
	v_cmp_gt_u64_e32 vcc, v[30:31], v[0:1]
	s_mov_b64 s[12:13], 0
                                        ; implicit-def: $vgpr10_vgpr11
	s_and_saveexec_b64 s[2:3], vcc
	s_cbranch_execz .LBB162_217
; %bb.209:                              ;   in Loop: Header=BB162_18 Depth=1
	s_mov_b64 s[10:11], 0
	v_pk_mov_b32 v[34:35], v[0:1], v[0:1] op_sel:[0,1]
                                        ; implicit-def: $sgpr8_sgpr9
	s_branch .LBB162_211
.LBB162_210:                            ;   in Loop: Header=BB162_211 Depth=2
	s_or_b64 exec, exec, s[6:7]
	s_waitcnt lgkmcnt(0)
	s_barrier
	ds_read_b128 v[8:11], v21 offset:3072
	v_mov_b32_e32 v3, s74
	v_add_co_u32_e32 v34, vcc, s89, v34
	v_addc_co_u32_e32 v35, vcc, v35, v3, vcc
	s_waitcnt lgkmcnt(0)
	v_readfirstlane_b32 s7, v9
	v_readfirstlane_b32 s6, v8
	s_cmp_lg_u64 s[6:7], 0
	s_cselect_b64 s[6:7], -1, 0
	v_cmp_ge_u64_e32 vcc, v[34:35], v[30:31]
	s_or_b64 s[12:13], vcc, s[6:7]
	s_and_b64 s[12:13], exec, s[12:13]
	s_or_b64 s[10:11], s[12:13], s[10:11]
	s_andn2_b64 s[8:9], s[8:9], exec
	s_and_b64 s[6:7], s[6:7], exec
	s_or_b64 s[8:9], s[8:9], s[6:7]
	s_barrier
	s_andn2_b64 exec, exec, s[10:11]
	s_cbranch_execz .LBB162_216
.LBB162_211:                            ;   Parent Loop BB162_18 Depth=1
                                        ; =>  This Inner Loop Header: Depth=2
	v_cmp_gt_u64_e32 vcc, s[60:61], v[34:35]
	s_waitcnt vmcnt(0)
	v_pk_mov_b32 v[4:5], 0, 0
	s_and_saveexec_b64 s[12:13], vcc
	s_cbranch_execz .LBB162_213
; %bb.212:                              ;   in Loop: Header=BB162_211 Depth=2
	v_mul_lo_u32 v3, v35, s58
	v_mul_lo_u32 v8, v34, s59
	v_mad_u64_u32 v[4:5], s[6:7], v34, s58, 0
	v_add3_u32 v5, v5, v8, v3
	v_lshlrev_b64 v[4:5], 3, v[4:5]
	v_mov_b32_e32 v3, s88
	v_add_co_u32_e64 v4, s[6:7], s33, v4
	v_addc_co_u32_e64 v5, s[6:7], v3, v5, s[6:7]
	global_load_dwordx2 v[4:5], v[4:5], off
.LBB162_213:                            ;   in Loop: Header=BB162_211 Depth=2
	s_or_b64 exec, exec, s[12:13]
	s_and_saveexec_b64 s[6:7], vcc
	s_cbranch_execz .LBB162_210
; %bb.214:                              ;   in Loop: Header=BB162_211 Depth=2
	s_waitcnt vmcnt(0)
	v_xor_b32_e32 v3, 0x80000000, v5
	v_and_b32_e32 v9, v3, v15
	v_and_b32_e32 v8, v4, v14
	v_cmp_eq_u64_e32 vcc, v[8:9], v[12:13]
	s_and_b64 exec, exec, vcc
	s_cbranch_execz .LBB162_210
; %bb.215:                              ;   in Loop: Header=BB162_211 Depth=2
	v_mov_b32_e32 v3, v21
	ds_write_b128 v21, v[2:5] offset:3072
	s_branch .LBB162_210
.LBB162_216:                            ;   in Loop: Header=BB162_18 Depth=1
	s_or_b64 exec, exec, s[10:11]
	s_and_b64 s[12:13], s[8:9], exec
.LBB162_217:                            ;   in Loop: Header=BB162_18 Depth=1
	s_or_b64 exec, exec, s[2:3]
	s_mov_b64 s[10:11], -1
	s_mov_b64 s[8:9], 0
	s_mov_b64 s[2:3], 0
.LBB162_218:                            ;   in Loop: Header=BB162_18 Depth=1
	v_writelane_b32 v54, s2, 1
	s_orn2_b64 s[6:7], s[12:13], exec
	v_writelane_b32 v54, s3, 2
.LBB162_219:                            ;   in Loop: Header=BB162_18 Depth=1
	s_or_b64 exec, exec, s[56:57]
	s_mov_b64 s[2:3], 0
                                        ; implicit-def: $vgpr3
	s_and_saveexec_b64 s[56:57], s[6:7]
	s_cbranch_execz .LBB162_284
; %bb.220:                              ;   in Loop: Header=BB162_18 Depth=1
	v_mov_b32_e32 v30, 1
	s_xor_b64 s[6:7], s[94:95], -1
	s_mov_b64 s[94:95], 0
	v_mov_b32_e32 v31, 0
	v_mov_b32_e32 v3, 1
	s_and_saveexec_b64 s[2:3], s[6:7]
	s_cbranch_execz .LBB162_230
; %bb.221:                              ;   in Loop: Header=BB162_18 Depth=1
	v_cmp_ge_u64_e32 vcc, s[26:27], v[32:33]
                                        ; implicit-def: $sgpr54
                                        ; implicit-def: $sgpr6_sgpr7
	s_and_saveexec_b64 s[12:13], vcc
	s_xor_b64 s[12:13], exec, s[12:13]
	s_cbranch_execz .LBB162_227
; %bb.222:                              ;   in Loop: Header=BB162_18 Depth=1
	s_waitcnt vmcnt(0)
	ds_read_b64 v[4:5], v21 offset:5120
	s_waitcnt lgkmcnt(0)
	v_cmp_ne_u64_e32 vcc, 0, v[4:5]
	s_cbranch_vccnz .LBB162_226
; %bb.223:                              ;   in Loop: Header=BB162_18 Depth=1
	s_mov_b64 s[6:7], exec
	v_readlane_b32 s54, v55, 32
	v_readlane_b32 s55, v55, 33
	s_and_b64 s[54:55], s[6:7], s[54:55]
	s_mov_b64 exec, s[54:55]
	s_cbranch_execz .LBB162_225
; %bb.224:                              ;   in Loop: Header=BB162_18 Depth=1
	v_pk_mov_b32 v[4:5], s[26:27], s[26:27] op_sel:[0,1]
	ds_write_b64 v21, v[4:5] offset:5128
.LBB162_225:                            ;   in Loop: Header=BB162_18 Depth=1
	s_or_b64 exec, exec, s[6:7]
	s_waitcnt lgkmcnt(0)
	s_barrier
.LBB162_226:                            ;   in Loop: Header=BB162_18 Depth=1
	s_lshl_b64 s[6:7], 2, s90
	v_and_b32_e32 v3, s21, v13
	v_and_b32_e32 v4, s20, v12
	v_or_b32_e32 v13, s7, v3
	v_or_b32_e32 v12, s6, v4
	;; [unrolled: 1-line block ×4, first 2 shown]
	s_mov_b64 s[6:7], 0
	s_mov_b32 s54, 8
.LBB162_227:                            ;   in Loop: Header=BB162_18 Depth=1
	s_or_saveexec_b64 s[12:13], s[12:13]
	v_mov_b32_e32 v3, s54
	s_xor_b64 exec, exec, s[12:13]
; %bb.228:                              ;   in Loop: Header=BB162_18 Depth=1
	v_mov_b32_e32 v3, s27
	v_subrev_co_u32_e32 v32, vcc, s26, v32
	v_subb_co_u32_e32 v33, vcc, v33, v3, vcc
	v_mov_b32_e32 v3, 0
	s_or_b64 s[6:7], s[6:7], exec
; %bb.229:                              ;   in Loop: Header=BB162_18 Depth=1
	s_or_b64 exec, exec, s[12:13]
	s_and_b64 s[94:95], s[6:7], exec
	v_pk_mov_b32 v[30:31], v[32:33], v[32:33] op_sel:[0,1]
.LBB162_230:                            ;   in Loop: Header=BB162_18 Depth=1
	s_or_b64 exec, exec, s[2:3]
	s_mov_b64 s[92:93], -1
                                        ; implicit-def: $sgpr2_sgpr3
                                        ; implicit-def: $sgpr12_sgpr13
                                        ; implicit-def: $sgpr6_sgpr7
	s_mov_b64 s[54:55], exec
	v_writelane_b32 v54, s54, 3
	v_writelane_b32 v54, s55, 4
	s_and_b64 s[54:55], s[54:55], s[94:95]
	s_mov_b64 exec, s[54:55]
	s_cbranch_execz .LBB162_283
; %bb.231:                              ;   in Loop: Header=BB162_18 Depth=1
	s_cmp_eq_u64 s[28:29], 1
	s_cselect_b64 s[2:3], -1, 0
	v_cmp_eq_u64_e32 vcc, 1, v[30:31]
	s_and_b64 s[54:55], s[2:3], vcc
	s_mov_b64 vcc, -1
                                        ; implicit-def: $sgpr2_sgpr3
                                        ; implicit-def: $sgpr12_sgpr13
                                        ; implicit-def: $sgpr6_sgpr7
	s_mov_b64 s[92:93], exec
	v_writelane_b32 v54, s54, 5
	v_writelane_b32 v54, s55, 6
	s_and_b64 s[54:55], s[92:93], s[54:55]
	s_mov_b64 exec, s[54:55]
	s_cbranch_execz .LBB162_270
; %bb.232:                              ;   in Loop: Header=BB162_18 Depth=1
	s_waitcnt vmcnt(0)
	ds_read_b64 v[4:5], v21 offset:5120
	s_waitcnt lgkmcnt(0)
	s_barrier
	v_readfirstlane_b32 s2, v4
	v_readfirstlane_b32 s3, v5
	s_mov_b64 s[6:7], exec
	v_readlane_b32 s12, v55, 48
	v_readlane_b32 s13, v55, 49
	s_and_b64 s[12:13], s[6:7], s[12:13]
	s_mov_b64 exec, s[12:13]
	s_cbranch_execz .LBB162_234
; %bb.233:                              ;   in Loop: Header=BB162_18 Depth=1
	v_mov_b32_e32 v20, v21
	ds_write_b64 v40, v[20:21]
.LBB162_234:                            ;   in Loop: Header=BB162_18 Depth=1
	s_or_b64 exec, exec, s[6:7]
	v_or_b32_e32 v13, s19, v13
	v_or_b32_e32 v12, s18, v12
	;; [unrolled: 1-line block ×4, first 2 shown]
	s_cmp_eq_u64 s[2:3], 0
	v_writelane_b32 v54, s92, 7
	s_waitcnt lgkmcnt(0)
	s_barrier
	v_writelane_b32 v54, s93, 8
	s_cbranch_scc1 .LBB162_239
; %bb.235:                              ;   in Loop: Header=BB162_18 Depth=1
	v_readlane_b32 s6, v55, 52
	s_add_u32 s54, s6, s2
	v_readlane_b32 s6, v55, 54
	s_addc_u32 s7, s6, s3
	s_mov_b32 s6, s91
	s_cmp_lg_u64 s[6:7], 0
	s_cbranch_scc0 .LBB162_240
; %bb.236:                              ;   in Loop: Header=BB162_18 Depth=1
	v_cvt_f32_u32_e32 v3, s89
	s_sub_u32 s6, 0, s89
	s_subb_u32 s12, 0, 0
	v_mac_f32_e32 v3, 0, v43
	v_rcp_f32_e32 v3, v3
	v_mul_f32_e32 v3, 0x5f7ffffc, v3
	v_mul_f32_e32 v4, 0x2f800000, v3
	v_trunc_f32_e32 v4, v4
	v_mac_f32_e32 v3, 0xcf800000, v4
	v_cvt_u32_f32_e32 v4, v4
	v_cvt_u32_f32_e32 v3, v3
	v_readfirstlane_b32 s13, v4
	v_readfirstlane_b32 s55, v3
	s_mul_i32 s72, s6, s13
	s_mul_hi_u32 s93, s6, s55
	s_mul_i32 s92, s12, s55
	s_add_i32 s72, s93, s72
	s_mul_i32 s94, s6, s55
	s_add_i32 s72, s72, s92
	s_mul_hi_u32 s93, s55, s94
	s_mul_hi_u32 s92, s55, s72
	s_mul_i32 s55, s55, s72
	s_add_u32 s55, s93, s55
	s_addc_u32 s92, 0, s92
	s_mul_hi_u32 s95, s13, s94
	s_mul_i32 s94, s13, s94
	s_add_u32 s55, s55, s94
	s_mul_hi_u32 s93, s13, s72
	s_addc_u32 s55, s92, s95
	s_addc_u32 s92, s93, 0
	s_mul_i32 s72, s13, s72
	s_add_u32 s55, s55, s72
	s_addc_u32 s72, 0, s92
	v_add_co_u32_e32 v3, vcc, s55, v3
	s_cmp_lg_u64 vcc, 0
	s_addc_u32 s13, s13, s72
	v_readfirstlane_b32 s72, v3
	s_mul_i32 s55, s6, s13
	s_mul_hi_u32 s92, s6, s72
	s_add_i32 s55, s92, s55
	s_mul_i32 s12, s12, s72
	s_add_i32 s55, s55, s12
	s_mul_i32 s6, s6, s72
	s_mul_hi_u32 s92, s13, s6
	s_mul_i32 s93, s13, s6
	s_mul_i32 s95, s72, s55
	s_mul_hi_u32 s6, s72, s6
	s_mul_hi_u32 s94, s72, s55
	s_add_u32 s6, s6, s95
	s_addc_u32 s72, 0, s94
	s_add_u32 s6, s6, s93
	s_mul_hi_u32 s12, s13, s55
	s_addc_u32 s6, s72, s92
	s_addc_u32 s12, s12, 0
	s_mul_i32 s55, s13, s55
	s_add_u32 s6, s6, s55
	s_addc_u32 s12, 0, s12
	v_add_co_u32_e32 v3, vcc, s6, v3
	s_cmp_lg_u64 vcc, 0
	s_addc_u32 s6, s13, s12
	v_readfirstlane_b32 s55, v3
	s_mul_i32 s13, s54, s6
	s_mul_hi_u32 s72, s54, s55
	s_mul_hi_u32 s12, s54, s6
	s_add_u32 s13, s72, s13
	s_addc_u32 s12, 0, s12
	s_mul_hi_u32 s92, s7, s55
	s_mul_i32 s55, s7, s55
	s_add_u32 s13, s13, s55
	s_mul_hi_u32 s72, s7, s6
	s_addc_u32 s12, s12, s92
	s_addc_u32 s13, s72, 0
	s_mul_i32 s6, s7, s6
	s_add_u32 s6, s12, s6
	s_addc_u32 s12, 0, s13
	s_mul_hi_u32 s13, s89, s6
	s_mul_i32 s6, s89, s6
	s_mul_i32 s12, s89, s12
	v_mov_b32_e32 v3, s6
	s_add_i32 s13, s13, s12
	v_sub_co_u32_e32 v3, vcc, s54, v3
	s_cmp_lg_u64 vcc, 0
	s_subb_u32 s6, s7, s13
	v_subrev_co_u32_e32 v4, vcc, s89, v3
	s_cmp_lg_u64 vcc, 0
	s_subb_u32 s12, s6, 0
	v_subrev_co_u32_e32 v5, vcc, s89, v4
	s_cmp_lg_u64 vcc, 0
	s_subb_u32 s13, s12, 0
	v_cmp_le_u32_e32 vcc, s89, v4
	s_cmp_eq_u32 s12, 0
	v_cndmask_b32_e64 v8, 0, -1, vcc
	s_cselect_b64 vcc, -1, 0
	v_cndmask_b32_e32 v8, -1, v8, vcc
	v_mov_b32_e32 v9, s12
	v_mov_b32_e32 v10, s13
	v_cmp_ne_u32_e32 vcc, 0, v8
	v_cndmask_b32_e32 v8, v9, v10, vcc
	v_cndmask_b32_e32 v4, v4, v5, vcc
	v_cmp_le_u32_e32 vcc, s89, v3
	s_cmp_eq_u32 s6, 0
	v_cndmask_b32_e64 v5, 0, -1, vcc
	s_cselect_b64 vcc, -1, 0
	v_cndmask_b32_e32 v5, -1, v5, vcc
	v_mov_b32_e32 v9, s6
	v_cmp_ne_u32_e32 vcc, 0, v5
	v_cndmask_b32_e32 v5, v9, v8, vcc
	v_cndmask_b32_e32 v4, v3, v4, vcc
	s_mov_b64 s[12:13], 0
	s_branch .LBB162_241
.LBB162_237:                            ;   in Loop: Header=BB162_18 Depth=1
                                        ; implicit-def: $vgpr4_vgpr5
	s_branch .LBB162_191
.LBB162_238:                            ;   in Loop: Header=BB162_18 Depth=1
                                        ; implicit-def: $vgpr4_vgpr5
	s_branch .LBB162_207
.LBB162_239:                            ;   in Loop: Header=BB162_18 Depth=1
	s_mov_b64 s[2:3], -1
	s_mov_b64 s[92:93], 0
                                        ; implicit-def: $sgpr6_sgpr7
                                        ; implicit-def: $vgpr10_vgpr11
	s_branch .LBB162_253
.LBB162_240:                            ;   in Loop: Header=BB162_18 Depth=1
	s_mov_b64 s[12:13], -1
                                        ; implicit-def: $vgpr4_vgpr5
.LBB162_241:                            ;   in Loop: Header=BB162_18 Depth=1
	s_andn2_b64 vcc, exec, s[12:13]
	s_cbranch_vccnz .LBB162_243
; %bb.242:                              ;   in Loop: Header=BB162_18 Depth=1
	v_cvt_f32_u32_e32 v3, s89
	s_sub_i32 s6, 0, s89
	v_rcp_iflag_f32_e32 v3, v3
	v_mul_f32_e32 v3, 0x4f7ffffe, v3
	v_cvt_u32_f32_e32 v3, v3
	v_mul_lo_u32 v4, s6, v3
	v_mul_hi_u32 v4, v3, v4
	v_add_u32_e32 v3, v3, v4
	v_mul_hi_u32 v3, s54, v3
	v_mul_lo_u32 v3, v3, s89
	v_sub_u32_e32 v3, s54, v3
	v_subrev_u32_e32 v4, s89, v3
	v_cmp_le_u32_e32 vcc, s89, v3
	v_cndmask_b32_e32 v3, v3, v4, vcc
	v_subrev_u32_e32 v4, s89, v3
	v_cmp_le_u32_e32 vcc, s89, v3
	v_cndmask_b32_e32 v20, v3, v4, vcc
	v_pk_mov_b32 v[4:5], v[20:21], v[20:21] op_sel:[0,1]
.LBB162_243:                            ;   in Loop: Header=BB162_18 Depth=1
	v_mov_b32_e32 v3, s7
	v_sub_co_u32_e32 v32, vcc, s54, v4
	v_subb_co_u32_e32 v33, vcc, v3, v5, vcc
	v_cmp_gt_u64_e32 vcc, v[32:33], v[0:1]
	s_mov_b64 s[92:93], 0
                                        ; implicit-def: $vgpr10_vgpr11
	s_and_saveexec_b64 s[6:7], vcc
	s_cbranch_execz .LBB162_252
; %bb.244:                              ;   in Loop: Header=BB162_18 Depth=1
	v_mov_b32_e32 v20, v39
	v_pk_mov_b32 v[34:35], v[0:1], v[0:1] op_sel:[0,1]
                                        ; implicit-def: $sgpr12_sgpr13
	s_branch .LBB162_246
.LBB162_245:                            ;   in Loop: Header=BB162_246 Depth=2
	s_or_b64 exec, exec, s[54:55]
	s_waitcnt lgkmcnt(0)
	s_barrier
	ds_read_b128 v[8:11], v21 offset:3072
	v_mov_b32_e32 v3, s74
	v_add_co_u32_e32 v34, vcc, s89, v34
	v_addc_co_u32_e32 v35, vcc, v35, v3, vcc
	s_waitcnt lgkmcnt(0)
	v_readfirstlane_b32 s55, v9
	v_readfirstlane_b32 s54, v8
	s_cmp_lg_u64 s[54:55], 0
	s_cselect_b64 s[54:55], -1, 0
	v_cmp_ge_u64_e32 vcc, v[34:35], v[32:33]
	s_or_b64 s[94:95], vcc, s[54:55]
	s_and_b64 s[94:95], exec, s[94:95]
	s_or_b64 s[92:93], s[94:95], s[92:93]
	s_andn2_b64 s[12:13], s[12:13], exec
	s_and_b64 s[54:55], s[54:55], exec
	v_add_u32_e32 v20, s5, v20
	s_or_b64 s[12:13], s[12:13], s[54:55]
	s_barrier
	s_andn2_b64 exec, exec, s[92:93]
	s_cbranch_execz .LBB162_251
.LBB162_246:                            ;   Parent Loop BB162_18 Depth=1
                                        ; =>  This Inner Loop Header: Depth=2
	v_cmp_gt_u64_e32 vcc, s[2:3], v[34:35]
	v_pk_mov_b32 v[4:5], 0, 0
	s_and_saveexec_b64 s[54:55], vcc
	s_cbranch_execz .LBB162_248
; %bb.247:                              ;   in Loop: Header=BB162_246 Depth=2
	ds_read_b64 v[4:5], v20
.LBB162_248:                            ;   in Loop: Header=BB162_246 Depth=2
	s_or_b64 exec, exec, s[54:55]
	s_and_saveexec_b64 s[54:55], vcc
	s_cbranch_execz .LBB162_245
; %bb.249:                              ;   in Loop: Header=BB162_246 Depth=2
	s_waitcnt lgkmcnt(0)
	v_xor_b32_e32 v3, 0x80000000, v5
	v_and_b32_e32 v9, v3, v15
	v_and_b32_e32 v8, v4, v14
	v_cmp_eq_u64_e32 vcc, v[8:9], v[12:13]
	s_and_b64 exec, exec, vcc
	s_cbranch_execz .LBB162_245
; %bb.250:                              ;   in Loop: Header=BB162_246 Depth=2
	v_mov_b32_e32 v3, v21
	ds_write_b128 v21, v[2:5] offset:3072
	s_branch .LBB162_245
.LBB162_251:                            ;   in Loop: Header=BB162_18 Depth=1
	s_or_b64 exec, exec, s[92:93]
	s_and_b64 s[92:93], s[12:13], exec
.LBB162_252:                            ;   in Loop: Header=BB162_18 Depth=1
	s_or_b64 exec, exec, s[6:7]
	s_mov_b64 s[6:7], -1
	s_mov_b64 s[2:3], 0
.LBB162_253:                            ;   in Loop: Header=BB162_18 Depth=1
	s_and_b64 vcc, exec, s[2:3]
	s_mov_b64 s[12:13], s[2:3]
	s_cbranch_vccz .LBB162_269
; %bb.254:                              ;   in Loop: Header=BB162_18 Depth=1
	s_mov_b32 s72, s91
	s_cmp_lg_u64 s[72:73], 0
	s_cbranch_scc0 .LBB162_256
; %bb.255:                              ;   in Loop: Header=BB162_18 Depth=1
	v_cvt_f32_u32_e32 v3, s89
	s_sub_u32 s2, 0, s89
	s_subb_u32 s3, 0, 0
	v_mac_f32_e32 v3, 0, v43
	v_rcp_f32_e32 v3, v3
	v_mul_f32_e32 v3, 0x5f7ffffc, v3
	v_mul_f32_e32 v4, 0x2f800000, v3
	v_trunc_f32_e32 v4, v4
	v_mac_f32_e32 v3, 0xcf800000, v4
	v_cvt_u32_f32_e32 v4, v4
	v_cvt_u32_f32_e32 v3, v3
	v_readfirstlane_b32 s6, v4
	v_readfirstlane_b32 s7, v3
	s_mul_i32 s12, s2, s6
	s_mul_hi_u32 s54, s2, s7
	s_mul_i32 s13, s3, s7
	s_add_i32 s12, s54, s12
	s_mul_i32 s55, s2, s7
	s_add_i32 s12, s12, s13
	s_mul_hi_u32 s54, s7, s55
	s_mul_hi_u32 s13, s7, s12
	s_mul_i32 s7, s7, s12
	s_add_u32 s7, s54, s7
	s_addc_u32 s13, 0, s13
	s_mul_hi_u32 s72, s6, s55
	s_mul_i32 s55, s6, s55
	s_add_u32 s7, s7, s55
	s_mul_hi_u32 s54, s6, s12
	s_addc_u32 s7, s13, s72
	s_addc_u32 s13, s54, 0
	s_mul_i32 s12, s6, s12
	s_add_u32 s7, s7, s12
	s_addc_u32 s12, 0, s13
	v_add_co_u32_e32 v3, vcc, s7, v3
	s_cmp_lg_u64 vcc, 0
	s_addc_u32 s6, s6, s12
	v_readfirstlane_b32 s12, v3
	s_mul_i32 s7, s2, s6
	s_mul_hi_u32 s13, s2, s12
	s_add_i32 s7, s13, s7
	s_mul_i32 s3, s3, s12
	s_add_i32 s7, s7, s3
	s_mul_i32 s2, s2, s12
	s_mul_hi_u32 s13, s6, s2
	s_mul_i32 s54, s6, s2
	s_mul_i32 s72, s12, s7
	s_mul_hi_u32 s2, s12, s2
	s_mul_hi_u32 s55, s12, s7
	s_add_u32 s2, s2, s72
	s_addc_u32 s12, 0, s55
	s_add_u32 s2, s2, s54
	s_mul_hi_u32 s3, s6, s7
	s_addc_u32 s2, s12, s13
	s_addc_u32 s3, s3, 0
	s_mul_i32 s7, s6, s7
	s_add_u32 s2, s2, s7
	s_addc_u32 s3, 0, s3
	v_add_co_u32_e32 v3, vcc, s2, v3
	s_cmp_lg_u64 vcc, 0
	s_addc_u32 s2, s6, s3
	v_readlane_b32 s54, v55, 53
	v_readfirstlane_b32 s7, v3
	s_mul_i32 s6, s54, s2
	s_mul_hi_u32 s12, s54, s7
	s_mul_hi_u32 s3, s54, s2
	s_add_u32 s6, s12, s6
	s_addc_u32 s3, 0, s3
	s_mul_hi_u32 s13, s73, s7
	s_mul_i32 s7, s73, s7
	s_add_u32 s6, s6, s7
	s_mul_hi_u32 s12, s73, s2
	s_addc_u32 s3, s3, s13
	s_addc_u32 s6, s12, 0
	s_mul_i32 s2, s73, s2
	s_add_u32 s2, s3, s2
	s_addc_u32 s3, 0, s6
	s_mul_hi_u32 s6, s89, s2
	s_mul_i32 s2, s89, s2
	s_mul_i32 s3, s89, s3
	v_mov_b32_e32 v3, s2
	s_add_i32 s6, s6, s3
	v_sub_co_u32_e32 v3, vcc, s54, v3
	s_cmp_lg_u64 vcc, 0
	s_subb_u32 s2, s73, s6
	v_subrev_co_u32_e32 v4, vcc, s89, v3
	s_cmp_lg_u64 vcc, 0
	s_subb_u32 s3, s2, 0
	v_subrev_co_u32_e32 v5, vcc, s89, v4
	s_cmp_lg_u64 vcc, 0
	s_subb_u32 s6, s3, 0
	v_cmp_le_u32_e32 vcc, s89, v4
	s_cmp_eq_u32 s3, 0
	v_cndmask_b32_e64 v8, 0, -1, vcc
	s_cselect_b64 vcc, -1, 0
	v_cndmask_b32_e32 v8, -1, v8, vcc
	v_mov_b32_e32 v9, s3
	v_mov_b32_e32 v10, s6
	v_cmp_ne_u32_e32 vcc, 0, v8
	v_cndmask_b32_e32 v8, v9, v10, vcc
	v_cndmask_b32_e32 v4, v4, v5, vcc
	v_cmp_le_u32_e32 vcc, s89, v3
	s_cmp_eq_u32 s2, 0
	v_cndmask_b32_e64 v5, 0, -1, vcc
	s_cselect_b64 vcc, -1, 0
	v_cndmask_b32_e32 v5, -1, v5, vcc
	v_mov_b32_e32 v9, s2
	v_cmp_ne_u32_e32 vcc, 0, v5
	v_cndmask_b32_e32 v5, v9, v8, vcc
	v_cndmask_b32_e32 v4, v3, v4, vcc
	s_mov_b64 s[2:3], 0
	s_branch .LBB162_257
.LBB162_256:                            ;   in Loop: Header=BB162_18 Depth=1
	s_mov_b64 s[2:3], -1
                                        ; implicit-def: $vgpr4_vgpr5
.LBB162_257:                            ;   in Loop: Header=BB162_18 Depth=1
	s_andn2_b64 vcc, exec, s[2:3]
	s_cbranch_vccnz .LBB162_259
; %bb.258:                              ;   in Loop: Header=BB162_18 Depth=1
	v_cvt_f32_u32_e32 v3, s89
	s_sub_i32 s2, 0, s89
	v_rcp_iflag_f32_e32 v3, v3
	v_mul_f32_e32 v3, 0x4f7ffffe, v3
	v_cvt_u32_f32_e32 v3, v3
	v_mul_lo_u32 v4, s2, v3
	v_mul_hi_u32 v4, v3, v4
	v_add_u32_e32 v3, v3, v4
	v_readlane_b32 s2, v55, 53
	v_mul_hi_u32 v3, s2, v3
	v_mul_lo_u32 v3, v3, s89
	v_sub_u32_e32 v3, s2, v3
	v_subrev_u32_e32 v4, s89, v3
	v_cmp_le_u32_e32 vcc, s89, v3
	v_cndmask_b32_e32 v3, v3, v4, vcc
	v_subrev_u32_e32 v4, s89, v3
	v_cmp_le_u32_e32 vcc, s89, v3
	v_cndmask_b32_e32 v20, v3, v4, vcc
	v_pk_mov_b32 v[4:5], v[20:21], v[20:21] op_sel:[0,1]
.LBB162_259:                            ;   in Loop: Header=BB162_18 Depth=1
	v_readlane_b32 s2, v55, 53
	v_mov_b32_e32 v3, s73
	v_sub_co_u32_e32 v32, vcc, s2, v4
	v_subb_co_u32_e32 v33, vcc, v3, v5, vcc
	v_cmp_gt_u64_e32 vcc, v[32:33], v[0:1]
	s_mov_b64 s[92:93], 0
                                        ; implicit-def: $vgpr10_vgpr11
	s_and_saveexec_b64 s[2:3], vcc
	s_cbranch_execz .LBB162_268
; %bb.260:                              ;   in Loop: Header=BB162_18 Depth=1
	v_pk_mov_b32 v[34:35], v[0:1], v[0:1] op_sel:[0,1]
                                        ; implicit-def: $sgpr12_sgpr13
	s_branch .LBB162_262
.LBB162_261:                            ;   in Loop: Header=BB162_262 Depth=2
	s_or_b64 exec, exec, s[6:7]
	s_waitcnt lgkmcnt(0)
	s_barrier
	ds_read_b128 v[8:11], v21 offset:3072
	v_mov_b32_e32 v3, s74
	v_add_co_u32_e32 v34, vcc, s89, v34
	v_addc_co_u32_e32 v35, vcc, v35, v3, vcc
	s_waitcnt lgkmcnt(0)
	v_readfirstlane_b32 s7, v9
	v_readfirstlane_b32 s6, v8
	s_cmp_lg_u64 s[6:7], 0
	s_cselect_b64 s[6:7], -1, 0
	v_cmp_ge_u64_e32 vcc, v[34:35], v[32:33]
	s_or_b64 s[54:55], vcc, s[6:7]
	s_and_b64 s[54:55], exec, s[54:55]
	s_or_b64 s[92:93], s[54:55], s[92:93]
	s_andn2_b64 s[12:13], s[12:13], exec
	s_and_b64 s[6:7], s[6:7], exec
	s_or_b64 s[12:13], s[12:13], s[6:7]
	s_barrier
	s_andn2_b64 exec, exec, s[92:93]
	s_cbranch_execz .LBB162_267
.LBB162_262:                            ;   Parent Loop BB162_18 Depth=1
                                        ; =>  This Inner Loop Header: Depth=2
	v_cmp_gt_u64_e32 vcc, s[60:61], v[34:35]
	s_waitcnt vmcnt(0)
	v_pk_mov_b32 v[4:5], 0, 0
	s_and_saveexec_b64 s[54:55], vcc
	s_cbranch_execz .LBB162_264
; %bb.263:                              ;   in Loop: Header=BB162_262 Depth=2
	v_mul_lo_u32 v3, v35, s58
	v_mul_lo_u32 v8, v34, s59
	v_mad_u64_u32 v[4:5], s[6:7], v34, s58, 0
	v_add3_u32 v5, v5, v8, v3
	v_lshlrev_b64 v[4:5], 3, v[4:5]
	v_mov_b32_e32 v3, s88
	v_add_co_u32_e64 v4, s[6:7], s33, v4
	v_addc_co_u32_e64 v5, s[6:7], v3, v5, s[6:7]
	global_load_dwordx2 v[4:5], v[4:5], off
.LBB162_264:                            ;   in Loop: Header=BB162_262 Depth=2
	s_or_b64 exec, exec, s[54:55]
	s_and_saveexec_b64 s[6:7], vcc
	s_cbranch_execz .LBB162_261
; %bb.265:                              ;   in Loop: Header=BB162_262 Depth=2
	s_waitcnt vmcnt(0)
	v_xor_b32_e32 v3, 0x80000000, v5
	v_and_b32_e32 v9, v3, v15
	v_and_b32_e32 v8, v4, v14
	v_cmp_eq_u64_e32 vcc, v[8:9], v[12:13]
	s_and_b64 exec, exec, vcc
	s_cbranch_execz .LBB162_261
; %bb.266:                              ;   in Loop: Header=BB162_262 Depth=2
	v_mov_b32_e32 v3, v21
	ds_write_b128 v21, v[2:5] offset:3072
	s_branch .LBB162_261
.LBB162_267:                            ;   in Loop: Header=BB162_18 Depth=1
	s_or_b64 exec, exec, s[92:93]
	s_and_b64 s[92:93], s[12:13], exec
.LBB162_268:                            ;   in Loop: Header=BB162_18 Depth=1
	s_or_b64 exec, exec, s[2:3]
	s_mov_b64 s[12:13], -1
	s_mov_b64 s[2:3], 0
	s_mov_b64 s[6:7], 0
.LBB162_269:                            ;   in Loop: Header=BB162_18 Depth=1
	s_orn2_b64 vcc, s[92:93], exec
	v_readlane_b32 s92, v54, 7
	v_readlane_b32 s93, v54, 8
.LBB162_270:                            ;   in Loop: Header=BB162_18 Depth=1
	s_or_b64 exec, exec, s[92:93]
	s_mov_b64 s[54:55], 0
                                        ; implicit-def: $vgpr3
                                        ; implicit-def: $vgpr4_vgpr5
	s_and_saveexec_b64 s[92:93], vcc
	s_cbranch_execz .LBB162_282
; %bb.271:                              ;   in Loop: Header=BB162_18 Depth=1
	v_readlane_b32 s54, v54, 5
	v_readlane_b32 s55, v54, 6
	s_waitcnt vmcnt(0)
	v_mov_b32_e32 v4, 1
	s_xor_b64 s[54:55], s[54:55], -1
	v_mov_b32_e32 v3, 1
	v_mov_b32_e32 v5, 0
	s_and_saveexec_b64 s[94:95], s[54:55]
	s_cbranch_execz .LBB162_281
; %bb.272:                              ;   in Loop: Header=BB162_18 Depth=1
	v_cmp_ge_u64_e32 vcc, s[28:29], v[30:31]
                                        ; implicit-def: $sgpr72
	s_and_saveexec_b64 s[54:55], vcc
	s_xor_b64 s[54:55], exec, s[54:55]
	v_writelane_b32 v54, s54, 9
	v_writelane_b32 v54, s55, 10
	s_cbranch_execz .LBB162_278
; %bb.273:                              ;   in Loop: Header=BB162_18 Depth=1
	ds_read_b64 v[4:5], v21 offset:5120
	s_waitcnt lgkmcnt(0)
	v_cmp_ne_u64_e32 vcc, 0, v[4:5]
	s_cbranch_vccnz .LBB162_277
; %bb.274:                              ;   in Loop: Header=BB162_18 Depth=1
	s_mov_b64 s[54:55], exec
	v_readlane_b32 vcc_lo, v55, 32
	v_readlane_b32 vcc_hi, v55, 33
	s_and_b64 vcc, s[54:55], vcc
	s_mov_b64 exec, vcc
	s_cbranch_execz .LBB162_276
; %bb.275:                              ;   in Loop: Header=BB162_18 Depth=1
	v_pk_mov_b32 v[4:5], s[28:29], s[28:29] op_sel:[0,1]
	ds_write_b64 v21, v[4:5] offset:5128
.LBB162_276:                            ;   in Loop: Header=BB162_18 Depth=1
	s_or_b64 exec, exec, s[54:55]
	s_waitcnt lgkmcnt(0)
	s_barrier
.LBB162_277:                            ;   in Loop: Header=BB162_18 Depth=1
	v_or_b32_e32 v13, s19, v13
	v_or_b32_e32 v12, s18, v12
	;; [unrolled: 1-line block ×4, first 2 shown]
	s_mov_b32 s72, 8
.LBB162_278:                            ;   in Loop: Header=BB162_18 Depth=1
	v_readlane_b32 s54, v54, 9
	v_readlane_b32 s55, v54, 10
	s_or_saveexec_b64 s[54:55], s[54:55]
	v_mov_b32_e32 v3, s72
	s_xor_b64 exec, exec, s[54:55]
; %bb.279:                              ;   in Loop: Header=BB162_18 Depth=1
	v_mov_b32_e32 v3, s29
	v_subrev_co_u32_e32 v30, vcc, s28, v30
	v_subb_co_u32_e32 v31, vcc, v31, v3, vcc
	v_mov_b32_e32 v3, 8
; %bb.280:                              ;   in Loop: Header=BB162_18 Depth=1
	s_or_b64 exec, exec, s[54:55]
	v_pk_mov_b32 v[4:5], v[30:31], v[30:31] op_sel:[0,1]
.LBB162_281:                            ;   in Loop: Header=BB162_18 Depth=1
	s_or_b64 exec, exec, s[94:95]
	s_mov_b64 s[54:55], exec
.LBB162_282:                            ;   in Loop: Header=BB162_18 Depth=1
	s_or_b64 exec, exec, s[92:93]
	s_orn2_b64 s[92:93], s[54:55], exec
	s_waitcnt vmcnt(0)
	v_pk_mov_b32 v[30:31], v[4:5], v[4:5] op_sel:[0,1]
.LBB162_283:                            ;   in Loop: Header=BB162_18 Depth=1
	v_readlane_b32 s54, v54, 3
	v_readlane_b32 s55, v54, 4
	s_or_b64 exec, exec, s[54:55]
	s_andn2_b64 s[8:9], s[8:9], exec
	s_and_b64 s[2:3], s[2:3], exec
	s_or_b64 s[8:9], s[8:9], s[2:3]
	s_andn2_b64 s[2:3], s[10:11], exec
	s_and_b64 s[10:11], s[12:13], exec
	s_or_b64 s[10:11], s[2:3], s[10:11]
	v_readlane_b32 s2, v54, 1
	v_readlane_b32 s3, v54, 2
	s_andn2_b64 s[2:3], s[2:3], exec
	s_and_b64 s[6:7], s[6:7], exec
	s_or_b64 s[2:3], s[2:3], s[6:7]
	v_writelane_b32 v54, s2, 1
	v_writelane_b32 v54, s3, 2
	s_and_b64 s[2:3], s[92:93], exec
	v_pk_mov_b32 v[32:33], v[30:31], v[30:31] op_sel:[0,1]
.LBB162_284:                            ;   in Loop: Header=BB162_18 Depth=1
	s_or_b64 exec, exec, s[56:57]
	v_readlane_b32 s6, v54, 1
	v_readlane_b32 s7, v54, 2
	s_and_b64 s[12:13], s[8:9], exec
	s_and_b64 s[8:9], s[10:11], exec
	;; [unrolled: 1-line block ×3, first 2 shown]
	s_orn2_b64 s[2:3], s[2:3], exec
.LBB162_285:                            ;   in Loop: Header=BB162_18 Depth=1
	s_or_b64 exec, exec, s[52:53]
	s_andn2_b64 s[10:11], s[36:37], exec
	s_and_b64 s[12:13], s[12:13], exec
	s_or_b64 s[36:37], s[10:11], s[12:13]
	s_andn2_b64 s[10:11], s[48:49], exec
	s_and_b64 s[8:9], s[8:9], exec
	s_or_b64 s[48:49], s[10:11], s[8:9]
	;; [unrolled: 3-line block ×3, first 2 shown]
	s_and_b64 s[6:7], s[2:3], exec
	v_pk_mov_b32 v[30:31], v[32:33], v[32:33] op_sel:[0,1]
.LBB162_286:                            ;   in Loop: Header=BB162_18 Depth=1
	s_or_b64 exec, exec, s[50:51]
	s_and_b64 s[10:11], s[36:37], exec
	s_and_b64 s[8:9], s[48:49], exec
	;; [unrolled: 1-line block ×3, first 2 shown]
	s_orn2_b64 s[36:37], s[6:7], exec
.LBB162_287:                            ;   in Loop: Header=BB162_18 Depth=1
	s_or_b64 exec, exec, s[34:35]
	s_mov_b64 s[6:7], 0
	s_mov_b64 s[12:13], 0
	s_and_saveexec_b64 s[34:35], s[36:37]
	s_xor_b64 s[34:35], exec, s[34:35]
; %bb.288:                              ;   in Loop: Header=BB162_18 Depth=1
	v_cmp_eq_u32_e32 vcc, 8, v3
	v_cmp_ne_u32_e64 s[6:7], 8, v3
	s_andn2_b64 s[10:11], s[10:11], exec
	s_andn2_b64 s[8:9], s[8:9], exec
	;; [unrolled: 1-line block ×3, first 2 shown]
	s_and_b64 s[12:13], s[6:7], exec
	s_and_b64 s[6:7], vcc, exec
; %bb.289:                              ;   in Loop: Header=BB162_18 Depth=1
	s_or_b64 exec, exec, s[34:35]
	s_andn2_b64 s[24:25], s[24:25], exec
	s_and_b64 s[10:11], s[10:11], exec
	s_or_b64 s[24:25], s[24:25], s[10:11]
	s_andn2_b64 s[10:11], s[40:41], exec
	s_and_b64 s[8:9], s[8:9], exec
	s_or_b64 s[40:41], s[10:11], s[8:9]
	;; [unrolled: 3-line block ×3, first 2 shown]
	s_and_b64 s[34:35], s[12:13], exec
	s_and_b64 s[36:37], s[6:7], exec
.LBB162_290:                            ;   in Loop: Header=BB162_18 Depth=1
	s_or_b64 exec, exec, s[44:45]
	s_and_b64 vcc, exec, s[42:43]
	s_cbranch_vccz .LBB162_106
.LBB162_291:                            ;   in Loop: Header=BB162_18 Depth=1
	s_cmp_eq_u64 s[28:29], 1
	s_cselect_b64 s[2:3], -1, 0
	s_and_b64 s[8:9], s[2:3], s[14:15]
	s_mov_b64 s[2:3], -1
                                        ; implicit-def: $sgpr14_sgpr15
                                        ; implicit-def: $sgpr42_sgpr43
                                        ; implicit-def: $sgpr24_sgpr25
	s_and_saveexec_b64 s[10:11], s[8:9]
	s_cbranch_execz .LBB162_323
; %bb.292:                              ;   in Loop: Header=BB162_18 Depth=1
	s_waitcnt vmcnt(0)
	ds_read_b64 v[4:5], v21 offset:5120
	s_waitcnt lgkmcnt(0)
	s_barrier
	v_readfirstlane_b32 s2, v4
	v_readfirstlane_b32 s3, v5
	s_mov_b64 s[6:7], exec
	v_readlane_b32 s12, v55, 48
	v_readlane_b32 s13, v55, 49
	s_and_b64 s[12:13], s[6:7], s[12:13]
	s_mov_b64 exec, s[12:13]
	s_cbranch_execz .LBB162_294
; %bb.293:                              ;   in Loop: Header=BB162_18 Depth=1
	v_mov_b32_e32 v20, v21
	ds_write_b64 v40, v[20:21]
.LBB162_294:                            ;   in Loop: Header=BB162_18 Depth=1
	s_or_b64 exec, exec, s[6:7]
	v_or_b32_e32 v27, s19, v27
	v_or_b32_e32 v26, s18, v26
	;; [unrolled: 1-line block ×4, first 2 shown]
	s_cmp_eq_u64 s[2:3], 0
	s_waitcnt lgkmcnt(0)
	s_barrier
	s_cbranch_scc1 .LBB162_306
; %bb.295:                              ;   in Loop: Header=BB162_18 Depth=1
	v_readlane_b32 s6, v55, 52
	s_add_u32 s14, s6, s2
	v_readlane_b32 s6, v55, 54
	s_addc_u32 s7, s6, s3
	s_mov_b32 s6, s91
	s_cmp_lg_u64 s[6:7], 0
	s_cbranch_scc0 .LBB162_350
; %bb.296:                              ;   in Loop: Header=BB162_18 Depth=1
	v_cvt_f32_u32_e32 v3, s89
	s_sub_u32 s6, 0, s89
	s_subb_u32 s12, 0, 0
	v_mac_f32_e32 v3, 0, v43
	v_rcp_f32_e32 v3, v3
	v_mul_f32_e32 v3, 0x5f7ffffc, v3
	v_mul_f32_e32 v4, 0x2f800000, v3
	v_trunc_f32_e32 v4, v4
	v_mac_f32_e32 v3, 0xcf800000, v4
	v_cvt_u32_f32_e32 v4, v4
	v_cvt_u32_f32_e32 v3, v3
	v_readfirstlane_b32 s13, v4
	v_readfirstlane_b32 s15, v3
	s_mul_i32 s24, s6, s13
	s_mul_hi_u32 s38, s6, s15
	s_mul_i32 s25, s12, s15
	s_add_i32 s24, s38, s24
	s_mul_i32 s39, s6, s15
	s_add_i32 s24, s24, s25
	s_mul_hi_u32 s38, s15, s39
	s_mul_hi_u32 s25, s15, s24
	s_mul_i32 s15, s15, s24
	s_add_u32 s15, s38, s15
	s_addc_u32 s25, 0, s25
	s_mul_hi_u32 s40, s13, s39
	s_mul_i32 s39, s13, s39
	s_add_u32 s15, s15, s39
	s_mul_hi_u32 s38, s13, s24
	s_addc_u32 s15, s25, s40
	s_addc_u32 s25, s38, 0
	s_mul_i32 s24, s13, s24
	s_add_u32 s15, s15, s24
	s_addc_u32 s24, 0, s25
	v_add_co_u32_e32 v3, vcc, s15, v3
	s_cmp_lg_u64 vcc, 0
	s_addc_u32 s13, s13, s24
	v_readfirstlane_b32 s24, v3
	s_mul_i32 s15, s6, s13
	s_mul_hi_u32 s25, s6, s24
	s_add_i32 s15, s25, s15
	s_mul_i32 s12, s12, s24
	s_add_i32 s15, s15, s12
	s_mul_i32 s6, s6, s24
	s_mul_hi_u32 s25, s13, s6
	s_mul_i32 s38, s13, s6
	s_mul_i32 s40, s24, s15
	s_mul_hi_u32 s6, s24, s6
	s_mul_hi_u32 s39, s24, s15
	s_add_u32 s6, s6, s40
	s_addc_u32 s24, 0, s39
	s_add_u32 s6, s6, s38
	s_mul_hi_u32 s12, s13, s15
	s_addc_u32 s6, s24, s25
	s_addc_u32 s12, s12, 0
	s_mul_i32 s15, s13, s15
	s_add_u32 s6, s6, s15
	s_addc_u32 s12, 0, s12
	v_add_co_u32_e32 v3, vcc, s6, v3
	s_cmp_lg_u64 vcc, 0
	s_addc_u32 s6, s13, s12
	v_readfirstlane_b32 s15, v3
	s_mul_i32 s13, s14, s6
	s_mul_hi_u32 s24, s14, s15
	s_mul_hi_u32 s12, s14, s6
	s_add_u32 s13, s24, s13
	s_addc_u32 s12, 0, s12
	s_mul_hi_u32 s25, s7, s15
	s_mul_i32 s15, s7, s15
	s_add_u32 s13, s13, s15
	s_mul_hi_u32 s24, s7, s6
	s_addc_u32 s12, s12, s25
	s_addc_u32 s13, s24, 0
	s_mul_i32 s6, s7, s6
	s_add_u32 s6, s12, s6
	s_addc_u32 s12, 0, s13
	s_mul_hi_u32 s13, s89, s6
	s_mul_i32 s6, s89, s6
	s_mul_i32 s12, s89, s12
	v_mov_b32_e32 v3, s6
	s_add_i32 s13, s13, s12
	v_sub_co_u32_e32 v3, vcc, s14, v3
	s_cmp_lg_u64 vcc, 0
	s_subb_u32 s6, s7, s13
	v_subrev_co_u32_e32 v4, vcc, s89, v3
	s_cmp_lg_u64 vcc, 0
	s_subb_u32 s12, s6, 0
	v_subrev_co_u32_e32 v5, vcc, s89, v4
	s_cmp_lg_u64 vcc, 0
	s_subb_u32 s13, s12, 0
	v_cmp_le_u32_e32 vcc, s89, v4
	s_cmp_eq_u32 s12, 0
	v_cndmask_b32_e64 v6, 0, -1, vcc
	s_cselect_b64 vcc, -1, 0
	v_cndmask_b32_e32 v6, -1, v6, vcc
	v_mov_b32_e32 v7, s12
	v_mov_b32_e32 v8, s13
	v_cmp_ne_u32_e32 vcc, 0, v6
	v_cndmask_b32_e32 v6, v7, v8, vcc
	v_cndmask_b32_e32 v4, v4, v5, vcc
	v_cmp_le_u32_e32 vcc, s89, v3
	s_cmp_eq_u32 s6, 0
	v_cndmask_b32_e64 v5, 0, -1, vcc
	s_cselect_b64 vcc, -1, 0
	v_cndmask_b32_e32 v5, -1, v5, vcc
	v_mov_b32_e32 v7, s6
	v_cmp_ne_u32_e32 vcc, 0, v5
	v_cndmask_b32_e32 v5, v7, v6, vcc
	v_cndmask_b32_e32 v4, v3, v4, vcc
	s_cbranch_execnz .LBB162_298
.LBB162_297:                            ;   in Loop: Header=BB162_18 Depth=1
	v_cvt_f32_u32_e32 v3, s89
	s_sub_i32 s6, 0, s89
	v_rcp_iflag_f32_e32 v3, v3
	v_mul_f32_e32 v3, 0x4f7ffffe, v3
	v_cvt_u32_f32_e32 v3, v3
	v_mul_lo_u32 v4, s6, v3
	v_mul_hi_u32 v4, v3, v4
	v_add_u32_e32 v3, v3, v4
	v_mul_hi_u32 v3, s14, v3
	v_mul_lo_u32 v3, v3, s89
	v_sub_u32_e32 v3, s14, v3
	v_subrev_u32_e32 v4, s89, v3
	v_cmp_le_u32_e32 vcc, s89, v3
	v_cndmask_b32_e32 v3, v3, v4, vcc
	v_subrev_u32_e32 v4, s89, v3
	v_cmp_le_u32_e32 vcc, s89, v3
	v_cndmask_b32_e32 v20, v3, v4, vcc
	v_pk_mov_b32 v[4:5], v[20:21], v[20:21] op_sel:[0,1]
.LBB162_298:                            ;   in Loop: Header=BB162_18 Depth=1
	v_mov_b32_e32 v3, s7
	v_sub_co_u32_e32 v8, vcc, s14, v4
	v_subb_co_u32_e32 v9, vcc, v3, v5, vcc
	v_cmp_gt_u64_e32 vcc, v[8:9], v[0:1]
	s_mov_b64 s[12:13], 0
                                        ; implicit-def: $vgpr6_vgpr7
	s_and_saveexec_b64 s[6:7], vcc
	s_cbranch_execz .LBB162_308
; %bb.299:                              ;   in Loop: Header=BB162_18 Depth=1
	s_mov_b64 s[14:15], 0
	v_mov_b32_e32 v12, v39
	v_pk_mov_b32 v[10:11], v[0:1], v[0:1] op_sel:[0,1]
                                        ; implicit-def: $sgpr12_sgpr13
	s_branch .LBB162_301
.LBB162_300:                            ;   in Loop: Header=BB162_301 Depth=2
	s_or_b64 exec, exec, s[24:25]
	s_waitcnt lgkmcnt(0)
	s_barrier
	ds_read_b128 v[4:7], v21 offset:3072
	v_mov_b32_e32 v3, s74
	v_add_co_u32_e32 v10, vcc, s89, v10
	v_addc_co_u32_e32 v11, vcc, v11, v3, vcc
	s_waitcnt lgkmcnt(0)
	v_readfirstlane_b32 s25, v5
	v_readfirstlane_b32 s24, v4
	s_cmp_lg_u64 s[24:25], 0
	s_cselect_b64 s[24:25], -1, 0
	v_cmp_ge_u64_e32 vcc, v[10:11], v[8:9]
	s_or_b64 s[38:39], vcc, s[24:25]
	s_and_b64 s[38:39], exec, s[38:39]
	s_or_b64 s[14:15], s[38:39], s[14:15]
	s_andn2_b64 s[12:13], s[12:13], exec
	s_and_b64 s[24:25], s[24:25], exec
	v_add_u32_e32 v12, s5, v12
	s_or_b64 s[12:13], s[12:13], s[24:25]
	s_barrier
	s_andn2_b64 exec, exec, s[14:15]
	s_cbranch_execz .LBB162_307
.LBB162_301:                            ;   Parent Loop BB162_18 Depth=1
                                        ; =>  This Inner Loop Header: Depth=2
	v_cmp_gt_u64_e32 vcc, s[2:3], v[10:11]
	v_pk_mov_b32 v[4:5], 0, 0
	s_and_saveexec_b64 s[24:25], vcc
	s_cbranch_execz .LBB162_303
; %bb.302:                              ;   in Loop: Header=BB162_301 Depth=2
	ds_read_b64 v[4:5], v12
.LBB162_303:                            ;   in Loop: Header=BB162_301 Depth=2
	s_or_b64 exec, exec, s[24:25]
	s_and_saveexec_b64 s[24:25], vcc
	s_cbranch_execz .LBB162_300
; %bb.304:                              ;   in Loop: Header=BB162_301 Depth=2
	s_waitcnt lgkmcnt(0)
	v_xor_b32_e32 v3, 0x80000000, v5
	v_and_b32_e32 v7, v3, v25
	v_and_b32_e32 v6, v4, v24
	v_cmp_eq_u64_e32 vcc, v[6:7], v[26:27]
	s_and_b64 exec, exec, vcc
	s_cbranch_execz .LBB162_300
; %bb.305:                              ;   in Loop: Header=BB162_301 Depth=2
	v_mov_b32_e32 v3, v21
	ds_write_b128 v21, v[2:5] offset:3072
	s_branch .LBB162_300
.LBB162_306:                            ;   in Loop: Header=BB162_18 Depth=1
	s_mov_b64 s[14:15], -1
	s_mov_b64 s[12:13], 0
                                        ; implicit-def: $sgpr42_sgpr43
                                        ; implicit-def: $vgpr6_vgpr7
	s_mov_b64 s[24:25], s[14:15]
	s_cbranch_execnz .LBB162_309
	s_branch .LBB162_322
.LBB162_307:                            ;   in Loop: Header=BB162_18 Depth=1
	s_or_b64 exec, exec, s[14:15]
	s_and_b64 s[12:13], s[12:13], exec
.LBB162_308:                            ;   in Loop: Header=BB162_18 Depth=1
	s_or_b64 exec, exec, s[6:7]
	s_mov_b64 s[14:15], 0
	s_mov_b64 s[42:43], -1
	s_mov_b64 s[24:25], s[14:15]
	s_branch .LBB162_322
.LBB162_309:                            ;   in Loop: Header=BB162_18 Depth=1
	s_mov_b32 s72, s91
	s_cmp_lg_u64 s[72:73], 0
	s_cbranch_scc0 .LBB162_351
; %bb.310:                              ;   in Loop: Header=BB162_18 Depth=1
	v_cvt_f32_u32_e32 v3, s89
	s_sub_u32 s2, 0, s89
	s_subb_u32 s3, 0, 0
	v_mac_f32_e32 v3, 0, v43
	v_rcp_f32_e32 v3, v3
	v_mul_f32_e32 v3, 0x5f7ffffc, v3
	v_mul_f32_e32 v4, 0x2f800000, v3
	v_trunc_f32_e32 v4, v4
	v_mac_f32_e32 v3, 0xcf800000, v4
	v_cvt_u32_f32_e32 v4, v4
	v_cvt_u32_f32_e32 v3, v3
	v_readfirstlane_b32 s6, v4
	v_readfirstlane_b32 s7, v3
	s_mul_i32 s12, s2, s6
	s_mul_hi_u32 s14, s2, s7
	s_mul_i32 s13, s3, s7
	s_add_i32 s12, s14, s12
	s_mul_i32 s15, s2, s7
	s_add_i32 s12, s12, s13
	s_mul_hi_u32 s14, s7, s15
	s_mul_hi_u32 s13, s7, s12
	s_mul_i32 s7, s7, s12
	s_add_u32 s7, s14, s7
	s_addc_u32 s13, 0, s13
	s_mul_hi_u32 s24, s6, s15
	s_mul_i32 s15, s6, s15
	s_add_u32 s7, s7, s15
	s_mul_hi_u32 s14, s6, s12
	s_addc_u32 s7, s13, s24
	s_addc_u32 s13, s14, 0
	s_mul_i32 s12, s6, s12
	s_add_u32 s7, s7, s12
	s_addc_u32 s12, 0, s13
	v_add_co_u32_e32 v3, vcc, s7, v3
	s_cmp_lg_u64 vcc, 0
	s_addc_u32 s6, s6, s12
	v_readfirstlane_b32 s12, v3
	s_mul_i32 s7, s2, s6
	s_mul_hi_u32 s13, s2, s12
	s_add_i32 s7, s13, s7
	s_mul_i32 s3, s3, s12
	s_add_i32 s7, s7, s3
	s_mul_i32 s2, s2, s12
	s_mul_hi_u32 s13, s6, s2
	s_mul_i32 s14, s6, s2
	s_mul_i32 s24, s12, s7
	s_mul_hi_u32 s2, s12, s2
	s_mul_hi_u32 s15, s12, s7
	s_add_u32 s2, s2, s24
	s_addc_u32 s12, 0, s15
	s_add_u32 s2, s2, s14
	s_mul_hi_u32 s3, s6, s7
	s_addc_u32 s2, s12, s13
	s_addc_u32 s3, s3, 0
	s_mul_i32 s7, s6, s7
	s_add_u32 s2, s2, s7
	s_addc_u32 s3, 0, s3
	v_add_co_u32_e32 v3, vcc, s2, v3
	s_cmp_lg_u64 vcc, 0
	s_addc_u32 s2, s6, s3
	v_readlane_b32 s14, v55, 53
	v_readfirstlane_b32 s7, v3
	s_mul_i32 s6, s14, s2
	s_mul_hi_u32 s12, s14, s7
	s_mul_hi_u32 s3, s14, s2
	s_add_u32 s6, s12, s6
	s_addc_u32 s3, 0, s3
	s_mul_hi_u32 s13, s73, s7
	s_mul_i32 s7, s73, s7
	s_add_u32 s6, s6, s7
	s_mul_hi_u32 s12, s73, s2
	s_addc_u32 s3, s3, s13
	s_addc_u32 s6, s12, 0
	s_mul_i32 s2, s73, s2
	s_add_u32 s2, s3, s2
	s_addc_u32 s3, 0, s6
	s_mul_hi_u32 s6, s89, s2
	s_mul_i32 s2, s89, s2
	s_mul_i32 s3, s89, s3
	v_mov_b32_e32 v3, s2
	s_add_i32 s6, s6, s3
	v_sub_co_u32_e32 v3, vcc, s14, v3
	s_cmp_lg_u64 vcc, 0
	s_subb_u32 s2, s73, s6
	v_subrev_co_u32_e32 v4, vcc, s89, v3
	s_cmp_lg_u64 vcc, 0
	s_subb_u32 s3, s2, 0
	v_subrev_co_u32_e32 v5, vcc, s89, v4
	s_cmp_lg_u64 vcc, 0
	s_subb_u32 s6, s3, 0
	v_cmp_le_u32_e32 vcc, s89, v4
	s_cmp_eq_u32 s3, 0
	v_cndmask_b32_e64 v6, 0, -1, vcc
	s_cselect_b64 vcc, -1, 0
	v_cndmask_b32_e32 v6, -1, v6, vcc
	v_mov_b32_e32 v7, s3
	v_mov_b32_e32 v8, s6
	v_cmp_ne_u32_e32 vcc, 0, v6
	v_cndmask_b32_e32 v6, v7, v8, vcc
	v_cndmask_b32_e32 v4, v4, v5, vcc
	v_cmp_le_u32_e32 vcc, s89, v3
	s_cmp_eq_u32 s2, 0
	v_cndmask_b32_e64 v5, 0, -1, vcc
	s_cselect_b64 vcc, -1, 0
	v_cndmask_b32_e32 v5, -1, v5, vcc
	v_mov_b32_e32 v7, s2
	v_cmp_ne_u32_e32 vcc, 0, v5
	v_cndmask_b32_e32 v5, v7, v6, vcc
	v_cndmask_b32_e32 v4, v3, v4, vcc
	s_cbranch_execnz .LBB162_312
.LBB162_311:                            ;   in Loop: Header=BB162_18 Depth=1
	v_cvt_f32_u32_e32 v3, s89
	s_sub_i32 s2, 0, s89
	v_rcp_iflag_f32_e32 v3, v3
	v_mul_f32_e32 v3, 0x4f7ffffe, v3
	v_cvt_u32_f32_e32 v3, v3
	v_mul_lo_u32 v4, s2, v3
	v_mul_hi_u32 v4, v3, v4
	v_add_u32_e32 v3, v3, v4
	v_readlane_b32 s2, v55, 53
	v_mul_hi_u32 v3, s2, v3
	v_mul_lo_u32 v3, v3, s89
	v_sub_u32_e32 v3, s2, v3
	v_subrev_u32_e32 v4, s89, v3
	v_cmp_le_u32_e32 vcc, s89, v3
	v_cndmask_b32_e32 v3, v3, v4, vcc
	v_subrev_u32_e32 v4, s89, v3
	v_cmp_le_u32_e32 vcc, s89, v3
	v_cndmask_b32_e32 v20, v3, v4, vcc
	v_pk_mov_b32 v[4:5], v[20:21], v[20:21] op_sel:[0,1]
.LBB162_312:                            ;   in Loop: Header=BB162_18 Depth=1
	v_readlane_b32 s2, v55, 53
	v_mov_b32_e32 v3, s73
	v_sub_co_u32_e32 v8, vcc, s2, v4
	v_subb_co_u32_e32 v9, vcc, v3, v5, vcc
	v_cmp_gt_u64_e32 vcc, v[8:9], v[0:1]
	s_mov_b64 s[12:13], 0
                                        ; implicit-def: $vgpr6_vgpr7
	s_and_saveexec_b64 s[2:3], vcc
	s_cbranch_execz .LBB162_321
; %bb.313:                              ;   in Loop: Header=BB162_18 Depth=1
	s_mov_b64 s[14:15], 0
	v_pk_mov_b32 v[10:11], v[0:1], v[0:1] op_sel:[0,1]
                                        ; implicit-def: $sgpr12_sgpr13
	s_branch .LBB162_315
.LBB162_314:                            ;   in Loop: Header=BB162_315 Depth=2
	s_or_b64 exec, exec, s[6:7]
	s_waitcnt lgkmcnt(0)
	s_barrier
	s_waitcnt vmcnt(0)
	ds_read_b128 v[4:7], v21 offset:3072
	v_mov_b32_e32 v3, s74
	v_add_co_u32_e32 v10, vcc, s89, v10
	v_addc_co_u32_e32 v11, vcc, v11, v3, vcc
	s_waitcnt lgkmcnt(0)
	v_readfirstlane_b32 s7, v5
	v_readfirstlane_b32 s6, v4
	s_cmp_lg_u64 s[6:7], 0
	s_cselect_b64 s[6:7], -1, 0
	v_cmp_ge_u64_e32 vcc, v[10:11], v[8:9]
	s_or_b64 s[24:25], vcc, s[6:7]
	s_and_b64 s[24:25], exec, s[24:25]
	s_or_b64 s[14:15], s[24:25], s[14:15]
	s_andn2_b64 s[12:13], s[12:13], exec
	s_and_b64 s[6:7], s[6:7], exec
	s_or_b64 s[12:13], s[12:13], s[6:7]
	s_barrier
	s_andn2_b64 exec, exec, s[14:15]
	s_cbranch_execz .LBB162_320
.LBB162_315:                            ;   Parent Loop BB162_18 Depth=1
                                        ; =>  This Inner Loop Header: Depth=2
	v_cmp_gt_u64_e32 vcc, s[60:61], v[10:11]
	v_pk_mov_b32 v[4:5], 0, 0
	s_and_saveexec_b64 s[24:25], vcc
	s_cbranch_execz .LBB162_317
; %bb.316:                              ;   in Loop: Header=BB162_315 Depth=2
	v_mul_lo_u32 v3, v11, s58
	v_mul_lo_u32 v6, v10, s59
	v_mad_u64_u32 v[4:5], s[6:7], v10, s58, 0
	v_add3_u32 v5, v5, v6, v3
	v_lshlrev_b64 v[4:5], 3, v[4:5]
	v_mov_b32_e32 v3, s88
	v_add_co_u32_e64 v4, s[6:7], s33, v4
	v_addc_co_u32_e64 v5, s[6:7], v3, v5, s[6:7]
	global_load_dwordx2 v[4:5], v[4:5], off
.LBB162_317:                            ;   in Loop: Header=BB162_315 Depth=2
	s_or_b64 exec, exec, s[24:25]
	s_and_saveexec_b64 s[6:7], vcc
	s_cbranch_execz .LBB162_314
; %bb.318:                              ;   in Loop: Header=BB162_315 Depth=2
	s_waitcnt vmcnt(0)
	v_xor_b32_e32 v3, 0x80000000, v5
	v_and_b32_e32 v7, v3, v25
	v_and_b32_e32 v6, v4, v24
	v_cmp_eq_u64_e32 vcc, v[6:7], v[26:27]
	s_and_b64 exec, exec, vcc
	s_cbranch_execz .LBB162_314
; %bb.319:                              ;   in Loop: Header=BB162_315 Depth=2
	v_mov_b32_e32 v3, v21
	ds_write_b128 v21, v[2:5] offset:3072
	s_branch .LBB162_314
.LBB162_320:                            ;   in Loop: Header=BB162_18 Depth=1
	s_or_b64 exec, exec, s[14:15]
	s_and_b64 s[12:13], s[12:13], exec
.LBB162_321:                            ;   in Loop: Header=BB162_18 Depth=1
	s_or_b64 exec, exec, s[2:3]
	s_mov_b64 s[42:43], 0
	s_mov_b64 s[14:15], -1
	s_mov_b64 s[24:25], 0
.LBB162_322:                            ;   in Loop: Header=BB162_18 Depth=1
	s_orn2_b64 s[2:3], s[12:13], exec
.LBB162_323:                            ;   in Loop: Header=BB162_18 Depth=1
	s_or_b64 exec, exec, s[10:11]
                                        ; implicit-def: $vgpr3
                                        ; implicit-def: $vgpr30_vgpr31
                                        ; implicit-def: $vgpr12_vgpr13
                                        ; implicit-def: $vgpr14_vgpr15
                                        ; implicit-def: $vgpr10_vgpr11
	s_and_saveexec_b64 s[38:39], s[2:3]
	s_cbranch_execz .LBB162_486
; %bb.324:                              ;   in Loop: Header=BB162_18 Depth=1
	s_waitcnt vmcnt(0)
	v_mov_b32_e32 v30, 1
	s_xor_b64 s[8:9], s[8:9], -1
	s_mov_b64 s[6:7], 0
	v_mov_b32_e32 v31, 0
	v_mov_b32_e32 v3, 1
	s_and_saveexec_b64 s[2:3], s[8:9]
	s_cbranch_execz .LBB162_334
; %bb.325:                              ;   in Loop: Header=BB162_18 Depth=1
	v_cmp_ge_u64_e32 vcc, s[28:29], v[28:29]
                                        ; implicit-def: $sgpr10
                                        ; implicit-def: $sgpr6_sgpr7
	s_and_saveexec_b64 s[8:9], vcc
	s_xor_b64 s[8:9], exec, s[8:9]
	s_cbranch_execz .LBB162_331
; %bb.326:                              ;   in Loop: Header=BB162_18 Depth=1
	ds_read_b64 v[4:5], v21 offset:5120
	s_waitcnt lgkmcnt(0)
	v_cmp_ne_u64_e32 vcc, 0, v[4:5]
	s_cbranch_vccnz .LBB162_330
; %bb.327:                              ;   in Loop: Header=BB162_18 Depth=1
	s_mov_b64 s[6:7], exec
	v_readlane_b32 s10, v55, 32
	v_readlane_b32 s11, v55, 33
	s_and_b64 s[10:11], s[6:7], s[10:11]
	s_mov_b64 exec, s[10:11]
	s_cbranch_execz .LBB162_329
; %bb.328:                              ;   in Loop: Header=BB162_18 Depth=1
	v_pk_mov_b32 v[4:5], s[28:29], s[28:29] op_sel:[0,1]
	ds_write_b64 v21, v[4:5] offset:5128
.LBB162_329:                            ;   in Loop: Header=BB162_18 Depth=1
	s_or_b64 exec, exec, s[6:7]
	s_waitcnt lgkmcnt(0)
	s_barrier
.LBB162_330:                            ;   in Loop: Header=BB162_18 Depth=1
	v_or_b32_e32 v27, s19, v27
	v_or_b32_e32 v26, s18, v26
	;; [unrolled: 1-line block ×4, first 2 shown]
	s_mov_b64 s[6:7], 0
	s_mov_b32 s10, 5
.LBB162_331:                            ;   in Loop: Header=BB162_18 Depth=1
	s_or_saveexec_b64 s[8:9], s[8:9]
	v_mov_b32_e32 v3, s10
	s_xor_b64 exec, exec, s[8:9]
; %bb.332:                              ;   in Loop: Header=BB162_18 Depth=1
	v_mov_b32_e32 v3, s29
	v_subrev_co_u32_e32 v28, vcc, s28, v28
	v_subb_co_u32_e32 v29, vcc, v29, v3, vcc
	v_mov_b32_e32 v3, 0
	s_or_b64 s[6:7], s[6:7], exec
; %bb.333:                              ;   in Loop: Header=BB162_18 Depth=1
	s_or_b64 exec, exec, s[8:9]
	s_and_b64 s[6:7], s[6:7], exec
	v_pk_mov_b32 v[30:31], v[28:29], v[28:29] op_sel:[0,1]
.LBB162_334:                            ;   in Loop: Header=BB162_18 Depth=1
	s_or_b64 exec, exec, s[2:3]
	s_mov_b64 s[40:41], -1
                                        ; implicit-def: $sgpr2_sgpr3
                                        ; implicit-def: $sgpr8_sgpr9
                                        ; implicit-def: $sgpr10_sgpr11
	s_and_saveexec_b64 s[12:13], s[6:7]
	s_xor_b64 s[28:29], exec, s[12:13]
	s_cbranch_execz .LBB162_483
; %bb.335:                              ;   in Loop: Header=BB162_18 Depth=1
	s_cmp_eq_u64 s[26:27], 1
	s_cselect_b64 s[2:3], -1, 0
	v_cmp_eq_u64_e32 vcc, 1, v[30:31]
	s_and_b64 s[8:9], s[2:3], vcc
	s_mov_b64 s[2:3], -1
                                        ; implicit-def: $sgpr40_sgpr41
                                        ; implicit-def: $sgpr44_sgpr45
                                        ; implicit-def: $sgpr46_sgpr47
	s_and_saveexec_b64 s[10:11], s[8:9]
	s_cbranch_execz .LBB162_369
; %bb.336:                              ;   in Loop: Header=BB162_18 Depth=1
	ds_read_b64 v[4:5], v21 offset:5120
	s_waitcnt lgkmcnt(0)
	s_barrier
	v_readfirstlane_b32 s2, v4
	v_readfirstlane_b32 s3, v5
	s_mov_b64 s[6:7], exec
	v_readlane_b32 s12, v55, 48
	v_readlane_b32 s13, v55, 49
	s_and_b64 s[12:13], s[6:7], s[12:13]
	s_mov_b64 exec, s[12:13]
	s_cbranch_execz .LBB162_338
; %bb.337:                              ;   in Loop: Header=BB162_18 Depth=1
	v_mov_b32_e32 v20, v21
	ds_write_b64 v40, v[20:21]
.LBB162_338:                            ;   in Loop: Header=BB162_18 Depth=1
	s_or_b64 exec, exec, s[6:7]
	s_lshl_b64 s[6:7], 2, s90
	v_and_b32_e32 v3, s21, v27
	v_and_b32_e32 v4, s20, v26
	v_or_b32_e32 v27, s7, v3
	v_or_b32_e32 v26, s6, v4
	v_or_b32_e32 v25, s19, v25
	v_or_b32_e32 v24, s18, v24
	s_cmp_eq_u64 s[2:3], 0
	s_waitcnt lgkmcnt(0)
	s_barrier
	s_cbranch_scc1 .LBB162_352
; %bb.339:                              ;   in Loop: Header=BB162_18 Depth=1
	v_readlane_b32 s6, v55, 52
	s_add_u32 s40, s6, s2
	v_readlane_b32 s6, v55, 54
	s_addc_u32 s7, s6, s3
	s_mov_b32 s6, s91
	s_cmp_lg_u64 s[6:7], 0
	s_cbranch_scc0 .LBB162_396
; %bb.340:                              ;   in Loop: Header=BB162_18 Depth=1
	v_cvt_f32_u32_e32 v3, s89
	s_sub_u32 s6, 0, s89
	s_subb_u32 s12, 0, 0
	v_mac_f32_e32 v3, 0, v43
	v_rcp_f32_e32 v3, v3
	v_mul_f32_e32 v3, 0x5f7ffffc, v3
	v_mul_f32_e32 v4, 0x2f800000, v3
	v_trunc_f32_e32 v4, v4
	v_mac_f32_e32 v3, 0xcf800000, v4
	v_cvt_u32_f32_e32 v4, v4
	v_cvt_u32_f32_e32 v3, v3
	v_readfirstlane_b32 s13, v4
	v_readfirstlane_b32 s41, v3
	s_mul_i32 s44, s6, s13
	s_mul_hi_u32 s46, s6, s41
	s_mul_i32 s45, s12, s41
	s_add_i32 s44, s46, s44
	s_mul_i32 s47, s6, s41
	s_add_i32 s44, s44, s45
	s_mul_hi_u32 s46, s41, s47
	s_mul_hi_u32 s45, s41, s44
	s_mul_i32 s41, s41, s44
	s_add_u32 s41, s46, s41
	s_addc_u32 s45, 0, s45
	s_mul_hi_u32 s48, s13, s47
	s_mul_i32 s47, s13, s47
	s_add_u32 s41, s41, s47
	s_mul_hi_u32 s46, s13, s44
	s_addc_u32 s41, s45, s48
	s_addc_u32 s45, s46, 0
	s_mul_i32 s44, s13, s44
	s_add_u32 s41, s41, s44
	s_addc_u32 s44, 0, s45
	v_add_co_u32_e32 v3, vcc, s41, v3
	s_cmp_lg_u64 vcc, 0
	s_addc_u32 s13, s13, s44
	v_readfirstlane_b32 s44, v3
	s_mul_i32 s41, s6, s13
	s_mul_hi_u32 s45, s6, s44
	s_add_i32 s41, s45, s41
	s_mul_i32 s12, s12, s44
	s_add_i32 s41, s41, s12
	s_mul_i32 s6, s6, s44
	s_mul_hi_u32 s45, s13, s6
	s_mul_i32 s46, s13, s6
	s_mul_i32 s48, s44, s41
	s_mul_hi_u32 s6, s44, s6
	s_mul_hi_u32 s47, s44, s41
	s_add_u32 s6, s6, s48
	s_addc_u32 s44, 0, s47
	s_add_u32 s6, s6, s46
	s_mul_hi_u32 s12, s13, s41
	s_addc_u32 s6, s44, s45
	s_addc_u32 s12, s12, 0
	s_mul_i32 s41, s13, s41
	s_add_u32 s6, s6, s41
	s_addc_u32 s12, 0, s12
	v_add_co_u32_e32 v3, vcc, s6, v3
	s_cmp_lg_u64 vcc, 0
	s_addc_u32 s6, s13, s12
	v_readfirstlane_b32 s41, v3
	s_mul_i32 s13, s40, s6
	s_mul_hi_u32 s44, s40, s41
	s_mul_hi_u32 s12, s40, s6
	s_add_u32 s13, s44, s13
	s_addc_u32 s12, 0, s12
	s_mul_hi_u32 s45, s7, s41
	s_mul_i32 s41, s7, s41
	s_add_u32 s13, s13, s41
	s_mul_hi_u32 s44, s7, s6
	s_addc_u32 s12, s12, s45
	s_addc_u32 s13, s44, 0
	s_mul_i32 s6, s7, s6
	s_add_u32 s6, s12, s6
	s_addc_u32 s12, 0, s13
	s_mul_hi_u32 s13, s89, s6
	s_mul_i32 s6, s89, s6
	s_mul_i32 s12, s89, s12
	v_mov_b32_e32 v3, s6
	s_add_i32 s13, s13, s12
	v_sub_co_u32_e32 v3, vcc, s40, v3
	s_cmp_lg_u64 vcc, 0
	s_subb_u32 s6, s7, s13
	v_subrev_co_u32_e32 v4, vcc, s89, v3
	s_cmp_lg_u64 vcc, 0
	s_subb_u32 s12, s6, 0
	v_subrev_co_u32_e32 v5, vcc, s89, v4
	s_cmp_lg_u64 vcc, 0
	s_subb_u32 s13, s12, 0
	v_cmp_le_u32_e32 vcc, s89, v4
	s_cmp_eq_u32 s12, 0
	v_cndmask_b32_e64 v6, 0, -1, vcc
	s_cselect_b64 vcc, -1, 0
	v_cndmask_b32_e32 v6, -1, v6, vcc
	v_mov_b32_e32 v7, s12
	v_mov_b32_e32 v8, s13
	v_cmp_ne_u32_e32 vcc, 0, v6
	v_cndmask_b32_e32 v6, v7, v8, vcc
	v_cndmask_b32_e32 v4, v4, v5, vcc
	v_cmp_le_u32_e32 vcc, s89, v3
	s_cmp_eq_u32 s6, 0
	v_cndmask_b32_e64 v5, 0, -1, vcc
	s_cselect_b64 vcc, -1, 0
	v_cndmask_b32_e32 v5, -1, v5, vcc
	v_mov_b32_e32 v7, s6
	v_cmp_ne_u32_e32 vcc, 0, v5
	v_cndmask_b32_e32 v5, v7, v6, vcc
	v_cndmask_b32_e32 v4, v3, v4, vcc
	s_cbranch_execnz .LBB162_342
.LBB162_341:                            ;   in Loop: Header=BB162_18 Depth=1
	v_cvt_f32_u32_e32 v3, s89
	s_sub_i32 s6, 0, s89
	v_rcp_iflag_f32_e32 v3, v3
	v_mul_f32_e32 v3, 0x4f7ffffe, v3
	v_cvt_u32_f32_e32 v3, v3
	v_mul_lo_u32 v4, s6, v3
	v_mul_hi_u32 v4, v3, v4
	v_add_u32_e32 v3, v3, v4
	v_mul_hi_u32 v3, s40, v3
	v_mul_lo_u32 v3, v3, s89
	v_sub_u32_e32 v3, s40, v3
	v_subrev_u32_e32 v4, s89, v3
	v_cmp_le_u32_e32 vcc, s89, v3
	v_cndmask_b32_e32 v3, v3, v4, vcc
	v_subrev_u32_e32 v4, s89, v3
	v_cmp_le_u32_e32 vcc, s89, v3
	v_cndmask_b32_e32 v20, v3, v4, vcc
	v_pk_mov_b32 v[4:5], v[20:21], v[20:21] op_sel:[0,1]
.LBB162_342:                            ;   in Loop: Header=BB162_18 Depth=1
	v_mov_b32_e32 v3, s7
	v_sub_co_u32_e32 v8, vcc, s40, v4
	v_subb_co_u32_e32 v9, vcc, v3, v5, vcc
	v_cmp_gt_u64_e32 vcc, v[8:9], v[0:1]
	s_mov_b64 s[12:13], 0
                                        ; implicit-def: $vgpr6_vgpr7
	s_and_saveexec_b64 s[6:7], vcc
	s_cbranch_execz .LBB162_354
; %bb.343:                              ;   in Loop: Header=BB162_18 Depth=1
	s_mov_b64 s[40:41], 0
	v_mov_b32_e32 v12, v39
	v_pk_mov_b32 v[10:11], v[0:1], v[0:1] op_sel:[0,1]
                                        ; implicit-def: $sgpr12_sgpr13
	s_branch .LBB162_345
.LBB162_344:                            ;   in Loop: Header=BB162_345 Depth=2
	s_or_b64 exec, exec, s[44:45]
	s_waitcnt lgkmcnt(0)
	s_barrier
	ds_read_b128 v[4:7], v21 offset:3072
	v_mov_b32_e32 v3, s74
	v_add_co_u32_e32 v10, vcc, s89, v10
	v_addc_co_u32_e32 v11, vcc, v11, v3, vcc
	s_waitcnt lgkmcnt(0)
	v_readfirstlane_b32 s45, v5
	v_readfirstlane_b32 s44, v4
	s_cmp_lg_u64 s[44:45], 0
	s_cselect_b64 s[44:45], -1, 0
	v_cmp_ge_u64_e32 vcc, v[10:11], v[8:9]
	s_or_b64 s[46:47], vcc, s[44:45]
	s_and_b64 s[46:47], exec, s[46:47]
	s_or_b64 s[40:41], s[46:47], s[40:41]
	s_andn2_b64 s[12:13], s[12:13], exec
	s_and_b64 s[44:45], s[44:45], exec
	v_add_u32_e32 v12, s5, v12
	s_or_b64 s[12:13], s[12:13], s[44:45]
	s_barrier
	s_andn2_b64 exec, exec, s[40:41]
	s_cbranch_execz .LBB162_353
.LBB162_345:                            ;   Parent Loop BB162_18 Depth=1
                                        ; =>  This Inner Loop Header: Depth=2
	v_cmp_gt_u64_e32 vcc, s[2:3], v[10:11]
	v_pk_mov_b32 v[4:5], 0, 0
	s_and_saveexec_b64 s[44:45], vcc
	s_cbranch_execz .LBB162_347
; %bb.346:                              ;   in Loop: Header=BB162_345 Depth=2
	ds_read_b64 v[4:5], v12
.LBB162_347:                            ;   in Loop: Header=BB162_345 Depth=2
	s_or_b64 exec, exec, s[44:45]
	s_and_saveexec_b64 s[44:45], vcc
	s_cbranch_execz .LBB162_344
; %bb.348:                              ;   in Loop: Header=BB162_345 Depth=2
	s_waitcnt lgkmcnt(0)
	v_xor_b32_e32 v3, 0x80000000, v5
	v_and_b32_e32 v7, v3, v25
	v_and_b32_e32 v6, v4, v24
	v_cmp_eq_u64_e32 vcc, v[6:7], v[26:27]
	s_and_b64 exec, exec, vcc
	s_cbranch_execz .LBB162_344
; %bb.349:                              ;   in Loop: Header=BB162_345 Depth=2
	v_mov_b32_e32 v3, v21
	ds_write_b128 v21, v[2:5] offset:3072
	s_branch .LBB162_344
.LBB162_350:                            ;   in Loop: Header=BB162_18 Depth=1
                                        ; implicit-def: $vgpr4_vgpr5
	s_branch .LBB162_297
.LBB162_351:                            ;   in Loop: Header=BB162_18 Depth=1
                                        ; implicit-def: $vgpr4_vgpr5
	s_branch .LBB162_311
.LBB162_352:                            ;   in Loop: Header=BB162_18 Depth=1
	s_mov_b64 s[40:41], -1
	s_mov_b64 s[12:13], 0
                                        ; implicit-def: $sgpr44_sgpr45
                                        ; implicit-def: $vgpr6_vgpr7
	s_mov_b64 s[46:47], s[40:41]
	s_cbranch_execnz .LBB162_355
	s_branch .LBB162_368
.LBB162_353:                            ;   in Loop: Header=BB162_18 Depth=1
	s_or_b64 exec, exec, s[40:41]
	s_and_b64 s[12:13], s[12:13], exec
.LBB162_354:                            ;   in Loop: Header=BB162_18 Depth=1
	s_or_b64 exec, exec, s[6:7]
	s_mov_b64 s[40:41], 0
	s_mov_b64 s[44:45], -1
	s_mov_b64 s[46:47], s[40:41]
	s_branch .LBB162_368
.LBB162_355:                            ;   in Loop: Header=BB162_18 Depth=1
	s_mov_b32 s72, s91
	s_cmp_lg_u64 s[72:73], 0
	s_cbranch_scc0 .LBB162_397
; %bb.356:                              ;   in Loop: Header=BB162_18 Depth=1
	v_cvt_f32_u32_e32 v3, s89
	s_sub_u32 s2, 0, s89
	s_subb_u32 s3, 0, 0
	v_mac_f32_e32 v3, 0, v43
	v_rcp_f32_e32 v3, v3
	v_mul_f32_e32 v3, 0x5f7ffffc, v3
	v_mul_f32_e32 v4, 0x2f800000, v3
	v_trunc_f32_e32 v4, v4
	v_mac_f32_e32 v3, 0xcf800000, v4
	v_cvt_u32_f32_e32 v4, v4
	v_cvt_u32_f32_e32 v3, v3
	v_readfirstlane_b32 s6, v4
	v_readfirstlane_b32 s7, v3
	s_mul_i32 s12, s2, s6
	s_mul_hi_u32 s40, s2, s7
	s_mul_i32 s13, s3, s7
	s_add_i32 s12, s40, s12
	s_mul_i32 s41, s2, s7
	s_add_i32 s12, s12, s13
	s_mul_hi_u32 s40, s7, s41
	s_mul_hi_u32 s13, s7, s12
	s_mul_i32 s7, s7, s12
	s_add_u32 s7, s40, s7
	s_addc_u32 s13, 0, s13
	s_mul_hi_u32 s44, s6, s41
	s_mul_i32 s41, s6, s41
	s_add_u32 s7, s7, s41
	s_mul_hi_u32 s40, s6, s12
	s_addc_u32 s7, s13, s44
	s_addc_u32 s13, s40, 0
	s_mul_i32 s12, s6, s12
	s_add_u32 s7, s7, s12
	s_addc_u32 s12, 0, s13
	v_add_co_u32_e32 v3, vcc, s7, v3
	s_cmp_lg_u64 vcc, 0
	s_addc_u32 s6, s6, s12
	v_readfirstlane_b32 s12, v3
	s_mul_i32 s7, s2, s6
	s_mul_hi_u32 s13, s2, s12
	s_add_i32 s7, s13, s7
	s_mul_i32 s3, s3, s12
	s_add_i32 s7, s7, s3
	s_mul_i32 s2, s2, s12
	s_mul_hi_u32 s13, s6, s2
	s_mul_i32 s40, s6, s2
	s_mul_i32 s44, s12, s7
	s_mul_hi_u32 s2, s12, s2
	s_mul_hi_u32 s41, s12, s7
	s_add_u32 s2, s2, s44
	s_addc_u32 s12, 0, s41
	s_add_u32 s2, s2, s40
	s_mul_hi_u32 s3, s6, s7
	s_addc_u32 s2, s12, s13
	s_addc_u32 s3, s3, 0
	s_mul_i32 s7, s6, s7
	s_add_u32 s2, s2, s7
	s_addc_u32 s3, 0, s3
	v_add_co_u32_e32 v3, vcc, s2, v3
	s_cmp_lg_u64 vcc, 0
	s_addc_u32 s2, s6, s3
	v_readlane_b32 s40, v55, 53
	v_readfirstlane_b32 s7, v3
	s_mul_i32 s6, s40, s2
	s_mul_hi_u32 s12, s40, s7
	s_mul_hi_u32 s3, s40, s2
	s_add_u32 s6, s12, s6
	s_addc_u32 s3, 0, s3
	s_mul_hi_u32 s13, s73, s7
	s_mul_i32 s7, s73, s7
	s_add_u32 s6, s6, s7
	s_mul_hi_u32 s12, s73, s2
	s_addc_u32 s3, s3, s13
	s_addc_u32 s6, s12, 0
	s_mul_i32 s2, s73, s2
	s_add_u32 s2, s3, s2
	s_addc_u32 s3, 0, s6
	s_mul_hi_u32 s6, s89, s2
	s_mul_i32 s2, s89, s2
	s_mul_i32 s3, s89, s3
	v_mov_b32_e32 v3, s2
	s_add_i32 s6, s6, s3
	v_sub_co_u32_e32 v3, vcc, s40, v3
	s_cmp_lg_u64 vcc, 0
	s_subb_u32 s2, s73, s6
	v_subrev_co_u32_e32 v4, vcc, s89, v3
	s_cmp_lg_u64 vcc, 0
	s_subb_u32 s3, s2, 0
	v_subrev_co_u32_e32 v5, vcc, s89, v4
	s_cmp_lg_u64 vcc, 0
	s_subb_u32 s6, s3, 0
	v_cmp_le_u32_e32 vcc, s89, v4
	s_cmp_eq_u32 s3, 0
	v_cndmask_b32_e64 v6, 0, -1, vcc
	s_cselect_b64 vcc, -1, 0
	v_cndmask_b32_e32 v6, -1, v6, vcc
	v_mov_b32_e32 v7, s3
	v_mov_b32_e32 v8, s6
	v_cmp_ne_u32_e32 vcc, 0, v6
	v_cndmask_b32_e32 v6, v7, v8, vcc
	v_cndmask_b32_e32 v4, v4, v5, vcc
	v_cmp_le_u32_e32 vcc, s89, v3
	s_cmp_eq_u32 s2, 0
	v_cndmask_b32_e64 v5, 0, -1, vcc
	s_cselect_b64 vcc, -1, 0
	v_cndmask_b32_e32 v5, -1, v5, vcc
	v_mov_b32_e32 v7, s2
	v_cmp_ne_u32_e32 vcc, 0, v5
	v_cndmask_b32_e32 v5, v7, v6, vcc
	v_cndmask_b32_e32 v4, v3, v4, vcc
	s_cbranch_execnz .LBB162_358
.LBB162_357:                            ;   in Loop: Header=BB162_18 Depth=1
	v_cvt_f32_u32_e32 v3, s89
	s_sub_i32 s2, 0, s89
	v_rcp_iflag_f32_e32 v3, v3
	v_mul_f32_e32 v3, 0x4f7ffffe, v3
	v_cvt_u32_f32_e32 v3, v3
	v_mul_lo_u32 v4, s2, v3
	v_mul_hi_u32 v4, v3, v4
	v_add_u32_e32 v3, v3, v4
	v_readlane_b32 s2, v55, 53
	v_mul_hi_u32 v3, s2, v3
	v_mul_lo_u32 v3, v3, s89
	v_sub_u32_e32 v3, s2, v3
	v_subrev_u32_e32 v4, s89, v3
	v_cmp_le_u32_e32 vcc, s89, v3
	v_cndmask_b32_e32 v3, v3, v4, vcc
	v_subrev_u32_e32 v4, s89, v3
	v_cmp_le_u32_e32 vcc, s89, v3
	v_cndmask_b32_e32 v20, v3, v4, vcc
	v_pk_mov_b32 v[4:5], v[20:21], v[20:21] op_sel:[0,1]
.LBB162_358:                            ;   in Loop: Header=BB162_18 Depth=1
	v_readlane_b32 s2, v55, 53
	v_mov_b32_e32 v3, s73
	v_sub_co_u32_e32 v8, vcc, s2, v4
	v_subb_co_u32_e32 v9, vcc, v3, v5, vcc
	v_cmp_gt_u64_e32 vcc, v[8:9], v[0:1]
	s_mov_b64 s[12:13], 0
                                        ; implicit-def: $vgpr6_vgpr7
	s_and_saveexec_b64 s[2:3], vcc
	s_cbranch_execz .LBB162_367
; %bb.359:                              ;   in Loop: Header=BB162_18 Depth=1
	s_mov_b64 s[40:41], 0
	v_pk_mov_b32 v[10:11], v[0:1], v[0:1] op_sel:[0,1]
                                        ; implicit-def: $sgpr12_sgpr13
	s_branch .LBB162_361
.LBB162_360:                            ;   in Loop: Header=BB162_361 Depth=2
	s_or_b64 exec, exec, s[6:7]
	s_waitcnt lgkmcnt(0)
	s_barrier
	s_waitcnt vmcnt(0)
	ds_read_b128 v[4:7], v21 offset:3072
	v_mov_b32_e32 v3, s74
	v_add_co_u32_e32 v10, vcc, s89, v10
	v_addc_co_u32_e32 v11, vcc, v11, v3, vcc
	s_waitcnt lgkmcnt(0)
	v_readfirstlane_b32 s7, v5
	v_readfirstlane_b32 s6, v4
	s_cmp_lg_u64 s[6:7], 0
	s_cselect_b64 s[6:7], -1, 0
	v_cmp_ge_u64_e32 vcc, v[10:11], v[8:9]
	s_or_b64 s[44:45], vcc, s[6:7]
	s_and_b64 s[44:45], exec, s[44:45]
	s_or_b64 s[40:41], s[44:45], s[40:41]
	s_andn2_b64 s[12:13], s[12:13], exec
	s_and_b64 s[6:7], s[6:7], exec
	s_or_b64 s[12:13], s[12:13], s[6:7]
	s_barrier
	s_andn2_b64 exec, exec, s[40:41]
	s_cbranch_execz .LBB162_366
.LBB162_361:                            ;   Parent Loop BB162_18 Depth=1
                                        ; =>  This Inner Loop Header: Depth=2
	v_cmp_gt_u64_e32 vcc, s[60:61], v[10:11]
	v_pk_mov_b32 v[4:5], 0, 0
	s_and_saveexec_b64 s[44:45], vcc
	s_cbranch_execz .LBB162_363
; %bb.362:                              ;   in Loop: Header=BB162_361 Depth=2
	v_mul_lo_u32 v3, v11, s58
	v_mul_lo_u32 v6, v10, s59
	v_mad_u64_u32 v[4:5], s[6:7], v10, s58, 0
	v_add3_u32 v5, v5, v6, v3
	v_lshlrev_b64 v[4:5], 3, v[4:5]
	v_mov_b32_e32 v3, s88
	v_add_co_u32_e64 v4, s[6:7], s33, v4
	v_addc_co_u32_e64 v5, s[6:7], v3, v5, s[6:7]
	global_load_dwordx2 v[4:5], v[4:5], off
.LBB162_363:                            ;   in Loop: Header=BB162_361 Depth=2
	s_or_b64 exec, exec, s[44:45]
	s_and_saveexec_b64 s[6:7], vcc
	s_cbranch_execz .LBB162_360
; %bb.364:                              ;   in Loop: Header=BB162_361 Depth=2
	s_waitcnt vmcnt(0)
	v_xor_b32_e32 v3, 0x80000000, v5
	v_and_b32_e32 v7, v3, v25
	v_and_b32_e32 v6, v4, v24
	v_cmp_eq_u64_e32 vcc, v[6:7], v[26:27]
	s_and_b64 exec, exec, vcc
	s_cbranch_execz .LBB162_360
; %bb.365:                              ;   in Loop: Header=BB162_361 Depth=2
	v_mov_b32_e32 v3, v21
	ds_write_b128 v21, v[2:5] offset:3072
	s_branch .LBB162_360
.LBB162_366:                            ;   in Loop: Header=BB162_18 Depth=1
	s_or_b64 exec, exec, s[40:41]
	s_and_b64 s[12:13], s[12:13], exec
.LBB162_367:                            ;   in Loop: Header=BB162_18 Depth=1
	s_or_b64 exec, exec, s[2:3]
	s_mov_b64 s[44:45], 0
	s_mov_b64 s[40:41], -1
	s_mov_b64 s[46:47], 0
.LBB162_368:                            ;   in Loop: Header=BB162_18 Depth=1
	s_orn2_b64 s[2:3], s[12:13], exec
.LBB162_369:                            ;   in Loop: Header=BB162_18 Depth=1
	s_or_b64 exec, exec, s[10:11]
	s_mov_b64 s[6:7], 0
                                        ; implicit-def: $vgpr3
	s_and_saveexec_b64 s[48:49], s[2:3]
	s_cbranch_execz .LBB162_482
; %bb.370:                              ;   in Loop: Header=BB162_18 Depth=1
	v_mov_b32_e32 v8, 1
	s_xor_b64 s[6:7], s[8:9], -1
	s_mov_b64 s[10:11], 0
	v_mov_b32_e32 v9, 0
	v_mov_b32_e32 v3, 1
	s_and_saveexec_b64 s[2:3], s[6:7]
	s_cbranch_execz .LBB162_380
; %bb.371:                              ;   in Loop: Header=BB162_18 Depth=1
	v_cmp_ge_u64_e32 vcc, s[26:27], v[30:31]
                                        ; implicit-def: $sgpr10
                                        ; implicit-def: $sgpr6_sgpr7
	s_and_saveexec_b64 s[8:9], vcc
	s_xor_b64 s[8:9], exec, s[8:9]
	s_cbranch_execz .LBB162_377
; %bb.372:                              ;   in Loop: Header=BB162_18 Depth=1
	ds_read_b64 v[4:5], v21 offset:5120
	s_waitcnt lgkmcnt(0)
	v_cmp_ne_u64_e32 vcc, 0, v[4:5]
	s_cbranch_vccnz .LBB162_376
; %bb.373:                              ;   in Loop: Header=BB162_18 Depth=1
	s_mov_b64 s[6:7], exec
	v_readlane_b32 s10, v55, 32
	v_readlane_b32 s11, v55, 33
	s_and_b64 s[10:11], s[6:7], s[10:11]
	s_mov_b64 exec, s[10:11]
	s_cbranch_execz .LBB162_375
; %bb.374:                              ;   in Loop: Header=BB162_18 Depth=1
	v_pk_mov_b32 v[4:5], s[26:27], s[26:27] op_sel:[0,1]
	ds_write_b64 v21, v[4:5] offset:5128
.LBB162_375:                            ;   in Loop: Header=BB162_18 Depth=1
	s_or_b64 exec, exec, s[6:7]
	s_waitcnt lgkmcnt(0)
	s_barrier
.LBB162_376:                            ;   in Loop: Header=BB162_18 Depth=1
	s_lshl_b64 s[6:7], 2, s90
	v_and_b32_e32 v3, s21, v27
	v_and_b32_e32 v4, s20, v26
	v_or_b32_e32 v27, s7, v3
	v_or_b32_e32 v26, s6, v4
	;; [unrolled: 1-line block ×4, first 2 shown]
	s_mov_b64 s[6:7], 0
	s_mov_b32 s10, 5
.LBB162_377:                            ;   in Loop: Header=BB162_18 Depth=1
	s_or_saveexec_b64 s[8:9], s[8:9]
	v_mov_b32_e32 v3, s10
	s_xor_b64 exec, exec, s[8:9]
; %bb.378:                              ;   in Loop: Header=BB162_18 Depth=1
	v_mov_b32_e32 v3, s27
	v_subrev_co_u32_e32 v30, vcc, s26, v30
	v_subb_co_u32_e32 v31, vcc, v31, v3, vcc
	v_mov_b32_e32 v3, 0
	s_or_b64 s[6:7], s[6:7], exec
; %bb.379:                              ;   in Loop: Header=BB162_18 Depth=1
	s_or_b64 exec, exec, s[8:9]
	s_and_b64 s[10:11], s[6:7], exec
	v_pk_mov_b32 v[8:9], v[30:31], v[30:31] op_sel:[0,1]
.LBB162_380:                            ;   in Loop: Header=BB162_18 Depth=1
	s_or_b64 exec, exec, s[2:3]
	s_mov_b64 s[2:3], -1
                                        ; implicit-def: $sgpr6_sgpr7
                                        ; implicit-def: $sgpr8_sgpr9
                                        ; implicit-def: $sgpr12_sgpr13
	s_and_saveexec_b64 s[26:27], s[10:11]
	s_cbranch_execz .LBB162_481
; %bb.381:                              ;   in Loop: Header=BB162_18 Depth=1
	s_cmp_eq_u64 s[22:23], 1
	s_cselect_b64 s[2:3], -1, 0
	v_cmp_eq_u64_e32 vcc, 1, v[8:9]
	s_and_b64 s[54:55], s[2:3], vcc
	s_mov_b64 s[6:7], -1
                                        ; implicit-def: $sgpr8_sgpr9
                                        ; implicit-def: $sgpr50_sgpr51
                                        ; implicit-def: $sgpr10_sgpr11
	s_and_saveexec_b64 s[52:53], s[54:55]
	s_cbranch_execz .LBB162_415
; %bb.382:                              ;   in Loop: Header=BB162_18 Depth=1
	ds_read_b64 v[4:5], v21 offset:5120
	s_waitcnt lgkmcnt(0)
	s_barrier
	v_readfirstlane_b32 s2, v4
	v_readfirstlane_b32 s3, v5
	s_mov_b64 s[6:7], exec
	v_readlane_b32 s8, v55, 48
	v_readlane_b32 s9, v55, 49
	s_and_b64 s[8:9], s[6:7], s[8:9]
	s_mov_b64 exec, s[8:9]
	s_cbranch_execz .LBB162_384
; %bb.383:                              ;   in Loop: Header=BB162_18 Depth=1
	v_mov_b32_e32 v20, v21
	ds_write_b64 v40, v[20:21]
.LBB162_384:                            ;   in Loop: Header=BB162_18 Depth=1
	s_or_b64 exec, exec, s[6:7]
	s_lshl_b64 s[6:7], 1, s90
	v_and_b32_e32 v3, s21, v27
	v_and_b32_e32 v4, s20, v26
	v_or_b32_e32 v27, s7, v3
	v_or_b32_e32 v26, s6, v4
	;; [unrolled: 1-line block ×4, first 2 shown]
	s_cmp_eq_u64 s[2:3], 0
	s_waitcnt lgkmcnt(0)
	s_barrier
	s_cbranch_scc1 .LBB162_398
; %bb.385:                              ;   in Loop: Header=BB162_18 Depth=1
	v_readlane_b32 s6, v55, 52
	s_add_u32 s10, s6, s2
	v_readlane_b32 s6, v55, 54
	s_addc_u32 s7, s6, s3
	s_mov_b32 s6, s91
	s_cmp_lg_u64 s[6:7], 0
	s_cbranch_scc0 .LBB162_433
; %bb.386:                              ;   in Loop: Header=BB162_18 Depth=1
	v_cvt_f32_u32_e32 v3, s89
	s_sub_u32 s6, 0, s89
	s_subb_u32 s8, 0, 0
	v_mac_f32_e32 v3, 0, v43
	v_rcp_f32_e32 v3, v3
	v_mul_f32_e32 v3, 0x5f7ffffc, v3
	v_mul_f32_e32 v4, 0x2f800000, v3
	v_trunc_f32_e32 v4, v4
	v_mac_f32_e32 v3, 0xcf800000, v4
	v_cvt_u32_f32_e32 v4, v4
	v_cvt_u32_f32_e32 v3, v3
	v_readfirstlane_b32 s9, v4
	v_readfirstlane_b32 s11, v3
	s_mul_i32 s12, s6, s9
	s_mul_hi_u32 s50, s6, s11
	s_mul_i32 s13, s8, s11
	s_add_i32 s12, s50, s12
	s_mul_i32 s51, s6, s11
	s_add_i32 s12, s12, s13
	s_mul_hi_u32 s50, s11, s51
	s_mul_hi_u32 s13, s11, s12
	s_mul_i32 s11, s11, s12
	s_add_u32 s11, s50, s11
	s_addc_u32 s13, 0, s13
	s_mul_hi_u32 s56, s9, s51
	s_mul_i32 s51, s9, s51
	s_add_u32 s11, s11, s51
	s_mul_hi_u32 s50, s9, s12
	s_addc_u32 s11, s13, s56
	s_addc_u32 s13, s50, 0
	s_mul_i32 s12, s9, s12
	s_add_u32 s11, s11, s12
	s_addc_u32 s12, 0, s13
	v_add_co_u32_e32 v3, vcc, s11, v3
	s_cmp_lg_u64 vcc, 0
	s_addc_u32 s9, s9, s12
	v_readfirstlane_b32 s12, v3
	s_mul_i32 s11, s6, s9
	s_mul_hi_u32 s13, s6, s12
	s_add_i32 s11, s13, s11
	s_mul_i32 s8, s8, s12
	s_add_i32 s11, s11, s8
	s_mul_i32 s6, s6, s12
	s_mul_hi_u32 s13, s9, s6
	s_mul_i32 s50, s9, s6
	s_mul_i32 s56, s12, s11
	s_mul_hi_u32 s6, s12, s6
	s_mul_hi_u32 s51, s12, s11
	s_add_u32 s6, s6, s56
	s_addc_u32 s12, 0, s51
	s_add_u32 s6, s6, s50
	s_mul_hi_u32 s8, s9, s11
	s_addc_u32 s6, s12, s13
	s_addc_u32 s8, s8, 0
	s_mul_i32 s11, s9, s11
	s_add_u32 s6, s6, s11
	s_addc_u32 s8, 0, s8
	v_add_co_u32_e32 v3, vcc, s6, v3
	s_cmp_lg_u64 vcc, 0
	s_addc_u32 s6, s9, s8
	v_readfirstlane_b32 s11, v3
	s_mul_i32 s9, s10, s6
	s_mul_hi_u32 s12, s10, s11
	s_mul_hi_u32 s8, s10, s6
	s_add_u32 s9, s12, s9
	s_addc_u32 s8, 0, s8
	s_mul_hi_u32 s13, s7, s11
	s_mul_i32 s11, s7, s11
	s_add_u32 s9, s9, s11
	s_mul_hi_u32 s12, s7, s6
	s_addc_u32 s8, s8, s13
	s_addc_u32 s9, s12, 0
	s_mul_i32 s6, s7, s6
	s_add_u32 s6, s8, s6
	s_addc_u32 s8, 0, s9
	s_mul_hi_u32 s9, s89, s6
	s_mul_i32 s6, s89, s6
	s_mul_i32 s8, s89, s8
	v_mov_b32_e32 v3, s6
	s_add_i32 s9, s9, s8
	v_sub_co_u32_e32 v3, vcc, s10, v3
	s_cmp_lg_u64 vcc, 0
	s_subb_u32 s6, s7, s9
	v_subrev_co_u32_e32 v4, vcc, s89, v3
	s_cmp_lg_u64 vcc, 0
	s_subb_u32 s8, s6, 0
	v_subrev_co_u32_e32 v5, vcc, s89, v4
	s_cmp_lg_u64 vcc, 0
	s_subb_u32 s9, s8, 0
	v_cmp_le_u32_e32 vcc, s89, v4
	s_cmp_eq_u32 s8, 0
	v_cndmask_b32_e64 v6, 0, -1, vcc
	s_cselect_b64 vcc, -1, 0
	v_cndmask_b32_e32 v6, -1, v6, vcc
	v_mov_b32_e32 v7, s8
	v_mov_b32_e32 v10, s9
	v_cmp_ne_u32_e32 vcc, 0, v6
	v_cndmask_b32_e32 v6, v7, v10, vcc
	v_cndmask_b32_e32 v4, v4, v5, vcc
	v_cmp_le_u32_e32 vcc, s89, v3
	s_cmp_eq_u32 s6, 0
	v_cndmask_b32_e64 v5, 0, -1, vcc
	s_cselect_b64 vcc, -1, 0
	v_cndmask_b32_e32 v5, -1, v5, vcc
	v_mov_b32_e32 v7, s6
	v_cmp_ne_u32_e32 vcc, 0, v5
	v_cndmask_b32_e32 v5, v7, v6, vcc
	v_cndmask_b32_e32 v4, v3, v4, vcc
	s_cbranch_execnz .LBB162_388
.LBB162_387:                            ;   in Loop: Header=BB162_18 Depth=1
	v_cvt_f32_u32_e32 v3, s89
	s_sub_i32 s6, 0, s89
	v_rcp_iflag_f32_e32 v3, v3
	v_mul_f32_e32 v3, 0x4f7ffffe, v3
	v_cvt_u32_f32_e32 v3, v3
	v_mul_lo_u32 v4, s6, v3
	v_mul_hi_u32 v4, v3, v4
	v_add_u32_e32 v3, v3, v4
	v_mul_hi_u32 v3, s10, v3
	v_mul_lo_u32 v3, v3, s89
	v_sub_u32_e32 v3, s10, v3
	v_subrev_u32_e32 v4, s89, v3
	v_cmp_le_u32_e32 vcc, s89, v3
	v_cndmask_b32_e32 v3, v3, v4, vcc
	v_subrev_u32_e32 v4, s89, v3
	v_cmp_le_u32_e32 vcc, s89, v3
	v_cndmask_b32_e32 v20, v3, v4, vcc
	v_pk_mov_b32 v[4:5], v[20:21], v[20:21] op_sel:[0,1]
.LBB162_388:                            ;   in Loop: Header=BB162_18 Depth=1
	v_mov_b32_e32 v3, s7
	v_sub_co_u32_e32 v10, vcc, s10, v4
	v_subb_co_u32_e32 v11, vcc, v3, v5, vcc
	v_cmp_gt_u64_e32 vcc, v[10:11], v[0:1]
	s_mov_b64 s[12:13], 0
                                        ; implicit-def: $vgpr6_vgpr7
	s_and_saveexec_b64 s[6:7], vcc
	s_cbranch_execz .LBB162_400
; %bb.389:                              ;   in Loop: Header=BB162_18 Depth=1
	s_mov_b64 s[10:11], 0
	v_mov_b32_e32 v14, v39
	v_pk_mov_b32 v[12:13], v[0:1], v[0:1] op_sel:[0,1]
                                        ; implicit-def: $sgpr8_sgpr9
	s_branch .LBB162_391
.LBB162_390:                            ;   in Loop: Header=BB162_391 Depth=2
	s_or_b64 exec, exec, s[12:13]
	s_waitcnt lgkmcnt(0)
	s_barrier
	ds_read_b128 v[4:7], v21 offset:3072
	v_mov_b32_e32 v3, s74
	v_add_co_u32_e32 v12, vcc, s89, v12
	v_addc_co_u32_e32 v13, vcc, v13, v3, vcc
	s_waitcnt lgkmcnt(0)
	v_readfirstlane_b32 s13, v5
	v_readfirstlane_b32 s12, v4
	s_cmp_lg_u64 s[12:13], 0
	s_cselect_b64 s[12:13], -1, 0
	v_cmp_ge_u64_e32 vcc, v[12:13], v[10:11]
	s_or_b64 s[50:51], vcc, s[12:13]
	s_and_b64 s[50:51], exec, s[50:51]
	s_or_b64 s[10:11], s[50:51], s[10:11]
	s_andn2_b64 s[8:9], s[8:9], exec
	s_and_b64 s[12:13], s[12:13], exec
	v_add_u32_e32 v14, s5, v14
	s_or_b64 s[8:9], s[8:9], s[12:13]
	s_barrier
	s_andn2_b64 exec, exec, s[10:11]
	s_cbranch_execz .LBB162_399
.LBB162_391:                            ;   Parent Loop BB162_18 Depth=1
                                        ; =>  This Inner Loop Header: Depth=2
	v_cmp_gt_u64_e32 vcc, s[2:3], v[12:13]
	v_pk_mov_b32 v[4:5], 0, 0
	s_and_saveexec_b64 s[12:13], vcc
	s_cbranch_execz .LBB162_393
; %bb.392:                              ;   in Loop: Header=BB162_391 Depth=2
	ds_read_b64 v[4:5], v14
.LBB162_393:                            ;   in Loop: Header=BB162_391 Depth=2
	s_or_b64 exec, exec, s[12:13]
	s_and_saveexec_b64 s[12:13], vcc
	s_cbranch_execz .LBB162_390
; %bb.394:                              ;   in Loop: Header=BB162_391 Depth=2
	s_waitcnt lgkmcnt(0)
	v_xor_b32_e32 v3, 0x80000000, v5
	v_and_b32_e32 v7, v3, v25
	v_and_b32_e32 v6, v4, v24
	v_cmp_eq_u64_e32 vcc, v[6:7], v[26:27]
	s_and_b64 exec, exec, vcc
	s_cbranch_execz .LBB162_390
; %bb.395:                              ;   in Loop: Header=BB162_391 Depth=2
	v_mov_b32_e32 v3, v21
	ds_write_b128 v21, v[2:5] offset:3072
	s_branch .LBB162_390
.LBB162_396:                            ;   in Loop: Header=BB162_18 Depth=1
                                        ; implicit-def: $vgpr4_vgpr5
	s_branch .LBB162_341
.LBB162_397:                            ;   in Loop: Header=BB162_18 Depth=1
                                        ; implicit-def: $vgpr4_vgpr5
	s_branch .LBB162_357
.LBB162_398:                            ;   in Loop: Header=BB162_18 Depth=1
	s_mov_b64 s[8:9], -1
	s_mov_b64 s[12:13], 0
                                        ; implicit-def: $sgpr50_sgpr51
                                        ; implicit-def: $vgpr6_vgpr7
	s_mov_b64 s[10:11], s[8:9]
	s_cbranch_execnz .LBB162_401
	s_branch .LBB162_414
.LBB162_399:                            ;   in Loop: Header=BB162_18 Depth=1
	s_or_b64 exec, exec, s[10:11]
	s_and_b64 s[12:13], s[8:9], exec
.LBB162_400:                            ;   in Loop: Header=BB162_18 Depth=1
	s_or_b64 exec, exec, s[6:7]
	s_mov_b64 s[8:9], 0
	s_mov_b64 s[50:51], -1
	s_mov_b64 s[10:11], s[8:9]
	s_branch .LBB162_414
.LBB162_401:                            ;   in Loop: Header=BB162_18 Depth=1
	s_mov_b32 s72, s91
	s_cmp_lg_u64 s[72:73], 0
	s_cbranch_scc0 .LBB162_434
; %bb.402:                              ;   in Loop: Header=BB162_18 Depth=1
	v_cvt_f32_u32_e32 v3, s89
	s_sub_u32 s2, 0, s89
	s_subb_u32 s3, 0, 0
	v_mac_f32_e32 v3, 0, v43
	v_rcp_f32_e32 v3, v3
	v_mul_f32_e32 v3, 0x5f7ffffc, v3
	v_mul_f32_e32 v4, 0x2f800000, v3
	v_trunc_f32_e32 v4, v4
	v_mac_f32_e32 v3, 0xcf800000, v4
	v_cvt_u32_f32_e32 v4, v4
	v_cvt_u32_f32_e32 v3, v3
	v_readfirstlane_b32 s6, v4
	v_readfirstlane_b32 s7, v3
	s_mul_i32 s8, s2, s6
	s_mul_hi_u32 s10, s2, s7
	s_mul_i32 s9, s3, s7
	s_add_i32 s8, s10, s8
	s_mul_i32 s11, s2, s7
	s_add_i32 s8, s8, s9
	s_mul_hi_u32 s10, s7, s11
	s_mul_hi_u32 s9, s7, s8
	s_mul_i32 s7, s7, s8
	s_add_u32 s7, s10, s7
	s_addc_u32 s9, 0, s9
	s_mul_hi_u32 s12, s6, s11
	s_mul_i32 s11, s6, s11
	s_add_u32 s7, s7, s11
	s_mul_hi_u32 s10, s6, s8
	s_addc_u32 s7, s9, s12
	s_addc_u32 s9, s10, 0
	s_mul_i32 s8, s6, s8
	s_add_u32 s7, s7, s8
	s_addc_u32 s8, 0, s9
	v_add_co_u32_e32 v3, vcc, s7, v3
	s_cmp_lg_u64 vcc, 0
	s_addc_u32 s6, s6, s8
	v_readfirstlane_b32 s8, v3
	s_mul_i32 s7, s2, s6
	s_mul_hi_u32 s9, s2, s8
	s_add_i32 s7, s9, s7
	s_mul_i32 s3, s3, s8
	s_add_i32 s7, s7, s3
	s_mul_i32 s2, s2, s8
	s_mul_hi_u32 s9, s6, s2
	s_mul_i32 s10, s6, s2
	s_mul_i32 s12, s8, s7
	s_mul_hi_u32 s2, s8, s2
	s_mul_hi_u32 s11, s8, s7
	s_add_u32 s2, s2, s12
	s_addc_u32 s8, 0, s11
	s_add_u32 s2, s2, s10
	s_mul_hi_u32 s3, s6, s7
	s_addc_u32 s2, s8, s9
	s_addc_u32 s3, s3, 0
	s_mul_i32 s7, s6, s7
	s_add_u32 s2, s2, s7
	s_addc_u32 s3, 0, s3
	v_add_co_u32_e32 v3, vcc, s2, v3
	s_cmp_lg_u64 vcc, 0
	s_addc_u32 s2, s6, s3
	v_readlane_b32 s10, v55, 53
	v_readfirstlane_b32 s7, v3
	s_mul_i32 s6, s10, s2
	s_mul_hi_u32 s8, s10, s7
	s_mul_hi_u32 s3, s10, s2
	s_add_u32 s6, s8, s6
	s_addc_u32 s3, 0, s3
	s_mul_hi_u32 s9, s73, s7
	s_mul_i32 s7, s73, s7
	s_add_u32 s6, s6, s7
	s_mul_hi_u32 s8, s73, s2
	s_addc_u32 s3, s3, s9
	s_addc_u32 s6, s8, 0
	s_mul_i32 s2, s73, s2
	s_add_u32 s2, s3, s2
	s_addc_u32 s3, 0, s6
	s_mul_hi_u32 s6, s89, s2
	s_mul_i32 s2, s89, s2
	s_mul_i32 s3, s89, s3
	v_mov_b32_e32 v3, s2
	s_add_i32 s6, s6, s3
	v_sub_co_u32_e32 v3, vcc, s10, v3
	s_cmp_lg_u64 vcc, 0
	s_subb_u32 s2, s73, s6
	v_subrev_co_u32_e32 v4, vcc, s89, v3
	s_cmp_lg_u64 vcc, 0
	s_subb_u32 s3, s2, 0
	v_subrev_co_u32_e32 v5, vcc, s89, v4
	s_cmp_lg_u64 vcc, 0
	s_subb_u32 s6, s3, 0
	v_cmp_le_u32_e32 vcc, s89, v4
	s_cmp_eq_u32 s3, 0
	v_cndmask_b32_e64 v6, 0, -1, vcc
	s_cselect_b64 vcc, -1, 0
	v_cndmask_b32_e32 v6, -1, v6, vcc
	v_mov_b32_e32 v7, s3
	v_mov_b32_e32 v10, s6
	v_cmp_ne_u32_e32 vcc, 0, v6
	v_cndmask_b32_e32 v6, v7, v10, vcc
	v_cndmask_b32_e32 v4, v4, v5, vcc
	v_cmp_le_u32_e32 vcc, s89, v3
	s_cmp_eq_u32 s2, 0
	v_cndmask_b32_e64 v5, 0, -1, vcc
	s_cselect_b64 vcc, -1, 0
	v_cndmask_b32_e32 v5, -1, v5, vcc
	v_mov_b32_e32 v7, s2
	v_cmp_ne_u32_e32 vcc, 0, v5
	v_cndmask_b32_e32 v5, v7, v6, vcc
	v_cndmask_b32_e32 v4, v3, v4, vcc
	s_cbranch_execnz .LBB162_404
.LBB162_403:                            ;   in Loop: Header=BB162_18 Depth=1
	v_cvt_f32_u32_e32 v3, s89
	s_sub_i32 s2, 0, s89
	v_rcp_iflag_f32_e32 v3, v3
	v_mul_f32_e32 v3, 0x4f7ffffe, v3
	v_cvt_u32_f32_e32 v3, v3
	v_mul_lo_u32 v4, s2, v3
	v_mul_hi_u32 v4, v3, v4
	v_add_u32_e32 v3, v3, v4
	v_readlane_b32 s2, v55, 53
	v_mul_hi_u32 v3, s2, v3
	v_mul_lo_u32 v3, v3, s89
	v_sub_u32_e32 v3, s2, v3
	v_subrev_u32_e32 v4, s89, v3
	v_cmp_le_u32_e32 vcc, s89, v3
	v_cndmask_b32_e32 v3, v3, v4, vcc
	v_subrev_u32_e32 v4, s89, v3
	v_cmp_le_u32_e32 vcc, s89, v3
	v_cndmask_b32_e32 v20, v3, v4, vcc
	v_pk_mov_b32 v[4:5], v[20:21], v[20:21] op_sel:[0,1]
.LBB162_404:                            ;   in Loop: Header=BB162_18 Depth=1
	v_readlane_b32 s2, v55, 53
	v_mov_b32_e32 v3, s73
	v_sub_co_u32_e32 v10, vcc, s2, v4
	v_subb_co_u32_e32 v11, vcc, v3, v5, vcc
	v_cmp_gt_u64_e32 vcc, v[10:11], v[0:1]
	s_mov_b64 s[12:13], 0
                                        ; implicit-def: $vgpr6_vgpr7
	s_and_saveexec_b64 s[2:3], vcc
	s_cbranch_execz .LBB162_413
; %bb.405:                              ;   in Loop: Header=BB162_18 Depth=1
	s_mov_b64 s[10:11], 0
	v_pk_mov_b32 v[12:13], v[0:1], v[0:1] op_sel:[0,1]
                                        ; implicit-def: $sgpr8_sgpr9
	s_branch .LBB162_407
.LBB162_406:                            ;   in Loop: Header=BB162_407 Depth=2
	s_or_b64 exec, exec, s[6:7]
	s_waitcnt lgkmcnt(0)
	s_barrier
	s_waitcnt vmcnt(0)
	ds_read_b128 v[4:7], v21 offset:3072
	v_mov_b32_e32 v3, s74
	v_add_co_u32_e32 v12, vcc, s89, v12
	v_addc_co_u32_e32 v13, vcc, v13, v3, vcc
	s_waitcnt lgkmcnt(0)
	v_readfirstlane_b32 s7, v5
	v_readfirstlane_b32 s6, v4
	s_cmp_lg_u64 s[6:7], 0
	s_cselect_b64 s[6:7], -1, 0
	v_cmp_ge_u64_e32 vcc, v[12:13], v[10:11]
	s_or_b64 s[12:13], vcc, s[6:7]
	s_and_b64 s[12:13], exec, s[12:13]
	s_or_b64 s[10:11], s[12:13], s[10:11]
	s_andn2_b64 s[8:9], s[8:9], exec
	s_and_b64 s[6:7], s[6:7], exec
	s_or_b64 s[8:9], s[8:9], s[6:7]
	s_barrier
	s_andn2_b64 exec, exec, s[10:11]
	s_cbranch_execz .LBB162_412
.LBB162_407:                            ;   Parent Loop BB162_18 Depth=1
                                        ; =>  This Inner Loop Header: Depth=2
	v_cmp_gt_u64_e32 vcc, s[60:61], v[12:13]
	v_pk_mov_b32 v[4:5], 0, 0
	s_and_saveexec_b64 s[12:13], vcc
	s_cbranch_execz .LBB162_409
; %bb.408:                              ;   in Loop: Header=BB162_407 Depth=2
	v_mul_lo_u32 v3, v13, s58
	v_mul_lo_u32 v6, v12, s59
	v_mad_u64_u32 v[4:5], s[6:7], v12, s58, 0
	v_add3_u32 v5, v5, v6, v3
	v_lshlrev_b64 v[4:5], 3, v[4:5]
	v_mov_b32_e32 v3, s88
	v_add_co_u32_e64 v4, s[6:7], s33, v4
	v_addc_co_u32_e64 v5, s[6:7], v3, v5, s[6:7]
	global_load_dwordx2 v[4:5], v[4:5], off
.LBB162_409:                            ;   in Loop: Header=BB162_407 Depth=2
	s_or_b64 exec, exec, s[12:13]
	s_and_saveexec_b64 s[6:7], vcc
	s_cbranch_execz .LBB162_406
; %bb.410:                              ;   in Loop: Header=BB162_407 Depth=2
	s_waitcnt vmcnt(0)
	v_xor_b32_e32 v3, 0x80000000, v5
	v_and_b32_e32 v7, v3, v25
	v_and_b32_e32 v6, v4, v24
	v_cmp_eq_u64_e32 vcc, v[6:7], v[26:27]
	s_and_b64 exec, exec, vcc
	s_cbranch_execz .LBB162_406
; %bb.411:                              ;   in Loop: Header=BB162_407 Depth=2
	v_mov_b32_e32 v3, v21
	ds_write_b128 v21, v[2:5] offset:3072
	s_branch .LBB162_406
.LBB162_412:                            ;   in Loop: Header=BB162_18 Depth=1
	s_or_b64 exec, exec, s[10:11]
	s_and_b64 s[12:13], s[8:9], exec
.LBB162_413:                            ;   in Loop: Header=BB162_18 Depth=1
	s_or_b64 exec, exec, s[2:3]
	s_mov_b64 s[50:51], 0
	s_mov_b64 s[8:9], -1
	s_mov_b64 s[10:11], 0
.LBB162_414:                            ;   in Loop: Header=BB162_18 Depth=1
	s_orn2_b64 s[6:7], s[12:13], exec
.LBB162_415:                            ;   in Loop: Header=BB162_18 Depth=1
	s_or_b64 exec, exec, s[52:53]
	s_mov_b64 s[2:3], 0
                                        ; implicit-def: $vgpr3
	s_and_saveexec_b64 s[52:53], s[6:7]
	s_cbranch_execz .LBB162_480
; %bb.416:                              ;   in Loop: Header=BB162_18 Depth=1
	v_mov_b32_e32 v10, 1
	s_xor_b64 s[6:7], s[54:55], -1
	s_mov_b64 s[56:57], 0
	v_mov_b32_e32 v11, 0
	v_mov_b32_e32 v3, 1
	s_and_saveexec_b64 s[2:3], s[6:7]
	s_cbranch_execz .LBB162_426
; %bb.417:                              ;   in Loop: Header=BB162_18 Depth=1
	v_cmp_ge_u64_e32 vcc, s[22:23], v[8:9]
                                        ; implicit-def: $sgpr54
                                        ; implicit-def: $sgpr6_sgpr7
	s_and_saveexec_b64 s[12:13], vcc
	s_xor_b64 s[12:13], exec, s[12:13]
	s_cbranch_execz .LBB162_423
; %bb.418:                              ;   in Loop: Header=BB162_18 Depth=1
	ds_read_b64 v[4:5], v21 offset:5120
	s_waitcnt lgkmcnt(0)
	v_cmp_ne_u64_e32 vcc, 0, v[4:5]
	s_cbranch_vccnz .LBB162_422
; %bb.419:                              ;   in Loop: Header=BB162_18 Depth=1
	s_mov_b64 s[6:7], exec
	v_readlane_b32 s54, v55, 32
	v_readlane_b32 s55, v55, 33
	s_and_b64 s[54:55], s[6:7], s[54:55]
	s_mov_b64 exec, s[54:55]
	s_cbranch_execz .LBB162_421
; %bb.420:                              ;   in Loop: Header=BB162_18 Depth=1
	v_pk_mov_b32 v[4:5], s[22:23], s[22:23] op_sel:[0,1]
	ds_write_b64 v21, v[4:5] offset:5128
.LBB162_421:                            ;   in Loop: Header=BB162_18 Depth=1
	s_or_b64 exec, exec, s[6:7]
	s_waitcnt lgkmcnt(0)
	s_barrier
.LBB162_422:                            ;   in Loop: Header=BB162_18 Depth=1
	s_lshl_b64 s[6:7], 1, s90
	v_and_b32_e32 v3, s21, v27
	v_and_b32_e32 v4, s20, v26
	v_or_b32_e32 v27, s7, v3
	v_or_b32_e32 v26, s6, v4
	;; [unrolled: 1-line block ×4, first 2 shown]
	s_mov_b64 s[6:7], 0
	s_mov_b32 s54, 5
.LBB162_423:                            ;   in Loop: Header=BB162_18 Depth=1
	s_or_saveexec_b64 s[12:13], s[12:13]
	v_mov_b32_e32 v3, s54
	s_xor_b64 exec, exec, s[12:13]
; %bb.424:                              ;   in Loop: Header=BB162_18 Depth=1
	v_mov_b32_e32 v3, s23
	v_subrev_co_u32_e32 v8, vcc, s22, v8
	v_subb_co_u32_e32 v9, vcc, v9, v3, vcc
	v_mov_b32_e32 v3, 0
	s_or_b64 s[6:7], s[6:7], exec
; %bb.425:                              ;   in Loop: Header=BB162_18 Depth=1
	s_or_b64 exec, exec, s[12:13]
	s_and_b64 s[56:57], s[6:7], exec
	v_pk_mov_b32 v[10:11], v[8:9], v[8:9] op_sel:[0,1]
.LBB162_426:                            ;   in Loop: Header=BB162_18 Depth=1
	s_or_b64 exec, exec, s[2:3]
	s_mov_b64 s[54:55], -1
                                        ; implicit-def: $sgpr2_sgpr3
                                        ; implicit-def: $sgpr6_sgpr7
                                        ; implicit-def: $sgpr12_sgpr13
	s_and_saveexec_b64 s[22:23], s[56:57]
	s_cbranch_execz .LBB162_479
; %bb.427:                              ;   in Loop: Header=BB162_18 Depth=1
	s_cmp_eq_u64 s[16:17], 1
	s_cselect_b64 s[2:3], -1, 0
	v_cmp_eq_u64_e32 vcc, 1, v[10:11]
	s_and_b64 s[54:55], s[2:3], vcc
	s_mov_b64 s[92:93], -1
                                        ; implicit-def: $sgpr2_sgpr3
                                        ; implicit-def: $sgpr6_sgpr7
                                        ; implicit-def: $sgpr12_sgpr13
	s_and_saveexec_b64 s[56:57], s[54:55]
	s_cbranch_execz .LBB162_466
; %bb.428:                              ;   in Loop: Header=BB162_18 Depth=1
	ds_read_b64 v[4:5], v21 offset:5120
	s_waitcnt lgkmcnt(0)
	s_barrier
	v_readfirstlane_b32 s2, v4
	v_readfirstlane_b32 s3, v5
	s_mov_b64 s[6:7], exec
	v_readlane_b32 s12, v55, 48
	v_readlane_b32 s13, v55, 49
	s_and_b64 s[12:13], s[6:7], s[12:13]
	s_mov_b64 exec, s[12:13]
	s_cbranch_execz .LBB162_430
; %bb.429:                              ;   in Loop: Header=BB162_18 Depth=1
	v_mov_b32_e32 v20, v21
	ds_write_b64 v40, v[20:21]
.LBB162_430:                            ;   in Loop: Header=BB162_18 Depth=1
	s_or_b64 exec, exec, s[6:7]
	v_and_b32_e32 v27, s21, v27
	v_and_b32_e32 v26, s20, v26
	v_or_b32_e32 v25, s19, v25
	v_or_b32_e32 v24, s18, v24
	s_cmp_eq_u64 s[2:3], 0
	s_waitcnt lgkmcnt(0)
	s_barrier
	v_writelane_b32 v55, s54, 63
	v_writelane_b32 v54, s55, 0
	s_cbranch_scc1 .LBB162_435
; %bb.431:                              ;   in Loop: Header=BB162_18 Depth=1
	v_readlane_b32 s6, v55, 52
	s_add_u32 s72, s6, s2
	v_readlane_b32 s6, v55, 54
	s_addc_u32 s7, s6, s3
	s_mov_b32 s6, s91
	s_cmp_lg_u64 s[6:7], 0
	s_cbranch_scc0 .LBB162_436
; %bb.432:                              ;   in Loop: Header=BB162_18 Depth=1
	v_cvt_f32_u32_e32 v3, s89
	s_sub_u32 s6, 0, s89
	s_subb_u32 s12, 0, 0
	v_mac_f32_e32 v3, 0, v43
	v_rcp_f32_e32 v3, v3
	v_mul_f32_e32 v3, 0x5f7ffffc, v3
	v_mul_f32_e32 v4, 0x2f800000, v3
	v_trunc_f32_e32 v4, v4
	v_mac_f32_e32 v3, 0xcf800000, v4
	v_cvt_u32_f32_e32 v4, v4
	v_cvt_u32_f32_e32 v3, v3
	v_readfirstlane_b32 s13, v4
	v_readfirstlane_b32 s54, v3
	s_mul_i32 s55, s6, s13
	s_mul_hi_u32 s92, s6, s54
	s_mul_i32 s90, s12, s54
	s_add_i32 s55, s92, s55
	s_mul_i32 s93, s6, s54
	s_add_i32 s55, s55, s90
	s_mul_hi_u32 s92, s54, s93
	s_mul_hi_u32 s90, s54, s55
	s_mul_i32 s54, s54, s55
	s_add_u32 s54, s92, s54
	s_addc_u32 s90, 0, s90
	s_mul_hi_u32 s94, s13, s93
	s_mul_i32 s93, s13, s93
	s_add_u32 s54, s54, s93
	s_mul_hi_u32 s92, s13, s55
	s_addc_u32 s54, s90, s94
	s_addc_u32 s90, s92, 0
	s_mul_i32 s55, s13, s55
	s_add_u32 s54, s54, s55
	s_addc_u32 s55, 0, s90
	v_add_co_u32_e32 v3, vcc, s54, v3
	s_cmp_lg_u64 vcc, 0
	s_addc_u32 s13, s13, s55
	v_readfirstlane_b32 s55, v3
	s_mul_i32 s54, s6, s13
	s_mul_hi_u32 s90, s6, s55
	s_add_i32 s54, s90, s54
	s_mul_i32 s12, s12, s55
	s_add_i32 s54, s54, s12
	s_mul_i32 s6, s6, s55
	s_mul_hi_u32 s90, s13, s6
	s_mul_i32 s92, s13, s6
	s_mul_i32 s94, s55, s54
	s_mul_hi_u32 s6, s55, s6
	s_mul_hi_u32 s93, s55, s54
	s_add_u32 s6, s6, s94
	s_addc_u32 s55, 0, s93
	s_add_u32 s6, s6, s92
	s_mul_hi_u32 s12, s13, s54
	s_addc_u32 s6, s55, s90
	s_addc_u32 s12, s12, 0
	s_mul_i32 s54, s13, s54
	s_add_u32 s6, s6, s54
	s_addc_u32 s12, 0, s12
	v_add_co_u32_e32 v3, vcc, s6, v3
	s_cmp_lg_u64 vcc, 0
	s_addc_u32 s6, s13, s12
	v_readfirstlane_b32 s54, v3
	s_mul_i32 s13, s72, s6
	s_mul_hi_u32 s55, s72, s54
	s_mul_hi_u32 s12, s72, s6
	s_add_u32 s13, s55, s13
	s_addc_u32 s12, 0, s12
	s_mul_hi_u32 s90, s7, s54
	s_mul_i32 s54, s7, s54
	s_add_u32 s13, s13, s54
	s_mul_hi_u32 s55, s7, s6
	s_addc_u32 s12, s12, s90
	s_addc_u32 s13, s55, 0
	s_mul_i32 s6, s7, s6
	s_add_u32 s6, s12, s6
	s_addc_u32 s12, 0, s13
	s_mul_hi_u32 s13, s89, s6
	s_mul_i32 s6, s89, s6
	s_mul_i32 s12, s89, s12
	v_mov_b32_e32 v3, s6
	s_add_i32 s13, s13, s12
	v_sub_co_u32_e32 v3, vcc, s72, v3
	s_cmp_lg_u64 vcc, 0
	s_subb_u32 s6, s7, s13
	v_subrev_co_u32_e32 v4, vcc, s89, v3
	s_cmp_lg_u64 vcc, 0
	s_subb_u32 s12, s6, 0
	v_subrev_co_u32_e32 v5, vcc, s89, v4
	s_cmp_lg_u64 vcc, 0
	s_subb_u32 s13, s12, 0
	v_cmp_le_u32_e32 vcc, s89, v4
	s_cmp_eq_u32 s12, 0
	v_cndmask_b32_e64 v6, 0, -1, vcc
	s_cselect_b64 vcc, -1, 0
	v_cndmask_b32_e32 v6, -1, v6, vcc
	v_mov_b32_e32 v7, s12
	v_mov_b32_e32 v8, s13
	v_cmp_ne_u32_e32 vcc, 0, v6
	v_cndmask_b32_e32 v6, v7, v8, vcc
	v_cndmask_b32_e32 v4, v4, v5, vcc
	v_cmp_le_u32_e32 vcc, s89, v3
	s_cmp_eq_u32 s6, 0
	v_cndmask_b32_e64 v5, 0, -1, vcc
	s_cselect_b64 vcc, -1, 0
	v_cndmask_b32_e32 v5, -1, v5, vcc
	v_mov_b32_e32 v7, s6
	v_cmp_ne_u32_e32 vcc, 0, v5
	v_cndmask_b32_e32 v5, v7, v6, vcc
	v_cndmask_b32_e32 v4, v3, v4, vcc
	s_mov_b64 s[12:13], 0
	s_branch .LBB162_437
.LBB162_433:                            ;   in Loop: Header=BB162_18 Depth=1
                                        ; implicit-def: $vgpr4_vgpr5
	s_branch .LBB162_387
.LBB162_434:                            ;   in Loop: Header=BB162_18 Depth=1
                                        ; implicit-def: $vgpr4_vgpr5
	s_branch .LBB162_403
.LBB162_435:                            ;   in Loop: Header=BB162_18 Depth=1
	s_mov_b64 s[2:3], -1
	s_mov_b64 s[92:93], 0
                                        ; implicit-def: $sgpr6_sgpr7
                                        ; implicit-def: $vgpr6_vgpr7
	s_branch .LBB162_449
.LBB162_436:                            ;   in Loop: Header=BB162_18 Depth=1
	s_mov_b64 s[12:13], -1
                                        ; implicit-def: $vgpr4_vgpr5
.LBB162_437:                            ;   in Loop: Header=BB162_18 Depth=1
	s_andn2_b64 vcc, exec, s[12:13]
	s_cbranch_vccnz .LBB162_439
; %bb.438:                              ;   in Loop: Header=BB162_18 Depth=1
	v_cvt_f32_u32_e32 v3, s89
	s_sub_i32 s6, 0, s89
	v_rcp_iflag_f32_e32 v3, v3
	v_mul_f32_e32 v3, 0x4f7ffffe, v3
	v_cvt_u32_f32_e32 v3, v3
	v_mul_lo_u32 v4, s6, v3
	v_mul_hi_u32 v4, v3, v4
	v_add_u32_e32 v3, v3, v4
	v_mul_hi_u32 v3, s72, v3
	v_mul_lo_u32 v3, v3, s89
	v_sub_u32_e32 v3, s72, v3
	v_subrev_u32_e32 v4, s89, v3
	v_cmp_le_u32_e32 vcc, s89, v3
	v_cndmask_b32_e32 v3, v3, v4, vcc
	v_subrev_u32_e32 v4, s89, v3
	v_cmp_le_u32_e32 vcc, s89, v3
	v_cndmask_b32_e32 v20, v3, v4, vcc
	v_pk_mov_b32 v[4:5], v[20:21], v[20:21] op_sel:[0,1]
.LBB162_439:                            ;   in Loop: Header=BB162_18 Depth=1
	v_mov_b32_e32 v3, s7
	v_sub_co_u32_e32 v8, vcc, s72, v4
	v_subb_co_u32_e32 v9, vcc, v3, v5, vcc
	v_cmp_gt_u64_e32 vcc, v[8:9], v[0:1]
	s_mov_b64 s[92:93], 0
                                        ; implicit-def: $vgpr6_vgpr7
	s_and_saveexec_b64 s[6:7], vcc
	s_cbranch_execz .LBB162_448
; %bb.440:                              ;   in Loop: Header=BB162_18 Depth=1
	v_mov_b32_e32 v14, v39
	v_pk_mov_b32 v[12:13], v[0:1], v[0:1] op_sel:[0,1]
                                        ; implicit-def: $sgpr12_sgpr13
	s_branch .LBB162_442
.LBB162_441:                            ;   in Loop: Header=BB162_442 Depth=2
	s_or_b64 exec, exec, s[94:95]
	s_waitcnt lgkmcnt(0)
	s_barrier
	ds_read_b128 v[4:7], v21 offset:3072
	v_mov_b32_e32 v3, s74
	v_add_co_u32_e32 v12, vcc, s89, v12
	v_addc_co_u32_e32 v13, vcc, v13, v3, vcc
	s_waitcnt lgkmcnt(0)
	v_readfirstlane_b32 s55, v5
	v_readfirstlane_b32 s54, v4
	s_cmp_lg_u64 s[54:55], 0
	s_cselect_b64 s[54:55], -1, 0
	v_cmp_ge_u64_e32 vcc, v[12:13], v[8:9]
	s_or_b64 s[94:95], vcc, s[54:55]
	s_and_b64 s[94:95], exec, s[94:95]
	s_or_b64 s[92:93], s[94:95], s[92:93]
	s_andn2_b64 s[12:13], s[12:13], exec
	s_and_b64 s[54:55], s[54:55], exec
	v_add_u32_e32 v14, s5, v14
	s_or_b64 s[12:13], s[12:13], s[54:55]
	s_barrier
	s_andn2_b64 exec, exec, s[92:93]
	s_cbranch_execz .LBB162_447
.LBB162_442:                            ;   Parent Loop BB162_18 Depth=1
                                        ; =>  This Inner Loop Header: Depth=2
	v_cmp_gt_u64_e32 vcc, s[2:3], v[12:13]
	v_pk_mov_b32 v[4:5], 0, 0
	s_and_saveexec_b64 s[94:95], vcc
	s_cbranch_execz .LBB162_444
; %bb.443:                              ;   in Loop: Header=BB162_442 Depth=2
	ds_read_b64 v[4:5], v14
.LBB162_444:                            ;   in Loop: Header=BB162_442 Depth=2
	s_or_b64 exec, exec, s[94:95]
	s_and_saveexec_b64 s[94:95], vcc
	s_cbranch_execz .LBB162_441
; %bb.445:                              ;   in Loop: Header=BB162_442 Depth=2
	s_waitcnt lgkmcnt(0)
	v_xor_b32_e32 v3, 0x80000000, v5
	v_and_b32_e32 v7, v3, v25
	v_and_b32_e32 v6, v4, v24
	v_cmp_eq_u64_e32 vcc, v[6:7], v[26:27]
	s_and_b64 exec, exec, vcc
	s_cbranch_execz .LBB162_441
; %bb.446:                              ;   in Loop: Header=BB162_442 Depth=2
	v_mov_b32_e32 v3, v21
	ds_write_b128 v21, v[2:5] offset:3072
	s_branch .LBB162_441
.LBB162_447:                            ;   in Loop: Header=BB162_18 Depth=1
	s_or_b64 exec, exec, s[92:93]
	s_and_b64 s[92:93], s[12:13], exec
.LBB162_448:                            ;   in Loop: Header=BB162_18 Depth=1
	s_or_b64 exec, exec, s[6:7]
	s_mov_b64 s[2:3], 0
	s_mov_b64 s[6:7], -1
.LBB162_449:                            ;   in Loop: Header=BB162_18 Depth=1
	s_and_b64 vcc, exec, s[2:3]
	s_mov_b64 s[12:13], s[2:3]
	s_cbranch_vccz .LBB162_465
; %bb.450:                              ;   in Loop: Header=BB162_18 Depth=1
	s_mov_b32 s72, s91
	s_cmp_lg_u64 s[72:73], 0
	s_cbranch_scc0 .LBB162_452
; %bb.451:                              ;   in Loop: Header=BB162_18 Depth=1
	v_cvt_f32_u32_e32 v3, s89
	s_sub_u32 s2, 0, s89
	s_subb_u32 s3, 0, 0
	v_mac_f32_e32 v3, 0, v43
	v_rcp_f32_e32 v3, v3
	v_mul_f32_e32 v3, 0x5f7ffffc, v3
	v_mul_f32_e32 v4, 0x2f800000, v3
	v_trunc_f32_e32 v4, v4
	v_mac_f32_e32 v3, 0xcf800000, v4
	v_cvt_u32_f32_e32 v4, v4
	v_cvt_u32_f32_e32 v3, v3
	v_readfirstlane_b32 s6, v4
	v_readfirstlane_b32 s7, v3
	s_mul_i32 s12, s2, s6
	s_mul_hi_u32 s54, s2, s7
	s_mul_i32 s13, s3, s7
	s_add_i32 s12, s54, s12
	s_mul_i32 s55, s2, s7
	s_add_i32 s12, s12, s13
	s_mul_hi_u32 s54, s7, s55
	s_mul_hi_u32 s13, s7, s12
	s_mul_i32 s7, s7, s12
	s_add_u32 s7, s54, s7
	s_addc_u32 s13, 0, s13
	s_mul_hi_u32 s72, s6, s55
	s_mul_i32 s55, s6, s55
	s_add_u32 s7, s7, s55
	s_mul_hi_u32 s54, s6, s12
	s_addc_u32 s7, s13, s72
	s_addc_u32 s13, s54, 0
	s_mul_i32 s12, s6, s12
	s_add_u32 s7, s7, s12
	s_addc_u32 s12, 0, s13
	v_add_co_u32_e32 v3, vcc, s7, v3
	s_cmp_lg_u64 vcc, 0
	s_addc_u32 s6, s6, s12
	v_readfirstlane_b32 s12, v3
	s_mul_i32 s7, s2, s6
	s_mul_hi_u32 s13, s2, s12
	s_add_i32 s7, s13, s7
	s_mul_i32 s3, s3, s12
	s_add_i32 s7, s7, s3
	s_mul_i32 s2, s2, s12
	s_mul_hi_u32 s13, s6, s2
	s_mul_i32 s54, s6, s2
	s_mul_i32 s72, s12, s7
	s_mul_hi_u32 s2, s12, s2
	s_mul_hi_u32 s55, s12, s7
	s_add_u32 s2, s2, s72
	s_addc_u32 s12, 0, s55
	s_add_u32 s2, s2, s54
	s_mul_hi_u32 s3, s6, s7
	s_addc_u32 s2, s12, s13
	s_addc_u32 s3, s3, 0
	s_mul_i32 s7, s6, s7
	s_add_u32 s2, s2, s7
	s_addc_u32 s3, 0, s3
	v_add_co_u32_e32 v3, vcc, s2, v3
	s_cmp_lg_u64 vcc, 0
	s_addc_u32 s2, s6, s3
	v_readlane_b32 s54, v55, 53
	v_readfirstlane_b32 s7, v3
	s_mul_i32 s6, s54, s2
	s_mul_hi_u32 s12, s54, s7
	s_mul_hi_u32 s3, s54, s2
	s_add_u32 s6, s12, s6
	s_addc_u32 s3, 0, s3
	s_mul_hi_u32 s13, s73, s7
	s_mul_i32 s7, s73, s7
	s_add_u32 s6, s6, s7
	s_mul_hi_u32 s12, s73, s2
	s_addc_u32 s3, s3, s13
	s_addc_u32 s6, s12, 0
	s_mul_i32 s2, s73, s2
	s_add_u32 s2, s3, s2
	s_addc_u32 s3, 0, s6
	s_mul_hi_u32 s6, s89, s2
	s_mul_i32 s2, s89, s2
	s_mul_i32 s3, s89, s3
	v_mov_b32_e32 v3, s2
	s_add_i32 s6, s6, s3
	v_sub_co_u32_e32 v3, vcc, s54, v3
	s_cmp_lg_u64 vcc, 0
	s_subb_u32 s2, s73, s6
	v_subrev_co_u32_e32 v4, vcc, s89, v3
	s_cmp_lg_u64 vcc, 0
	s_subb_u32 s3, s2, 0
	v_subrev_co_u32_e32 v5, vcc, s89, v4
	s_cmp_lg_u64 vcc, 0
	s_subb_u32 s6, s3, 0
	v_cmp_le_u32_e32 vcc, s89, v4
	s_cmp_eq_u32 s3, 0
	v_cndmask_b32_e64 v6, 0, -1, vcc
	s_cselect_b64 vcc, -1, 0
	v_cndmask_b32_e32 v6, -1, v6, vcc
	v_mov_b32_e32 v7, s3
	v_mov_b32_e32 v8, s6
	v_cmp_ne_u32_e32 vcc, 0, v6
	v_cndmask_b32_e32 v6, v7, v8, vcc
	v_cndmask_b32_e32 v4, v4, v5, vcc
	v_cmp_le_u32_e32 vcc, s89, v3
	s_cmp_eq_u32 s2, 0
	v_cndmask_b32_e64 v5, 0, -1, vcc
	s_cselect_b64 vcc, -1, 0
	v_cndmask_b32_e32 v5, -1, v5, vcc
	v_mov_b32_e32 v7, s2
	v_cmp_ne_u32_e32 vcc, 0, v5
	v_cndmask_b32_e32 v5, v7, v6, vcc
	v_cndmask_b32_e32 v4, v3, v4, vcc
	s_mov_b64 s[2:3], 0
	s_branch .LBB162_453
.LBB162_452:                            ;   in Loop: Header=BB162_18 Depth=1
	s_mov_b64 s[2:3], -1
                                        ; implicit-def: $vgpr4_vgpr5
.LBB162_453:                            ;   in Loop: Header=BB162_18 Depth=1
	s_andn2_b64 vcc, exec, s[2:3]
	s_cbranch_vccnz .LBB162_455
; %bb.454:                              ;   in Loop: Header=BB162_18 Depth=1
	v_cvt_f32_u32_e32 v3, s89
	s_sub_i32 s2, 0, s89
	v_rcp_iflag_f32_e32 v3, v3
	v_mul_f32_e32 v3, 0x4f7ffffe, v3
	v_cvt_u32_f32_e32 v3, v3
	v_mul_lo_u32 v4, s2, v3
	v_mul_hi_u32 v4, v3, v4
	v_add_u32_e32 v3, v3, v4
	v_readlane_b32 s2, v55, 53
	v_mul_hi_u32 v3, s2, v3
	v_mul_lo_u32 v3, v3, s89
	v_sub_u32_e32 v3, s2, v3
	v_subrev_u32_e32 v4, s89, v3
	v_cmp_le_u32_e32 vcc, s89, v3
	v_cndmask_b32_e32 v3, v3, v4, vcc
	v_subrev_u32_e32 v4, s89, v3
	v_cmp_le_u32_e32 vcc, s89, v3
	v_cndmask_b32_e32 v20, v3, v4, vcc
	v_pk_mov_b32 v[4:5], v[20:21], v[20:21] op_sel:[0,1]
.LBB162_455:                            ;   in Loop: Header=BB162_18 Depth=1
	v_readlane_b32 s2, v55, 53
	v_mov_b32_e32 v3, s73
	v_sub_co_u32_e32 v8, vcc, s2, v4
	v_subb_co_u32_e32 v9, vcc, v3, v5, vcc
	v_cmp_gt_u64_e32 vcc, v[8:9], v[0:1]
	s_mov_b64 s[92:93], 0
                                        ; implicit-def: $vgpr6_vgpr7
	s_and_saveexec_b64 s[2:3], vcc
	s_cbranch_execz .LBB162_464
; %bb.456:                              ;   in Loop: Header=BB162_18 Depth=1
	v_pk_mov_b32 v[12:13], v[0:1], v[0:1] op_sel:[0,1]
                                        ; implicit-def: $sgpr12_sgpr13
	s_branch .LBB162_458
.LBB162_457:                            ;   in Loop: Header=BB162_458 Depth=2
	s_or_b64 exec, exec, s[6:7]
	s_waitcnt lgkmcnt(0)
	s_barrier
	s_waitcnt vmcnt(0)
	ds_read_b128 v[4:7], v21 offset:3072
	v_mov_b32_e32 v3, s74
	v_add_co_u32_e32 v12, vcc, s89, v12
	v_addc_co_u32_e32 v13, vcc, v13, v3, vcc
	s_waitcnt lgkmcnt(0)
	v_readfirstlane_b32 s7, v5
	v_readfirstlane_b32 s6, v4
	s_cmp_lg_u64 s[6:7], 0
	s_cselect_b64 s[6:7], -1, 0
	v_cmp_ge_u64_e32 vcc, v[12:13], v[8:9]
	s_or_b64 s[54:55], vcc, s[6:7]
	s_and_b64 s[54:55], exec, s[54:55]
	s_or_b64 s[92:93], s[54:55], s[92:93]
	s_andn2_b64 s[12:13], s[12:13], exec
	s_and_b64 s[6:7], s[6:7], exec
	s_or_b64 s[12:13], s[12:13], s[6:7]
	s_barrier
	s_andn2_b64 exec, exec, s[92:93]
	s_cbranch_execz .LBB162_463
.LBB162_458:                            ;   Parent Loop BB162_18 Depth=1
                                        ; =>  This Inner Loop Header: Depth=2
	v_cmp_gt_u64_e32 vcc, s[60:61], v[12:13]
	v_pk_mov_b32 v[4:5], 0, 0
	s_and_saveexec_b64 s[94:95], vcc
	s_cbranch_execz .LBB162_460
; %bb.459:                              ;   in Loop: Header=BB162_458 Depth=2
	v_mul_lo_u32 v3, v13, s58
	v_mul_lo_u32 v6, v12, s59
	v_mad_u64_u32 v[4:5], s[6:7], v12, s58, 0
	v_add3_u32 v5, v5, v6, v3
	v_lshlrev_b64 v[4:5], 3, v[4:5]
	v_mov_b32_e32 v3, s88
	v_add_co_u32_e64 v4, s[6:7], s33, v4
	v_addc_co_u32_e64 v5, s[6:7], v3, v5, s[6:7]
	global_load_dwordx2 v[4:5], v[4:5], off
.LBB162_460:                            ;   in Loop: Header=BB162_458 Depth=2
	s_or_b64 exec, exec, s[94:95]
	s_and_saveexec_b64 s[6:7], vcc
	s_cbranch_execz .LBB162_457
; %bb.461:                              ;   in Loop: Header=BB162_458 Depth=2
	s_waitcnt vmcnt(0)
	v_xor_b32_e32 v3, 0x80000000, v5
	v_and_b32_e32 v7, v3, v25
	v_and_b32_e32 v6, v4, v24
	v_cmp_eq_u64_e32 vcc, v[6:7], v[26:27]
	s_and_b64 exec, exec, vcc
	s_cbranch_execz .LBB162_457
; %bb.462:                              ;   in Loop: Header=BB162_458 Depth=2
	v_mov_b32_e32 v3, v21
	ds_write_b128 v21, v[2:5] offset:3072
	s_branch .LBB162_457
.LBB162_463:                            ;   in Loop: Header=BB162_18 Depth=1
	s_or_b64 exec, exec, s[92:93]
	s_and_b64 s[92:93], s[12:13], exec
.LBB162_464:                            ;   in Loop: Header=BB162_18 Depth=1
	s_or_b64 exec, exec, s[2:3]
	s_mov_b64 s[6:7], 0
	s_mov_b64 s[2:3], -1
	s_mov_b64 s[12:13], 0
.LBB162_465:                            ;   in Loop: Header=BB162_18 Depth=1
	v_readlane_b32 s54, v55, 63
	s_orn2_b64 s[92:93], s[92:93], exec
	v_readlane_b32 s55, v54, 0
.LBB162_466:                            ;   in Loop: Header=BB162_18 Depth=1
	s_or_b64 exec, exec, s[56:57]
	s_mov_b64 s[94:95], 0
                                        ; implicit-def: $vgpr3
                                        ; implicit-def: $vgpr4_vgpr5
	s_and_saveexec_b64 s[56:57], s[92:93]
	s_cbranch_execz .LBB162_478
; %bb.467:                              ;   in Loop: Header=BB162_18 Depth=1
	v_mov_b32_e32 v4, 1
	s_xor_b64 s[92:93], s[54:55], -1
	v_mov_b32_e32 v3, 1
	v_mov_b32_e32 v5, 0
	s_and_saveexec_b64 s[54:55], s[92:93]
	s_cbranch_execz .LBB162_477
; %bb.468:                              ;   in Loop: Header=BB162_18 Depth=1
	v_cmp_ge_u64_e32 vcc, s[16:17], v[10:11]
                                        ; implicit-def: $sgpr72
	s_and_saveexec_b64 s[92:93], vcc
	s_xor_b64 s[92:93], exec, s[92:93]
	s_cbranch_execz .LBB162_474
; %bb.469:                              ;   in Loop: Header=BB162_18 Depth=1
	ds_read_b64 v[4:5], v21 offset:5120
	s_waitcnt lgkmcnt(0)
	v_cmp_ne_u64_e32 vcc, 0, v[4:5]
	s_cbranch_vccnz .LBB162_473
; %bb.470:                              ;   in Loop: Header=BB162_18 Depth=1
	s_mov_b64 s[94:95], exec
	v_readlane_b32 vcc_lo, v55, 32
	v_readlane_b32 vcc_hi, v55, 33
	s_and_b64 vcc, s[94:95], vcc
	s_mov_b64 exec, vcc
	s_cbranch_execz .LBB162_472
; %bb.471:                              ;   in Loop: Header=BB162_18 Depth=1
	v_pk_mov_b32 v[4:5], s[16:17], s[16:17] op_sel:[0,1]
	ds_write_b64 v21, v[4:5] offset:5128
.LBB162_472:                            ;   in Loop: Header=BB162_18 Depth=1
	s_or_b64 exec, exec, s[94:95]
	s_waitcnt lgkmcnt(0)
	s_barrier
.LBB162_473:                            ;   in Loop: Header=BB162_18 Depth=1
	v_and_b32_e32 v27, s21, v27
	v_and_b32_e32 v26, s20, v26
	v_or_b32_e32 v25, s19, v25
	v_or_b32_e32 v24, s18, v24
	s_mov_b32 s72, 5
.LBB162_474:                            ;   in Loop: Header=BB162_18 Depth=1
	s_or_saveexec_b64 s[18:19], s[92:93]
	v_mov_b32_e32 v3, s72
	s_xor_b64 exec, exec, s[18:19]
; %bb.475:                              ;   in Loop: Header=BB162_18 Depth=1
	v_mov_b32_e32 v3, s17
	v_subrev_co_u32_e32 v10, vcc, s16, v10
	v_subb_co_u32_e32 v11, vcc, v11, v3, vcc
	v_mov_b32_e32 v3, 5
; %bb.476:                              ;   in Loop: Header=BB162_18 Depth=1
	s_or_b64 exec, exec, s[18:19]
	v_pk_mov_b32 v[4:5], v[10:11], v[10:11] op_sel:[0,1]
.LBB162_477:                            ;   in Loop: Header=BB162_18 Depth=1
	s_or_b64 exec, exec, s[54:55]
	s_mov_b64 s[94:95], exec
.LBB162_478:                            ;   in Loop: Header=BB162_18 Depth=1
	s_or_b64 exec, exec, s[56:57]
	s_orn2_b64 s[54:55], s[94:95], exec
	v_pk_mov_b32 v[10:11], v[4:5], v[4:5] op_sel:[0,1]
.LBB162_479:                            ;   in Loop: Header=BB162_18 Depth=1
	s_or_b64 exec, exec, s[22:23]
	s_andn2_b64 s[8:9], s[8:9], exec
	s_and_b64 s[2:3], s[2:3], exec
	s_or_b64 s[8:9], s[8:9], s[2:3]
	s_andn2_b64 s[2:3], s[50:51], exec
	s_and_b64 s[6:7], s[6:7], exec
	s_or_b64 s[50:51], s[2:3], s[6:7]
	;; [unrolled: 3-line block ×3, first 2 shown]
	s_and_b64 s[2:3], s[54:55], exec
	v_pk_mov_b32 v[8:9], v[10:11], v[10:11] op_sel:[0,1]
.LBB162_480:                            ;   in Loop: Header=BB162_18 Depth=1
	s_or_b64 exec, exec, s[52:53]
	s_and_b64 s[12:13], s[8:9], exec
	s_and_b64 s[8:9], s[50:51], exec
	;; [unrolled: 1-line block ×3, first 2 shown]
	s_orn2_b64 s[2:3], s[2:3], exec
.LBB162_481:                            ;   in Loop: Header=BB162_18 Depth=1
	s_or_b64 exec, exec, s[26:27]
	s_andn2_b64 s[10:11], s[40:41], exec
	s_and_b64 s[12:13], s[12:13], exec
	s_or_b64 s[40:41], s[10:11], s[12:13]
	s_andn2_b64 s[10:11], s[44:45], exec
	s_and_b64 s[8:9], s[8:9], exec
	s_or_b64 s[44:45], s[10:11], s[8:9]
	;; [unrolled: 3-line block ×3, first 2 shown]
	s_and_b64 s[6:7], s[2:3], exec
	v_pk_mov_b32 v[30:31], v[8:9], v[8:9] op_sel:[0,1]
.LBB162_482:                            ;   in Loop: Header=BB162_18 Depth=1
	s_or_b64 exec, exec, s[48:49]
	s_and_b64 s[10:11], s[40:41], exec
	s_and_b64 s[8:9], s[44:45], exec
	;; [unrolled: 1-line block ×3, first 2 shown]
	s_orn2_b64 s[40:41], s[6:7], exec
.LBB162_483:                            ;   in Loop: Header=BB162_18 Depth=1
	s_or_b64 exec, exec, s[28:29]
	s_mov_b64 s[6:7], s[36:37]
	s_mov_b64 s[12:13], s[34:35]
	s_and_saveexec_b64 s[16:17], s[40:41]
; %bb.484:                              ;   in Loop: Header=BB162_18 Depth=1
	v_cmp_ne_u32_e64 s[6:7], 5, v3
	v_cmp_eq_u32_e32 vcc, 5, v3
	s_andn2_b64 s[12:13], s[34:35], exec
	s_and_b64 s[6:7], s[6:7], exec
	s_or_b64 s[12:13], s[12:13], s[6:7]
	s_andn2_b64 s[6:7], s[36:37], exec
	s_and_b64 s[18:19], vcc, exec
	s_andn2_b64 s[10:11], s[10:11], exec
	s_andn2_b64 s[8:9], s[8:9], exec
	;; [unrolled: 1-line block ×3, first 2 shown]
	s_or_b64 s[6:7], s[6:7], s[18:19]
; %bb.485:                              ;   in Loop: Header=BB162_18 Depth=1
	s_or_b64 exec, exec, s[16:17]
	s_andn2_b64 s[14:15], s[14:15], exec
	s_and_b64 s[10:11], s[10:11], exec
	s_or_b64 s[14:15], s[14:15], s[10:11]
	s_andn2_b64 s[10:11], s[42:43], exec
	s_and_b64 s[8:9], s[8:9], exec
	s_or_b64 s[42:43], s[10:11], s[8:9]
	;; [unrolled: 3-line block ×5, first 2 shown]
	v_pk_mov_b32 v[12:13], v[26:27], v[26:27] op_sel:[0,1]
	v_pk_mov_b32 v[14:15], v[24:25], v[24:25] op_sel:[0,1]
	;; [unrolled: 1-line block ×3, first 2 shown]
.LBB162_486:                            ;   in Loop: Header=BB162_18 Depth=1
	s_or_b64 exec, exec, s[38:39]
	s_mov_b64 s[40:41], s[24:25]
	s_mov_b64 s[38:39], s[24:25]
	s_and_saveexec_b64 s[2:3], s[36:37]
.LBB162_487:                            ;   in Loop: Header=BB162_18 Depth=1
	v_mov_b32_e32 v3, 0
	s_andn2_b64 s[24:25], s[24:25], exec
	s_andn2_b64 s[14:15], s[14:15], exec
	;; [unrolled: 1-line block ×5, first 2 shown]
	s_or_b64 s[34:35], s[34:35], exec
.LBB162_488:                            ;   in Loop: Header=BB162_18 Depth=1
	s_or_b64 exec, exec, s[2:3]
	s_andn2_b64 s[2:3], s[78:79], exec
	s_and_b64 s[8:9], s[24:25], exec
	s_or_b64 s[78:79], s[2:3], s[8:9]
	s_andn2_b64 s[2:3], s[76:77], exec
	s_and_b64 s[8:9], s[14:15], exec
	s_or_b64 s[76:77], s[2:3], s[8:9]
	;; [unrolled: 3-line block ×4, first 2 shown]
	s_andn2_b64 s[2:3], s[70:71], exec
	s_and_b64 s[8:9], s[38:39], exec
	s_mov_b64 s[6:7], -1
	s_or_b64 s[70:71], s[2:3], s[8:9]
                                        ; implicit-def: $vgpr24_vgpr25
                                        ; implicit-def: $vgpr26_vgpr27
                                        ; implicit-def: $vgpr28_vgpr29
                                        ; implicit-def: $vgpr6_vgpr7
	s_and_saveexec_b64 s[2:3], s[34:35]
	s_xor_b64 s[2:3], exec, s[2:3]
	s_cbranch_execz .LBB162_17
; %bb.489:                              ;   in Loop: Header=BB162_18 Depth=1
	v_cmp_eq_u32_e32 vcc, 0, v3
	s_mov_b64 s[8:9], -1
	s_and_saveexec_b64 s[10:11], vcc
	s_cbranch_execz .LBB162_16
; %bb.490:                              ;   in Loop: Header=BB162_18 Depth=1
	v_readlane_b32 s6, v55, 62
	s_xor_b32 s6, s6, 1
	s_add_i32 s12, s75, -2
	s_cmp_eq_u32 s75, 0
	v_writelane_b32 v55, s6, 62
	s_cselect_b64 s[6:7], -1, 0
	s_xor_b64 s[8:9], exec, -1
	s_orn2_b64 s[6:7], s[6:7], exec
	s_mov_b32 s75, s12
	s_branch .LBB162_16
.LBB162_491:
	s_or_b64 exec, exec, s[82:83]
	s_xor_b64 s[4:5], s[68:69], -1
	s_xor_b64 s[14:15], s[66:67], -1
	;; [unrolled: 1-line block ×5, first 2 shown]
	s_mov_b64 s[8:9], 0
	s_and_saveexec_b64 s[10:11], s[6:7]
	s_xor_b64 s[6:7], exec, s[10:11]
	s_cbranch_execnz .LBB162_496
; %bb.492:
	s_andn2_saveexec_b64 s[0:1], s[6:7]
	s_cbranch_execnz .LBB162_515
.LBB162_493:
	s_or_b64 exec, exec, s[0:1]
	s_and_saveexec_b64 s[0:1], s[8:9]
.LBB162_494:
	; divergent unreachable
.LBB162_495:
	s_endpgm
.LBB162_496:
	s_mov_b64 s[10:11], 0
	s_and_saveexec_b64 s[8:9], s[12:13]
	s_xor_b64 s[8:9], exec, s[8:9]
	s_cbranch_execz .LBB162_513
; %bb.497:
	s_mov_b64 s[12:13], 0
	s_and_saveexec_b64 s[10:11], s[14:15]
	s_xor_b64 s[10:11], exec, s[10:11]
	s_cbranch_execz .LBB162_511
; %bb.498:
	;; [unrolled: 5-line block ×3, first 2 shown]
	s_and_saveexec_b64 s[4:5], s[2:3]
	s_xor_b64 s[2:3], exec, s[4:5]
; %bb.500:
	v_xor_b32_e32 v13, 0x80000000, v13
	v_pk_mov_b32 v[10:11], v[12:13], v[12:13] op_sel:[0,1]
; %bb.501:
	s_or_b64 exec, exec, s[2:3]
	s_mov_b64 s[2:3], exec
	v_readlane_b32 s4, v55, 32
	v_readlane_b32 s5, v55, 33
	;; [unrolled: 1-line block ×4, first 2 shown]
	s_and_b64 s[4:5], s[2:3], s[4:5]
	v_readlane_b32 s25, v55, 37
	v_readlane_b32 s20, v55, 34
	;; [unrolled: 1-line block ×4, first 2 shown]
	s_mov_b64 exec, s[4:5]
	s_cbranch_execz .LBB162_503
; %bb.502:
	v_mov_b32_e32 v2, 0
	v_mov_b32_e32 v3, v2
	ds_write_b64 v2, v[2:3] offset:5136
.LBB162_503:
	s_or_b64 exec, exec, s[2:3]
	v_pk_mov_b32 v[2:3], 0, 0
	s_waitcnt lgkmcnt(0)
	s_barrier
	s_mov_b64 s[2:3], exec
	v_readlane_b32 s4, v55, 46
	v_readlane_b32 s5, v55, 47
	s_and_b64 s[4:5], s[2:3], s[4:5]
	s_mov_b64 exec, s[4:5]
	s_cbranch_execz .LBB162_505
; %bb.504:
	global_load_dwordx2 v[2:3], v[18:19], off
.LBB162_505:
	s_or_b64 exec, exec, s[2:3]
	v_readlane_b32 s40, v55, 24
	s_add_u32 s2, s60, 63
	v_readlane_b32 s42, v55, 26
	v_readlane_b32 s43, v55, 27
	;; [unrolled: 1-line block ×3, first 2 shown]
	s_addc_u32 s15, s61, 0
	s_and_b32 s14, s2, 0xffffffc0
	s_mul_i32 s2, s34, s43
	s_mul_hi_u32 s3, s34, s42
	s_add_i32 s3, s3, s2
	s_mul_i32 s2, s34, s42
	v_readlane_b32 s16, v55, 10
	s_sub_u32 s2, s20, s2
	v_readlane_b32 s17, v55, 11
	s_subb_u32 s3, 0, s3
	s_mul_i32 s4, s2, s17
	s_mul_hi_u32 s5, s2, s16
	s_add_i32 s4, s5, s4
	s_mul_i32 s3, s3, s16
	s_add_i32 s3, s4, s3
	v_readlane_b32 s28, v55, 2
	v_readlane_b32 s4, v55, 0
	;; [unrolled: 1-line block ×4, first 2 shown]
	s_mov_b32 s18, s4
	s_mul_i32 s4, s4, s29
	s_mul_hi_u32 s5, s18, s28
	s_add_i32 s5, s5, s4
	s_mul_i32 s4, s18, s28
	v_readlane_b32 s22, v55, 8
	v_readlane_b32 s44, v55, 18
	;; [unrolled: 1-line block ×3, first 2 shown]
	s_sub_u32 s4, s22, s4
	v_readlane_b32 s46, v55, 20
	v_readlane_b32 s47, v55, 21
	s_mul_i32 s2, s2, s16
	s_subb_u32 s5, s23, s5
	s_mul_i32 s16, s4, s47
	s_mul_hi_u32 s17, s4, s46
	v_readlane_b32 s45, v55, 19
	s_add_i32 s16, s17, s16
	s_mul_i32 s5, s5, s46
	v_readlane_b32 s30, v55, 4
	v_readlane_b32 s31, v55, 5
	s_add_i32 s5, s16, s5
	s_mul_i32 s16, s18, s45
	s_mul_hi_u32 s17, s18, s44
	s_add_i32 s17, s17, s16
	s_mul_i32 s16, s18, s44
	s_mul_i32 s18, s22, s31
	s_mul_hi_u32 s19, s22, s30
	s_add_i32 s19, s19, s18
	s_mul_i32 s18, s22, s30
	v_readlane_b32 s22, v55, 16
	s_sub_u32 s18, s20, s18
	v_readlane_b32 s23, v55, 17
	s_subb_u32 s19, 0, s19
	s_mul_i32 s20, s18, s23
	s_mul_hi_u32 s21, s18, s22
	s_add_i32 s20, s21, s20
	s_mul_i32 s19, s19, s22
	s_add_i32 s19, s20, s19
	v_readlane_b32 s20, v55, 6
	v_readlane_b32 s41, v55, 25
	;; [unrolled: 1-line block ×3, first 2 shown]
	s_mov_b32 s26, s20
	s_mul_i32 s20, s20, s41
	s_mul_hi_u32 s21, s26, s40
	s_add_i32 s21, s21, s20
	s_mul_i32 s20, s26, s40
	v_readlane_b32 s28, v55, 12
	v_readlane_b32 s35, v55, 23
	s_sub_u32 s20, s34, s20
	v_readlane_b32 s30, v55, 14
	v_readlane_b32 s31, v55, 15
	s_mul_i32 s18, s18, s22
	s_subb_u32 s21, s35, s21
	s_mul_i32 s22, s20, s31
	s_mul_hi_u32 s23, s20, s30
	v_readlane_b32 s29, v55, 13
	s_add_i32 s22, s23, s22
	s_mul_i32 s21, s21, s30
	s_add_i32 s21, s22, s21
	s_mul_i32 s22, s26, s29
	s_mul_hi_u32 s23, s26, s28
	s_add_i32 s23, s23, s22
	s_mul_i32 s22, s26, s28
	s_lshl_b64 s[16:17], s[16:17], 3
	v_readlane_b32 s26, v55, 30
	s_mul_i32 s4, s4, s46
	v_readlane_b32 s27, v55, 31
	s_add_u32 s16, s26, s16
	s_addc_u32 s17, s27, s17
	s_lshl_b64 s[4:5], s[4:5], 3
	s_add_u32 s16, s16, s4
	s_addc_u32 s17, s17, s5
	s_lshl_b64 s[4:5], s[18:19], 3
	;; [unrolled: 3-line block ×3, first 2 shown]
	v_readlane_b32 s16, v55, 28
	s_mul_i32 s20, s20, s30
	v_readlane_b32 s17, v55, 29
	s_add_u32 s16, s16, s4
	s_addc_u32 s17, s17, s5
	s_lshl_b64 s[4:5], s[20:21], 3
	s_add_u32 s4, s16, s4
	s_addc_u32 s5, s17, s5
	s_load_dwordx2 s[16:17], s[24:25], 0x368
	s_load_dwordx2 s[18:19], s[24:25], 0x510
	s_lshl_b64 s[2:3], s[2:3], 3
	s_add_u32 s48, s4, s2
	s_addc_u32 s49, s5, s3
	v_cmp_gt_u64_e32 vcc, s[14:15], v[0:1]
	s_mov_b64 s[22:23], -1
	s_mov_b64 s[2:3], 0
	s_mov_b64 s[4:5], 0
	s_and_saveexec_b64 s[20:21], vcc
	s_cbranch_execnz .LBB162_516
; %bb.506:
	s_or_b64 exec, exec, s[20:21]
	s_and_saveexec_b64 s[20:21], s[22:23]
	s_cbranch_execnz .LBB162_531
.LBB162_507:
	s_or_b64 exec, exec, s[20:21]
	s_and_saveexec_b64 s[0:1], s[4:5]
	s_xor_b64 s[0:1], exec, s[0:1]
	s_cbranch_execnz .LBB162_553
.LBB162_508:
	s_or_b64 exec, exec, s[0:1]
	s_and_b64 s[14:15], s[2:3], exec
.LBB162_509:
	s_andn2_saveexec_b64 s[0:1], s[12:13]
	s_cbranch_execnz .LBB162_556
.LBB162_510:
	s_or_b64 exec, exec, s[0:1]
	s_and_b64 s[12:13], s[14:15], exec
.LBB162_511:
	s_andn2_saveexec_b64 s[0:1], s[10:11]
	s_cbranch_execnz .LBB162_555
.LBB162_512:
	s_or_b64 exec, exec, s[0:1]
	s_and_b64 s[10:11], s[12:13], exec
.LBB162_513:
	s_andn2_saveexec_b64 s[0:1], s[8:9]
	s_cbranch_execnz .LBB162_554
.LBB162_514:
	s_or_b64 exec, exec, s[0:1]
	s_and_b64 s[8:9], s[10:11], exec
	s_andn2_saveexec_b64 s[0:1], s[6:7]
	s_cbranch_execz .LBB162_493
.LBB162_515:
	s_or_b64 s[8:9], s[8:9], exec
	s_trap 2
	s_or_b64 exec, exec, s[0:1]
	s_and_saveexec_b64 s[0:1], s[8:9]
	s_cbranch_execnz .LBB162_494
	s_branch .LBB162_495
.LBB162_516:
	s_waitcnt vmcnt(0)
	v_xor_b32_e32 v5, 0x80000000, v11
	v_mov_b32_e32 v4, v10
	s_mov_b64 s[22:23], 0
	v_mov_b32_e32 v24, s74
	v_mov_b32_e32 v7, 0
	v_pk_mov_b32 v[20:21], v[0:1], v[0:1] op_sel:[0,1]
                                        ; implicit-def: $sgpr24_sgpr25
                                        ; implicit-def: $vgpr12_vgpr13
	s_branch .LBB162_518
.LBB162_517:                            ;   in Loop: Header=BB162_518 Depth=1
	s_or_b64 exec, exec, s[26:27]
	s_xor_b64 s[26:27], s[30:31], -1
	s_and_b64 s[4:5], exec, s[4:5]
	s_or_b64 s[22:23], s[4:5], s[22:23]
	s_andn2_b64 s[4:5], s[24:25], exec
	s_and_b64 s[24:25], s[26:27], exec
	s_or_b64 s[24:25], s[4:5], s[24:25]
	s_waitcnt vmcnt(0)
	v_pk_mov_b32 v[2:3], v[14:15], v[14:15] op_sel:[0,1]
	v_pk_mov_b32 v[20:21], v[8:9], v[8:9] op_sel:[0,1]
	s_andn2_b64 exec, exec, s[22:23]
	s_cbranch_execz .LBB162_530
.LBB162_518:                            ; =>This Inner Loop Header: Depth=1
	v_add_co_u32_e32 v8, vcc, s89, v20
	v_addc_co_u32_e32 v9, vcc, v21, v24, vcc
	v_cmp_gt_u64_e32 vcc, s[60:61], v[8:9]
	v_pk_mov_b32 v[14:15], 0, 0
	s_and_saveexec_b64 s[4:5], vcc
	s_cbranch_execz .LBB162_520
; %bb.519:                              ;   in Loop: Header=BB162_518 Depth=1
	v_mul_lo_u32 v6, v9, s58
	v_mul_lo_u32 v22, v8, s59
	v_mad_u64_u32 v[14:15], s[26:27], v8, s58, 0
	v_add3_u32 v15, v15, v22, v6
	v_lshlrev_b64 v[14:15], 3, v[14:15]
	v_mov_b32_e32 v6, s88
	v_add_co_u32_e32 v14, vcc, s33, v14
	v_addc_co_u32_e32 v15, vcc, v6, v15, vcc
	global_load_dwordx2 v[14:15], v[14:15], off
.LBB162_520:                            ;   in Loop: Header=BB162_518 Depth=1
	s_or_b64 exec, exec, s[4:5]
	v_xor_b32_e32 v23, 0x80000000, v3
	v_mov_b32_e32 v22, v2
	v_cmp_gt_u64_e64 s[4:5], v[22:23], v[4:5]
	v_cndmask_b32_e64 v6, 0, 1, s[4:5]
	v_cmp_lt_u64_e64 s[4:5], v[22:23], v[4:5]
	v_cndmask_b32_e64 v22, 0, 1, s[4:5]
	v_cndmask_b32_e64 v6, v22, v6, s[38:39]
	v_and_b32_e32 v6, 1, v6
	v_cmp_gt_u64_e32 vcc, s[60:61], v[20:21]
	v_cmp_eq_u32_e64 s[4:5], 1, v6
	s_and_b64 s[28:29], vcc, s[4:5]
	v_cndmask_b32_e64 v6, 0, 1, s[28:29]
	v_cmp_ne_u32_e32 vcc, 0, v6
	s_cmp_lg_u64 vcc, 0
	s_cselect_b64 s[4:5], -1, 0
	s_and_b64 s[4:5], s[0:1], s[4:5]
	s_and_saveexec_b64 s[26:27], s[4:5]
	s_cbranch_execz .LBB162_524
; %bb.521:                              ;   in Loop: Header=BB162_518 Depth=1
	s_mov_b64 s[34:35], exec
	v_mbcnt_lo_u32_b32 v6, s34, 0
	v_mbcnt_hi_u32_b32 v22, s35, v6
	s_bcnt1_i32_b64 s36, vcc
	v_cmp_eq_u32_e64 s[4:5], 0, v22
                                        ; implicit-def: $vgpr12_vgpr13
	s_and_saveexec_b64 s[30:31], s[4:5]
	s_cbranch_execz .LBB162_523
; %bb.522:                              ;   in Loop: Header=BB162_518 Depth=1
	s_bcnt1_i32_b64 s4, s[34:35]
	s_mul_i32 s4, s36, s4
	v_mov_b32_e32 v6, s4
	s_waitcnt lgkmcnt(0)
	ds_add_rtn_u64 v[12:13], v7, v[6:7] offset:5136
.LBB162_523:                            ;   in Loop: Header=BB162_518 Depth=1
	s_or_b64 exec, exec, s[30:31]
	s_waitcnt lgkmcnt(0)
	v_readfirstlane_b32 s4, v13
	v_readfirstlane_b32 s5, v12
	v_mov_b32_e32 v12, s5
	v_mov_b32_e32 v13, s4
	v_mad_u64_u32 v[12:13], s[4:5], s36, v22, v[12:13]
.LBB162_524:                            ;   in Loop: Header=BB162_518 Depth=1
	s_or_b64 exec, exec, s[26:27]
	s_waitcnt lgkmcnt(0)
	ds_bpermute_b32 v12, v36, v12
	ds_bpermute_b32 v13, v36, v13
	s_mov_b64 s[4:5], -1
	s_mov_b64 s[34:35], -1
                                        ; implicit-def: $sgpr30_sgpr31
	s_and_saveexec_b64 s[26:27], s[28:29]
	s_cbranch_execz .LBB162_528
; %bb.525:                              ;   in Loop: Header=BB162_518 Depth=1
	v_and_b32_e32 v22, vcc_lo, v16
	v_and_b32_e32 v6, vcc_hi, v17
	v_bcnt_u32_b32 v22, v22, 0
	v_bcnt_u32_b32 v6, v6, v22
	s_waitcnt lgkmcnt(0)
	v_add_co_u32_e32 v22, vcc, v12, v6
	v_addc_co_u32_e32 v23, vcc, 0, v13, vcc
	v_cmp_gt_u64_e32 vcc, s[62:63], v[22:23]
	s_mov_b64 s[28:29], 0
	s_and_saveexec_b64 s[30:31], vcc
	s_cbranch_execz .LBB162_527
; %bb.526:                              ;   in Loop: Header=BB162_518 Depth=1
	v_mul_lo_u32 v6, v23, s16
	v_mul_lo_u32 v25, v22, s17
	v_mad_u64_u32 v[26:27], s[34:35], v22, s16, 0
	v_add3_u32 v27, v27, v25, v6
	v_mul_lo_u32 v6, v23, s18
	v_mul_lo_u32 v25, v22, s19
	v_mad_u64_u32 v[22:23], s[34:35], v22, s18, 0
	v_lshlrev_b64 v[26:27], 3, v[26:27]
	v_add3_u32 v23, v23, v25, v6
	v_mov_b32_e32 v6, s47
	v_add_co_u32_e32 v26, vcc, s46, v26
	v_addc_co_u32_e32 v27, vcc, v6, v27, vcc
	global_store_dwordx2 v[26:27], v[2:3], off
	v_lshlrev_b64 v[2:3], 3, v[22:23]
	v_mov_b32_e32 v6, s49
	v_add_co_u32_e32 v2, vcc, s48, v2
	s_mov_b64 s[28:29], exec
	v_addc_co_u32_e32 v3, vcc, v6, v3, vcc
	global_store_dwordx2 v[2:3], v[20:21], off
.LBB162_527:                            ;   in Loop: Header=BB162_518 Depth=1
	s_or_b64 exec, exec, s[30:31]
	s_mov_b64 s[30:31], -1
	s_orn2_b64 s[34:35], s[28:29], exec
.LBB162_528:                            ;   in Loop: Header=BB162_518 Depth=1
	s_or_b64 exec, exec, s[26:27]
	s_and_saveexec_b64 s[26:27], s[34:35]
	s_cbranch_execz .LBB162_517
; %bb.529:                              ;   in Loop: Header=BB162_518 Depth=1
	v_cmp_le_u64_e32 vcc, s[14:15], v[8:9]
	s_andn2_b64 s[30:31], s[30:31], exec
	s_orn2_b64 s[4:5], vcc, exec
	s_branch .LBB162_517
.LBB162_530:
	s_or_b64 exec, exec, s[22:23]
	s_mov_b64 s[4:5], exec
	s_orn2_b64 s[22:23], s[24:25], exec
	s_or_b64 exec, exec, s[20:21]
	s_and_saveexec_b64 s[20:21], s[22:23]
	s_cbranch_execz .LBB162_507
.LBB162_531:
	v_pk_mov_b32 v[8:9], 0, 0
	s_waitcnt lgkmcnt(0)
	s_barrier
	s_mov_b64 s[2:3], exec
	v_readlane_b32 s22, v55, 46
	v_readlane_b32 s23, v55, 47
	s_and_b64 s[22:23], s[2:3], s[22:23]
	s_mov_b64 exec, s[22:23]
	s_cbranch_execz .LBB162_533
; %bb.532:
	global_load_dwordx2 v[8:9], v[18:19], off
.LBB162_533:
	s_or_b64 exec, exec, s[2:3]
	s_mov_b64 s[22:23], 0
	s_waitcnt vmcnt(0)
	v_mov_b32_e32 v3, 0
                                        ; implicit-def: $sgpr24_sgpr25
                                        ; implicit-def: $sgpr26_sgpr27
                                        ; implicit-def: $sgpr28_sgpr29
                                        ; implicit-def: $vgpr4_vgpr5
	s_branch .LBB162_536
.LBB162_534:                            ;   in Loop: Header=BB162_536 Depth=1
	s_or_b64 exec, exec, s[36:37]
	s_andn2_b64 s[28:29], s[28:29], exec
	s_and_b64 s[34:35], s[40:41], exec
	s_andn2_b64 s[26:27], s[26:27], exec
	s_and_b64 s[2:3], s[2:3], exec
	s_or_b64 s[28:29], s[28:29], s[34:35]
	s_or_b64 s[26:27], s[26:27], s[2:3]
	v_pk_mov_b32 v[0:1], v[6:7], v[6:7] op_sel:[0,1]
.LBB162_535:                            ;   in Loop: Header=BB162_536 Depth=1
	s_or_b64 exec, exec, s[30:31]
	s_xor_b64 s[2:3], s[28:29], -1
	s_and_b64 s[30:31], exec, s[26:27]
	s_or_b64 s[22:23], s[30:31], s[22:23]
	s_andn2_b64 s[24:25], s[24:25], exec
	s_and_b64 s[2:3], s[2:3], exec
	s_or_b64 s[24:25], s[24:25], s[2:3]
	s_andn2_b64 exec, exec, s[22:23]
	s_cbranch_execz .LBB162_551
.LBB162_536:                            ; =>This Inner Loop Header: Depth=1
	v_cmp_gt_u64_e32 vcc, s[14:15], v[0:1]
	s_or_b64 s[28:29], s[28:29], exec
	s_or_b64 s[26:27], s[26:27], exec
	s_and_saveexec_b64 s[30:31], vcc
	s_cbranch_execz .LBB162_535
; %bb.537:                              ;   in Loop: Header=BB162_536 Depth=1
	v_mov_b32_e32 v2, s74
	v_add_co_u32_e32 v6, vcc, s89, v0
	v_addc_co_u32_e32 v7, vcc, v1, v2, vcc
	v_cmp_gt_u64_e32 vcc, s[60:61], v[6:7]
	v_pk_mov_b32 v[12:13], 0, 0
	s_and_saveexec_b64 s[2:3], vcc
	s_cbranch_execz .LBB162_539
; %bb.538:                              ;   in Loop: Header=BB162_536 Depth=1
	v_mul_lo_u32 v2, v7, s58
	v_mul_lo_u32 v14, v6, s59
	v_mad_u64_u32 v[12:13], s[34:35], v6, s58, 0
	v_add3_u32 v13, v13, v14, v2
	v_lshlrev_b64 v[12:13], 3, v[12:13]
	v_mov_b32_e32 v2, s88
	v_add_co_u32_e32 v12, vcc, s33, v12
	v_addc_co_u32_e32 v13, vcc, v2, v13, vcc
	global_load_dwordx2 v[12:13], v[12:13], off
.LBB162_539:                            ;   in Loop: Header=BB162_536 Depth=1
	s_or_b64 exec, exec, s[2:3]
	v_cmp_gt_u64_e32 vcc, s[60:61], v[0:1]
	v_cmp_eq_u64_e64 s[2:3], v[8:9], v[10:11]
	s_and_b64 s[36:37], vcc, s[2:3]
	v_cndmask_b32_e64 v2, 0, 1, s[36:37]
	v_cmp_ne_u32_e32 vcc, 0, v2
	s_cmp_lg_u64 vcc, 0
	s_cselect_b64 s[2:3], -1, 0
	s_and_b64 s[2:3], s[0:1], s[2:3]
	s_and_saveexec_b64 s[34:35], s[2:3]
	s_cbranch_execz .LBB162_543
; %bb.540:                              ;   in Loop: Header=BB162_536 Depth=1
	s_mov_b64 s[40:41], exec
	v_mbcnt_lo_u32_b32 v2, s40, 0
	v_mbcnt_hi_u32_b32 v14, s41, v2
	s_bcnt1_i32_b64 s42, vcc
	v_cmp_eq_u32_e64 s[2:3], 0, v14
                                        ; implicit-def: $vgpr4_vgpr5
	s_and_saveexec_b64 s[38:39], s[2:3]
	s_cbranch_execz .LBB162_542
; %bb.541:                              ;   in Loop: Header=BB162_536 Depth=1
	s_bcnt1_i32_b64 s2, s[40:41]
	s_mul_i32 s2, s42, s2
	v_mov_b32_e32 v2, s2
	ds_add_rtn_u64 v[4:5], v3, v[2:3] offset:5136
.LBB162_542:                            ;   in Loop: Header=BB162_536 Depth=1
	s_or_b64 exec, exec, s[38:39]
	s_waitcnt lgkmcnt(0)
	v_readfirstlane_b32 s2, v5
	v_readfirstlane_b32 s3, v4
	v_mov_b32_e32 v4, s3
	v_mov_b32_e32 v5, s2
	v_mad_u64_u32 v[4:5], s[2:3], s42, v14, v[4:5]
.LBB162_543:                            ;   in Loop: Header=BB162_536 Depth=1
	s_or_b64 exec, exec, s[34:35]
	ds_bpermute_b32 v4, v36, v4
	ds_bpermute_b32 v5, v36, v5
	s_cmp_eq_u64 vcc, 0
	s_cselect_b64 s[34:35], -1, 0
	s_mov_b64 s[38:39], -1
	s_mov_b64 s[40:41], -1
	s_waitcnt lgkmcnt(0)
	v_cmp_gt_u64_e64 s[2:3], s[62:63], v[4:5]
	s_or_b64 s[34:35], s[34:35], s[2:3]
	s_waitcnt vmcnt(0)
	v_cndmask_b32_e64 v9, v9, v13, s[34:35]
	s_and_b64 s[42:43], s[36:37], s[34:35]
	v_cndmask_b32_e64 v8, v8, v12, s[34:35]
	s_mov_b64 s[2:3], -1
	s_and_saveexec_b64 s[36:37], s[42:43]
	s_cbranch_execz .LBB162_549
; %bb.544:                              ;   in Loop: Header=BB162_536 Depth=1
	v_and_b32_e32 v8, vcc_lo, v16
	v_and_b32_e32 v2, vcc_hi, v17
	v_bcnt_u32_b32 v8, v8, 0
	v_bcnt_u32_b32 v2, v2, v8
	v_mov_b32_e32 v9, s63
	v_sub_co_u32_e32 v8, vcc, s62, v4
	v_subb_co_u32_e32 v9, vcc, v9, v5, vcc
	v_cmp_le_u64_e64 s[38:39], v[8:9], v[2:3]
	v_cmp_gt_u64_e32 vcc, v[8:9], v[2:3]
	s_mov_b64 s[42:43], -1
	s_and_saveexec_b64 s[40:41], vcc
	s_cbranch_execz .LBB162_548
; %bb.545:                              ;   in Loop: Header=BB162_536 Depth=1
	v_add_co_u32_e32 v8, vcc, v4, v2
	v_addc_co_u32_e32 v9, vcc, 0, v5, vcc
	v_cmp_gt_u64_e32 vcc, s[62:63], v[8:9]
	s_mov_b64 s[44:45], s[38:39]
	s_and_saveexec_b64 s[42:43], vcc
	s_cbranch_execz .LBB162_547
; %bb.546:                              ;   in Loop: Header=BB162_536 Depth=1
	v_mul_lo_u32 v2, v9, s16
	v_mul_lo_u32 v18, v8, s17
	v_mad_u64_u32 v[14:15], s[44:45], v8, s16, 0
	v_add3_u32 v15, v15, v18, v2
	v_mul_lo_u32 v2, v9, s18
	v_mul_lo_u32 v18, v8, s19
	v_mad_u64_u32 v[8:9], s[44:45], v8, s18, 0
	v_lshlrev_b64 v[14:15], 3, v[14:15]
	v_add3_u32 v9, v9, v18, v2
	v_mov_b32_e32 v2, s47
	v_add_co_u32_e32 v14, vcc, s46, v14
	v_addc_co_u32_e32 v15, vcc, v2, v15, vcc
	v_lshlrev_b64 v[8:9], 3, v[8:9]
	v_mov_b32_e32 v2, s49
	v_add_co_u32_e32 v8, vcc, s48, v8
	v_addc_co_u32_e32 v9, vcc, v2, v9, vcc
	s_or_b64 s[44:45], s[38:39], exec
	global_store_dwordx2 v[14:15], v[10:11], off
	global_store_dwordx2 v[8:9], v[0:1], off
.LBB162_547:                            ;   in Loop: Header=BB162_536 Depth=1
	s_or_b64 exec, exec, s[42:43]
	s_andn2_b64 s[38:39], s[38:39], exec
	s_and_b64 s[44:45], s[44:45], exec
	s_xor_b64 s[42:43], exec, -1
	s_or_b64 s[38:39], s[38:39], s[44:45]
.LBB162_548:                            ;   in Loop: Header=BB162_536 Depth=1
	s_or_b64 exec, exec, s[40:41]
	s_orn2_b64 s[40:41], s[42:43], exec
	s_or_b64 s[34:35], s[34:35], exec
	s_orn2_b64 s[38:39], s[38:39], exec
	v_pk_mov_b32 v[8:9], v[12:13], v[12:13] op_sel:[0,1]
.LBB162_549:                            ;   in Loop: Header=BB162_536 Depth=1
	s_or_b64 exec, exec, s[36:37]
	s_and_saveexec_b64 s[36:37], s[38:39]
	s_cbranch_execz .LBB162_534
; %bb.550:                              ;   in Loop: Header=BB162_536 Depth=1
	s_xor_b64 s[2:3], s[34:35], -1
	s_or_b64 s[40:41], s[40:41], exec
	s_orn2_b64 s[2:3], s[2:3], exec
	s_branch .LBB162_534
.LBB162_551:
	s_or_b64 exec, exec, s[22:23]
	s_mov_b64 s[0:1], 0
	s_and_saveexec_b64 s[2:3], s[24:25]
	s_xor_b64 s[2:3], exec, s[2:3]
	s_cbranch_execnz .LBB162_557
.LBB162_552:
	s_or_b64 exec, exec, s[2:3]
	s_and_b64 s[2:3], s[0:1], exec
	s_andn2_b64 s[4:5], s[4:5], exec
	s_or_b64 exec, exec, s[20:21]
	s_and_saveexec_b64 s[0:1], s[4:5]
	s_xor_b64 s[0:1], exec, s[0:1]
	s_cbranch_execz .LBB162_508
.LBB162_553:
	s_or_b64 s[2:3], s[2:3], exec
	s_trap 2
	s_branch .LBB162_508
.LBB162_554:
	s_or_b64 s[10:11], s[10:11], exec
	s_trap 2
	s_branch .LBB162_514
.LBB162_555:
	s_or_b64 s[12:13], s[12:13], exec
	s_trap 2
	s_branch .LBB162_512
.LBB162_556:
	s_trap 2
	s_or_b64 s[14:15], s[14:15], exec
	s_branch .LBB162_510
.LBB162_557:
	s_mov_b64 s[0:1], exec
	s_trap 2
	s_branch .LBB162_552
	.section	.rodata,"a",@progbits
	.p2align	6, 0x0
	.amdhsa_kernel _ZN2at6native6sbtopk10gatherTopKIlmLi3ELb0EEEvNS_4cuda6detail10TensorInfoIKT_T0_EES8_S8_bS8_S8_NS5_IS6_S8_EES8_NS5_IlS8_EES8_PS6_
		.amdhsa_group_segment_fixed_size 5152
		.amdhsa_private_segment_fixed_size 0
		.amdhsa_kernarg_size 1568
		.amdhsa_user_sgpr_count 6
		.amdhsa_user_sgpr_private_segment_buffer 1
		.amdhsa_user_sgpr_dispatch_ptr 0
		.amdhsa_user_sgpr_queue_ptr 0
		.amdhsa_user_sgpr_kernarg_segment_ptr 1
		.amdhsa_user_sgpr_dispatch_id 0
		.amdhsa_user_sgpr_flat_scratch_init 0
		.amdhsa_user_sgpr_kernarg_preload_length 0
		.amdhsa_user_sgpr_kernarg_preload_offset 0
		.amdhsa_user_sgpr_private_segment_size 0
		.amdhsa_uses_dynamic_stack 0
		.amdhsa_system_sgpr_private_segment_wavefront_offset 0
		.amdhsa_system_sgpr_workgroup_id_x 1
		.amdhsa_system_sgpr_workgroup_id_y 1
		.amdhsa_system_sgpr_workgroup_id_z 1
		.amdhsa_system_sgpr_workgroup_info 0
		.amdhsa_system_vgpr_workitem_id 0
		.amdhsa_next_free_vgpr 56
		.amdhsa_next_free_sgpr 96
		.amdhsa_accum_offset 56
		.amdhsa_reserve_vcc 1
		.amdhsa_reserve_flat_scratch 0
		.amdhsa_float_round_mode_32 0
		.amdhsa_float_round_mode_16_64 0
		.amdhsa_float_denorm_mode_32 3
		.amdhsa_float_denorm_mode_16_64 3
		.amdhsa_dx10_clamp 1
		.amdhsa_ieee_mode 1
		.amdhsa_fp16_overflow 0
		.amdhsa_tg_split 0
		.amdhsa_exception_fp_ieee_invalid_op 0
		.amdhsa_exception_fp_denorm_src 0
		.amdhsa_exception_fp_ieee_div_zero 0
		.amdhsa_exception_fp_ieee_overflow 0
		.amdhsa_exception_fp_ieee_underflow 0
		.amdhsa_exception_fp_ieee_inexact 0
		.amdhsa_exception_int_div_zero 0
	.end_amdhsa_kernel
	.section	.text._ZN2at6native6sbtopk10gatherTopKIlmLi3ELb0EEEvNS_4cuda6detail10TensorInfoIKT_T0_EES8_S8_bS8_S8_NS5_IS6_S8_EES8_NS5_IlS8_EES8_PS6_,"axG",@progbits,_ZN2at6native6sbtopk10gatherTopKIlmLi3ELb0EEEvNS_4cuda6detail10TensorInfoIKT_T0_EES8_S8_bS8_S8_NS5_IS6_S8_EES8_NS5_IlS8_EES8_PS6_,comdat
.Lfunc_end162:
	.size	_ZN2at6native6sbtopk10gatherTopKIlmLi3ELb0EEEvNS_4cuda6detail10TensorInfoIKT_T0_EES8_S8_bS8_S8_NS5_IS6_S8_EES8_NS5_IlS8_EES8_PS6_, .Lfunc_end162-_ZN2at6native6sbtopk10gatherTopKIlmLi3ELb0EEEvNS_4cuda6detail10TensorInfoIKT_T0_EES8_S8_bS8_S8_NS5_IS6_S8_EES8_NS5_IlS8_EES8_PS6_
                                        ; -- End function
	.section	.AMDGPU.csdata,"",@progbits
; Kernel info:
; codeLenInByte = 28356
; NumSgprs: 100
; NumVgprs: 56
; NumAgprs: 0
; TotalNumVgprs: 56
; ScratchSize: 0
; MemoryBound: 0
; FloatMode: 240
; IeeeMode: 1
; LDSByteSize: 5152 bytes/workgroup (compile time only)
; SGPRBlocks: 12
; VGPRBlocks: 6
; NumSGPRsForWavesPerEU: 100
; NumVGPRsForWavesPerEU: 56
; AccumOffset: 56
; Occupancy: 8
; WaveLimiterHint : 1
; COMPUTE_PGM_RSRC2:SCRATCH_EN: 0
; COMPUTE_PGM_RSRC2:USER_SGPR: 6
; COMPUTE_PGM_RSRC2:TRAP_HANDLER: 0
; COMPUTE_PGM_RSRC2:TGID_X_EN: 1
; COMPUTE_PGM_RSRC2:TGID_Y_EN: 1
; COMPUTE_PGM_RSRC2:TGID_Z_EN: 1
; COMPUTE_PGM_RSRC2:TIDIG_COMP_CNT: 0
; COMPUTE_PGM_RSRC3_GFX90A:ACCUM_OFFSET: 13
; COMPUTE_PGM_RSRC3_GFX90A:TG_SPLIT: 0
	.section	.text._ZN2at6native6mbtopk23computeBlockDigitCountsIlmmLin1EEEvNS_4cuda6detail10TensorInfoIKT_T0_EEjPjjS8_iijT1_PSB_Ps,"axG",@progbits,_ZN2at6native6mbtopk23computeBlockDigitCountsIlmmLin1EEEvNS_4cuda6detail10TensorInfoIKT_T0_EEjPjjS8_iijT1_PSB_Ps,comdat
	.protected	_ZN2at6native6mbtopk23computeBlockDigitCountsIlmmLin1EEEvNS_4cuda6detail10TensorInfoIKT_T0_EEjPjjS8_iijT1_PSB_Ps ; -- Begin function _ZN2at6native6mbtopk23computeBlockDigitCountsIlmmLin1EEEvNS_4cuda6detail10TensorInfoIKT_T0_EEjPjjS8_iijT1_PSB_Ps
	.globl	_ZN2at6native6mbtopk23computeBlockDigitCountsIlmmLin1EEEvNS_4cuda6detail10TensorInfoIKT_T0_EEjPjjS8_iijT1_PSB_Ps
	.p2align	8
	.type	_ZN2at6native6mbtopk23computeBlockDigitCountsIlmmLin1EEEvNS_4cuda6detail10TensorInfoIKT_T0_EEjPjjS8_iijT1_PSB_Ps,@function
_ZN2at6native6mbtopk23computeBlockDigitCountsIlmmLin1EEEvNS_4cuda6detail10TensorInfoIKT_T0_EEjPjjS8_iijT1_PSB_Ps: ; @_ZN2at6native6mbtopk23computeBlockDigitCountsIlmmLin1EEEvNS_4cuda6detail10TensorInfoIKT_T0_EEjPjjS8_iijT1_PSB_Ps
; %bb.0:
	s_load_dwordx4 s[12:15], s[4:5], 0x1c0
	s_load_dword s2, s[4:5], 0x1b0
	s_load_dwordx2 s[0:1], s[4:5], 0x1e8
	s_mov_b32 s17, 0
	s_waitcnt lgkmcnt(0)
	v_cvt_f32_u32_e32 v1, s14
	s_sub_i32 s3, 0, s14
	s_mul_i32 s1, s1, s8
	s_add_i32 s1, s1, s7
	v_rcp_iflag_f32_e32 v1, v1
	s_mul_i32 s28, s1, s0
	s_add_i32 s28, s28, s6
	v_mul_f32_e32 v1, 0x4f7ffffe, v1
	v_cvt_u32_f32_e32 v1, v1
	v_readfirstlane_b32 s0, v1
	s_mul_i32 s3, s3, s0
	s_mul_hi_u32 s1, s0, s3
	s_add_i32 s0, s0, s1
	s_mul_hi_u32 s0, s28, s0
	s_mul_i32 s1, s0, s14
	s_sub_i32 s1, s28, s1
	s_add_i32 s3, s0, 1
	s_sub_i32 s6, s1, s14
	s_cmp_ge_u32 s1, s14
	s_cselect_b32 s0, s3, s0
	s_cselect_b32 s1, s6, s1
	s_add_i32 s3, s0, 1
	s_cmp_ge_u32 s1, s14
	s_cselect_b32 s16, s3, s0
	s_cmp_ge_u32 s16, s2
	s_cbranch_scc1 .LBB163_32
; %bb.1:
	s_load_dwordx4 s[8:11], s[4:5], 0x1d0
	s_load_dword s0, s[4:5], 0x198
	s_load_dwordx2 s[2:3], s[4:5], 0x1e0
	s_lshl_b64 s[6:7], s[16:17], 3
	s_mov_b64 s[22:23], s[16:17]
	s_waitcnt lgkmcnt(0)
	s_add_u32 s6, s10, s6
	s_addc_u32 s7, s11, s7
	s_load_dwordx2 s[6:7], s[6:7], 0x0
	s_cmp_lt_i32 s0, 2
	s_mov_b64 s[10:11], 0
	s_cbranch_scc1 .LBB163_9
; %bb.2:
	s_mov_b32 s18, 0
	s_add_i32 s15, s0, 1
	s_add_i32 s0, s0, -1
	s_mov_b32 s1, s18
	s_lshl_b64 s[0:1], s[0:1], 3
	s_add_u32 s0, s0, s4
	s_addc_u32 s1, s1, s5
	s_add_u32 s20, s0, 8
	s_addc_u32 s21, s1, 0
.LBB163_3:                              ; =>This Inner Loop Header: Depth=1
	s_load_dwordx2 s[24:25], s[20:21], 0x0
	s_waitcnt lgkmcnt(0)
	s_or_b64 s[0:1], s[22:23], s[24:25]
	s_mov_b32 s19, s1
	s_cmp_lg_u64 s[18:19], 0
	s_cbranch_scc0 .LBB163_8
; %bb.4:                                ;   in Loop: Header=BB163_3 Depth=1
	v_cvt_f32_u32_e32 v1, s24
	v_cvt_f32_u32_e32 v2, s25
	s_sub_u32 s0, 0, s24
	s_subb_u32 s1, 0, s25
	v_mac_f32_e32 v1, 0x4f800000, v2
	v_rcp_f32_e32 v1, v1
	v_mul_f32_e32 v1, 0x5f7ffffc, v1
	v_mul_f32_e32 v2, 0x2f800000, v1
	v_trunc_f32_e32 v2, v2
	v_mac_f32_e32 v1, 0xcf800000, v2
	v_cvt_u32_f32_e32 v2, v2
	v_cvt_u32_f32_e32 v1, v1
	v_readfirstlane_b32 s17, v2
	v_readfirstlane_b32 s19, v1
	s_mul_i32 s26, s0, s17
	s_mul_hi_u32 s29, s0, s19
	s_mul_i32 s27, s1, s19
	s_add_i32 s26, s29, s26
	s_mul_i32 s30, s0, s19
	s_add_i32 s26, s26, s27
	s_mul_hi_u32 s27, s19, s26
	s_mul_i32 s29, s19, s26
	s_mul_hi_u32 s19, s19, s30
	s_add_u32 s19, s19, s29
	s_addc_u32 s27, 0, s27
	s_mul_hi_u32 s31, s17, s30
	s_mul_i32 s30, s17, s30
	s_add_u32 s19, s19, s30
	s_mul_hi_u32 s29, s17, s26
	s_addc_u32 s19, s27, s31
	s_addc_u32 s27, s29, 0
	s_mul_i32 s26, s17, s26
	s_add_u32 s19, s19, s26
	s_addc_u32 s26, 0, s27
	v_add_co_u32_e32 v1, vcc, s19, v1
	s_cmp_lg_u64 vcc, 0
	s_addc_u32 s17, s17, s26
	v_readfirstlane_b32 s26, v1
	s_mul_i32 s19, s0, s17
	s_mul_hi_u32 s27, s0, s26
	s_add_i32 s19, s27, s19
	s_mul_i32 s1, s1, s26
	s_add_i32 s19, s19, s1
	s_mul_i32 s0, s0, s26
	s_mul_hi_u32 s27, s17, s0
	s_mul_i32 s29, s17, s0
	s_mul_i32 s31, s26, s19
	s_mul_hi_u32 s0, s26, s0
	s_mul_hi_u32 s30, s26, s19
	s_add_u32 s0, s0, s31
	s_addc_u32 s26, 0, s30
	s_add_u32 s0, s0, s29
	s_mul_hi_u32 s1, s17, s19
	s_addc_u32 s0, s26, s27
	s_addc_u32 s1, s1, 0
	s_mul_i32 s19, s17, s19
	s_add_u32 s0, s0, s19
	s_addc_u32 s1, 0, s1
	v_add_co_u32_e32 v1, vcc, s0, v1
	s_cmp_lg_u64 vcc, 0
	s_addc_u32 s0, s17, s1
	v_readfirstlane_b32 s19, v1
	s_mul_i32 s17, s22, s0
	s_mul_hi_u32 s26, s22, s19
	s_mul_hi_u32 s1, s22, s0
	s_add_u32 s17, s26, s17
	s_addc_u32 s1, 0, s1
	s_mul_hi_u32 s27, s23, s19
	s_mul_i32 s19, s23, s19
	s_add_u32 s17, s17, s19
	s_mul_hi_u32 s26, s23, s0
	s_addc_u32 s1, s1, s27
	s_addc_u32 s17, s26, 0
	s_mul_i32 s0, s23, s0
	s_add_u32 s19, s1, s0
	s_addc_u32 s17, 0, s17
	s_mul_i32 s0, s24, s17
	s_mul_hi_u32 s1, s24, s19
	s_add_i32 s0, s1, s0
	s_mul_i32 s1, s25, s19
	s_add_i32 s26, s0, s1
	s_mul_i32 s1, s24, s19
	v_mov_b32_e32 v1, s1
	s_sub_i32 s0, s23, s26
	v_sub_co_u32_e32 v1, vcc, s22, v1
	s_cmp_lg_u64 vcc, 0
	s_subb_u32 s27, s0, s25
	v_subrev_co_u32_e64 v2, s[0:1], s24, v1
	s_cmp_lg_u64 s[0:1], 0
	s_subb_u32 s0, s27, 0
	s_cmp_ge_u32 s0, s25
	v_readfirstlane_b32 s27, v2
	s_cselect_b32 s1, -1, 0
	s_cmp_ge_u32 s27, s24
	s_cselect_b32 s27, -1, 0
	s_cmp_eq_u32 s0, s25
	s_cselect_b32 s0, s27, s1
	s_add_u32 s1, s19, 1
	s_addc_u32 s27, s17, 0
	s_add_u32 s29, s19, 2
	s_addc_u32 s30, s17, 0
	s_cmp_lg_u32 s0, 0
	s_cselect_b32 s0, s29, s1
	s_cselect_b32 s1, s30, s27
	s_cmp_lg_u64 vcc, 0
	s_subb_u32 s26, s23, s26
	s_cmp_ge_u32 s26, s25
	v_readfirstlane_b32 s29, v1
	s_cselect_b32 s27, -1, 0
	s_cmp_ge_u32 s29, s24
	s_cselect_b32 s29, -1, 0
	s_cmp_eq_u32 s26, s25
	s_cselect_b32 s26, s29, s27
	s_cmp_lg_u32 s26, 0
	s_cselect_b32 s1, s1, s17
	s_cselect_b32 s0, s0, s19
	s_cbranch_execnz .LBB163_6
.LBB163_5:                              ;   in Loop: Header=BB163_3 Depth=1
	v_cvt_f32_u32_e32 v1, s24
	s_sub_i32 s0, 0, s24
	v_rcp_iflag_f32_e32 v1, v1
	v_mul_f32_e32 v1, 0x4f7ffffe, v1
	v_cvt_u32_f32_e32 v1, v1
	v_readfirstlane_b32 s1, v1
	s_mul_i32 s0, s0, s1
	s_mul_hi_u32 s0, s1, s0
	s_add_i32 s1, s1, s0
	s_mul_hi_u32 s0, s22, s1
	s_mul_i32 s17, s0, s24
	s_sub_i32 s17, s22, s17
	s_add_i32 s1, s0, 1
	s_sub_i32 s19, s17, s24
	s_cmp_ge_u32 s17, s24
	s_cselect_b32 s0, s1, s0
	s_cselect_b32 s17, s19, s17
	s_add_i32 s1, s0, 1
	s_cmp_ge_u32 s17, s24
	s_cselect_b32 s0, s1, s0
	s_mov_b32 s1, s18
.LBB163_6:                              ;   in Loop: Header=BB163_3 Depth=1
	s_mul_i32 s17, s0, s25
	s_mul_hi_u32 s19, s0, s24
	s_load_dwordx2 s[26:27], s[20:21], 0xc8
	s_add_i32 s17, s19, s17
	s_mul_i32 s19, s1, s24
	s_add_i32 s17, s17, s19
	s_mul_i32 s19, s0, s24
	s_sub_u32 s19, s22, s19
	s_subb_u32 s17, s23, s17
	s_waitcnt lgkmcnt(0)
	s_mul_i32 s17, s26, s17
	s_mul_hi_u32 s22, s26, s19
	s_add_i32 s17, s22, s17
	s_mul_i32 s22, s27, s19
	s_add_i32 s17, s17, s22
	s_mul_i32 s19, s26, s19
	s_add_u32 s10, s19, s10
	s_addc_u32 s11, s17, s11
	s_add_i32 s15, s15, -1
	s_add_u32 s20, s20, -8
	s_addc_u32 s21, s21, -1
	s_cmp_gt_u32 s15, 2
	s_cbranch_scc0 .LBB163_10
; %bb.7:                                ;   in Loop: Header=BB163_3 Depth=1
	s_mov_b64 s[22:23], s[0:1]
	s_branch .LBB163_3
.LBB163_8:                              ;   in Loop: Header=BB163_3 Depth=1
                                        ; implicit-def: $sgpr0_sgpr1
	s_branch .LBB163_5
.LBB163_9:
	s_mov_b64 s[0:1], s[22:23]
.LBB163_10:
	s_movk_i32 s15, 0x100
	v_cmp_gt_u32_e32 vcc, s15, v0
	v_lshlrev_b32_e32 v1, 2, v0
	s_and_saveexec_b64 s[18:19], vcc
	s_cbranch_execz .LBB163_12
; %bb.11:
	v_mov_b32_e32 v2, 0
	ds_write_b32 v1, v2
.LBB163_12:
	s_or_b64 exec, exec, s[18:19]
	s_load_dword s17, s[4:5], 0x1a0
	s_mul_i32 s15, s16, s14
	s_sub_i32 s15, s28, s15
	s_add_i32 s16, s15, 1
	s_mul_i32 s15, s13, s15
	s_lshl_b32 s19, s15, 8
	s_waitcnt lgkmcnt(0)
	s_sub_i32 s15, s17, s19
	s_add_u32 s15, s15, 0xff
	s_addc_u32 s18, 0, 0
	v_mov_b32_e32 v2, s15
	v_alignbit_b32 v2, s18, v2, 8
	s_cmp_lt_u32 s16, s14
	v_readfirstlane_b32 s14, v2
	s_cselect_b32 s13, s13, s14
	s_cmp_lt_i32 s13, 1
	s_mov_b32 s18, 0
	s_barrier
	s_cbranch_scc1 .LBB163_28
; %bb.13:
	s_load_dwordx2 s[20:21], s[4:5], 0xd0
	s_load_dwordx2 s[14:15], s[4:5], 0x1b8
	;; [unrolled: 1-line block ×3, first 2 shown]
	v_add_u32_e32 v4, s19, v0
	s_waitcnt lgkmcnt(0)
	s_mul_i32 s1, s20, s1
	s_mul_hi_u32 s4, s20, s0
	s_mul_i32 s5, s21, s0
	s_add_i32 s1, s4, s1
	s_add_i32 s1, s1, s5
	s_mul_i32 s0, s20, s0
	s_lshl_b64 s[0:1], s[0:1], 3
	s_add_u32 s4, s22, s0
	s_addc_u32 s5, s23, s1
	s_lshl_b64 s[0:1], s[10:11], 3
	s_add_u32 s11, s4, s0
	s_addc_u32 s16, s5, s1
	s_and_b32 s10, s12, 0xff
	s_cmp_eq_u32 s13, 1
	s_cbranch_scc1 .LBB163_23
; %bb.14:
	s_and_b32 s12, s13, 0x7ffffffe
	v_mov_b32_e32 v5, 1
	v_mov_b32_e32 v6, 2
	v_mov_b32_e32 v7, v4
	s_branch .LBB163_16
.LBB163_15:                             ;   in Loop: Header=BB163_16 Depth=1
	s_or_b64 exec, exec, s[4:5]
	s_add_i32 s18, s18, 2
	s_cmp_eq_u32 s12, s18
	v_add_u32_e32 v7, 0x200, v7
	s_cbranch_scc1 .LBB163_22
.LBB163_16:                             ; =>This Inner Loop Header: Depth=1
	v_cmp_gt_u32_e64 s[0:1], s17, v7
	s_and_saveexec_b64 s[4:5], s[0:1]
	s_cbranch_execz .LBB163_19
; %bb.17:                               ;   in Loop: Header=BB163_16 Depth=1
	v_mad_u64_u32 v[2:3], s[0:1], v7, s14, 0
	v_mov_b32_e32 v8, v3
	v_mad_u64_u32 v[8:9], s[0:1], v7, s15, v[8:9]
	v_mov_b32_e32 v3, v8
	v_lshlrev_b64 v[2:3], 3, v[2:3]
	v_mov_b32_e32 v8, s16
	v_add_co_u32_e64 v2, s[0:1], s11, v2
	v_addc_co_u32_e64 v3, s[0:1], v8, v3, s[0:1]
	global_load_dwordx2 v[2:3], v[2:3], off
	s_waitcnt vmcnt(0)
	v_xor_b32_e32 v3, 0x80000000, v3
	v_xor_b32_e32 v8, s6, v2
	;; [unrolled: 1-line block ×3, first 2 shown]
	v_and_b32_e32 v9, s9, v9
	v_and_b32_e32 v8, s8, v8
	v_cmp_eq_u64_e64 s[0:1], 0, v[8:9]
	s_and_b64 exec, exec, s[0:1]
	s_cbranch_execz .LBB163_19
; %bb.18:                               ;   in Loop: Header=BB163_16 Depth=1
	v_lshrrev_b64 v[2:3], s10, v[2:3]
	v_lshlrev_b32_sdwa v2, v6, v2 dst_sel:DWORD dst_unused:UNUSED_PAD src0_sel:DWORD src1_sel:BYTE_0
	ds_add_u32 v2, v5
.LBB163_19:                             ;   in Loop: Header=BB163_16 Depth=1
	s_or_b64 exec, exec, s[4:5]
	v_add_u32_e32 v2, 0x100, v7
	v_cmp_gt_u32_e64 s[0:1], s17, v2
	s_and_saveexec_b64 s[4:5], s[0:1]
	s_cbranch_execz .LBB163_15
; %bb.20:                               ;   in Loop: Header=BB163_16 Depth=1
	v_mad_u64_u32 v[8:9], s[0:1], v2, s14, 0
	v_mov_b32_e32 v10, v9
	v_mad_u64_u32 v[2:3], s[0:1], v2, s15, v[10:11]
	v_mov_b32_e32 v9, v2
	v_lshlrev_b64 v[2:3], 3, v[8:9]
	v_mov_b32_e32 v8, s16
	v_add_co_u32_e64 v2, s[0:1], s11, v2
	v_addc_co_u32_e64 v3, s[0:1], v8, v3, s[0:1]
	global_load_dwordx2 v[2:3], v[2:3], off
	s_waitcnt vmcnt(0)
	v_xor_b32_e32 v3, 0x80000000, v3
	v_xor_b32_e32 v8, s6, v2
	;; [unrolled: 1-line block ×3, first 2 shown]
	v_and_b32_e32 v9, s9, v9
	v_and_b32_e32 v8, s8, v8
	v_cmp_eq_u64_e64 s[0:1], 0, v[8:9]
	s_and_b64 exec, exec, s[0:1]
	s_cbranch_execz .LBB163_15
; %bb.21:                               ;   in Loop: Header=BB163_16 Depth=1
	v_lshrrev_b64 v[2:3], s10, v[2:3]
	v_lshlrev_b32_sdwa v2, v6, v2 dst_sel:DWORD dst_unused:UNUSED_PAD src0_sel:DWORD src1_sel:BYTE_0
	ds_add_u32 v2, v5
	s_branch .LBB163_15
.LBB163_22:
	s_lshl_b32 s18, s12, 8
.LBB163_23:
	s_bitcmp0_b32 s13, 0
	s_cbranch_scc1 .LBB163_28
; %bb.24:
	v_add_u32_e32 v2, s18, v4
	v_cmp_gt_u32_e64 s[0:1], s17, v2
	s_and_saveexec_b64 s[4:5], s[0:1]
	s_cbranch_execz .LBB163_27
; %bb.25:
	v_mad_u64_u32 v[4:5], s[0:1], v2, s14, 0
	v_mov_b32_e32 v6, v5
	v_mad_u64_u32 v[2:3], s[0:1], v2, s15, v[6:7]
	v_mov_b32_e32 v5, v2
	v_lshlrev_b64 v[2:3], 3, v[4:5]
	v_mov_b32_e32 v4, s16
	v_add_co_u32_e64 v2, s[0:1], s11, v2
	v_addc_co_u32_e64 v3, s[0:1], v4, v3, s[0:1]
	global_load_dwordx2 v[2:3], v[2:3], off
	s_waitcnt vmcnt(0)
	v_xor_b32_e32 v3, 0x80000000, v3
	v_xor_b32_e32 v4, s6, v2
	;; [unrolled: 1-line block ×3, first 2 shown]
	v_and_b32_e32 v5, s9, v5
	v_and_b32_e32 v4, s8, v4
	v_cmp_eq_u64_e64 s[0:1], 0, v[4:5]
	s_and_b64 exec, exec, s[0:1]
	s_cbranch_execz .LBB163_27
; %bb.26:
	v_lshrrev_b64 v[2:3], s10, v[2:3]
	v_mov_b32_e32 v3, 2
	v_lshlrev_b32_sdwa v2, v3, v2 dst_sel:DWORD dst_unused:UNUSED_PAD src0_sel:DWORD src1_sel:BYTE_0
	v_mov_b32_e32 v3, 1
	ds_add_u32 v2, v3
.LBB163_27:
	s_or_b64 exec, exec, s[4:5]
.LBB163_28:
	v_mov_b32_e32 v2, 0
	s_waitcnt lgkmcnt(0)
	s_barrier
	s_and_saveexec_b64 s[0:1], vcc
	s_cbranch_execz .LBB163_30
; %bb.29:
	ds_read_b32 v2, v1
.LBB163_30:
	s_or_b64 exec, exec, s[0:1]
	s_and_saveexec_b64 s[0:1], vcc
	s_cbranch_execz .LBB163_32
; %bb.31:
	v_lshl_or_b32 v0, s28, 8, v0
	v_mov_b32_e32 v1, 0
	v_lshlrev_b64 v[0:1], 1, v[0:1]
	v_mov_b32_e32 v3, s3
	v_add_co_u32_e32 v0, vcc, s2, v0
	v_addc_co_u32_e32 v1, vcc, v3, v1, vcc
	s_waitcnt lgkmcnt(0)
	global_store_short v[0:1], v2, off
.LBB163_32:
	s_endpgm
	.section	.rodata,"a",@progbits
	.p2align	6, 0x0
	.amdhsa_kernel _ZN2at6native6mbtopk23computeBlockDigitCountsIlmmLin1EEEvNS_4cuda6detail10TensorInfoIKT_T0_EEjPjjS8_iijT1_PSB_Ps
		.amdhsa_group_segment_fixed_size 1024
		.amdhsa_private_segment_fixed_size 0
		.amdhsa_kernarg_size 744
		.amdhsa_user_sgpr_count 6
		.amdhsa_user_sgpr_private_segment_buffer 1
		.amdhsa_user_sgpr_dispatch_ptr 0
		.amdhsa_user_sgpr_queue_ptr 0
		.amdhsa_user_sgpr_kernarg_segment_ptr 1
		.amdhsa_user_sgpr_dispatch_id 0
		.amdhsa_user_sgpr_flat_scratch_init 0
		.amdhsa_user_sgpr_kernarg_preload_length 0
		.amdhsa_user_sgpr_kernarg_preload_offset 0
		.amdhsa_user_sgpr_private_segment_size 0
		.amdhsa_uses_dynamic_stack 0
		.amdhsa_system_sgpr_private_segment_wavefront_offset 0
		.amdhsa_system_sgpr_workgroup_id_x 1
		.amdhsa_system_sgpr_workgroup_id_y 1
		.amdhsa_system_sgpr_workgroup_id_z 1
		.amdhsa_system_sgpr_workgroup_info 0
		.amdhsa_system_vgpr_workitem_id 0
		.amdhsa_next_free_vgpr 12
		.amdhsa_next_free_sgpr 32
		.amdhsa_accum_offset 12
		.amdhsa_reserve_vcc 1
		.amdhsa_reserve_flat_scratch 0
		.amdhsa_float_round_mode_32 0
		.amdhsa_float_round_mode_16_64 0
		.amdhsa_float_denorm_mode_32 3
		.amdhsa_float_denorm_mode_16_64 3
		.amdhsa_dx10_clamp 1
		.amdhsa_ieee_mode 1
		.amdhsa_fp16_overflow 0
		.amdhsa_tg_split 0
		.amdhsa_exception_fp_ieee_invalid_op 0
		.amdhsa_exception_fp_denorm_src 0
		.amdhsa_exception_fp_ieee_div_zero 0
		.amdhsa_exception_fp_ieee_overflow 0
		.amdhsa_exception_fp_ieee_underflow 0
		.amdhsa_exception_fp_ieee_inexact 0
		.amdhsa_exception_int_div_zero 0
	.end_amdhsa_kernel
	.section	.text._ZN2at6native6mbtopk23computeBlockDigitCountsIlmmLin1EEEvNS_4cuda6detail10TensorInfoIKT_T0_EEjPjjS8_iijT1_PSB_Ps,"axG",@progbits,_ZN2at6native6mbtopk23computeBlockDigitCountsIlmmLin1EEEvNS_4cuda6detail10TensorInfoIKT_T0_EEjPjjS8_iijT1_PSB_Ps,comdat
.Lfunc_end163:
	.size	_ZN2at6native6mbtopk23computeBlockDigitCountsIlmmLin1EEEvNS_4cuda6detail10TensorInfoIKT_T0_EEjPjjS8_iijT1_PSB_Ps, .Lfunc_end163-_ZN2at6native6mbtopk23computeBlockDigitCountsIlmmLin1EEEvNS_4cuda6detail10TensorInfoIKT_T0_EEjPjjS8_iijT1_PSB_Ps
                                        ; -- End function
	.section	.AMDGPU.csdata,"",@progbits
; Kernel info:
; codeLenInByte = 1788
; NumSgprs: 36
; NumVgprs: 12
; NumAgprs: 0
; TotalNumVgprs: 12
; ScratchSize: 0
; MemoryBound: 0
; FloatMode: 240
; IeeeMode: 1
; LDSByteSize: 1024 bytes/workgroup (compile time only)
; SGPRBlocks: 4
; VGPRBlocks: 1
; NumSGPRsForWavesPerEU: 36
; NumVGPRsForWavesPerEU: 12
; AccumOffset: 12
; Occupancy: 8
; WaveLimiterHint : 0
; COMPUTE_PGM_RSRC2:SCRATCH_EN: 0
; COMPUTE_PGM_RSRC2:USER_SGPR: 6
; COMPUTE_PGM_RSRC2:TRAP_HANDLER: 0
; COMPUTE_PGM_RSRC2:TGID_X_EN: 1
; COMPUTE_PGM_RSRC2:TGID_Y_EN: 1
; COMPUTE_PGM_RSRC2:TGID_Z_EN: 1
; COMPUTE_PGM_RSRC2:TIDIG_COMP_CNT: 0
; COMPUTE_PGM_RSRC3_GFX90A:ACCUM_OFFSET: 2
; COMPUTE_PGM_RSRC3_GFX90A:TG_SPLIT: 0
	.section	.text._ZN2at6native6mbtopk10gatherTopKIlmLin1EEEvNS_4cuda6detail10TensorInfoIKT_T0_EES8_S8_bjS8_NS5_IS6_S8_EES8_NS5_IlS8_EES8_jjPS6_PjSD_j,"axG",@progbits,_ZN2at6native6mbtopk10gatherTopKIlmLin1EEEvNS_4cuda6detail10TensorInfoIKT_T0_EES8_S8_bjS8_NS5_IS6_S8_EES8_NS5_IlS8_EES8_jjPS6_PjSD_j,comdat
	.protected	_ZN2at6native6mbtopk10gatherTopKIlmLin1EEEvNS_4cuda6detail10TensorInfoIKT_T0_EES8_S8_bjS8_NS5_IS6_S8_EES8_NS5_IlS8_EES8_jjPS6_PjSD_j ; -- Begin function _ZN2at6native6mbtopk10gatherTopKIlmLin1EEEvNS_4cuda6detail10TensorInfoIKT_T0_EES8_S8_bjS8_NS5_IS6_S8_EES8_NS5_IlS8_EES8_jjPS6_PjSD_j
	.globl	_ZN2at6native6mbtopk10gatherTopKIlmLin1EEEvNS_4cuda6detail10TensorInfoIKT_T0_EES8_S8_bjS8_NS5_IS6_S8_EES8_NS5_IlS8_EES8_jjPS6_PjSD_j
	.p2align	8
	.type	_ZN2at6native6mbtopk10gatherTopKIlmLin1EEEvNS_4cuda6detail10TensorInfoIKT_T0_EES8_S8_bjS8_NS5_IS6_S8_EES8_NS5_IlS8_EES8_jjPS6_PjSD_j,@function
_ZN2at6native6mbtopk10gatherTopKIlmLin1EEEvNS_4cuda6detail10TensorInfoIKT_T0_EES8_S8_bjS8_NS5_IS6_S8_EES8_NS5_IlS8_EES8_jjPS6_PjSD_j: ; @_ZN2at6native6mbtopk10gatherTopKIlmLin1EEEvNS_4cuda6detail10TensorInfoIKT_T0_EES8_S8_bjS8_NS5_IS6_S8_EES8_NS5_IlS8_EES8_jjPS6_PjSD_j
; %bb.0:
	s_load_dwordx2 s[0:1], s[4:5], 0x538
	s_load_dword s2, s[4:5], 0x530
	s_waitcnt lgkmcnt(0)
	s_mul_i32 s1, s1, s8
	s_add_i32 s1, s1, s7
	s_mul_i32 s0, s1, s0
	s_add_i32 s0, s0, s6
	s_cmp_ge_u32 s0, s2
	s_cbranch_scc1 .LBB164_67
; %bb.1:
	s_load_dwordx2 s[20:21], s[4:5], 0x510
	s_load_dwordx4 s[8:11], s[4:5], 0x1a0
	s_mov_b32 s3, 0
	s_waitcnt lgkmcnt(0)
	v_cvt_f32_u32_e32 v1, s21
	s_sub_i32 s2, 0, s21
	s_lshl_b32 s1, s20, 8
	v_rcp_iflag_f32_e32 v1, v1
	v_mul_f32_e32 v1, 0x4f7ffffe, v1
	v_cvt_u32_f32_e32 v1, v1
	v_readfirstlane_b32 s6, v1
	s_mul_i32 s2, s2, s6
	s_mul_hi_u32 s2, s6, s2
	s_add_i32 s6, s6, s2
	s_mul_hi_u32 s2, s0, s6
	s_mul_i32 s6, s2, s21
	s_sub_i32 s6, s0, s6
	s_add_i32 s7, s2, 1
	s_sub_i32 s12, s6, s21
	s_cmp_ge_u32 s6, s21
	s_cselect_b32 s2, s7, s2
	s_cselect_b32 s6, s12, s6
	s_add_i32 s7, s2, 1
	s_cmp_ge_u32 s6, s21
	s_cselect_b32 s2, s7, s2
	s_mul_i32 s22, s2, s21
	s_sub_i32 s56, s0, s22
	s_add_i32 s0, s56, 1
	s_cmp_lt_u32 s0, s21
	s_mul_i32 s33, s56, s1
	s_cbranch_scc1 .LBB164_3
; %bb.2:
	s_sub_u32 s0, s8, s33
	s_subb_u32 s1, s9, 0
	s_add_u32 s0, s0, 0xff
	s_addc_u32 s1, s1, 0
	s_ashr_i32 s6, s1, 31
	s_lshr_b32 s6, s6, 24
	s_add_u32 s0, s0, s6
	s_addc_u32 s1, s1, 0
	v_mov_b32_e32 v1, s0
	v_alignbit_b32 v1, s1, v1, 8
	v_readfirstlane_b32 s20, v1
.LBB164_3:
	s_load_dword s0, s[4:5], 0x198
	s_mov_b64 s[6:7], 0
	s_mov_b64 s[24:25], s[2:3]
	s_waitcnt lgkmcnt(0)
	s_cmp_lt_i32 s0, 2
	s_cbranch_scc1 .LBB164_11
; %bb.4:
	s_mov_b32 s12, 0
	s_add_i32 s23, s0, 1
	s_add_i32 s0, s0, -1
	s_mov_b32 s1, s12
	s_lshl_b64 s[0:1], s[0:1], 3
	s_add_u32 s0, s0, s4
	s_addc_u32 s1, s1, s5
	s_add_u32 s14, s0, 8
	s_addc_u32 s15, s1, 0
	s_mov_b64 s[16:17], s[2:3]
.LBB164_5:                              ; =>This Inner Loop Header: Depth=1
	s_load_dwordx2 s[18:19], s[14:15], 0x0
	s_waitcnt lgkmcnt(0)
	s_or_b64 s[0:1], s[16:17], s[18:19]
	s_mov_b32 s13, s1
	s_cmp_lg_u64 s[12:13], 0
	s_cbranch_scc0 .LBB164_10
; %bb.6:                                ;   in Loop: Header=BB164_5 Depth=1
	v_cvt_f32_u32_e32 v1, s18
	v_cvt_f32_u32_e32 v2, s19
	s_sub_u32 s0, 0, s18
	s_subb_u32 s1, 0, s19
	v_mac_f32_e32 v1, 0x4f800000, v2
	v_rcp_f32_e32 v1, v1
	v_mul_f32_e32 v1, 0x5f7ffffc, v1
	v_mul_f32_e32 v2, 0x2f800000, v1
	v_trunc_f32_e32 v2, v2
	v_mac_f32_e32 v1, 0xcf800000, v2
	v_cvt_u32_f32_e32 v2, v2
	v_cvt_u32_f32_e32 v1, v1
	v_readfirstlane_b32 s13, v2
	v_readfirstlane_b32 s24, v1
	s_mul_i32 s25, s0, s13
	s_mul_hi_u32 s27, s0, s24
	s_mul_i32 s26, s1, s24
	s_add_i32 s25, s27, s25
	s_mul_i32 s28, s0, s24
	s_add_i32 s25, s25, s26
	s_mul_hi_u32 s26, s24, s25
	s_mul_i32 s27, s24, s25
	s_mul_hi_u32 s24, s24, s28
	s_add_u32 s24, s24, s27
	s_addc_u32 s26, 0, s26
	s_mul_hi_u32 s29, s13, s28
	s_mul_i32 s28, s13, s28
	s_add_u32 s24, s24, s28
	s_mul_hi_u32 s27, s13, s25
	s_addc_u32 s24, s26, s29
	s_addc_u32 s26, s27, 0
	s_mul_i32 s25, s13, s25
	s_add_u32 s24, s24, s25
	s_addc_u32 s25, 0, s26
	v_add_co_u32_e32 v1, vcc, s24, v1
	s_cmp_lg_u64 vcc, 0
	s_addc_u32 s13, s13, s25
	v_readfirstlane_b32 s25, v1
	s_mul_i32 s24, s0, s13
	s_mul_hi_u32 s26, s0, s25
	s_add_i32 s24, s26, s24
	s_mul_i32 s1, s1, s25
	s_add_i32 s24, s24, s1
	s_mul_i32 s0, s0, s25
	s_mul_hi_u32 s26, s13, s0
	s_mul_i32 s27, s13, s0
	s_mul_i32 s29, s25, s24
	s_mul_hi_u32 s0, s25, s0
	s_mul_hi_u32 s28, s25, s24
	s_add_u32 s0, s0, s29
	s_addc_u32 s25, 0, s28
	s_add_u32 s0, s0, s27
	s_mul_hi_u32 s1, s13, s24
	s_addc_u32 s0, s25, s26
	s_addc_u32 s1, s1, 0
	s_mul_i32 s24, s13, s24
	s_add_u32 s0, s0, s24
	s_addc_u32 s1, 0, s1
	v_add_co_u32_e32 v1, vcc, s0, v1
	s_cmp_lg_u64 vcc, 0
	s_addc_u32 s0, s13, s1
	v_readfirstlane_b32 s24, v1
	s_mul_i32 s13, s16, s0
	s_mul_hi_u32 s25, s16, s24
	s_mul_hi_u32 s1, s16, s0
	s_add_u32 s13, s25, s13
	s_addc_u32 s1, 0, s1
	s_mul_hi_u32 s26, s17, s24
	s_mul_i32 s24, s17, s24
	s_add_u32 s13, s13, s24
	s_mul_hi_u32 s25, s17, s0
	s_addc_u32 s1, s1, s26
	s_addc_u32 s13, s25, 0
	s_mul_i32 s0, s17, s0
	s_add_u32 s24, s1, s0
	s_addc_u32 s13, 0, s13
	s_mul_i32 s0, s18, s13
	s_mul_hi_u32 s1, s18, s24
	s_add_i32 s0, s1, s0
	s_mul_i32 s1, s19, s24
	s_add_i32 s25, s0, s1
	s_mul_i32 s1, s18, s24
	v_mov_b32_e32 v1, s1
	s_sub_i32 s0, s17, s25
	v_sub_co_u32_e32 v1, vcc, s16, v1
	s_cmp_lg_u64 vcc, 0
	s_subb_u32 s26, s0, s19
	v_subrev_co_u32_e64 v2, s[0:1], s18, v1
	s_cmp_lg_u64 s[0:1], 0
	s_subb_u32 s0, s26, 0
	s_cmp_ge_u32 s0, s19
	v_readfirstlane_b32 s26, v2
	s_cselect_b32 s1, -1, 0
	s_cmp_ge_u32 s26, s18
	s_cselect_b32 s26, -1, 0
	s_cmp_eq_u32 s0, s19
	s_cselect_b32 s0, s26, s1
	s_add_u32 s1, s24, 1
	s_addc_u32 s26, s13, 0
	s_add_u32 s27, s24, 2
	s_addc_u32 s28, s13, 0
	s_cmp_lg_u32 s0, 0
	s_cselect_b32 s0, s27, s1
	s_cselect_b32 s1, s28, s26
	s_cmp_lg_u64 vcc, 0
	s_subb_u32 s25, s17, s25
	s_cmp_ge_u32 s25, s19
	v_readfirstlane_b32 s27, v1
	s_cselect_b32 s26, -1, 0
	s_cmp_ge_u32 s27, s18
	s_cselect_b32 s27, -1, 0
	s_cmp_eq_u32 s25, s19
	s_cselect_b32 s25, s27, s26
	s_cmp_lg_u32 s25, 0
	s_cselect_b32 s25, s1, s13
	s_cselect_b32 s24, s0, s24
	s_cbranch_execnz .LBB164_8
.LBB164_7:                              ;   in Loop: Header=BB164_5 Depth=1
	v_cvt_f32_u32_e32 v1, s18
	s_sub_i32 s0, 0, s18
	s_mov_b32 s25, s12
	v_rcp_iflag_f32_e32 v1, v1
	v_mul_f32_e32 v1, 0x4f7ffffe, v1
	v_cvt_u32_f32_e32 v1, v1
	v_readfirstlane_b32 s1, v1
	s_mul_i32 s0, s0, s1
	s_mul_hi_u32 s0, s1, s0
	s_add_i32 s1, s1, s0
	s_mul_hi_u32 s0, s16, s1
	s_mul_i32 s13, s0, s18
	s_sub_i32 s13, s16, s13
	s_add_i32 s1, s0, 1
	s_sub_i32 s24, s13, s18
	s_cmp_ge_u32 s13, s18
	s_cselect_b32 s0, s1, s0
	s_cselect_b32 s13, s24, s13
	s_add_i32 s1, s0, 1
	s_cmp_ge_u32 s13, s18
	s_cselect_b32 s24, s1, s0
.LBB164_8:                              ;   in Loop: Header=BB164_5 Depth=1
	s_mul_i32 s0, s24, s19
	s_mul_hi_u32 s1, s24, s18
	s_add_i32 s13, s1, s0
	s_load_dwordx2 s[0:1], s[14:15], 0xc8
	s_mul_i32 s19, s25, s18
	s_add_i32 s13, s13, s19
	s_mul_i32 s18, s24, s18
	s_sub_u32 s16, s16, s18
	s_subb_u32 s13, s17, s13
	s_waitcnt lgkmcnt(0)
	s_mul_i32 s13, s0, s13
	s_mul_hi_u32 s17, s0, s16
	s_add_i32 s13, s17, s13
	s_mul_i32 s1, s1, s16
	s_add_i32 s13, s13, s1
	s_mul_i32 s0, s0, s16
	s_add_u32 s6, s0, s6
	s_addc_u32 s7, s13, s7
	s_add_i32 s23, s23, -1
	s_add_u32 s14, s14, -8
	s_addc_u32 s15, s15, -1
	s_cmp_gt_u32 s23, 2
	s_cbranch_scc0 .LBB164_11
; %bb.9:                                ;   in Loop: Header=BB164_5 Depth=1
	s_mov_b64 s[16:17], s[24:25]
	s_branch .LBB164_5
.LBB164_10:                             ;   in Loop: Header=BB164_5 Depth=1
                                        ; implicit-def: $sgpr24_sgpr25
	s_branch .LBB164_7
.LBB164_11:
	s_load_dword s0, s[4:5], 0x358
	s_load_dwordx2 s[28:29], s[4:5], 0xd0
	s_add_u32 s12, s4, 0x1c0
	s_addc_u32 s13, s5, 0
	s_mov_b64 s[26:27], 0
	s_waitcnt lgkmcnt(0)
	s_cmp_lt_i32 s0, 2
	s_mov_b64 s[30:31], s[2:3]
	s_cbranch_scc1 .LBB164_19
; %bb.12:
	s_mov_b32 s14, 0
	s_add_i32 s23, s0, 1
	s_add_i32 s0, s0, -1
	s_mov_b32 s1, s14
	s_lshl_b64 s[0:1], s[0:1], 3
	s_add_u32 s0, s0, s12
	s_addc_u32 s1, s1, s13
	s_add_u32 s16, s0, 8
	s_addc_u32 s17, s1, 0
	s_mov_b64 s[18:19], s[2:3]
.LBB164_13:                             ; =>This Inner Loop Header: Depth=1
	s_load_dwordx2 s[34:35], s[16:17], 0x0
	s_waitcnt lgkmcnt(0)
	s_or_b64 s[0:1], s[18:19], s[34:35]
	s_mov_b32 s15, s1
	s_cmp_lg_u64 s[14:15], 0
	s_cbranch_scc0 .LBB164_18
; %bb.14:                               ;   in Loop: Header=BB164_13 Depth=1
	v_cvt_f32_u32_e32 v1, s34
	v_cvt_f32_u32_e32 v2, s35
	s_sub_u32 s0, 0, s34
	s_subb_u32 s1, 0, s35
	v_mac_f32_e32 v1, 0x4f800000, v2
	v_rcp_f32_e32 v1, v1
	v_mul_f32_e32 v1, 0x5f7ffffc, v1
	v_mul_f32_e32 v2, 0x2f800000, v1
	v_trunc_f32_e32 v2, v2
	v_mac_f32_e32 v1, 0xcf800000, v2
	v_cvt_u32_f32_e32 v2, v2
	v_cvt_u32_f32_e32 v1, v1
	v_readfirstlane_b32 s15, v2
	v_readfirstlane_b32 s30, v1
	s_mul_i32 s31, s0, s15
	s_mul_hi_u32 s37, s0, s30
	s_mul_i32 s36, s1, s30
	s_add_i32 s31, s37, s31
	s_mul_i32 s38, s0, s30
	s_add_i32 s31, s31, s36
	s_mul_hi_u32 s36, s30, s31
	s_mul_i32 s37, s30, s31
	s_mul_hi_u32 s30, s30, s38
	s_add_u32 s30, s30, s37
	s_addc_u32 s36, 0, s36
	s_mul_hi_u32 s39, s15, s38
	s_mul_i32 s38, s15, s38
	s_add_u32 s30, s30, s38
	s_mul_hi_u32 s37, s15, s31
	s_addc_u32 s30, s36, s39
	s_addc_u32 s36, s37, 0
	s_mul_i32 s31, s15, s31
	s_add_u32 s30, s30, s31
	s_addc_u32 s31, 0, s36
	v_add_co_u32_e32 v1, vcc, s30, v1
	s_cmp_lg_u64 vcc, 0
	s_addc_u32 s15, s15, s31
	v_readfirstlane_b32 s31, v1
	s_mul_i32 s30, s0, s15
	s_mul_hi_u32 s36, s0, s31
	s_add_i32 s30, s36, s30
	s_mul_i32 s1, s1, s31
	s_add_i32 s30, s30, s1
	s_mul_i32 s0, s0, s31
	s_mul_hi_u32 s36, s15, s0
	s_mul_i32 s37, s15, s0
	s_mul_i32 s39, s31, s30
	s_mul_hi_u32 s0, s31, s0
	s_mul_hi_u32 s38, s31, s30
	s_add_u32 s0, s0, s39
	s_addc_u32 s31, 0, s38
	s_add_u32 s0, s0, s37
	s_mul_hi_u32 s1, s15, s30
	s_addc_u32 s0, s31, s36
	s_addc_u32 s1, s1, 0
	s_mul_i32 s30, s15, s30
	s_add_u32 s0, s0, s30
	s_addc_u32 s1, 0, s1
	v_add_co_u32_e32 v1, vcc, s0, v1
	s_cmp_lg_u64 vcc, 0
	s_addc_u32 s0, s15, s1
	v_readfirstlane_b32 s30, v1
	s_mul_i32 s15, s18, s0
	s_mul_hi_u32 s31, s18, s30
	s_mul_hi_u32 s1, s18, s0
	s_add_u32 s15, s31, s15
	s_addc_u32 s1, 0, s1
	s_mul_hi_u32 s36, s19, s30
	s_mul_i32 s30, s19, s30
	s_add_u32 s15, s15, s30
	s_mul_hi_u32 s31, s19, s0
	s_addc_u32 s1, s1, s36
	s_addc_u32 s15, s31, 0
	s_mul_i32 s0, s19, s0
	s_add_u32 s30, s1, s0
	s_addc_u32 s15, 0, s15
	s_mul_i32 s0, s34, s15
	s_mul_hi_u32 s1, s34, s30
	s_add_i32 s0, s1, s0
	s_mul_i32 s1, s35, s30
	s_add_i32 s31, s0, s1
	s_mul_i32 s1, s34, s30
	v_mov_b32_e32 v1, s1
	s_sub_i32 s0, s19, s31
	v_sub_co_u32_e32 v1, vcc, s18, v1
	s_cmp_lg_u64 vcc, 0
	s_subb_u32 s36, s0, s35
	v_subrev_co_u32_e64 v2, s[0:1], s34, v1
	s_cmp_lg_u64 s[0:1], 0
	s_subb_u32 s0, s36, 0
	s_cmp_ge_u32 s0, s35
	v_readfirstlane_b32 s36, v2
	s_cselect_b32 s1, -1, 0
	s_cmp_ge_u32 s36, s34
	s_cselect_b32 s36, -1, 0
	s_cmp_eq_u32 s0, s35
	s_cselect_b32 s0, s36, s1
	s_add_u32 s1, s30, 1
	s_addc_u32 s36, s15, 0
	s_add_u32 s37, s30, 2
	s_addc_u32 s38, s15, 0
	s_cmp_lg_u32 s0, 0
	s_cselect_b32 s0, s37, s1
	s_cselect_b32 s1, s38, s36
	s_cmp_lg_u64 vcc, 0
	s_subb_u32 s31, s19, s31
	s_cmp_ge_u32 s31, s35
	v_readfirstlane_b32 s37, v1
	s_cselect_b32 s36, -1, 0
	s_cmp_ge_u32 s37, s34
	s_cselect_b32 s37, -1, 0
	s_cmp_eq_u32 s31, s35
	s_cselect_b32 s31, s37, s36
	s_cmp_lg_u32 s31, 0
	s_cselect_b32 s31, s1, s15
	s_cselect_b32 s30, s0, s30
	s_cbranch_execnz .LBB164_16
.LBB164_15:                             ;   in Loop: Header=BB164_13 Depth=1
	v_cvt_f32_u32_e32 v1, s34
	s_sub_i32 s0, 0, s34
	s_mov_b32 s31, s14
	v_rcp_iflag_f32_e32 v1, v1
	v_mul_f32_e32 v1, 0x4f7ffffe, v1
	v_cvt_u32_f32_e32 v1, v1
	v_readfirstlane_b32 s1, v1
	s_mul_i32 s0, s0, s1
	s_mul_hi_u32 s0, s1, s0
	s_add_i32 s1, s1, s0
	s_mul_hi_u32 s0, s18, s1
	s_mul_i32 s15, s0, s34
	s_sub_i32 s15, s18, s15
	s_add_i32 s1, s0, 1
	s_sub_i32 s30, s15, s34
	s_cmp_ge_u32 s15, s34
	s_cselect_b32 s0, s1, s0
	s_cselect_b32 s15, s30, s15
	s_add_i32 s1, s0, 1
	s_cmp_ge_u32 s15, s34
	s_cselect_b32 s30, s1, s0
.LBB164_16:                             ;   in Loop: Header=BB164_13 Depth=1
	s_mul_i32 s0, s30, s35
	s_mul_hi_u32 s1, s30, s34
	s_add_i32 s15, s1, s0
	s_load_dwordx2 s[0:1], s[16:17], 0xc8
	s_mul_i32 s35, s31, s34
	s_add_i32 s15, s15, s35
	s_mul_i32 s34, s30, s34
	s_sub_u32 s18, s18, s34
	s_subb_u32 s15, s19, s15
	s_waitcnt lgkmcnt(0)
	s_mul_i32 s15, s0, s15
	s_mul_hi_u32 s19, s0, s18
	s_add_i32 s15, s19, s15
	s_mul_i32 s1, s1, s18
	s_add_i32 s15, s15, s1
	s_mul_i32 s0, s0, s18
	s_add_u32 s26, s0, s26
	s_addc_u32 s27, s15, s27
	s_add_i32 s23, s23, -1
	s_add_u32 s16, s16, -8
	s_addc_u32 s17, s17, -1
	s_cmp_gt_u32 s23, 2
	s_cbranch_scc0 .LBB164_19
; %bb.17:                               ;   in Loop: Header=BB164_13 Depth=1
	s_mov_b64 s[18:19], s[30:31]
	s_branch .LBB164_13
.LBB164_18:                             ;   in Loop: Header=BB164_13 Depth=1
                                        ; implicit-def: $sgpr30_sgpr31
	s_branch .LBB164_15
.LBB164_19:
	s_load_dword s14, s[4:5], 0x500
	s_load_dwordx2 s[36:37], s[12:13], 0xd0
	s_add_u32 s0, s4, 0x368
	s_addc_u32 s1, s5, 0
	s_mov_b64 s[34:35], 0
	s_waitcnt lgkmcnt(0)
	s_cmp_lt_i32 s14, 2
	s_cbranch_scc1 .LBB164_27
; %bb.20:
	s_mov_b32 s12, 0
	s_add_i32 s23, s14, 1
	s_add_i32 s14, s14, -1
	s_mov_b32 s15, s12
	s_lshl_b64 s[14:15], s[14:15], 3
	s_add_u32 s0, s14, s0
	s_addc_u32 s1, s15, s1
	s_add_u32 s14, s0, 8
	s_addc_u32 s15, s1, 0
	s_mov_b64 s[16:17], s[2:3]
.LBB164_21:                             ; =>This Inner Loop Header: Depth=1
	s_load_dwordx2 s[18:19], s[14:15], 0x0
	s_waitcnt lgkmcnt(0)
	s_or_b64 s[0:1], s[16:17], s[18:19]
	s_mov_b32 s13, s1
	s_cmp_lg_u64 s[12:13], 0
	s_cbranch_scc0 .LBB164_26
; %bb.22:                               ;   in Loop: Header=BB164_21 Depth=1
	v_cvt_f32_u32_e32 v1, s18
	v_cvt_f32_u32_e32 v2, s19
	s_sub_u32 s0, 0, s18
	s_subb_u32 s1, 0, s19
	v_mac_f32_e32 v1, 0x4f800000, v2
	v_rcp_f32_e32 v1, v1
	v_mul_f32_e32 v1, 0x5f7ffffc, v1
	v_mul_f32_e32 v2, 0x2f800000, v1
	v_trunc_f32_e32 v2, v2
	v_mac_f32_e32 v1, 0xcf800000, v2
	v_cvt_u32_f32_e32 v2, v2
	v_cvt_u32_f32_e32 v1, v1
	v_readfirstlane_b32 s13, v2
	v_readfirstlane_b32 s38, v1
	s_mul_i32 s39, s0, s13
	s_mul_hi_u32 s41, s0, s38
	s_mul_i32 s40, s1, s38
	s_add_i32 s39, s41, s39
	s_mul_i32 s42, s0, s38
	s_add_i32 s39, s39, s40
	s_mul_hi_u32 s40, s38, s39
	s_mul_i32 s41, s38, s39
	s_mul_hi_u32 s38, s38, s42
	s_add_u32 s38, s38, s41
	s_addc_u32 s40, 0, s40
	s_mul_hi_u32 s43, s13, s42
	s_mul_i32 s42, s13, s42
	s_add_u32 s38, s38, s42
	s_mul_hi_u32 s41, s13, s39
	s_addc_u32 s38, s40, s43
	s_addc_u32 s40, s41, 0
	s_mul_i32 s39, s13, s39
	s_add_u32 s38, s38, s39
	s_addc_u32 s39, 0, s40
	v_add_co_u32_e32 v1, vcc, s38, v1
	s_cmp_lg_u64 vcc, 0
	s_addc_u32 s13, s13, s39
	v_readfirstlane_b32 s39, v1
	s_mul_i32 s38, s0, s13
	s_mul_hi_u32 s40, s0, s39
	s_add_i32 s38, s40, s38
	s_mul_i32 s1, s1, s39
	s_add_i32 s38, s38, s1
	s_mul_i32 s0, s0, s39
	s_mul_hi_u32 s40, s13, s0
	s_mul_i32 s41, s13, s0
	s_mul_i32 s43, s39, s38
	s_mul_hi_u32 s0, s39, s0
	s_mul_hi_u32 s42, s39, s38
	s_add_u32 s0, s0, s43
	s_addc_u32 s39, 0, s42
	s_add_u32 s0, s0, s41
	s_mul_hi_u32 s1, s13, s38
	s_addc_u32 s0, s39, s40
	s_addc_u32 s1, s1, 0
	s_mul_i32 s38, s13, s38
	s_add_u32 s0, s0, s38
	s_addc_u32 s1, 0, s1
	v_add_co_u32_e32 v1, vcc, s0, v1
	s_cmp_lg_u64 vcc, 0
	s_addc_u32 s0, s13, s1
	v_readfirstlane_b32 s38, v1
	s_mul_i32 s13, s16, s0
	s_mul_hi_u32 s39, s16, s38
	s_mul_hi_u32 s1, s16, s0
	s_add_u32 s13, s39, s13
	s_addc_u32 s1, 0, s1
	s_mul_hi_u32 s40, s17, s38
	s_mul_i32 s38, s17, s38
	s_add_u32 s13, s13, s38
	s_mul_hi_u32 s39, s17, s0
	s_addc_u32 s1, s1, s40
	s_addc_u32 s13, s39, 0
	s_mul_i32 s0, s17, s0
	s_add_u32 s38, s1, s0
	s_addc_u32 s13, 0, s13
	s_mul_i32 s0, s18, s13
	s_mul_hi_u32 s1, s18, s38
	s_add_i32 s0, s1, s0
	s_mul_i32 s1, s19, s38
	s_add_i32 s39, s0, s1
	s_mul_i32 s1, s18, s38
	v_mov_b32_e32 v1, s1
	s_sub_i32 s0, s17, s39
	v_sub_co_u32_e32 v1, vcc, s16, v1
	s_cmp_lg_u64 vcc, 0
	s_subb_u32 s40, s0, s19
	v_subrev_co_u32_e64 v2, s[0:1], s18, v1
	s_cmp_lg_u64 s[0:1], 0
	s_subb_u32 s0, s40, 0
	s_cmp_ge_u32 s0, s19
	v_readfirstlane_b32 s40, v2
	s_cselect_b32 s1, -1, 0
	s_cmp_ge_u32 s40, s18
	s_cselect_b32 s40, -1, 0
	s_cmp_eq_u32 s0, s19
	s_cselect_b32 s0, s40, s1
	s_add_u32 s1, s38, 1
	s_addc_u32 s40, s13, 0
	s_add_u32 s41, s38, 2
	s_addc_u32 s42, s13, 0
	s_cmp_lg_u32 s0, 0
	s_cselect_b32 s0, s41, s1
	s_cselect_b32 s1, s42, s40
	s_cmp_lg_u64 vcc, 0
	s_subb_u32 s39, s17, s39
	s_cmp_ge_u32 s39, s19
	v_readfirstlane_b32 s41, v1
	s_cselect_b32 s40, -1, 0
	s_cmp_ge_u32 s41, s18
	s_cselect_b32 s41, -1, 0
	s_cmp_eq_u32 s39, s19
	s_cselect_b32 s39, s41, s40
	s_cmp_lg_u32 s39, 0
	s_cselect_b32 s39, s1, s13
	s_cselect_b32 s38, s0, s38
	s_cbranch_execnz .LBB164_24
.LBB164_23:                             ;   in Loop: Header=BB164_21 Depth=1
	v_cvt_f32_u32_e32 v1, s18
	s_sub_i32 s0, 0, s18
	s_mov_b32 s39, s12
	v_rcp_iflag_f32_e32 v1, v1
	v_mul_f32_e32 v1, 0x4f7ffffe, v1
	v_cvt_u32_f32_e32 v1, v1
	v_readfirstlane_b32 s1, v1
	s_mul_i32 s0, s0, s1
	s_mul_hi_u32 s0, s1, s0
	s_add_i32 s1, s1, s0
	s_mul_hi_u32 s0, s16, s1
	s_mul_i32 s13, s0, s18
	s_sub_i32 s13, s16, s13
	s_add_i32 s1, s0, 1
	s_sub_i32 s38, s13, s18
	s_cmp_ge_u32 s13, s18
	s_cselect_b32 s0, s1, s0
	s_cselect_b32 s13, s38, s13
	s_add_i32 s1, s0, 1
	s_cmp_ge_u32 s13, s18
	s_cselect_b32 s38, s1, s0
.LBB164_24:                             ;   in Loop: Header=BB164_21 Depth=1
	s_mul_i32 s0, s38, s19
	s_mul_hi_u32 s1, s38, s18
	s_add_i32 s13, s1, s0
	s_load_dwordx2 s[0:1], s[14:15], 0xc8
	s_mul_i32 s19, s39, s18
	s_add_i32 s13, s13, s19
	s_mul_i32 s18, s38, s18
	s_sub_u32 s16, s16, s18
	s_subb_u32 s13, s17, s13
	s_waitcnt lgkmcnt(0)
	s_mul_i32 s13, s0, s13
	s_mul_hi_u32 s17, s0, s16
	s_add_i32 s13, s17, s13
	s_mul_i32 s1, s1, s16
	s_add_i32 s13, s13, s1
	s_mul_i32 s0, s0, s16
	s_add_u32 s34, s0, s34
	s_addc_u32 s35, s13, s35
	s_add_i32 s23, s23, -1
	s_add_u32 s14, s14, -8
	s_addc_u32 s15, s15, -1
	s_cmp_gt_u32 s23, 2
	s_cbranch_scc0 .LBB164_28
; %bb.25:                               ;   in Loop: Header=BB164_21 Depth=1
	s_mov_b64 s[16:17], s[38:39]
	s_branch .LBB164_21
.LBB164_26:                             ;   in Loop: Header=BB164_21 Depth=1
                                        ; implicit-def: $sgpr38_sgpr39
	s_branch .LBB164_23
.LBB164_27:
	s_mov_b64 s[38:39], s[2:3]
.LBB164_28:
	s_load_dwordx4 s[12:15], s[4:5], 0x518
	s_load_dwordx2 s[44:45], s[4:5], 0x0
	s_load_dwordx2 s[42:43], s[4:5], 0x1c0
	;; [unrolled: 1-line block ×4, first 2 shown]
	s_lshl_b64 s[0:1], s[2:3], 3
	s_waitcnt lgkmcnt(0)
	s_add_u32 s0, s12, s0
	s_addc_u32 s1, s13, s1
	s_load_dwordx2 s[12:13], s[0:1], 0x0
	s_mov_b32 s23, 0
	v_cmp_ne_u32_e64 s[0:1], 0, v0
	v_cmp_eq_u32_e64 s[2:3], 0, v0
	s_and_saveexec_b64 s[48:49], s[2:3]
	s_cbranch_execz .LBB164_44
; %bb.29:
	s_load_dwordx2 s[50:51], s[4:5], 0x528
	s_lshl_b64 s[52:53], s[22:23], 2
	s_add_u32 s16, s14, s52
	s_addc_u32 s17, s15, s53
	s_mov_b32 s22, 0
	s_waitcnt lgkmcnt(0)
	s_add_u32 s18, s50, s52
	s_addc_u32 s19, s51, s53
	s_mov_b32 s57, 0
	s_cmp_lt_u32 s21, 4
	s_cbranch_scc1 .LBB164_41
; %bb.30:
	s_mov_b32 s58, 0
.LBB164_31:                             ; =>This Inner Loop Header: Depth=1
	s_add_u32 s16, s14, s52
	s_addc_u32 s17, s15, s53
	s_load_dwordx4 s[16:19], s[16:17], 0x0
	s_add_u32 s54, s50, s52
	s_addc_u32 s55, s51, s53
	s_cmp_ge_u32 s58, s56
	s_cbranch_scc0 .LBB164_38
; %bb.32:                               ;   in Loop: Header=BB164_31 Depth=1
	s_add_i32 s59, s58, 1
	s_cmp_ge_u32 s59, s56
	s_cbranch_scc0 .LBB164_39
.LBB164_33:                             ;   in Loop: Header=BB164_31 Depth=1
	s_add_i32 s59, s59, 1
	s_cmp_ge_u32 s59, s56
	s_cbranch_scc0 .LBB164_40
.LBB164_34:                             ;   in Loop: Header=BB164_31 Depth=1
	s_add_i32 s59, s59, 1
	s_cmp_ge_u32 s59, s56
	s_cbranch_scc1 .LBB164_36
.LBB164_35:                             ;   in Loop: Header=BB164_31 Depth=1
	s_load_dword s54, s[54:55], 0xc
	s_waitcnt lgkmcnt(0)
	s_add_i32 s23, s23, s19
	s_add_i32 s22, s54, s22
.LBB164_36:                             ;   in Loop: Header=BB164_31 Depth=1
	s_waitcnt lgkmcnt(0)
	s_add_i32 s16, s16, s57
	s_add_i32 s16, s16, s17
	;; [unrolled: 1-line block ×4, first 2 shown]
	s_add_u32 s14, s14, 16
	s_addc_u32 s15, s15, 0
	s_add_u32 s50, s50, 16
	s_addc_u32 s51, s51, 0
	s_add_i32 s55, s59, 4
	s_add_u32 s18, s50, s52
	s_addc_u32 s19, s51, s53
	s_add_u32 s16, s14, s52
	s_addc_u32 s17, s15, s53
	s_add_i32 s54, s59, 1
	s_cmp_ge_u32 s55, s21
	s_cbranch_scc1 .LBB164_42
; %bb.37:                               ;   in Loop: Header=BB164_31 Depth=1
	s_mov_b32 s58, s54
	s_branch .LBB164_31
.LBB164_38:                             ;   in Loop: Header=BB164_31 Depth=1
	s_load_dword s59, s[54:55], 0x0
	s_waitcnt lgkmcnt(0)
	s_add_i32 s23, s16, s23
	s_add_i32 s22, s59, s22
	;; [unrolled: 1-line block ×3, first 2 shown]
	s_cmp_ge_u32 s59, s56
	s_cbranch_scc1 .LBB164_33
.LBB164_39:                             ;   in Loop: Header=BB164_31 Depth=1
	s_load_dword s60, s[54:55], 0x4
	s_waitcnt lgkmcnt(0)
	s_add_i32 s23, s23, s17
	s_add_i32 s22, s60, s22
	;; [unrolled: 1-line block ×3, first 2 shown]
	s_cmp_ge_u32 s59, s56
	s_cbranch_scc1 .LBB164_34
.LBB164_40:                             ;   in Loop: Header=BB164_31 Depth=1
	s_load_dword s60, s[54:55], 0x8
	s_waitcnt lgkmcnt(0)
	s_add_i32 s23, s23, s18
	s_add_i32 s22, s60, s22
	;; [unrolled: 1-line block ×3, first 2 shown]
	s_cmp_ge_u32 s59, s56
	s_cbranch_scc0 .LBB164_35
	s_branch .LBB164_36
.LBB164_41:
	s_mov_b32 s14, 0
	s_cmp_ge_u32 s14, s21
	s_cbranch_scc0 .LBB164_65
	s_branch .LBB164_43
.LBB164_42:
	s_add_i32 s14, s58, 4
	s_cmp_ge_u32 s14, s21
	s_cbranch_scc0 .LBB164_65
.LBB164_43:
	v_mov_b32_e32 v2, s22
	v_mov_b32_e32 v3, s57
	;; [unrolled: 1-line block ×4, first 2 shown]
	ds_write_b96 v1, v[2:4] offset:1056
.LBB164_44:
	s_or_b64 exec, exec, s[48:49]
	s_cmp_eq_u32 s20, 0
	s_waitcnt lgkmcnt(0)
	s_barrier
	s_cbranch_scc1 .LBB164_67
; %bb.45:
	s_mul_i32 s16, s28, s25
	s_mul_hi_u32 s17, s28, s24
	s_mul_i32 s14, s36, s31
	s_mul_hi_u32 s15, s36, s30
	s_add_i32 s16, s17, s16
	s_mul_i32 s17, s29, s24
	s_mul_i32 s18, s46, s39
	s_mul_hi_u32 s19, s46, s38
	s_add_i32 s14, s15, s14
	s_mul_i32 s15, s37, s30
	s_add_i32 s17, s16, s17
	s_mul_i32 s16, s28, s24
	;; [unrolled: 2-line block ×3, first 2 shown]
	s_add_i32 s15, s14, s15
	s_add_i32 s19, s18, s19
	s_lshl_b64 s[16:17], s[16:17], 3
	s_add_u32 s16, s44, s16
	s_addc_u32 s17, s45, s17
	s_lshl_b64 s[6:7], s[6:7], 3
	s_mul_i32 s14, s36, s30
	s_add_u32 s21, s16, s6
	s_addc_u32 s28, s17, s7
	s_lshl_b64 s[6:7], s[14:15], 3
	s_add_u32 s14, s42, s6
	v_mov_b32_e32 v1, 0
	s_addc_u32 s15, s43, s7
	s_lshl_b64 s[6:7], s[26:27], 3
	ds_read_b96 v[2:4], v1 offset:1056
	s_mul_i32 s18, s46, s38
	s_add_u32 s26, s14, s6
	s_addc_u32 s27, s15, s7
	s_lshl_b64 s[6:7], s[18:19], 3
	s_add_u32 s14, s40, s6
	s_addc_u32 s15, s41, s7
	s_lshl_b64 s[6:7], s[34:35], 3
	s_add_u32 s29, s14, s6
	s_load_dword s6, s[4:5], 0x1b0
	s_waitcnt lgkmcnt(0)
	v_add_u32_e32 v2, v2, v3
	v_lshrrev_b32_e32 v3, 5, v0
	s_load_dwordx2 s[16:17], s[4:5], 0x1b8
	s_load_dwordx2 s[18:19], s[4:5], 0x360
	;; [unrolled: 1-line block ×3, first 2 shown]
	v_add_lshl_u32 v5, v3, v0, 2
	v_lshlrev_b32_e32 v3, 2, v0
	v_lshrrev_b32_e32 v6, 3, v0
	v_add_lshl_u32 v10, v6, v3, 2
	v_add_u32_e32 v3, -1, v0
	v_lshrrev_b32_e32 v6, 5, v3
	s_addc_u32 s30, s15, s7
	s_xor_b32 s15, s13, 0x80000000
	v_add_lshl_u32 v11, v6, v3, 2
	v_mbcnt_lo_u32_b32 v3, -1, 0
	s_bitcmp1_b32 s6, 0
	v_mbcnt_hi_u32_b32 v12, -1, v3
	s_mov_b32 s14, s12
	s_cselect_b64 s[4:5], -1, 0
	v_cmp_gt_u32_e64 s[6:7], 64, v0
	v_add_u32_e32 v0, s33, v0
	v_and_b32_e32 v13, 15, v12
	v_bfe_i32 v14, v12, 4, 1
	v_add_u32_e32 v15, -1, v12
	v_and_b32_e32 v16, 64, v12
                                        ; implicit-def: $vgpr6_vgpr7
	s_branch .LBB164_48
.LBB164_46:                             ;   in Loop: Header=BB164_48 Depth=1
	s_or_b64 exec, exec, s[24:25]
	v_add_u32_e32 v2, v3, v2
.LBB164_47:                             ;   in Loop: Header=BB164_48 Depth=1
	s_add_i32 s20, s20, -1
	v_add_u32_e32 v4, v17, v4
	s_cmp_lg_u32 s20, 0
	v_add_u32_e32 v0, 0x100, v0
	s_cbranch_scc0 .LBB164_67
.LBB164_48:                             ; =>This Inner Loop Header: Depth=1
	v_cmp_gt_u64_e32 vcc, s[8:9], v[0:1]
	v_mov_b32_e32 v3, v1
	v_mov_b32_e32 v8, v1
	s_and_saveexec_b64 s[24:25], vcc
	s_cbranch_execz .LBB164_50
; %bb.49:                               ;   in Loop: Header=BB164_48 Depth=1
	s_waitcnt lgkmcnt(0)
	v_mad_u64_u32 v[6:7], s[34:35], v0, s16, 0
	v_mov_b32_e32 v8, v7
	v_mad_u64_u32 v[8:9], s[34:35], v0, s17, v[8:9]
	v_mov_b32_e32 v7, v8
	v_lshlrev_b64 v[6:7], 3, v[6:7]
	v_mov_b32_e32 v3, s28
	v_add_co_u32_e32 v6, vcc, s21, v6
	v_addc_co_u32_e32 v7, vcc, v3, v7, vcc
	global_load_dwordx2 v[6:7], v[6:7], off
	s_waitcnt vmcnt(0)
	v_xor_b32_e32 v9, 0x80000000, v7
	v_mov_b32_e32 v8, v6
	v_cmp_lt_u64_e32 vcc, s[14:15], v[8:9]
	v_cndmask_b32_e64 v3, 0, 1, vcc
	v_cmp_gt_u64_e32 vcc, s[14:15], v[8:9]
	v_cndmask_b32_e64 v8, 0, 1, vcc
	v_cndmask_b32_e64 v3, v8, v3, s[4:5]
	v_cmp_eq_u64_e32 vcc, s[12:13], v[6:7]
	v_and_b32_e32 v3, 1, v3
	v_cndmask_b32_e64 v8, 0, 1, vcc
.LBB164_50:                             ;   in Loop: Header=BB164_48 Depth=1
	s_or_b64 exec, exec, s[24:25]
	ds_write_b32 v5, v3
	s_waitcnt lgkmcnt(0)
	s_barrier
	s_and_saveexec_b64 s[24:25], s[6:7]
	s_cbranch_execz .LBB164_52
; %bb.51:                               ;   in Loop: Header=BB164_48 Depth=1
	ds_read2_b32 v[18:19], v10 offset1:1
	ds_read2_b32 v[20:21], v10 offset0:2 offset1:3
	v_cmp_ne_u32_e32 vcc, 0, v13
	; wave barrier
	s_waitcnt lgkmcnt(1)
	v_add_u32_e32 v9, v19, v18
	s_waitcnt lgkmcnt(0)
	v_add3_u32 v9, v9, v20, v21
	s_nop 1
	v_mov_b32_dpp v17, v9 row_shr:1 row_mask:0xf bank_mask:0xf
	v_cndmask_b32_e32 v17, 0, v17, vcc
	v_add_u32_e32 v9, v17, v9
	v_cmp_lt_u32_e32 vcc, 1, v13
	s_nop 0
	v_mov_b32_dpp v17, v9 row_shr:2 row_mask:0xf bank_mask:0xf
	v_cndmask_b32_e32 v17, 0, v17, vcc
	v_add_u32_e32 v9, v9, v17
	v_cmp_lt_u32_e32 vcc, 3, v13
	;; [unrolled: 5-line block ×4, first 2 shown]
	s_nop 0
	v_mov_b32_dpp v17, v9 row_bcast:15 row_mask:0xf bank_mask:0xf
	v_and_b32_e32 v17, v14, v17
	v_add_u32_e32 v9, v9, v17
	s_nop 1
	v_mov_b32_dpp v17, v9 row_bcast:31 row_mask:0xf bank_mask:0xf
	v_cndmask_b32_e32 v17, 0, v17, vcc
	v_cmp_lt_i32_e32 vcc, v15, v16
	v_add_u32_e32 v9, v9, v17
	v_cndmask_b32_e32 v17, v15, v12, vcc
	v_lshlrev_b32_e32 v17, 2, v17
	ds_bpermute_b32 v9, v17, v9
	s_waitcnt lgkmcnt(0)
	v_add_u32_e32 v9, v9, v18
	v_cndmask_b32_e64 v9, v9, v3, s[2:3]
	ds_write_b32 v10, v9
	; wave barrier
	ds_read2_b32 v[18:19], v10 offset0:1 offset1:2
	ds_read_b32 v17, v10 offset:12
	s_waitcnt lgkmcnt(1)
	v_add_u32_e32 v9, v18, v9
	v_add_u32_e32 v18, v19, v9
	ds_write2_b32 v10, v9, v18 offset0:1 offset1:2
	s_waitcnt lgkmcnt(1)
	v_add_u32_e32 v9, v17, v18
	ds_write_b32 v10, v9 offset:12
.LBB164_52:                             ;   in Loop: Header=BB164_48 Depth=1
	s_or_b64 exec, exec, s[24:25]
	v_mov_b32_e32 v9, 0
	s_waitcnt lgkmcnt(0)
	s_barrier
	s_and_saveexec_b64 s[24:25], s[0:1]
	s_cbranch_execz .LBB164_54
; %bb.53:                               ;   in Loop: Header=BB164_48 Depth=1
	ds_read_b32 v9, v11
.LBB164_54:                             ;   in Loop: Header=BB164_48 Depth=1
	s_or_b64 exec, exec, s[24:25]
	ds_read_b32 v17, v1 offset:1048
	v_cmp_ne_u32_e32 vcc, 0, v3
	s_waitcnt lgkmcnt(0)
	s_barrier
	s_and_saveexec_b64 s[24:25], vcc
	s_cbranch_execz .LBB164_56
; %bb.55:                               ;   in Loop: Header=BB164_48 Depth=1
	v_add_u32_e32 v3, v9, v4
	v_mad_u64_u32 v[18:19], s[34:35], v3, s18, 0
	v_mov_b32_e32 v20, v19
	v_mad_u64_u32 v[20:21], s[34:35], v3, s19, v[20:21]
	v_mov_b32_e32 v19, v20
	v_lshlrev_b64 v[18:19], 3, v[18:19]
	v_mov_b32_e32 v9, s27
	v_add_co_u32_e32 v18, vcc, s26, v18
	v_addc_co_u32_e32 v19, vcc, v9, v19, vcc
	global_store_dwordx2 v[18:19], v[6:7], off
	v_mad_u64_u32 v[18:19], s[34:35], v3, s22, 0
	v_mov_b32_e32 v20, v19
	v_mad_u64_u32 v[20:21], s[34:35], v3, s23, v[20:21]
	v_mov_b32_e32 v19, v20
	v_lshlrev_b64 v[18:19], 3, v[18:19]
	v_mov_b32_e32 v3, s30
	v_add_co_u32_e32 v18, vcc, s29, v18
	v_addc_co_u32_e32 v19, vcc, v3, v19, vcc
	global_store_dwordx2 v[18:19], v[0:1], off
.LBB164_56:                             ;   in Loop: Header=BB164_48 Depth=1
	s_or_b64 exec, exec, s[24:25]
	v_mov_b32_e32 v3, v1
	v_cmp_le_u64_e32 vcc, s[10:11], v[2:3]
	s_cbranch_vccnz .LBB164_47
; %bb.57:                               ;   in Loop: Header=BB164_48 Depth=1
	ds_write_b32 v5, v8
	s_waitcnt lgkmcnt(0)
	s_barrier
	s_and_saveexec_b64 s[24:25], s[6:7]
	s_cbranch_execz .LBB164_59
; %bb.58:                               ;   in Loop: Header=BB164_48 Depth=1
	ds_read2_b32 v[18:19], v10 offset1:1
	ds_read2_b32 v[20:21], v10 offset0:2 offset1:3
	v_cmp_ne_u32_e32 vcc, 0, v13
	; wave barrier
	s_waitcnt lgkmcnt(1)
	v_add_u32_e32 v3, v19, v18
	s_waitcnt lgkmcnt(0)
	v_add3_u32 v3, v3, v20, v21
	s_nop 1
	v_mov_b32_dpp v9, v3 row_shr:1 row_mask:0xf bank_mask:0xf
	v_cndmask_b32_e32 v9, 0, v9, vcc
	v_add_u32_e32 v3, v9, v3
	v_cmp_lt_u32_e32 vcc, 1, v13
	s_nop 0
	v_mov_b32_dpp v9, v3 row_shr:2 row_mask:0xf bank_mask:0xf
	v_cndmask_b32_e32 v9, 0, v9, vcc
	v_add_u32_e32 v3, v3, v9
	v_cmp_lt_u32_e32 vcc, 3, v13
	;; [unrolled: 5-line block ×4, first 2 shown]
	s_nop 0
	v_mov_b32_dpp v9, v3 row_bcast:15 row_mask:0xf bank_mask:0xf
	v_and_b32_e32 v9, v14, v9
	v_add_u32_e32 v3, v3, v9
	s_nop 1
	v_mov_b32_dpp v9, v3 row_bcast:31 row_mask:0xf bank_mask:0xf
	v_cndmask_b32_e32 v9, 0, v9, vcc
	v_cmp_lt_i32_e32 vcc, v15, v16
	v_add_u32_e32 v3, v3, v9
	v_cndmask_b32_e32 v9, v15, v12, vcc
	v_lshlrev_b32_e32 v9, 2, v9
	ds_bpermute_b32 v3, v9, v3
	s_waitcnt lgkmcnt(0)
	v_add_u32_e32 v3, v3, v18
	v_cndmask_b32_e64 v3, v3, v8, s[2:3]
	ds_write_b32 v10, v3
	; wave barrier
	ds_read2_b32 v[18:19], v10 offset0:1 offset1:2
	ds_read_b32 v9, v10 offset:12
	s_waitcnt lgkmcnt(1)
	v_add_u32_e32 v3, v18, v3
	v_add_u32_e32 v18, v19, v3
	ds_write2_b32 v10, v3, v18 offset0:1 offset1:2
	s_waitcnt lgkmcnt(1)
	v_add_u32_e32 v3, v9, v18
	ds_write_b32 v10, v3 offset:12
.LBB164_59:                             ;   in Loop: Header=BB164_48 Depth=1
	s_or_b64 exec, exec, s[24:25]
	v_mov_b32_e32 v9, 0
	s_waitcnt lgkmcnt(0)
	s_barrier
	s_and_saveexec_b64 s[24:25], s[0:1]
	s_cbranch_execz .LBB164_61
; %bb.60:                               ;   in Loop: Header=BB164_48 Depth=1
	ds_read_b32 v9, v11
.LBB164_61:                             ;   in Loop: Header=BB164_48 Depth=1
	s_or_b64 exec, exec, s[24:25]
	ds_read_b32 v3, v1 offset:1048
	v_cmp_ne_u32_e32 vcc, 0, v8
	s_waitcnt lgkmcnt(0)
	s_barrier
	s_and_saveexec_b64 s[24:25], vcc
	s_cbranch_execz .LBB164_46
; %bb.62:                               ;   in Loop: Header=BB164_48 Depth=1
	v_add_u32_e32 v8, v9, v2
	v_mov_b32_e32 v9, v1
	v_cmp_gt_u64_e32 vcc, s[10:11], v[8:9]
	s_and_b64 exec, exec, vcc
	s_cbranch_execz .LBB164_46
; %bb.63:                               ;   in Loop: Header=BB164_48 Depth=1
	v_mad_u64_u32 v[18:19], s[34:35], v8, s18, 0
	v_mov_b32_e32 v20, v19
	v_mad_u64_u32 v[20:21], s[34:35], v8, s19, v[20:21]
	v_mov_b32_e32 v19, v20
	v_lshlrev_b64 v[18:19], 3, v[18:19]
	v_mov_b32_e32 v9, s27
	v_add_co_u32_e32 v18, vcc, s26, v18
	v_addc_co_u32_e32 v19, vcc, v9, v19, vcc
	global_store_dwordx2 v[18:19], v[6:7], off
	v_mad_u64_u32 v[18:19], s[34:35], v8, s22, 0
	v_mov_b32_e32 v20, v19
	v_mad_u64_u32 v[8:9], s[34:35], v8, s23, v[20:21]
	v_mov_b32_e32 v19, v8
	v_lshlrev_b64 v[8:9], 3, v[18:19]
	v_mov_b32_e32 v18, s30
	v_add_co_u32_e32 v8, vcc, s29, v8
	v_addc_co_u32_e32 v9, vcc, v18, v9, vcc
	global_store_dwordx2 v[8:9], v[0:1], off
	s_branch .LBB164_46
.LBB164_64:                             ;   in Loop: Header=BB164_65 Depth=1
	s_add_u32 s16, s16, 4
	s_addc_u32 s17, s17, 0
	s_waitcnt lgkmcnt(0)
	s_add_i32 s57, s15, s57
	s_add_u32 s18, s18, 4
	s_addc_u32 s19, s19, 0
	s_add_i32 s14, s14, 1
	s_cmp_lt_u32 s14, s21
	s_cbranch_scc0 .LBB164_43
.LBB164_65:                             ; =>This Inner Loop Header: Depth=1
	s_load_dword s15, s[16:17], 0x0
	s_cmp_ge_u32 s14, s56
	s_cbranch_scc1 .LBB164_64
; %bb.66:                               ;   in Loop: Header=BB164_65 Depth=1
	s_load_dword s50, s[18:19], 0x0
	s_waitcnt lgkmcnt(0)
	s_add_i32 s23, s15, s23
	s_add_i32 s22, s50, s22
	s_branch .LBB164_64
.LBB164_67:
	s_endpgm
	.section	.rodata,"a",@progbits
	.p2align	6, 0x0
	.amdhsa_kernel _ZN2at6native6mbtopk10gatherTopKIlmLin1EEEvNS_4cuda6detail10TensorInfoIKT_T0_EES8_S8_bjS8_NS5_IS6_S8_EES8_NS5_IlS8_EES8_jjPS6_PjSD_j
		.amdhsa_group_segment_fixed_size 1068
		.amdhsa_private_segment_fixed_size 0
		.amdhsa_kernarg_size 1592
		.amdhsa_user_sgpr_count 6
		.amdhsa_user_sgpr_private_segment_buffer 1
		.amdhsa_user_sgpr_dispatch_ptr 0
		.amdhsa_user_sgpr_queue_ptr 0
		.amdhsa_user_sgpr_kernarg_segment_ptr 1
		.amdhsa_user_sgpr_dispatch_id 0
		.amdhsa_user_sgpr_flat_scratch_init 0
		.amdhsa_user_sgpr_kernarg_preload_length 0
		.amdhsa_user_sgpr_kernarg_preload_offset 0
		.amdhsa_user_sgpr_private_segment_size 0
		.amdhsa_uses_dynamic_stack 0
		.amdhsa_system_sgpr_private_segment_wavefront_offset 0
		.amdhsa_system_sgpr_workgroup_id_x 1
		.amdhsa_system_sgpr_workgroup_id_y 1
		.amdhsa_system_sgpr_workgroup_id_z 1
		.amdhsa_system_sgpr_workgroup_info 0
		.amdhsa_system_vgpr_workitem_id 0
		.amdhsa_next_free_vgpr 22
		.amdhsa_next_free_sgpr 61
		.amdhsa_accum_offset 24
		.amdhsa_reserve_vcc 1
		.amdhsa_reserve_flat_scratch 0
		.amdhsa_float_round_mode_32 0
		.amdhsa_float_round_mode_16_64 0
		.amdhsa_float_denorm_mode_32 3
		.amdhsa_float_denorm_mode_16_64 3
		.amdhsa_dx10_clamp 1
		.amdhsa_ieee_mode 1
		.amdhsa_fp16_overflow 0
		.amdhsa_tg_split 0
		.amdhsa_exception_fp_ieee_invalid_op 0
		.amdhsa_exception_fp_denorm_src 0
		.amdhsa_exception_fp_ieee_div_zero 0
		.amdhsa_exception_fp_ieee_overflow 0
		.amdhsa_exception_fp_ieee_underflow 0
		.amdhsa_exception_fp_ieee_inexact 0
		.amdhsa_exception_int_div_zero 0
	.end_amdhsa_kernel
	.section	.text._ZN2at6native6mbtopk10gatherTopKIlmLin1EEEvNS_4cuda6detail10TensorInfoIKT_T0_EES8_S8_bjS8_NS5_IS6_S8_EES8_NS5_IlS8_EES8_jjPS6_PjSD_j,"axG",@progbits,_ZN2at6native6mbtopk10gatherTopKIlmLin1EEEvNS_4cuda6detail10TensorInfoIKT_T0_EES8_S8_bjS8_NS5_IS6_S8_EES8_NS5_IlS8_EES8_jjPS6_PjSD_j,comdat
.Lfunc_end164:
	.size	_ZN2at6native6mbtopk10gatherTopKIlmLin1EEEvNS_4cuda6detail10TensorInfoIKT_T0_EES8_S8_bjS8_NS5_IS6_S8_EES8_NS5_IlS8_EES8_jjPS6_PjSD_j, .Lfunc_end164-_ZN2at6native6mbtopk10gatherTopKIlmLin1EEEvNS_4cuda6detail10TensorInfoIKT_T0_EES8_S8_bjS8_NS5_IS6_S8_EES8_NS5_IlS8_EES8_jjPS6_PjSD_j
                                        ; -- End function
	.section	.AMDGPU.csdata,"",@progbits
; Kernel info:
; codeLenInByte = 4632
; NumSgprs: 65
; NumVgprs: 22
; NumAgprs: 0
; TotalNumVgprs: 22
; ScratchSize: 0
; MemoryBound: 0
; FloatMode: 240
; IeeeMode: 1
; LDSByteSize: 1068 bytes/workgroup (compile time only)
; SGPRBlocks: 8
; VGPRBlocks: 2
; NumSGPRsForWavesPerEU: 65
; NumVGPRsForWavesPerEU: 22
; AccumOffset: 24
; Occupancy: 8
; WaveLimiterHint : 1
; COMPUTE_PGM_RSRC2:SCRATCH_EN: 0
; COMPUTE_PGM_RSRC2:USER_SGPR: 6
; COMPUTE_PGM_RSRC2:TRAP_HANDLER: 0
; COMPUTE_PGM_RSRC2:TGID_X_EN: 1
; COMPUTE_PGM_RSRC2:TGID_Y_EN: 1
; COMPUTE_PGM_RSRC2:TGID_Z_EN: 1
; COMPUTE_PGM_RSRC2:TIDIG_COMP_CNT: 0
; COMPUTE_PGM_RSRC3_GFX90A:ACCUM_OFFSET: 5
; COMPUTE_PGM_RSRC3_GFX90A:TG_SPLIT: 0
	.section	.text._ZN2at6native6sbtopk10gatherTopKIlmLin1ELb0EEEvNS_4cuda6detail10TensorInfoIKT_T0_EES8_S8_bS8_S8_NS5_IS6_S8_EES8_NS5_IlS8_EES8_PS6_,"axG",@progbits,_ZN2at6native6sbtopk10gatherTopKIlmLin1ELb0EEEvNS_4cuda6detail10TensorInfoIKT_T0_EES8_S8_bS8_S8_NS5_IS6_S8_EES8_NS5_IlS8_EES8_PS6_,comdat
	.protected	_ZN2at6native6sbtopk10gatherTopKIlmLin1ELb0EEEvNS_4cuda6detail10TensorInfoIKT_T0_EES8_S8_bS8_S8_NS5_IS6_S8_EES8_NS5_IlS8_EES8_PS6_ ; -- Begin function _ZN2at6native6sbtopk10gatherTopKIlmLin1ELb0EEEvNS_4cuda6detail10TensorInfoIKT_T0_EES8_S8_bS8_S8_NS5_IS6_S8_EES8_NS5_IlS8_EES8_PS6_
	.globl	_ZN2at6native6sbtopk10gatherTopKIlmLin1ELb0EEEvNS_4cuda6detail10TensorInfoIKT_T0_EES8_S8_bS8_S8_NS5_IS6_S8_EES8_NS5_IlS8_EES8_PS6_
	.p2align	8
	.type	_ZN2at6native6sbtopk10gatherTopKIlmLin1ELb0EEEvNS_4cuda6detail10TensorInfoIKT_T0_EES8_S8_bS8_S8_NS5_IS6_S8_EES8_NS5_IlS8_EES8_PS6_,@function
_ZN2at6native6sbtopk10gatherTopKIlmLin1ELb0EEEvNS_4cuda6detail10TensorInfoIKT_T0_EES8_S8_bS8_S8_NS5_IS6_S8_EES8_NS5_IlS8_EES8_PS6_: ; @_ZN2at6native6sbtopk10gatherTopKIlmLin1ELb0EEEvNS_4cuda6detail10TensorInfoIKT_T0_EES8_S8_bS8_S8_NS5_IS6_S8_EES8_NS5_IlS8_EES8_PS6_
; %bb.0:
	s_load_dwordx4 s[56:59], s[4:5], 0x1b8
	s_load_dwordx2 s[10:11], s[4:5], 0x520
	s_add_u32 s34, s4, 0x520
	s_addc_u32 s35, s5, 0
	s_mov_b32 s9, 0
	s_waitcnt lgkmcnt(0)
	v_mov_b32_e32 v2, s56
	s_mul_i32 s0, s11, s8
	s_add_i32 s0, s0, s7
	s_mul_i32 s0, s0, s10
	v_mov_b32_e32 v3, s57
	s_add_i32 s8, s0, s6
	v_cmp_ge_u64_e32 vcc, s[8:9], v[2:3]
	s_cbranch_vccnz .LBB165_509
; %bb.1:
	s_load_dword s0, s[4:5], 0x198
	s_mov_b64 s[2:3], 0
	s_mov_b64 s[12:13], s[8:9]
	s_waitcnt lgkmcnt(0)
	s_cmp_lt_i32 s0, 2
	s_cbranch_scc1 .LBB165_9
; %bb.2:
	s_mov_b32 s14, 0
	s_add_i32 s7, s0, 1
	s_add_i32 s0, s0, -1
	s_mov_b32 s1, s14
	s_lshl_b64 s[0:1], s[0:1], 3
	s_add_u32 s0, s0, s4
	s_addc_u32 s1, s1, s5
	s_add_u32 s16, s0, 8
	s_addc_u32 s17, s1, 0
	s_mov_b64 s[18:19], s[8:9]
.LBB165_3:                              ; =>This Inner Loop Header: Depth=1
	s_load_dwordx2 s[20:21], s[16:17], 0x0
	s_waitcnt lgkmcnt(0)
	s_or_b64 s[0:1], s[18:19], s[20:21]
	s_mov_b32 s15, s1
	s_cmp_lg_u64 s[14:15], 0
	s_cbranch_scc0 .LBB165_8
; %bb.4:                                ;   in Loop: Header=BB165_3 Depth=1
	v_cvt_f32_u32_e32 v1, s20
	v_cvt_f32_u32_e32 v2, s21
	s_sub_u32 s0, 0, s20
	s_subb_u32 s1, 0, s21
	v_mac_f32_e32 v1, 0x4f800000, v2
	v_rcp_f32_e32 v1, v1
	v_mul_f32_e32 v1, 0x5f7ffffc, v1
	v_mul_f32_e32 v2, 0x2f800000, v1
	v_trunc_f32_e32 v2, v2
	v_mac_f32_e32 v1, 0xcf800000, v2
	v_cvt_u32_f32_e32 v2, v2
	v_cvt_u32_f32_e32 v1, v1
	v_readfirstlane_b32 s11, v2
	v_readfirstlane_b32 s12, v1
	s_mul_i32 s13, s0, s11
	s_mul_hi_u32 s22, s0, s12
	s_mul_i32 s15, s1, s12
	s_add_i32 s13, s22, s13
	s_mul_i32 s23, s0, s12
	s_add_i32 s13, s13, s15
	s_mul_hi_u32 s15, s12, s13
	s_mul_i32 s22, s12, s13
	s_mul_hi_u32 s12, s12, s23
	s_add_u32 s12, s12, s22
	s_addc_u32 s15, 0, s15
	s_mul_hi_u32 s24, s11, s23
	s_mul_i32 s23, s11, s23
	s_add_u32 s12, s12, s23
	s_mul_hi_u32 s22, s11, s13
	s_addc_u32 s12, s15, s24
	s_addc_u32 s15, s22, 0
	s_mul_i32 s13, s11, s13
	s_add_u32 s12, s12, s13
	s_addc_u32 s13, 0, s15
	v_add_co_u32_e32 v1, vcc, s12, v1
	s_cmp_lg_u64 vcc, 0
	s_addc_u32 s11, s11, s13
	v_readfirstlane_b32 s13, v1
	s_mul_i32 s12, s0, s11
	s_mul_hi_u32 s15, s0, s13
	s_add_i32 s12, s15, s12
	s_mul_i32 s1, s1, s13
	s_add_i32 s12, s12, s1
	s_mul_i32 s0, s0, s13
	s_mul_hi_u32 s15, s11, s0
	s_mul_i32 s22, s11, s0
	s_mul_i32 s24, s13, s12
	s_mul_hi_u32 s0, s13, s0
	s_mul_hi_u32 s23, s13, s12
	s_add_u32 s0, s0, s24
	s_addc_u32 s13, 0, s23
	s_add_u32 s0, s0, s22
	s_mul_hi_u32 s1, s11, s12
	s_addc_u32 s0, s13, s15
	s_addc_u32 s1, s1, 0
	s_mul_i32 s12, s11, s12
	s_add_u32 s0, s0, s12
	s_addc_u32 s1, 0, s1
	v_add_co_u32_e32 v1, vcc, s0, v1
	s_cmp_lg_u64 vcc, 0
	s_addc_u32 s0, s11, s1
	v_readfirstlane_b32 s12, v1
	s_mul_i32 s11, s18, s0
	s_mul_hi_u32 s13, s18, s12
	s_mul_hi_u32 s1, s18, s0
	s_add_u32 s11, s13, s11
	s_addc_u32 s1, 0, s1
	s_mul_hi_u32 s15, s19, s12
	s_mul_i32 s12, s19, s12
	s_add_u32 s11, s11, s12
	s_mul_hi_u32 s13, s19, s0
	s_addc_u32 s1, s1, s15
	s_addc_u32 s11, s13, 0
	s_mul_i32 s0, s19, s0
	s_add_u32 s12, s1, s0
	s_addc_u32 s11, 0, s11
	s_mul_i32 s0, s20, s11
	s_mul_hi_u32 s1, s20, s12
	s_add_i32 s0, s1, s0
	s_mul_i32 s1, s21, s12
	s_add_i32 s13, s0, s1
	s_mul_i32 s1, s20, s12
	v_mov_b32_e32 v1, s1
	s_sub_i32 s0, s19, s13
	v_sub_co_u32_e32 v1, vcc, s18, v1
	s_cmp_lg_u64 vcc, 0
	s_subb_u32 s15, s0, s21
	v_subrev_co_u32_e64 v2, s[0:1], s20, v1
	s_cmp_lg_u64 s[0:1], 0
	s_subb_u32 s0, s15, 0
	s_cmp_ge_u32 s0, s21
	v_readfirstlane_b32 s15, v2
	s_cselect_b32 s1, -1, 0
	s_cmp_ge_u32 s15, s20
	s_cselect_b32 s15, -1, 0
	s_cmp_eq_u32 s0, s21
	s_cselect_b32 s0, s15, s1
	s_add_u32 s1, s12, 1
	s_addc_u32 s15, s11, 0
	s_add_u32 s22, s12, 2
	s_addc_u32 s23, s11, 0
	s_cmp_lg_u32 s0, 0
	s_cselect_b32 s0, s22, s1
	s_cselect_b32 s1, s23, s15
	s_cmp_lg_u64 vcc, 0
	s_subb_u32 s13, s19, s13
	s_cmp_ge_u32 s13, s21
	v_readfirstlane_b32 s22, v1
	s_cselect_b32 s15, -1, 0
	s_cmp_ge_u32 s22, s20
	s_cselect_b32 s22, -1, 0
	s_cmp_eq_u32 s13, s21
	s_cselect_b32 s13, s22, s15
	s_cmp_lg_u32 s13, 0
	s_cselect_b32 s13, s1, s11
	s_cselect_b32 s12, s0, s12
	s_cbranch_execnz .LBB165_6
.LBB165_5:                              ;   in Loop: Header=BB165_3 Depth=1
	v_cvt_f32_u32_e32 v1, s20
	s_sub_i32 s0, 0, s20
	s_mov_b32 s13, s14
	v_rcp_iflag_f32_e32 v1, v1
	v_mul_f32_e32 v1, 0x4f7ffffe, v1
	v_cvt_u32_f32_e32 v1, v1
	v_readfirstlane_b32 s1, v1
	s_mul_i32 s0, s0, s1
	s_mul_hi_u32 s0, s1, s0
	s_add_i32 s1, s1, s0
	s_mul_hi_u32 s0, s18, s1
	s_mul_i32 s11, s0, s20
	s_sub_i32 s11, s18, s11
	s_add_i32 s1, s0, 1
	s_sub_i32 s12, s11, s20
	s_cmp_ge_u32 s11, s20
	s_cselect_b32 s0, s1, s0
	s_cselect_b32 s11, s12, s11
	s_add_i32 s1, s0, 1
	s_cmp_ge_u32 s11, s20
	s_cselect_b32 s12, s1, s0
.LBB165_6:                              ;   in Loop: Header=BB165_3 Depth=1
	s_mul_i32 s0, s12, s21
	s_mul_hi_u32 s1, s12, s20
	s_add_i32 s11, s1, s0
	s_load_dwordx2 s[0:1], s[16:17], 0xc8
	s_mul_i32 s15, s13, s20
	s_add_i32 s11, s11, s15
	s_mul_i32 s15, s12, s20
	s_sub_u32 s15, s18, s15
	s_subb_u32 s11, s19, s11
	s_waitcnt lgkmcnt(0)
	s_mul_i32 s11, s0, s11
	s_mul_hi_u32 s18, s0, s15
	s_add_i32 s11, s18, s11
	s_mul_i32 s1, s1, s15
	s_add_i32 s11, s11, s1
	s_mul_i32 s0, s0, s15
	s_add_u32 s2, s0, s2
	s_addc_u32 s3, s11, s3
	s_add_i32 s7, s7, -1
	s_add_u32 s16, s16, -8
	s_addc_u32 s17, s17, -1
	s_cmp_gt_u32 s7, 2
	s_cbranch_scc0 .LBB165_9
; %bb.7:                                ;   in Loop: Header=BB165_3 Depth=1
	s_mov_b64 s[18:19], s[12:13]
	s_branch .LBB165_3
.LBB165_8:                              ;   in Loop: Header=BB165_3 Depth=1
                                        ; implicit-def: $sgpr12_sgpr13
	s_branch .LBB165_5
.LBB165_9:
	s_load_dword s0, s[4:5], 0x360
	s_load_dwordx2 s[14:15], s[4:5], 0xd0
	s_add_u32 s16, s4, 0x1c8
	s_addc_u32 s17, s5, 0
	s_mov_b64 s[56:57], 0
	s_waitcnt lgkmcnt(0)
	s_cmp_lt_i32 s0, 2
	s_mov_b64 s[28:29], s[8:9]
	s_cbranch_scc1 .LBB165_17
; %bb.10:
	s_mov_b32 s18, 0
	s_add_i32 s7, s0, 1
	s_add_i32 s0, s0, -1
	s_mov_b32 s1, s18
	s_lshl_b64 s[0:1], s[0:1], 3
	s_add_u32 s0, s0, s16
	s_addc_u32 s1, s1, s17
	s_add_u32 s20, s0, 8
	s_addc_u32 s21, s1, 0
	s_mov_b64 s[22:23], s[8:9]
.LBB165_11:                             ; =>This Inner Loop Header: Depth=1
	s_load_dwordx2 s[24:25], s[20:21], 0x0
	s_waitcnt lgkmcnt(0)
	s_or_b64 s[0:1], s[22:23], s[24:25]
	s_mov_b32 s19, s1
	s_cmp_lg_u64 s[18:19], 0
	s_cbranch_scc0 .LBB165_16
; %bb.12:                               ;   in Loop: Header=BB165_11 Depth=1
	v_cvt_f32_u32_e32 v1, s24
	v_cvt_f32_u32_e32 v2, s25
	s_sub_u32 s0, 0, s24
	s_subb_u32 s1, 0, s25
	v_mac_f32_e32 v1, 0x4f800000, v2
	v_rcp_f32_e32 v1, v1
	v_mul_f32_e32 v1, 0x5f7ffffc, v1
	v_mul_f32_e32 v2, 0x2f800000, v1
	v_trunc_f32_e32 v2, v2
	v_mac_f32_e32 v1, 0xcf800000, v2
	v_cvt_u32_f32_e32 v2, v2
	v_cvt_u32_f32_e32 v1, v1
	v_readfirstlane_b32 s11, v2
	v_readfirstlane_b32 s19, v1
	s_mul_i32 s26, s0, s11
	s_mul_hi_u32 s28, s0, s19
	s_mul_i32 s27, s1, s19
	s_add_i32 s26, s28, s26
	s_mul_i32 s29, s0, s19
	s_add_i32 s26, s26, s27
	s_mul_hi_u32 s27, s19, s26
	s_mul_i32 s28, s19, s26
	s_mul_hi_u32 s19, s19, s29
	s_add_u32 s19, s19, s28
	s_addc_u32 s27, 0, s27
	s_mul_hi_u32 s30, s11, s29
	s_mul_i32 s29, s11, s29
	s_add_u32 s19, s19, s29
	s_mul_hi_u32 s28, s11, s26
	s_addc_u32 s19, s27, s30
	s_addc_u32 s27, s28, 0
	s_mul_i32 s26, s11, s26
	s_add_u32 s19, s19, s26
	s_addc_u32 s26, 0, s27
	v_add_co_u32_e32 v1, vcc, s19, v1
	s_cmp_lg_u64 vcc, 0
	s_addc_u32 s11, s11, s26
	v_readfirstlane_b32 s26, v1
	s_mul_i32 s19, s0, s11
	s_mul_hi_u32 s27, s0, s26
	s_add_i32 s19, s27, s19
	s_mul_i32 s1, s1, s26
	s_add_i32 s19, s19, s1
	s_mul_i32 s0, s0, s26
	s_mul_hi_u32 s27, s11, s0
	s_mul_i32 s28, s11, s0
	s_mul_i32 s30, s26, s19
	s_mul_hi_u32 s0, s26, s0
	s_mul_hi_u32 s29, s26, s19
	s_add_u32 s0, s0, s30
	s_addc_u32 s26, 0, s29
	s_add_u32 s0, s0, s28
	s_mul_hi_u32 s1, s11, s19
	s_addc_u32 s0, s26, s27
	s_addc_u32 s1, s1, 0
	s_mul_i32 s19, s11, s19
	s_add_u32 s0, s0, s19
	s_addc_u32 s1, 0, s1
	v_add_co_u32_e32 v1, vcc, s0, v1
	s_cmp_lg_u64 vcc, 0
	s_addc_u32 s0, s11, s1
	v_readfirstlane_b32 s19, v1
	s_mul_i32 s11, s22, s0
	s_mul_hi_u32 s26, s22, s19
	s_mul_hi_u32 s1, s22, s0
	s_add_u32 s11, s26, s11
	s_addc_u32 s1, 0, s1
	s_mul_hi_u32 s27, s23, s19
	s_mul_i32 s19, s23, s19
	s_add_u32 s11, s11, s19
	s_mul_hi_u32 s26, s23, s0
	s_addc_u32 s1, s1, s27
	s_addc_u32 s11, s26, 0
	s_mul_i32 s0, s23, s0
	s_add_u32 s19, s1, s0
	s_addc_u32 s11, 0, s11
	s_mul_i32 s0, s24, s11
	s_mul_hi_u32 s1, s24, s19
	s_add_i32 s0, s1, s0
	s_mul_i32 s1, s25, s19
	s_add_i32 s26, s0, s1
	s_mul_i32 s1, s24, s19
	v_mov_b32_e32 v1, s1
	s_sub_i32 s0, s23, s26
	v_sub_co_u32_e32 v1, vcc, s22, v1
	s_cmp_lg_u64 vcc, 0
	s_subb_u32 s27, s0, s25
	v_subrev_co_u32_e64 v2, s[0:1], s24, v1
	s_cmp_lg_u64 s[0:1], 0
	s_subb_u32 s0, s27, 0
	s_cmp_ge_u32 s0, s25
	v_readfirstlane_b32 s27, v2
	s_cselect_b32 s1, -1, 0
	s_cmp_ge_u32 s27, s24
	s_cselect_b32 s27, -1, 0
	s_cmp_eq_u32 s0, s25
	s_cselect_b32 s0, s27, s1
	s_add_u32 s1, s19, 1
	s_addc_u32 s27, s11, 0
	s_add_u32 s28, s19, 2
	s_addc_u32 s29, s11, 0
	s_cmp_lg_u32 s0, 0
	s_cselect_b32 s0, s28, s1
	s_cselect_b32 s1, s29, s27
	s_cmp_lg_u64 vcc, 0
	s_subb_u32 s26, s23, s26
	s_cmp_ge_u32 s26, s25
	v_readfirstlane_b32 s28, v1
	s_cselect_b32 s27, -1, 0
	s_cmp_ge_u32 s28, s24
	s_cselect_b32 s28, -1, 0
	s_cmp_eq_u32 s26, s25
	s_cselect_b32 s26, s28, s27
	s_cmp_lg_u32 s26, 0
	s_cselect_b32 s29, s1, s11
	s_cselect_b32 s28, s0, s19
	s_cbranch_execnz .LBB165_14
.LBB165_13:                             ;   in Loop: Header=BB165_11 Depth=1
	v_cvt_f32_u32_e32 v1, s24
	s_sub_i32 s0, 0, s24
	s_mov_b32 s29, s18
	v_rcp_iflag_f32_e32 v1, v1
	v_mul_f32_e32 v1, 0x4f7ffffe, v1
	v_cvt_u32_f32_e32 v1, v1
	v_readfirstlane_b32 s1, v1
	s_mul_i32 s0, s0, s1
	s_mul_hi_u32 s0, s1, s0
	s_add_i32 s1, s1, s0
	s_mul_hi_u32 s0, s22, s1
	s_mul_i32 s11, s0, s24
	s_sub_i32 s11, s22, s11
	s_add_i32 s1, s0, 1
	s_sub_i32 s19, s11, s24
	s_cmp_ge_u32 s11, s24
	s_cselect_b32 s0, s1, s0
	s_cselect_b32 s11, s19, s11
	s_add_i32 s1, s0, 1
	s_cmp_ge_u32 s11, s24
	s_cselect_b32 s28, s1, s0
.LBB165_14:                             ;   in Loop: Header=BB165_11 Depth=1
	s_mul_i32 s0, s28, s25
	s_mul_hi_u32 s1, s28, s24
	s_add_i32 s11, s1, s0
	s_load_dwordx2 s[0:1], s[20:21], 0xc8
	s_mul_i32 s19, s29, s24
	s_add_i32 s11, s11, s19
	s_mul_i32 s19, s28, s24
	s_sub_u32 s19, s22, s19
	s_subb_u32 s11, s23, s11
	s_waitcnt lgkmcnt(0)
	s_mul_i32 s11, s0, s11
	s_mul_hi_u32 s22, s0, s19
	s_add_i32 s11, s22, s11
	s_mul_i32 s1, s1, s19
	s_add_i32 s11, s11, s1
	s_mul_i32 s0, s0, s19
	s_add_u32 s56, s0, s56
	s_addc_u32 s57, s11, s57
	s_add_i32 s7, s7, -1
	s_add_u32 s20, s20, -8
	s_addc_u32 s21, s21, -1
	s_cmp_gt_u32 s7, 2
	s_cbranch_scc0 .LBB165_17
; %bb.15:                               ;   in Loop: Header=BB165_11 Depth=1
	s_mov_b64 s[22:23], s[28:29]
	s_branch .LBB165_11
.LBB165_16:                             ;   in Loop: Header=BB165_11 Depth=1
                                        ; implicit-def: $sgpr28_sgpr29
	s_branch .LBB165_13
.LBB165_17:
	s_load_dword s11, s[4:5], 0x508
	s_load_dwordx2 s[0:1], s[16:17], 0xd0
                                        ; implicit-def: $vgpr73 : SGPR spill to VGPR lane
	s_mov_b64 s[74:75], 0
                                        ; kill: killed $sgpr16 killed $sgpr17
	s_waitcnt lgkmcnt(0)
	v_writelane_b32 v73, s0, 0
	v_writelane_b32 v73, s1, 1
	s_add_u32 s0, s4, 0x370
	s_addc_u32 s1, s5, 0
	s_cmp_lt_i32 s11, 2
	s_cbranch_scc1 .LBB165_25
; %bb.18:
	s_mov_b32 s16, 0
	s_add_i32 s18, s11, -1
	s_mov_b32 s19, s16
	s_add_i32 s7, s11, 1
	s_lshl_b64 s[18:19], s[18:19], 3
	s_add_u32 s0, s18, s0
	s_addc_u32 s1, s19, s1
	s_add_u32 s18, s0, 8
	s_addc_u32 s19, s1, 0
.LBB165_19:                             ; =>This Inner Loop Header: Depth=1
	s_load_dwordx2 s[20:21], s[18:19], 0x0
	s_waitcnt lgkmcnt(0)
	s_or_b64 s[0:1], s[8:9], s[20:21]
	s_mov_b32 s17, s1
	s_cmp_lg_u64 s[16:17], 0
	s_cbranch_scc0 .LBB165_24
; %bb.20:                               ;   in Loop: Header=BB165_19 Depth=1
	v_cvt_f32_u32_e32 v1, s20
	v_cvt_f32_u32_e32 v2, s21
	s_sub_u32 s0, 0, s20
	s_subb_u32 s1, 0, s21
	v_mac_f32_e32 v1, 0x4f800000, v2
	v_rcp_f32_e32 v1, v1
	v_mul_f32_e32 v1, 0x5f7ffffc, v1
	v_mul_f32_e32 v2, 0x2f800000, v1
	v_trunc_f32_e32 v2, v2
	v_mac_f32_e32 v1, 0xcf800000, v2
	v_cvt_u32_f32_e32 v2, v2
	v_cvt_u32_f32_e32 v1, v1
	v_readfirstlane_b32 s11, v2
	v_readfirstlane_b32 s17, v1
	s_mul_i32 s22, s0, s11
	s_mul_hi_u32 s24, s0, s17
	s_mul_i32 s23, s1, s17
	s_add_i32 s22, s24, s22
	s_mul_i32 s25, s0, s17
	s_add_i32 s22, s22, s23
	s_mul_hi_u32 s23, s17, s22
	s_mul_i32 s24, s17, s22
	s_mul_hi_u32 s17, s17, s25
	s_add_u32 s17, s17, s24
	s_addc_u32 s23, 0, s23
	s_mul_hi_u32 s26, s11, s25
	s_mul_i32 s25, s11, s25
	s_add_u32 s17, s17, s25
	s_mul_hi_u32 s24, s11, s22
	s_addc_u32 s17, s23, s26
	s_addc_u32 s23, s24, 0
	s_mul_i32 s22, s11, s22
	s_add_u32 s17, s17, s22
	s_addc_u32 s22, 0, s23
	v_add_co_u32_e32 v1, vcc, s17, v1
	s_cmp_lg_u64 vcc, 0
	s_addc_u32 s11, s11, s22
	v_readfirstlane_b32 s22, v1
	s_mul_i32 s17, s0, s11
	s_mul_hi_u32 s23, s0, s22
	s_add_i32 s17, s23, s17
	s_mul_i32 s1, s1, s22
	s_add_i32 s17, s17, s1
	s_mul_i32 s0, s0, s22
	s_mul_hi_u32 s23, s11, s0
	s_mul_i32 s24, s11, s0
	s_mul_i32 s26, s22, s17
	s_mul_hi_u32 s0, s22, s0
	s_mul_hi_u32 s25, s22, s17
	s_add_u32 s0, s0, s26
	s_addc_u32 s22, 0, s25
	s_add_u32 s0, s0, s24
	s_mul_hi_u32 s1, s11, s17
	s_addc_u32 s0, s22, s23
	s_addc_u32 s1, s1, 0
	s_mul_i32 s17, s11, s17
	s_add_u32 s0, s0, s17
	s_addc_u32 s1, 0, s1
	v_add_co_u32_e32 v1, vcc, s0, v1
	s_cmp_lg_u64 vcc, 0
	s_addc_u32 s0, s11, s1
	v_readfirstlane_b32 s17, v1
	s_mul_i32 s11, s8, s0
	s_mul_hi_u32 s22, s8, s17
	s_mul_hi_u32 s1, s8, s0
	s_add_u32 s11, s22, s11
	s_addc_u32 s1, 0, s1
	s_mul_hi_u32 s23, s9, s17
	s_mul_i32 s17, s9, s17
	s_add_u32 s11, s11, s17
	s_mul_hi_u32 s22, s9, s0
	s_addc_u32 s1, s1, s23
	s_addc_u32 s11, s22, 0
	s_mul_i32 s0, s9, s0
	s_add_u32 s17, s1, s0
	s_addc_u32 s11, 0, s11
	s_mul_i32 s0, s20, s11
	s_mul_hi_u32 s1, s20, s17
	s_add_i32 s0, s1, s0
	s_mul_i32 s1, s21, s17
	s_add_i32 s22, s0, s1
	s_mul_i32 s1, s20, s17
	v_mov_b32_e32 v1, s1
	s_sub_i32 s0, s9, s22
	v_sub_co_u32_e32 v1, vcc, s8, v1
	s_cmp_lg_u64 vcc, 0
	s_subb_u32 s23, s0, s21
	v_subrev_co_u32_e64 v2, s[0:1], s20, v1
	s_cmp_lg_u64 s[0:1], 0
	s_subb_u32 s0, s23, 0
	s_cmp_ge_u32 s0, s21
	v_readfirstlane_b32 s23, v2
	s_cselect_b32 s1, -1, 0
	s_cmp_ge_u32 s23, s20
	s_cselect_b32 s23, -1, 0
	s_cmp_eq_u32 s0, s21
	s_cselect_b32 s0, s23, s1
	s_add_u32 s1, s17, 1
	s_addc_u32 s23, s11, 0
	s_add_u32 s24, s17, 2
	s_addc_u32 s25, s11, 0
	s_cmp_lg_u32 s0, 0
	s_cselect_b32 s0, s24, s1
	s_cselect_b32 s1, s25, s23
	s_cmp_lg_u64 vcc, 0
	s_subb_u32 s22, s9, s22
	s_cmp_ge_u32 s22, s21
	v_readfirstlane_b32 s24, v1
	s_cselect_b32 s23, -1, 0
	s_cmp_ge_u32 s24, s20
	s_cselect_b32 s24, -1, 0
	s_cmp_eq_u32 s22, s21
	s_cselect_b32 s22, s24, s23
	s_cmp_lg_u32 s22, 0
	s_cselect_b32 s79, s1, s11
	s_cselect_b32 s78, s0, s17
	s_cbranch_execnz .LBB165_22
.LBB165_21:                             ;   in Loop: Header=BB165_19 Depth=1
	v_cvt_f32_u32_e32 v1, s20
	s_sub_i32 s0, 0, s20
	s_mov_b32 s79, s16
	v_rcp_iflag_f32_e32 v1, v1
	v_mul_f32_e32 v1, 0x4f7ffffe, v1
	v_cvt_u32_f32_e32 v1, v1
	v_readfirstlane_b32 s1, v1
	s_mul_i32 s0, s0, s1
	s_mul_hi_u32 s0, s1, s0
	s_add_i32 s1, s1, s0
	s_mul_hi_u32 s0, s8, s1
	s_mul_i32 s11, s0, s20
	s_sub_i32 s11, s8, s11
	s_add_i32 s1, s0, 1
	s_sub_i32 s17, s11, s20
	s_cmp_ge_u32 s11, s20
	s_cselect_b32 s0, s1, s0
	s_cselect_b32 s11, s17, s11
	s_add_i32 s1, s0, 1
	s_cmp_ge_u32 s11, s20
	s_cselect_b32 s78, s1, s0
.LBB165_22:                             ;   in Loop: Header=BB165_19 Depth=1
	s_mul_i32 s0, s78, s21
	s_mul_hi_u32 s1, s78, s20
	s_add_i32 s11, s1, s0
	s_load_dwordx2 s[0:1], s[18:19], 0xc8
	s_mul_i32 s17, s79, s20
	s_add_i32 s11, s11, s17
	s_mul_i32 s17, s78, s20
	s_sub_u32 s8, s8, s17
	s_subb_u32 s9, s9, s11
	s_waitcnt lgkmcnt(0)
	s_mul_i32 s9, s0, s9
	s_mul_hi_u32 s11, s0, s8
	s_add_i32 s9, s11, s9
	s_mul_i32 s1, s1, s8
	s_add_i32 s9, s9, s1
	s_mul_i32 s0, s0, s8
	s_add_u32 s74, s0, s74
	s_addc_u32 s75, s9, s75
	s_add_i32 s7, s7, -1
	s_add_u32 s18, s18, -8
	s_addc_u32 s19, s19, -1
	s_cmp_gt_u32 s7, 2
	s_cbranch_scc0 .LBB165_26
; %bb.23:                               ;   in Loop: Header=BB165_19 Depth=1
	s_mov_b64 s[8:9], s[78:79]
	s_branch .LBB165_19
.LBB165_24:                             ;   in Loop: Header=BB165_19 Depth=1
                                        ; implicit-def: $sgpr78_sgpr79
	s_branch .LBB165_21
.LBB165_25:
	s_mov_b64 s[78:79], s[8:9]
.LBB165_26:
	s_load_dwordx4 s[60:63], s[4:5], 0x1a0
	s_load_dwordx2 s[16:17], s[4:5], 0x0
	s_load_dwordx2 s[0:1], s[4:5], 0x1c8
	v_writelane_b32 v73, s28, 2
	v_writelane_b32 v73, s29, 3
	s_mov_b32 s87, 0
	v_cmp_eq_u32_e64 s[8:9], 0, v0
	s_waitcnt lgkmcnt(0)
	v_writelane_b32 v73, s0, 4
	v_writelane_b32 v73, s1, 5
	s_load_dwordx2 s[0:1], s[4:5], 0x440
	s_waitcnt lgkmcnt(0)
	v_writelane_b32 v73, s0, 6
	v_writelane_b32 v73, s1, 7
	s_load_dwordx2 s[0:1], s[4:5], 0x370
	s_waitcnt lgkmcnt(0)
	v_writelane_b32 v73, s0, 8
	v_writelane_b32 v73, s1, 9
	s_mov_b64 s[0:1], exec
	v_writelane_b32 v73, s8, 10
	v_writelane_b32 v73, s9, 11
	s_and_b64 s[8:9], s[0:1], s[8:9]
	s_mov_b64 exec, s[8:9]
	s_cbranch_execz .LBB165_28
; %bb.27:
	v_mov_b32_e32 v2, 0
	v_mov_b32_e32 v4, s60
	;; [unrolled: 1-line block ×4, first 2 shown]
	ds_write_b32 v2, v2 offset:5144
	ds_write_b128 v2, v[2:5] offset:5120
.LBB165_28:
	s_or_b64 exec, exec, s[0:1]
	s_mul_i32 s0, s14, s13
	s_mul_hi_u32 s1, s14, s12
	s_add_i32 s0, s1, s0
	s_mul_i32 s1, s15, s12
	s_add_i32 s1, s0, s1
	s_mul_i32 s0, s14, s12
	s_lshl_b64 s[8:9], s[0:1], 3
	s_lshl_b64 s[72:73], s[2:3], 3
	v_writelane_b32 v73, s4, 12
	s_load_dword s2, s[4:5], 0x1b0
	s_add_u32 s0, s16, s8
	s_addc_u32 s1, s17, s9
	s_add_u32 s93, s0, s72
	s_addc_u32 s12, s1, s73
	s_waitcnt lgkmcnt(0)
	s_bitcmp1_b32 s2, 0
	v_writelane_b32 v73, s5, 13
	s_cselect_b64 s[2:3], -1, 0
	v_writelane_b32 v73, s2, 14
	v_writelane_b32 v73, s3, 15
	s_xor_b64 s[2:3], s[2:3], -1
	v_mbcnt_lo_u32_b32 v1, -1, 0
	v_writelane_b32 v73, s2, 16
	v_mbcnt_hi_u32_b32 v55, -1, v1
	v_writelane_b32 v73, s3, 17
	v_cmp_gt_u32_e32 vcc, 64, v0
	v_cmp_gt_i32_e64 s[2:3], 4, v55
	s_and_b64 s[2:3], vcc, s[2:3]
	v_mov_b32_e32 v2, 0x180
	v_writelane_b32 v73, s2, 18
	v_mov_b32_e32 v3, 0
	v_mov_b32_e32 v21, 0
	v_writelane_b32 v73, s3, 19
	v_cmp_gt_u64_e64 s[2:3], s[60:61], v[2:3]
	v_writelane_b32 v73, s2, 20
	v_mov_b32_e32 v1, v21
	v_writelane_b32 v73, s3, 21
	v_cmp_gt_u64_e64 s[2:3], s[60:61], v[0:1]
	v_writelane_b32 v73, s2, 22
	v_writelane_b32 v73, s3, 23
	v_mad_u64_u32 v[4:5], s[2:3], v0, s58, 0
	v_mov_b32_e32 v2, v5
	v_mad_u64_u32 v[2:3], s[2:3], v0, s59, v[2:3]
	v_cmp_gt_u32_e64 s[2:3], 2, v0
	v_writelane_b32 v73, s2, 24
	s_barrier
	v_writelane_b32 v73, s3, 25
	s_load_dword s2, s[34:35], 0xc
	v_mov_b32_e32 v5, v2
	v_lshlrev_b64 v[2:3], 3, v[4:5]
	v_mov_b32_e32 v6, s12
	v_add_co_u32_e32 v18, vcc, s93, v2
	s_waitcnt lgkmcnt(0)
	s_and_b32 s33, s2, 0xffff
	s_bfe_u32 s3, s2, 0xa0006
	v_cmp_gt_u16_e64 s[4:5], s2, 63
	v_writelane_b32 v73, s4, 26
	s_add_u32 s2, s33, -1
	v_writelane_b32 v73, s5, 27
	s_addc_u32 s4, 0, -1
	v_writelane_b32 v73, s2, 28
	s_add_u32 s2, s2, s60
	v_writelane_b32 v73, s2, 29
	s_addc_u32 s5, s4, s61
	v_writelane_b32 v73, s4, 30
	s_cmp_lt_u32 s6, s10
	v_writelane_b32 v73, s4, 31
	s_cselect_b32 s2, 12, 18
	v_writelane_b32 v73, s5, 32
	s_add_u32 s4, s34, s2
	s_addc_u32 s5, s35, 0
	v_writelane_b32 v73, s4, 33
	v_writelane_b32 v73, s5, 34
	s_add_i32 s2, s3, -1
	s_bfe_u32 s4, s33, 0x30006
	s_cmp_gt_u32 s2, 6
	s_cselect_b64 s[6:7], -1, 0
	v_writelane_b32 v73, s6, 35
	s_and_b32 s13, s3, 0x3f8
	v_writelane_b32 v73, s7, 36
	s_cmp_lg_u32 s4, 0
	v_writelane_b32 v73, s4, 37
	s_cselect_b64 s[2:3], -1, 0
	v_writelane_b32 v73, s2, 38
	v_writelane_b32 v73, s3, 39
	s_add_u32 s2, s8, s72
	s_addc_u32 s3, s9, s73
	s_add_u32 s2, s16, s2
	v_addc_co_u32_e32 v19, vcc, v6, v3, vcc
	v_lshrrev_b32_e32 v6, 4, v0
	s_addc_u32 s3, s17, s3
	v_and_b32_e32 v56, 60, v6
	v_lshlrev_b32_e32 v6, 2, v55
	v_writelane_b32 v73, s2, 40
	v_and_b32_e32 v54, 0x100, v6
	v_lshlrev_b64 v[6:7], v55, -1
	v_writelane_b32 v73, s3, 41
	s_lshl_b64 s[2:3], s[58:59], 3
	v_lshlrev_b32_e32 v59, 5, v0
	v_not_b32_e32 v17, v7
	v_not_b32_e32 v16, v6
	v_writelane_b32 v73, s2, 42
	v_or_b32_e32 v9, 24, v59
	v_pk_mov_b32 v[6:7], s[0:1], s[0:1] op_sel:[0,1]
	v_writelane_b32 v73, s3, 43
	v_mad_u64_u32 v[24:25], s[2:3], s58, v9, v[6:7]
	v_mov_b32_e32 v8, v25
	v_mad_u64_u32 v[8:9], s[2:3], s59, v9, v[8:9]
	s_lshl_b64 s[2:3], s[58:59], 5
	v_writelane_b32 v73, s2, 44
	v_or_b32_e32 v9, 16, v59
	v_writelane_b32 v73, s3, 45
	v_mad_u64_u32 v[26:27], s[2:3], s58, v9, v[6:7]
	v_mov_b32_e32 v25, v8
	v_mov_b32_e32 v8, v27
	v_mad_u64_u32 v[8:9], s[2:3], s59, v9, v[8:9]
	v_mov_b32_e32 v27, v8
	v_or_b32_e32 v8, 8, v59
	v_mad_u64_u32 v[28:29], s[2:3], s58, v8, v[6:7]
	v_mov_b32_e32 v6, v29
	v_mad_u64_u32 v[6:7], s[2:3], s59, v8, v[6:7]
	v_lshlrev_b64 v[4:5], 5, v[4:5]
	s_lshl_b32 s2, s33, 3
	v_add_co_u32_e32 v30, vcc, s0, v4
	s_add_u32 s0, s16, s72
	v_mov_b32_e32 v29, v6
	v_mov_b32_e32 v6, s1
	v_writelane_b32 v73, s16, 46
	s_addc_u32 s1, s17, s73
	v_writelane_b32 v73, s17, 47
	s_add_u32 s0, s0, s8
	v_addc_co_u32_e32 v31, vcc, v6, v5, vcc
	v_mov_b32_e32 v4, 0xc00
	v_writelane_b32 v73, s8, 48
	s_addc_u32 s1, s1, s9
	v_lshl_or_b32 v60, v55, 3, v4
	v_mov_b32_e32 v4, s1
	v_add_co_u32_e32 v32, vcc, s0, v2
	s_mul_i32 s0, s59, s33
	s_mul_hi_u32 s1, s58, s33
	s_add_i32 s1, s1, s0
	s_mul_i32 s0, s58, s33
	v_writelane_b32 v73, s9, 49
	s_lshl_b64 s[64:65], s[0:1], 3
	s_mov_b32 s0, 62
	v_writelane_b32 v73, s0, 50
	s_mov_b32 s0, 0
	v_cmp_eq_u32_e64 s[94:95], 0, v55
	v_lshlrev_b32_e32 v57, 3, v0
	v_pk_mov_b32 v[6:7], 0, 0
	v_writelane_b32 v73, s0, 51
	v_lshlrev_b32_e32 v22, 2, v0
	v_mov_b32_e32 v23, v21
	v_add_u32_e32 v58, 0xc00, v57
	s_mov_b32 s92, s87
	v_addc_co_u32_e32 v33, vcc, v4, v3, vcc
	s_mov_b64 s[70:71], 0
	v_pk_mov_b32 v[38:39], s[62:63], s[62:63] op_sel:[0,1]
	v_mov_b32_e32 v2, 1
	v_mov_b32_e32 v61, 0x4f800000
	v_pk_mov_b32 v[36:37], v[6:7], v[6:7] op_sel:[0,1]
	v_pk_mov_b32 v[34:35], v[6:7], v[6:7] op_sel:[0,1]
	v_writelane_b32 v73, s94, 52
                                        ; implicit-def: $sgpr84_sgpr85
                                        ; implicit-def: $sgpr82_sgpr83
                                        ; implicit-def: $sgpr8_sgpr9
                                        ; implicit-def: $sgpr10_sgpr11
                                        ; implicit-def: $sgpr76_sgpr77
                                        ; implicit-def: $sgpr26_sgpr27
                                        ; implicit-def: $sgpr28_sgpr29
                                        ; implicit-def: $sgpr30_sgpr31
                                        ; implicit-def: $sgpr34_sgpr35
                                        ; implicit-def: $sgpr4_sgpr5
	v_writelane_b32 v73, s95, 53
	s_branch .LBB165_31
.LBB165_29:                             ;   in Loop: Header=BB165_31 Depth=1
	s_or_b64 exec, exec, s[16:17]
	s_andn2_b64 s[4:5], s[4:5], exec
	s_and_b64 s[14:15], s[14:15], exec
	s_or_b64 s[4:5], s[4:5], s[14:15]
	s_andn2_b64 s[34:35], s[34:35], exec
	s_andn2_b64 s[30:31], s[30:31], exec
	;; [unrolled: 1-line block ×4, first 2 shown]
	s_orn2_b64 s[6:7], s[6:7], exec
	v_pk_mov_b32 v[34:35], v[14:15], v[14:15] op_sel:[0,1]
	v_pk_mov_b32 v[36:37], v[12:13], v[12:13] op_sel:[0,1]
	s_waitcnt vmcnt(0)
	v_pk_mov_b32 v[38:39], v[40:41], v[40:41] op_sel:[0,1]
	v_pk_mov_b32 v[6:7], v[10:11], v[10:11] op_sel:[0,1]
.LBB165_30:                             ;   in Loop: Header=BB165_31 Depth=1
	s_or_b64 exec, exec, s[0:1]
	s_and_b64 s[0:1], exec, s[6:7]
	s_or_b64 s[70:71], s[0:1], s[70:71]
	s_andn2_b64 s[0:1], s[76:77], exec
	s_and_b64 s[6:7], s[4:5], exec
	s_or_b64 s[76:77], s[0:1], s[6:7]
	s_andn2_b64 s[0:1], s[10:11], exec
	s_and_b64 s[6:7], s[34:35], exec
	;; [unrolled: 3-line block ×5, first 2 shown]
	s_or_b64 s[84:85], s[0:1], s[6:7]
	s_andn2_b64 exec, exec, s[70:71]
	s_cbranch_execz .LBB165_505
.LBB165_31:                             ; =>This Loop Header: Depth=1
                                        ;     Child Loop BB165_39 Depth 2
                                        ;     Child Loop BB165_54 Depth 2
	;; [unrolled: 1-line block ×24, first 2 shown]
	ds_read_b128 v[8:11], v21 offset:5120
	s_waitcnt lgkmcnt(0)
	v_readfirstlane_b32 s69, v9
	v_readfirstlane_b32 s68, v8
	s_cmp_lg_u64 s[68:69], 0
	s_cbranch_scc1 .LBB165_61
; %bb.32:                               ;   in Loop: Header=BB165_31 Depth=1
	v_readlane_b32 s0, v73, 20
	v_readlane_b32 s1, v73, 21
	s_and_b64 vcc, exec, s[0:1]
	s_cbranch_vccz .LBB165_47
; %bb.33:                               ;   in Loop: Header=BB165_31 Depth=1
	s_mov_b64 s[0:1], 0x181
	v_cmp_gt_u64_e32 vcc, s[0:1], v[10:11]
	s_mov_b64 s[68:69], 0
	s_mov_b64 s[0:1], 0
	s_cbranch_vccz .LBB165_48
; %bb.34:                               ;   in Loop: Header=BB165_31 Depth=1
	s_waitcnt vmcnt(0)
	v_pk_mov_b32 v[4:5], 0, 0
	s_mov_b64 s[0:1], exec
	v_readlane_b32 s6, v73, 22
	v_readlane_b32 s7, v73, 23
	s_and_b64 s[6:7], s[0:1], s[6:7]
	s_mov_b64 exec, s[6:7]
	s_cbranch_execz .LBB165_36
; %bb.35:                               ;   in Loop: Header=BB165_31 Depth=1
	global_load_dwordx2 v[4:5], v[18:19], off
.LBB165_36:                             ;   in Loop: Header=BB165_31 Depth=1
	s_or_b64 exec, exec, s[0:1]
	s_mov_b64 s[0:1], exec
	v_readlane_b32 s6, v73, 22
	v_readlane_b32 s7, v73, 23
	s_and_b64 s[6:7], s[0:1], s[6:7]
	s_mov_b64 exec, s[6:7]
	s_cbranch_execz .LBB165_120
; %bb.37:                               ;   in Loop: Header=BB165_31 Depth=1
	v_readlane_b32 s6, v73, 33
	v_readlane_b32 s7, v73, 34
	;; [unrolled: 1-line block ×4, first 2 shown]
	s_mov_b64 s[16:17], 0
	s_nop 1
	global_load_ushort v3, v21, s[6:7]
	v_readlane_b32 s6, v73, 40
	v_readlane_b32 s7, v73, 41
	v_pk_mov_b32 v[8:9], s[6:7], s[6:7] op_sel:[0,1]
	s_waitcnt vmcnt(0)
	v_readfirstlane_b32 s3, v3
	s_and_b32 s3, 0xffff, s3
	v_add_u32_e32 v11, s3, v0
	v_mad_u64_u32 v[8:9], s[6:7], s18, v11, v[8:9]
	v_mov_b32_e32 v10, v9
	s_mul_i32 s14, s19, s3
	s_mul_hi_u32 s15, s18, s3
	v_mad_u64_u32 v[10:11], s[6:7], s19, v11, v[10:11]
	s_mul_i32 s3, s18, s3
	s_add_i32 s24, s15, s14
	v_mov_b32_e32 v9, v10
	v_pk_mov_b32 v[10:11], v[0:1], v[0:1] op_sel:[0,1]
	s_branch .LBB165_39
.LBB165_38:                             ;   in Loop: Header=BB165_39 Depth=2
	s_or_b64 exec, exec, s[6:7]
	v_mov_b32_e32 v4, s24
	v_add_co_u32_e32 v8, vcc, s3, v8
	v_addc_co_u32_e32 v9, vcc, v9, v4, vcc
	s_waitcnt vmcnt(0)
	v_pk_mov_b32 v[4:5], v[12:13], v[12:13] op_sel:[0,1]
	s_andn2_b64 exec, exec, s[16:17]
	s_cbranch_execz .LBB165_120
.LBB165_39:                             ;   Parent Loop BB165_31 Depth=1
                                        ; =>  This Inner Loop Header: Depth=2
	v_add_co_u32_sdwa v10, vcc, v10, v3 dst_sel:DWORD dst_unused:UNUSED_PAD src0_sel:DWORD src1_sel:WORD_0
	v_addc_co_u32_e32 v11, vcc, 0, v11, vcc
	v_cmp_gt_u64_e64 s[6:7], s[60:61], v[10:11]
	v_cmp_le_u64_e32 vcc, s[60:61], v[10:11]
	v_pk_mov_b32 v[12:13], 0, 0
	s_and_saveexec_b64 s[14:15], s[6:7]
	s_cbranch_execz .LBB165_41
; %bb.40:                               ;   in Loop: Header=BB165_39 Depth=2
	global_load_dwordx2 v[12:13], v[8:9], off
.LBB165_41:                             ;   in Loop: Header=BB165_39 Depth=2
	s_or_b64 exec, exec, s[14:15]
	s_waitcnt lgkmcnt(0)
	v_xor_b32_e32 v14, 0x80000000, v5
	v_and_b32_e32 v15, v14, v35
	v_and_b32_e32 v14, v4, v34
	v_cmp_eq_u64_e64 s[14:15], v[14:15], v[36:37]
	s_cmp_lg_u64 s[14:15], 0
	s_cselect_b64 s[6:7], -1, 0
	s_and_b64 s[6:7], s[94:95], s[6:7]
	v_mov_b32_e32 v14, 0
	s_and_saveexec_b64 s[18:19], s[6:7]
	s_cbranch_execz .LBB165_45
; %bb.42:                               ;   in Loop: Header=BB165_39 Depth=2
	s_mov_b64 s[22:23], exec
	v_mbcnt_lo_u32_b32 v14, s22, 0
	v_mbcnt_hi_u32_b32 v14, s23, v14
	s_bcnt1_i32_b64 s25, s[14:15]
	v_cmp_eq_u32_e64 s[6:7], 0, v14
                                        ; implicit-def: $vgpr15
	s_and_saveexec_b64 s[20:21], s[6:7]
	s_cbranch_execz .LBB165_44
; %bb.43:                               ;   in Loop: Header=BB165_39 Depth=2
	s_bcnt1_i32_b64 s6, s[22:23]
	s_mul_i32 s6, s25, s6
	v_mov_b32_e32 v15, s6
	ds_add_rtn_u32 v15, v21, v15 offset:5144
.LBB165_44:                             ;   in Loop: Header=BB165_39 Depth=2
	s_or_b64 exec, exec, s[20:21]
	s_waitcnt lgkmcnt(0)
	v_readfirstlane_b32 s6, v15
	v_mov_b32_e32 v15, s6
	v_mad_u32_u24 v14, s25, v14, v15
.LBB165_45:                             ;   in Loop: Header=BB165_39 Depth=2
	s_or_b64 exec, exec, s[18:19]
	ds_bpermute_b32 v14, v54, v14
	s_and_b64 s[6:7], exec, vcc
	s_or_b64 s[16:17], s[6:7], s[16:17]
	s_and_saveexec_b64 s[6:7], s[14:15]
	s_cbranch_execz .LBB165_38
; %bb.46:                               ;   in Loop: Header=BB165_39 Depth=2
	v_and_b32_e32 v20, s14, v16
	v_and_b32_e32 v15, s15, v17
	v_bcnt_u32_b32 v20, v20, 0
	v_bcnt_u32_b32 v15, v15, v20
	v_lshlrev_b32_e32 v15, 3, v15
	s_waitcnt lgkmcnt(0)
	v_lshl_add_u32 v14, v14, 3, v15
	ds_write_b64 v14, v[4:5]
	s_branch .LBB165_38
.LBB165_47:                             ;   in Loop: Header=BB165_31 Depth=1
	s_mov_b64 s[68:69], -1
	s_mov_b64 s[0:1], 0
.LBB165_48:                             ;   in Loop: Header=BB165_31 Depth=1
	s_and_b64 vcc, exec, s[68:69]
	s_cbranch_vccz .LBB165_59
.LBB165_49:                             ;   in Loop: Header=BB165_31 Depth=1
	s_waitcnt vmcnt(0)
	v_pk_mov_b32 v[4:5], 0, 0
	s_mov_b64 s[0:1], exec
	v_readlane_b32 s6, v73, 22
	v_readlane_b32 s7, v73, 23
	s_and_b64 s[6:7], s[0:1], s[6:7]
	s_mov_b64 exec, s[6:7]
	s_cbranch_execz .LBB165_51
; %bb.50:                               ;   in Loop: Header=BB165_31 Depth=1
	global_load_dwordx2 v[4:5], v[18:19], off
.LBB165_51:                             ;   in Loop: Header=BB165_31 Depth=1
	s_or_b64 exec, exec, s[0:1]
	s_mov_b64 s[0:1], exec
	v_readlane_b32 s6, v73, 22
	v_readlane_b32 s7, v73, 23
	s_and_b64 s[6:7], s[0:1], s[6:7]
	s_mov_b64 exec, s[6:7]
	s_cbranch_execz .LBB165_56
; %bb.52:                               ;   in Loop: Header=BB165_31 Depth=1
	v_readlane_b32 s6, v73, 33
	v_readlane_b32 s7, v73, 34
	;; [unrolled: 1-line block ×4, first 2 shown]
	s_mov_b64 s[14:15], 0
	v_mov_b32_e32 v14, v57
	s_nop 0
	global_load_ushort v3, v21, s[6:7]
	v_readlane_b32 s6, v73, 40
	v_readlane_b32 s7, v73, 41
	v_pk_mov_b32 v[8:9], s[6:7], s[6:7] op_sel:[0,1]
	s_waitcnt vmcnt(0)
	v_readfirstlane_b32 s3, v3
	s_and_b32 s6, 0xffff, s3
	v_add_u32_e32 v11, s6, v0
	s_lshl_b32 s3, s6, 3
	s_mul_i32 s16, s21, s6
	s_mul_hi_u32 s17, s20, s6
	s_mul_i32 s18, s20, s6
	v_mad_u64_u32 v[8:9], s[6:7], s20, v11, v[8:9]
	v_mov_b32_e32 v10, v9
	v_mad_u64_u32 v[10:11], s[6:7], s21, v11, v[10:11]
	s_add_i32 s19, s17, s16
	v_mov_b32_e32 v9, v10
	v_pk_mov_b32 v[10:11], v[0:1], v[0:1] op_sel:[0,1]
	s_branch .LBB165_54
.LBB165_53:                             ;   in Loop: Header=BB165_54 Depth=2
	s_or_b64 exec, exec, s[16:17]
	s_and_b64 s[6:7], exec, vcc
	ds_write_b64 v14, v[4:5]
	v_mov_b32_e32 v4, s19
	v_add_co_u32_e32 v8, vcc, s18, v8
	s_or_b64 s[14:15], s[6:7], s[14:15]
	v_add_u32_e32 v14, s3, v14
	v_addc_co_u32_e32 v9, vcc, v9, v4, vcc
	s_waitcnt vmcnt(0)
	v_pk_mov_b32 v[4:5], v[12:13], v[12:13] op_sel:[0,1]
	s_andn2_b64 exec, exec, s[14:15]
	s_cbranch_execz .LBB165_56
.LBB165_54:                             ;   Parent Loop BB165_31 Depth=1
                                        ; =>  This Inner Loop Header: Depth=2
	v_add_co_u32_sdwa v10, vcc, v10, v3 dst_sel:DWORD dst_unused:UNUSED_PAD src0_sel:DWORD src1_sel:WORD_0
	v_addc_co_u32_e32 v11, vcc, 0, v11, vcc
	v_cmp_gt_u64_e64 s[6:7], s[60:61], v[10:11]
	v_cmp_le_u64_e32 vcc, s[60:61], v[10:11]
	v_pk_mov_b32 v[12:13], 0, 0
	s_and_saveexec_b64 s[16:17], s[6:7]
	s_cbranch_execz .LBB165_53
; %bb.55:                               ;   in Loop: Header=BB165_54 Depth=2
	global_load_dwordx2 v[12:13], v[8:9], off
	s_branch .LBB165_53
.LBB165_56:                             ;   in Loop: Header=BB165_31 Depth=1
	s_or_b64 exec, exec, s[0:1]
	s_waitcnt lgkmcnt(0)
	s_barrier
	s_mov_b64 s[0:1], exec
	v_readlane_b32 s6, v73, 10
	v_readlane_b32 s7, v73, 11
	s_and_b64 s[6:7], s[0:1], s[6:7]
	s_mov_b64 exec, s[6:7]
	s_cbranch_execz .LBB165_58
; %bb.57:                               ;   in Loop: Header=BB165_31 Depth=1
	s_waitcnt vmcnt(0)
	v_pk_mov_b32 v[4:5], s[60:61], s[60:61] op_sel:[0,1]
	ds_write_b64 v21, v[4:5] offset:5120
.LBB165_58:                             ;   in Loop: Header=BB165_31 Depth=1
	s_or_b64 exec, exec, s[0:1]
	s_mov_b64 s[0:1], -1
	s_waitcnt lgkmcnt(0)
	s_barrier
                                        ; implicit-def: $sgpr68_sgpr69
.LBB165_59:                             ;   in Loop: Header=BB165_31 Depth=1
	s_and_b64 vcc, exec, s[0:1]
	s_cbranch_vccz .LBB165_61
; %bb.60:                               ;   in Loop: Header=BB165_31 Depth=1
	s_waitcnt vmcnt(0)
	ds_read_b64 v[4:5], v21 offset:5120
	s_waitcnt lgkmcnt(0)
	v_readfirstlane_b32 s68, v4
.LBB165_61:                             ;   in Loop: Header=BB165_31 Depth=1
	v_writelane_b32 v73, s26, 54
	v_writelane_b32 v73, s27, 55
	;; [unrolled: 1-line block ×6, first 2 shown]
	s_cmp_lt_i32 s68, 1
	v_writelane_b32 v73, s34, 60
	v_writelane_b32 v73, s35, 61
	s_cbranch_scc0 .LBB165_76
; %bb.62:                               ;   in Loop: Header=BB165_31 Depth=1
	v_readlane_b32 s0, v73, 33
	v_readlane_b32 s1, v73, 34
	s_nop 4
	global_load_ushort v3, v21, s[0:1]
	s_mov_b32 s0, s87
	s_waitcnt vmcnt(0)
	v_readfirstlane_b32 s1, v3
	s_and_b32 s69, s1, 0xffff
	s_lshl_b32 s86, s69, 2
	s_mov_b32 s1, s61
	s_cmp_lg_u64 s[0:1], 0
	s_cbranch_scc0 .LBB165_96
; %bb.63:                               ;   in Loop: Header=BB165_31 Depth=1
	v_cvt_f32_u32_e32 v3, s86
	s_sub_u32 s0, 0, s86
	s_subb_u32 s1, 0, 0
	v_mac_f32_e32 v3, 0, v61
	v_rcp_f32_e32 v3, v3
	v_mul_f32_e32 v3, 0x5f7ffffc, v3
	v_mul_f32_e32 v4, 0x2f800000, v3
	v_trunc_f32_e32 v4, v4
	v_mac_f32_e32 v3, 0xcf800000, v4
	v_cvt_u32_f32_e32 v4, v4
	v_cvt_u32_f32_e32 v3, v3
	v_readfirstlane_b32 s3, v4
	v_readfirstlane_b32 s6, v3
	s_mul_i32 s7, s0, s3
	s_mul_hi_u32 s15, s0, s6
	s_mul_i32 s14, s1, s6
	s_add_i32 s7, s15, s7
	s_mul_i32 s16, s0, s6
	s_add_i32 s7, s7, s14
	s_mul_hi_u32 s15, s6, s16
	s_mul_hi_u32 s14, s6, s7
	s_mul_i32 s6, s6, s7
	s_add_u32 s6, s15, s6
	s_addc_u32 s14, 0, s14
	s_mul_hi_u32 s17, s3, s16
	s_mul_i32 s16, s3, s16
	s_add_u32 s6, s6, s16
	s_mul_hi_u32 s15, s3, s7
	s_addc_u32 s6, s14, s17
	s_addc_u32 s14, s15, 0
	s_mul_i32 s7, s3, s7
	s_add_u32 s6, s6, s7
	s_addc_u32 s7, 0, s14
	v_add_co_u32_e32 v3, vcc, s6, v3
	s_cmp_lg_u64 vcc, 0
	s_addc_u32 s3, s3, s7
	v_readfirstlane_b32 s7, v3
	s_mul_i32 s6, s0, s3
	s_mul_hi_u32 s14, s0, s7
	s_add_i32 s6, s14, s6
	s_mul_i32 s1, s1, s7
	s_add_i32 s6, s6, s1
	s_mul_i32 s0, s0, s7
	s_mul_hi_u32 s14, s3, s0
	s_mul_i32 s15, s3, s0
	s_mul_i32 s17, s7, s6
	s_mul_hi_u32 s0, s7, s0
	s_mul_hi_u32 s16, s7, s6
	s_add_u32 s0, s0, s17
	s_addc_u32 s7, 0, s16
	s_add_u32 s0, s0, s15
	s_mul_hi_u32 s1, s3, s6
	s_addc_u32 s0, s7, s14
	s_addc_u32 s1, s1, 0
	s_mul_i32 s6, s3, s6
	s_add_u32 s0, s0, s6
	s_addc_u32 s1, 0, s1
	v_add_co_u32_e32 v3, vcc, s0, v3
	s_cmp_lg_u64 vcc, 0
	s_addc_u32 s0, s3, s1
	v_readfirstlane_b32 s6, v3
	s_mul_i32 s3, s60, s0
	s_mul_hi_u32 s7, s60, s6
	s_mul_hi_u32 s1, s60, s0
	s_add_u32 s3, s7, s3
	s_addc_u32 s1, 0, s1
	s_mul_hi_u32 s14, s61, s6
	s_mul_i32 s6, s61, s6
	s_add_u32 s3, s3, s6
	s_mul_hi_u32 s7, s61, s0
	s_addc_u32 s1, s1, s14
	s_addc_u32 s3, s7, 0
	s_mul_i32 s0, s61, s0
	s_add_u32 s0, s1, s0
	s_addc_u32 s1, 0, s3
	s_mul_hi_u32 s3, s86, s0
	s_mul_i32 s0, s86, s0
	s_mul_i32 s1, s86, s1
	v_mov_b32_e32 v3, s0
	s_add_i32 s3, s3, s1
	v_sub_co_u32_e32 v3, vcc, s60, v3
	s_cmp_lg_u64 vcc, 0
	s_subb_u32 s0, s61, s3
	v_subrev_co_u32_e32 v4, vcc, s86, v3
	s_cmp_lg_u64 vcc, 0
	s_subb_u32 s1, s0, 0
	v_subrev_co_u32_e32 v5, vcc, s86, v4
	s_cmp_lg_u64 vcc, 0
	s_subb_u32 s3, s1, 0
	v_cmp_le_u32_e32 vcc, s86, v4
	s_cmp_eq_u32 s1, 0
	v_cndmask_b32_e64 v8, 0, -1, vcc
	s_cselect_b64 vcc, -1, 0
	v_cndmask_b32_e32 v8, -1, v8, vcc
	v_mov_b32_e32 v9, s1
	v_mov_b32_e32 v10, s3
	v_cmp_ne_u32_e32 vcc, 0, v8
	v_cndmask_b32_e32 v8, v9, v10, vcc
	v_cndmask_b32_e32 v4, v4, v5, vcc
	v_cmp_le_u32_e32 vcc, s86, v3
	s_cmp_eq_u32 s0, 0
	v_cndmask_b32_e64 v5, 0, -1, vcc
	s_cselect_b64 vcc, -1, 0
	v_cndmask_b32_e32 v5, -1, v5, vcc
	v_mov_b32_e32 v9, s0
	v_cmp_ne_u32_e32 vcc, 0, v5
	v_cndmask_b32_e32 v5, v9, v8, vcc
	v_cndmask_b32_e32 v4, v3, v4, vcc
	s_cbranch_execnz .LBB165_65
.LBB165_64:                             ;   in Loop: Header=BB165_31 Depth=1
	v_cvt_f32_u32_e32 v3, s86
	s_sub_i32 s0, 0, s86
	v_rcp_iflag_f32_e32 v3, v3
	v_mul_f32_e32 v3, 0x4f7ffffe, v3
	v_cvt_u32_f32_e32 v3, v3
	v_mul_lo_u32 v4, s0, v3
	v_mul_hi_u32 v4, v3, v4
	v_add_u32_e32 v3, v3, v4
	v_mul_hi_u32 v3, s60, v3
	v_mul_lo_u32 v3, v3, s86
	v_sub_u32_e32 v3, s60, v3
	v_subrev_u32_e32 v4, s86, v3
	v_cmp_le_u32_e32 vcc, s86, v3
	v_cndmask_b32_e32 v3, v3, v4, vcc
	v_subrev_u32_e32 v4, s86, v3
	v_cmp_le_u32_e32 vcc, s86, v3
	v_cndmask_b32_e32 v20, v3, v4, vcc
	v_pk_mov_b32 v[4:5], v[20:21], v[20:21] op_sel:[0,1]
.LBB165_65:                             ;   in Loop: Header=BB165_31 Depth=1
	v_mov_b32_e32 v3, s61
	v_sub_co_u32_e32 v4, vcc, s60, v4
	v_subb_co_u32_e32 v5, vcc, v3, v5, vcc
	v_pk_mov_b32 v[8:9], 0, 0
	v_cmp_gt_u64_e32 vcc, v[4:5], v[22:23]
	s_mov_b64 s[90:91], 0
	v_pk_mov_b32 v[10:11], v[8:9], v[8:9] op_sel:[0,1]
	v_pk_mov_b32 v[12:13], v[8:9], v[8:9] op_sel:[0,1]
	;; [unrolled: 1-line block ×3, first 2 shown]
	s_and_saveexec_b64 s[88:89], vcc
	s_cbranch_execz .LBB165_69
; %bb.66:                               ;   in Loop: Header=BB165_31 Depth=1
	v_readlane_b32 s6, v73, 44
	v_readlane_b32 s0, v73, 50
	;; [unrolled: 1-line block ×3, first 2 shown]
	s_and_b32 s3, s0, 0xfe
	s_mul_i32 s0, s7, s69
	s_mul_hi_u32 s1, s6, s69
	s_add_i32 s30, s1, s0
	s_mul_i32 s31, s6, s69
	v_pk_mov_b32 v[40:41], v[30:31], v[30:31] op_sel:[0,1]
	v_pk_mov_b32 v[42:43], v[28:29], v[28:29] op_sel:[0,1]
	;; [unrolled: 1-line block ×4, first 2 shown]
	s_mov_b64 s[80:81], 0
	s_mov_b64 s[0:1], 0
	;; [unrolled: 1-line block ×4, first 2 shown]
	v_pk_mov_b32 v[48:49], v[22:23], v[22:23] op_sel:[0,1]
.LBB165_67:                             ;   Parent Loop BB165_31 Depth=1
                                        ; =>  This Inner Loop Header: Depth=2
	v_mov_b32_e32 v3, s73
	v_add_co_u32_e32 v8, vcc, s72, v42
	v_add_co_u32_e64 v10, s[14:15], s72, v44
	v_add_co_u32_e64 v12, s[16:17], s72, v46
	;; [unrolled: 1-line block ×3, first 2 shown]
	v_addc_co_u32_e64 v63, s[22:23], v41, v3, s[22:23]
	v_addc_co_u32_e32 v9, vcc, v43, v3, vcc
	v_addc_co_u32_e64 v11, vcc, v45, v3, s[14:15]
	v_addc_co_u32_e64 v13, vcc, v47, v3, s[16:17]
	global_load_dwordx2 v[62:63], v[62:63], off
	s_nop 0
	global_load_dwordx2 v[8:9], v[8:9], off
	s_nop 0
	;; [unrolled: 2-line block ×3, first 2 shown]
	global_load_dwordx2 v[12:13], v[12:13], off
	v_mov_b32_e32 v14, s30
	v_add_co_u32_e64 v46, s[6:7], s31, v46
	v_add_co_u32_e64 v44, s[18:19], s31, v44
	;; [unrolled: 1-line block ×4, first 2 shown]
	v_mov_b32_e32 v15, v21
	v_addc_co_u32_e64 v47, vcc, v47, v14, s[6:7]
	v_addc_co_u32_e64 v45, vcc, v45, v14, s[18:19]
	;; [unrolled: 1-line block ×4, first 2 shown]
	v_mov_b32_e32 v51, v21
	v_mov_b32_e32 v53, v21
	v_add_co_u32_e64 v48, s[26:27], s86, v48
	v_addc_co_u32_e64 v49, s[26:27], 0, v49, s[26:27]
	v_cmp_ge_u64_e32 vcc, v[48:49], v[4:5]
	s_waitcnt vmcnt(3)
	v_xor_b32_e32 v63, 0x80000000, v63
	s_waitcnt vmcnt(2)
	v_xor_b32_e32 v9, 0x80000000, v9
	v_and_b32_e32 v64, v62, v34
	v_and_b32_e32 v65, v63, v35
	v_lshrrev_b64 v[62:63], s3, v[62:63]
	s_waitcnt vmcnt(1)
	v_xor_b32_e32 v11, 0x80000000, v11
	v_and_b32_e32 v66, v8, v34
	v_and_b32_e32 v67, v9, v35
	v_lshrrev_b64 v[8:9], s3, v[8:9]
	v_and_b32_e32 v20, 3, v62
	s_waitcnt vmcnt(0)
	v_xor_b32_e32 v13, 0x80000000, v13
	v_and_b32_e32 v68, v10, v34
	v_and_b32_e32 v69, v11, v35
	v_lshrrev_b64 v[10:11], s3, v[10:11]
	v_cmp_eq_u64_e64 s[20:21], v[64:65], v[36:37]
	v_and_b32_e32 v14, 3, v8
	v_cmp_eq_u64_e64 s[6:7], 0, v[20:21]
	v_and_b32_e32 v70, v12, v34
	v_and_b32_e32 v71, v13, v35
	v_lshrrev_b64 v[12:13], s3, v[12:13]
	v_cmp_eq_u64_e64 s[18:19], v[66:67], v[36:37]
	v_and_b32_e32 v50, 3, v10
	v_cmp_eq_u64_e64 s[34:35], 0, v[14:15]
	s_and_b64 s[6:7], s[20:21], s[6:7]
	v_cmp_eq_u64_e64 s[16:17], v[68:69], v[36:37]
	v_and_b32_e32 v52, 3, v12
	v_cmp_eq_u64_e64 s[36:37], 0, v[50:51]
	v_cndmask_b32_e64 v3, 0, 1, s[6:7]
	s_and_b64 s[6:7], s[18:19], s[34:35]
	v_cmp_eq_u64_e64 s[14:15], v[70:71], v[36:37]
	v_cmp_eq_u64_e64 s[38:39], 0, v[52:53]
	v_cndmask_b32_e64 v8, 0, 1, s[6:7]
	s_and_b64 s[6:7], s[16:17], s[36:37]
	v_cndmask_b32_e64 v9, 0, 1, s[6:7]
	s_and_b64 s[6:7], s[14:15], s[38:39]
	v_cndmask_b32_e64 v10, 0, 1, s[6:7]
	v_cmp_ne_u32_e64 s[6:7], 0, v3
	v_cmp_ne_u32_e64 s[34:35], 0, v8
	;; [unrolled: 1-line block ×4, first 2 shown]
	s_bcnt1_i32_b64 s6, s[6:7]
	s_bcnt1_i32_b64 s7, s[34:35]
	;; [unrolled: 1-line block ×4, first 2 shown]
	s_add_u32 s6, s6, s66
	s_addc_u32 s36, 0, s67
	s_add_u32 s6, s6, s7
	s_addc_u32 s7, s36, 0
	;; [unrolled: 2-line block ×3, first 2 shown]
	v_cmp_eq_u64_e64 s[40:41], 1, v[20:21]
	s_add_u32 s66, s6, s35
	v_cmp_eq_u64_e64 s[42:43], 1, v[14:15]
	s_addc_u32 s67, s7, 0
	s_and_b64 s[6:7], s[20:21], s[40:41]
	v_cmp_eq_u64_e64 s[44:45], 1, v[50:51]
	v_cndmask_b32_e64 v3, 0, 1, s[6:7]
	s_and_b64 s[6:7], s[18:19], s[42:43]
	v_cmp_eq_u64_e64 s[46:47], 1, v[52:53]
	v_cndmask_b32_e64 v10, 0, 1, s[6:7]
	s_and_b64 s[6:7], s[16:17], s[44:45]
	v_cndmask_b32_e64 v11, 0, 1, s[6:7]
	s_and_b64 s[6:7], s[14:15], s[46:47]
	v_cndmask_b32_e64 v12, 0, 1, s[6:7]
	v_cmp_ne_u32_e64 s[6:7], 0, v3
	v_cmp_ne_u32_e64 s[34:35], 0, v10
	;; [unrolled: 1-line block ×4, first 2 shown]
	s_bcnt1_i32_b64 s6, s[6:7]
	s_bcnt1_i32_b64 s7, s[34:35]
	;; [unrolled: 1-line block ×4, first 2 shown]
	s_add_u32 s6, s6, s94
	s_addc_u32 s36, 0, s95
	s_add_u32 s6, s6, s7
	s_addc_u32 s7, s36, 0
	;; [unrolled: 2-line block ×3, first 2 shown]
	v_cmp_eq_u64_e64 s[48:49], 2, v[20:21]
	s_add_u32 s94, s6, s35
	v_cmp_eq_u64_e64 s[50:51], 2, v[14:15]
	s_addc_u32 s95, s7, 0
	s_and_b64 s[6:7], s[20:21], s[48:49]
	v_cmp_eq_u64_e64 s[52:53], 2, v[50:51]
	v_cndmask_b32_e64 v3, 0, 1, s[6:7]
	s_and_b64 s[6:7], s[18:19], s[50:51]
	v_cmp_eq_u64_e64 s[54:55], 2, v[52:53]
	v_cndmask_b32_e64 v12, 0, 1, s[6:7]
	s_and_b64 s[6:7], s[16:17], s[52:53]
	v_cndmask_b32_e64 v13, 0, 1, s[6:7]
	s_and_b64 s[6:7], s[14:15], s[54:55]
	v_cmp_eq_u64_e64 s[26:27], 3, v[14:15]
	v_cndmask_b32_e64 v14, 0, 1, s[6:7]
	v_cmp_ne_u32_e64 s[6:7], 0, v3
	v_cmp_ne_u32_e64 s[34:35], 0, v12
	;; [unrolled: 1-line block ×4, first 2 shown]
	s_bcnt1_i32_b64 s6, s[6:7]
	s_bcnt1_i32_b64 s7, s[34:35]
	;; [unrolled: 1-line block ×4, first 2 shown]
	s_add_u32 s0, s6, s0
	s_addc_u32 s1, 0, s1
	s_add_u32 s0, s0, s7
	s_addc_u32 s1, s1, 0
	;; [unrolled: 2-line block ×3, first 2 shown]
	v_cmp_eq_u64_e64 s[28:29], 3, v[20:21]
	s_add_u32 s0, s0, s35
	s_addc_u32 s1, s1, 0
	s_and_b64 s[6:7], s[20:21], s[28:29]
	v_cmp_eq_u64_e64 s[24:25], 3, v[50:51]
	v_cndmask_b32_e64 v3, 0, 1, s[6:7]
	s_and_b64 s[6:7], s[18:19], s[26:27]
	v_cmp_eq_u64_e64 s[22:23], 3, v[52:53]
	v_cndmask_b32_e64 v14, 0, 1, s[6:7]
	s_and_b64 s[6:7], s[16:17], s[24:25]
	v_cndmask_b32_e64 v15, 0, 1, s[6:7]
	s_and_b64 s[6:7], s[14:15], s[22:23]
	v_cndmask_b32_e64 v20, 0, 1, s[6:7]
	v_cmp_ne_u32_e64 s[6:7], 0, v3
	v_cmp_ne_u32_e64 s[14:15], 0, v14
	;; [unrolled: 1-line block ×4, first 2 shown]
	s_bcnt1_i32_b64 s6, s[6:7]
	s_bcnt1_i32_b64 s7, s[14:15]
	s_bcnt1_i32_b64 s14, s[16:17]
	s_bcnt1_i32_b64 s15, s[18:19]
	s_add_u32 s6, s6, s80
	s_addc_u32 s16, 0, s81
	s_add_u32 s6, s6, s7
	s_addc_u32 s7, s16, 0
	;; [unrolled: 2-line block ×4, first 2 shown]
	v_pk_mov_b32 v[8:9], s[66:67], s[66:67] op_sel:[0,1]
	v_pk_mov_b32 v[10:11], s[94:95], s[94:95] op_sel:[0,1]
	v_pk_mov_b32 v[12:13], s[0:1], s[0:1] op_sel:[0,1]
	s_or_b64 s[90:91], vcc, s[90:91]
	v_pk_mov_b32 v[14:15], s[80:81], s[80:81] op_sel:[0,1]
	s_andn2_b64 exec, exec, s[90:91]
	s_cbranch_execnz .LBB165_67
; %bb.68:                               ;   in Loop: Header=BB165_31 Depth=1
	s_or_b64 exec, exec, s[90:91]
	v_readlane_b32 s94, v73, 52
	v_readlane_b32 s95, v73, 53
.LBB165_69:                             ;   in Loop: Header=BB165_31 Depth=1
	s_or_b64 exec, exec, s[88:89]
	v_add_co_u32_e32 v4, vcc, v4, v0
	v_addc_co_u32_e32 v5, vcc, 0, v5, vcc
	v_cmp_gt_u64_e32 vcc, s[60:61], v[4:5]
	v_pk_mov_b32 v[40:41], 0, 0
	s_and_saveexec_b64 s[0:1], vcc
	s_cbranch_execz .LBB165_71
; %bb.70:                               ;   in Loop: Header=BB165_31 Depth=1
	v_mul_lo_u32 v3, v5, s58
	v_mul_lo_u32 v20, v4, s59
	v_mad_u64_u32 v[40:41], s[6:7], v4, s58, 0
	v_add3_u32 v41, v41, v20, v3
	v_lshlrev_b64 v[40:41], 3, v[40:41]
	v_mov_b32_e32 v3, s12
	v_add_co_u32_e64 v40, s[6:7], s93, v40
	v_addc_co_u32_e64 v41, s[6:7], v3, v41, s[6:7]
	global_load_dwordx2 v[40:41], v[40:41], off
.LBB165_71:                             ;   in Loop: Header=BB165_31 Depth=1
	s_or_b64 exec, exec, s[0:1]
	s_and_saveexec_b64 s[0:1], vcc
	s_cbranch_execz .LBB165_78
; %bb.72:                               ;   in Loop: Header=BB165_31 Depth=1
	v_readlane_b32 s3, v73, 50
	s_and_b32 s3, s3, 0xfe
	s_mov_b64 s[14:15], 0
	s_branch .LBB165_74
.LBB165_73:                             ;   in Loop: Header=BB165_74 Depth=2
	s_or_b64 exec, exec, s[16:17]
	s_waitcnt vmcnt(0)
	v_xor_b32_e32 v41, 0x80000000, v41
	v_and_b32_e32 v45, v41, v35
	v_and_b32_e32 v44, v40, v34
	v_lshrrev_b64 v[40:41], s3, v[40:41]
	s_and_b64 s[6:7], exec, vcc
	v_and_b32_e32 v20, 3, v40
	s_or_b64 s[14:15], s[6:7], s[14:15]
	v_cmp_eq_u64_e32 vcc, v[44:45], v[36:37]
	v_cmp_eq_u64_e64 s[6:7], 0, v[20:21]
	s_and_b64 s[6:7], vcc, s[6:7]
	v_cndmask_b32_e64 v3, 0, 1, s[6:7]
	v_cmp_ne_u32_e64 s[6:7], 0, v3
	s_bcnt1_i32_b64 s6, s[6:7]
	v_add_co_u32_e64 v8, s[6:7], s6, v8
	v_addc_co_u32_e64 v9, s[6:7], 0, v9, s[6:7]
	v_cmp_eq_u64_e64 s[6:7], 1, v[20:21]
	s_and_b64 s[6:7], vcc, s[6:7]
	v_cndmask_b32_e64 v3, 0, 1, s[6:7]
	v_cmp_ne_u32_e64 s[6:7], 0, v3
	s_bcnt1_i32_b64 s6, s[6:7]
	v_add_co_u32_e64 v10, s[6:7], s6, v10
	v_addc_co_u32_e64 v11, s[6:7], 0, v11, s[6:7]
	;; [unrolled: 7-line block ×3, first 2 shown]
	v_cmp_eq_u64_e64 s[6:7], 3, v[20:21]
	s_and_b64 s[6:7], vcc, s[6:7]
	v_cndmask_b32_e64 v3, 0, 1, s[6:7]
	v_cmp_ne_u32_e32 vcc, 0, v3
	s_bcnt1_i32_b64 s6, vcc
	v_add_co_u32_e32 v14, vcc, s6, v14
	v_addc_co_u32_e32 v15, vcc, 0, v15, vcc
	v_pk_mov_b32 v[40:41], v[42:43], v[42:43] op_sel:[0,1]
	s_andn2_b64 exec, exec, s[14:15]
	s_cbranch_execz .LBB165_77
.LBB165_74:                             ;   Parent Loop BB165_31 Depth=1
                                        ; =>  This Inner Loop Header: Depth=2
	v_mov_b32_e32 v3, s87
	v_add_co_u32_e32 v4, vcc, s69, v4
	v_addc_co_u32_e32 v5, vcc, v5, v3, vcc
	v_cmp_gt_u64_e64 s[6:7], s[60:61], v[4:5]
	v_cmp_le_u64_e32 vcc, s[60:61], v[4:5]
	v_pk_mov_b32 v[42:43], 0, 0
	s_and_saveexec_b64 s[16:17], s[6:7]
	s_cbranch_execz .LBB165_73
; %bb.75:                               ;   in Loop: Header=BB165_74 Depth=2
	v_mul_lo_u32 v3, v5, s58
	v_mul_lo_u32 v20, v4, s59
	v_mad_u64_u32 v[42:43], s[6:7], v4, s58, 0
	v_add3_u32 v43, v43, v20, v3
	v_lshlrev_b64 v[42:43], 3, v[42:43]
	v_mov_b32_e32 v3, s12
	v_add_co_u32_e64 v42, s[6:7], s93, v42
	v_addc_co_u32_e64 v43, s[6:7], v3, v43, s[6:7]
	global_load_dwordx2 v[42:43], v[42:43], off
	s_branch .LBB165_73
.LBB165_76:                             ;   in Loop: Header=BB165_31 Depth=1
                                        ; implicit-def: $vgpr14_vgpr15
                                        ; implicit-def: $vgpr10_vgpr11
	s_cbranch_execnz .LBB165_79
	s_branch .LBB165_88
.LBB165_77:                             ;   in Loop: Header=BB165_31 Depth=1
	s_or_b64 exec, exec, s[14:15]
.LBB165_78:                             ;   in Loop: Header=BB165_31 Depth=1
	s_or_b64 exec, exec, s[0:1]
	s_branch .LBB165_88
.LBB165_79:                             ;   in Loop: Header=BB165_31 Depth=1
	v_readlane_b32 s0, v73, 33
	v_readlane_b32 s1, v73, 34
	v_pk_mov_b32 v[8:9], 0, 0
	v_pk_mov_b32 v[10:11], v[8:9], v[8:9] op_sel:[0,1]
	v_pk_mov_b32 v[12:13], v[8:9], v[8:9] op_sel:[0,1]
	;; [unrolled: 1-line block ×3, first 2 shown]
	s_nop 0
	global_load_ushort v3, v21, s[0:1]
	s_waitcnt vmcnt(0)
	v_readfirstlane_b32 s0, v3
	s_and_b32 s0, 0xffff, s0
	s_lshl_b32 s3, s0, 2
	v_cvt_f32_u32_e32 v4, s3
	s_sub_i32 s6, 0, s3
	s_mov_b64 s[0:1], 0
	v_and_b32_e32 v3, 0xffff, v3
	v_rcp_iflag_f32_e32 v4, v4
	v_mul_f32_e32 v4, 0x4f7ffffe, v4
	v_cvt_u32_f32_e32 v4, v4
	v_readfirstlane_b32 s7, v4
	s_mul_i32 s6, s6, s7
	s_mul_hi_u32 s6, s7, s6
	s_add_i32 s7, s7, s6
	s_mul_hi_u32 s6, s68, s7
	s_mul_i32 s6, s6, s3
	s_sub_i32 s6, s68, s6
	s_sub_i32 s7, s6, s3
	s_cmp_ge_u32 s6, s3
	s_cselect_b32 s6, s7, s6
	s_sub_i32 s7, s6, s3
	s_cmp_ge_u32 s6, s3
	s_cselect_b32 s6, s7, s6
	s_sub_i32 s86, s68, s6
	v_cmp_gt_u32_e32 vcc, s86, v22
	s_and_saveexec_b64 s[66:67], vcc
	s_cbranch_execz .LBB165_83
; %bb.80:                               ;   in Loop: Header=BB165_31 Depth=1
	v_readlane_b32 s6, v73, 50
	s_and_b32 s30, s6, 0xfe
	v_lshlrev_b32_e32 v46, 5, v3
	v_mov_b32_e32 v47, v59
	s_mov_b64 s[80:81], 0
	s_mov_b64 s[88:89], 0
	;; [unrolled: 1-line block ×4, first 2 shown]
	v_pk_mov_b32 v[4:5], v[22:23], v[22:23] op_sel:[0,1]
.LBB165_81:                             ;   Parent Loop BB165_31 Depth=1
                                        ; =>  This Inner Loop Header: Depth=2
	ds_read_b128 v[12:15], v47
	ds_read_b128 v[8:11], v47 offset:16
	v_mov_b32_e32 v41, v21
	v_mov_b32_e32 v43, v21
	v_mov_b32_e32 v45, v21
	s_waitcnt lgkmcnt(1)
	v_xor_b32_e32 v13, 0x80000000, v13
	v_xor_b32_e32 v15, 0x80000000, v15
	v_and_b32_e32 v48, v12, v34
	v_and_b32_e32 v49, v13, v35
	v_lshrrev_b64 v[12:13], s30, v[12:13]
	s_waitcnt lgkmcnt(0)
	v_xor_b32_e32 v9, 0x80000000, v9
	v_and_b32_e32 v50, v14, v34
	v_and_b32_e32 v51, v15, v35
	v_lshrrev_b64 v[14:15], s30, v[14:15]
	v_and_b32_e32 v20, 3, v12
	v_xor_b32_e32 v11, 0x80000000, v11
	v_and_b32_e32 v52, v8, v34
	v_and_b32_e32 v53, v9, v35
	v_lshrrev_b64 v[8:9], s30, v[8:9]
	v_cmp_eq_u64_e64 s[20:21], v[48:49], v[36:37]
	v_and_b32_e32 v40, 3, v14
	v_cmp_eq_u64_e64 s[6:7], 0, v[20:21]
	v_and_b32_e32 v62, v10, v34
	v_and_b32_e32 v63, v11, v35
	v_lshrrev_b64 v[10:11], s30, v[10:11]
	v_cmp_eq_u64_e64 s[18:19], v[50:51], v[36:37]
	v_and_b32_e32 v42, 3, v8
	v_cmp_eq_u64_e64 s[34:35], 0, v[40:41]
	s_and_b64 s[6:7], s[20:21], s[6:7]
	v_cmp_eq_u64_e64 s[16:17], v[52:53], v[36:37]
	v_and_b32_e32 v44, 3, v10
	v_cmp_eq_u64_e64 s[36:37], 0, v[42:43]
	v_cndmask_b32_e64 v8, 0, 1, s[6:7]
	s_and_b64 s[6:7], s[18:19], s[34:35]
	v_cmp_eq_u64_e64 s[14:15], v[62:63], v[36:37]
	v_cmp_eq_u64_e64 s[38:39], 0, v[44:45]
	v_cndmask_b32_e64 v9, 0, 1, s[6:7]
	s_and_b64 s[6:7], s[16:17], s[36:37]
	v_cndmask_b32_e64 v10, 0, 1, s[6:7]
	s_and_b64 s[6:7], s[14:15], s[38:39]
	v_cndmask_b32_e64 v11, 0, 1, s[6:7]
	v_cmp_ne_u32_e64 s[6:7], 0, v8
	v_cmp_ne_u32_e64 s[34:35], 0, v9
	v_cmp_ne_u32_e64 s[36:37], 0, v10
	v_cmp_ne_u32_e64 s[38:39], 0, v11
	s_bcnt1_i32_b64 s6, s[6:7]
	s_bcnt1_i32_b64 s7, s[34:35]
	s_bcnt1_i32_b64 s31, s[36:37]
	s_bcnt1_i32_b64 s34, s[38:39]
	s_add_u32 s6, s6, s94
	s_addc_u32 s35, 0, s95
	s_add_u32 s6, s6, s7
	s_addc_u32 s7, s35, 0
	s_add_u32 s6, s6, s31
	s_addc_u32 s7, s7, 0
	v_cmp_eq_u64_e64 s[40:41], 1, v[20:21]
	s_add_u32 s94, s6, s34
	v_cmp_eq_u64_e64 s[42:43], 1, v[40:41]
	s_addc_u32 s95, s7, 0
	s_and_b64 s[6:7], s[20:21], s[40:41]
	v_cmp_eq_u64_e64 s[44:45], 1, v[42:43]
	v_cndmask_b32_e64 v10, 0, 1, s[6:7]
	s_and_b64 s[6:7], s[18:19], s[42:43]
	v_cmp_eq_u64_e64 s[46:47], 1, v[44:45]
	v_cndmask_b32_e64 v11, 0, 1, s[6:7]
	s_and_b64 s[6:7], s[16:17], s[44:45]
	v_cndmask_b32_e64 v12, 0, 1, s[6:7]
	s_and_b64 s[6:7], s[14:15], s[46:47]
	v_cndmask_b32_e64 v13, 0, 1, s[6:7]
	v_cmp_ne_u32_e64 s[6:7], 0, v10
	v_cmp_ne_u32_e64 s[34:35], 0, v11
	v_cmp_ne_u32_e64 s[36:37], 0, v12
	v_cmp_ne_u32_e64 s[38:39], 0, v13
	s_bcnt1_i32_b64 s6, s[6:7]
	s_bcnt1_i32_b64 s7, s[34:35]
	s_bcnt1_i32_b64 s31, s[36:37]
	s_bcnt1_i32_b64 s34, s[38:39]
	s_add_u32 s6, s6, s90
	s_addc_u32 s35, 0, s91
	s_add_u32 s6, s6, s7
	s_addc_u32 s7, s35, 0
	s_add_u32 s6, s6, s31
	s_addc_u32 s7, s7, 0
	v_cmp_eq_u64_e64 s[48:49], 2, v[20:21]
	s_add_u32 s90, s6, s34
	v_cmp_eq_u64_e64 s[50:51], 2, v[40:41]
	s_addc_u32 s91, s7, 0
	s_and_b64 s[6:7], s[20:21], s[48:49]
	v_cmp_eq_u64_e64 s[52:53], 2, v[42:43]
	v_cndmask_b32_e64 v12, 0, 1, s[6:7]
	s_and_b64 s[6:7], s[18:19], s[50:51]
	v_cmp_eq_u64_e64 s[54:55], 2, v[44:45]
	v_cndmask_b32_e64 v13, 0, 1, s[6:7]
	s_and_b64 s[6:7], s[16:17], s[52:53]
	v_cndmask_b32_e64 v14, 0, 1, s[6:7]
	s_and_b64 s[6:7], s[14:15], s[54:55]
	v_cndmask_b32_e64 v15, 0, 1, s[6:7]
	v_cmp_ne_u32_e64 s[6:7], 0, v12
	v_cmp_ne_u32_e64 s[34:35], 0, v13
	v_cmp_ne_u32_e64 s[36:37], 0, v14
	v_cmp_ne_u32_e64 s[38:39], 0, v15
	s_bcnt1_i32_b64 s6, s[6:7]
	s_bcnt1_i32_b64 s7, s[34:35]
	s_bcnt1_i32_b64 s31, s[36:37]
	s_bcnt1_i32_b64 s34, s[38:39]
	s_add_u32 s6, s6, s88
	s_addc_u32 s35, 0, s89
	s_add_u32 s6, s6, s7
	s_addc_u32 s7, s35, 0
	s_add_u32 s6, s6, s31
	s_addc_u32 s7, s7, 0
	v_cmp_eq_u64_e64 s[28:29], 3, v[20:21]
	s_add_u32 s88, s6, s34
	v_cmp_eq_u64_e64 s[26:27], 3, v[40:41]
	s_addc_u32 s89, s7, 0
	s_and_b64 s[6:7], s[20:21], s[28:29]
	v_cmp_eq_u64_e64 s[24:25], 3, v[42:43]
	v_cndmask_b32_e64 v14, 0, 1, s[6:7]
	s_and_b64 s[6:7], s[18:19], s[26:27]
	v_cmp_eq_u64_e64 s[22:23], 3, v[44:45]
	v_cndmask_b32_e64 v15, 0, 1, s[6:7]
	s_and_b64 s[6:7], s[16:17], s[24:25]
	v_cndmask_b32_e64 v20, 0, 1, s[6:7]
	s_and_b64 s[6:7], s[14:15], s[22:23]
	v_cndmask_b32_e64 v40, 0, 1, s[6:7]
	v_cmp_ne_u32_e64 s[6:7], 0, v14
	v_cmp_ne_u32_e64 s[14:15], 0, v15
	v_cmp_ne_u32_e64 s[16:17], 0, v20
	v_cmp_ne_u32_e64 s[18:19], 0, v40
	s_bcnt1_i32_b64 s6, s[6:7]
	s_bcnt1_i32_b64 s7, s[14:15]
	;; [unrolled: 1-line block ×4, first 2 shown]
	s_add_u32 s6, s6, s80
	s_addc_u32 s16, 0, s81
	s_add_u32 s6, s6, s7
	s_addc_u32 s7, s16, 0
	s_add_u32 s6, s6, s14
	v_add_co_u32_e32 v4, vcc, s3, v4
	s_addc_u32 s7, s7, 0
	v_addc_co_u32_e32 v5, vcc, 0, v5, vcc
	s_add_u32 s80, s6, s15
	v_cmp_le_u64_e32 vcc, s[86:87], v[4:5]
	s_addc_u32 s81, s7, 0
	v_add_u32_e32 v47, v47, v46
	v_pk_mov_b32 v[8:9], s[94:95], s[94:95] op_sel:[0,1]
	v_pk_mov_b32 v[10:11], s[90:91], s[90:91] op_sel:[0,1]
	;; [unrolled: 1-line block ×3, first 2 shown]
	s_or_b64 s[0:1], vcc, s[0:1]
	v_pk_mov_b32 v[14:15], s[80:81], s[80:81] op_sel:[0,1]
	s_andn2_b64 exec, exec, s[0:1]
	s_cbranch_execnz .LBB165_81
; %bb.82:                               ;   in Loop: Header=BB165_31 Depth=1
	s_or_b64 exec, exec, s[0:1]
	v_readlane_b32 s94, v73, 52
	v_readlane_b32 s95, v73, 53
.LBB165_83:                             ;   in Loop: Header=BB165_31 Depth=1
	s_or_b64 exec, exec, s[66:67]
	v_add_u32_e32 v20, s86, v0
	v_cmp_gt_u32_e32 vcc, s68, v20
	s_and_saveexec_b64 s[0:1], vcc
	s_cbranch_execz .LBB165_87
; %bb.84:                               ;   in Loop: Header=BB165_31 Depth=1
	v_readlane_b32 s3, v73, 50
	s_and_b32 s86, s68, 0x7fffffff
	s_and_b32 s3, s3, 0xfe
	v_lshlrev_b32_e32 v40, 3, v20
	v_lshlrev_b32_e32 v41, 3, v3
	s_mov_b64 s[22:23], 0
	v_pk_mov_b32 v[4:5], v[20:21], v[20:21] op_sel:[0,1]
.LBB165_85:                             ;   Parent Loop BB165_31 Depth=1
                                        ; =>  This Inner Loop Header: Depth=2
	ds_read_b64 v[42:43], v40
	v_add_co_u32_e32 v4, vcc, v4, v3
	v_addc_co_u32_e32 v5, vcc, 0, v5, vcc
	s_waitcnt lgkmcnt(0)
	v_xor_b32_e32 v43, 0x80000000, v43
	v_and_b32_e32 v44, v42, v34
	v_and_b32_e32 v45, v43, v35
	v_lshrrev_b64 v[42:43], s3, v[42:43]
	v_and_b32_e32 v20, 3, v42
	v_cmp_eq_u64_e64 s[6:7], v[44:45], v[36:37]
	v_cmp_eq_u64_e64 s[14:15], 0, v[20:21]
	;; [unrolled: 1-line block ×3, first 2 shown]
	s_and_b64 s[14:15], s[6:7], s[14:15]
	v_cmp_eq_u64_e64 s[18:19], 2, v[20:21]
	v_cmp_eq_u64_e64 s[20:21], 3, v[20:21]
	v_cndmask_b32_e64 v20, 0, 1, s[14:15]
	s_and_b64 s[14:15], s[6:7], s[16:17]
	v_cndmask_b32_e64 v42, 0, 1, s[14:15]
	s_and_b64 s[14:15], s[6:7], s[18:19]
	s_and_b64 s[6:7], s[6:7], s[20:21]
	v_cndmask_b32_e64 v43, 0, 1, s[14:15]
	v_cndmask_b32_e64 v44, 0, 1, s[6:7]
	v_cmp_ne_u32_e64 s[6:7], 0, v20
	v_cmp_ne_u32_e64 s[14:15], 0, v42
	;; [unrolled: 1-line block ×4, first 2 shown]
	v_cmp_le_u64_e32 vcc, s[86:87], v[4:5]
	s_bcnt1_i32_b64 s6, s[6:7]
	s_bcnt1_i32_b64 s7, s[14:15]
	;; [unrolled: 1-line block ×4, first 2 shown]
	s_or_b64 s[22:23], vcc, s[22:23]
	v_add_co_u32_e32 v8, vcc, s6, v8
	v_addc_co_u32_e32 v9, vcc, 0, v9, vcc
	v_add_co_u32_e32 v10, vcc, s7, v10
	v_addc_co_u32_e32 v11, vcc, 0, v11, vcc
	;; [unrolled: 2-line block ×3, first 2 shown]
	v_add_co_u32_e32 v14, vcc, s15, v14
	v_add_u32_e32 v40, v40, v41
	v_addc_co_u32_e32 v15, vcc, 0, v15, vcc
	s_andn2_b64 exec, exec, s[22:23]
	s_cbranch_execnz .LBB165_85
; %bb.86:                               ;   in Loop: Header=BB165_31 Depth=1
	s_or_b64 exec, exec, s[22:23]
.LBB165_87:                             ;   in Loop: Header=BB165_31 Depth=1
	s_or_b64 exec, exec, s[0:1]
.LBB165_88:                             ;   in Loop: Header=BB165_31 Depth=1
	v_readlane_b32 s0, v73, 51
	s_lshl_b32 s3, s0, 6
	s_and_saveexec_b64 s[0:1], s[94:95]
	s_cbranch_execz .LBB165_90
; %bb.89:                               ;   in Loop: Header=BB165_31 Depth=1
	v_or_b32_e32 v3, s3, v56
	v_lshlrev_b32_e32 v3, 3, v3
	ds_write_b128 v3, v[8:11] offset:3072
	ds_write_b128 v3, v[12:15] offset:3088
.LBB165_90:                             ;   in Loop: Header=BB165_31 Depth=1
	s_or_b64 exec, exec, s[0:1]
	s_waitcnt lgkmcnt(0)
	s_barrier
	s_mov_b64 s[0:1], exec
	v_readlane_b32 s6, v73, 18
	v_readlane_b32 s7, v73, 19
	s_and_b64 s[6:7], s[0:1], s[6:7]
	s_mov_b64 exec, s[6:7]
	s_cbranch_execz .LBB165_102
; %bb.91:                               ;   in Loop: Header=BB165_31 Depth=1
	v_readlane_b32 s6, v73, 26
	v_readlane_b32 s7, v73, 27
	s_andn2_b64 vcc, exec, s[6:7]
	s_waitcnt vmcnt(0)
	v_pk_mov_b32 v[4:5], 0, 0
	s_cbranch_vccnz .LBB165_101
; %bb.92:                               ;   in Loop: Header=BB165_31 Depth=1
	v_readlane_b32 s6, v73, 35
	v_readlane_b32 s7, v73, 36
	s_andn2_b64 vcc, exec, s[6:7]
	s_cbranch_vccnz .LBB165_97
; %bb.93:                               ;   in Loop: Header=BB165_31 Depth=1
	v_readlane_b32 s6, v73, 51
	v_lshl_add_u32 v3, s6, 9, v60
	s_mov_b32 s6, 0
	v_pk_mov_b32 v[4:5], 0, 0
.LBB165_94:                             ;   Parent Loop BB165_31 Depth=1
                                        ; =>  This Inner Loop Header: Depth=2
	ds_read2_b64 v[8:11], v3 offset1:4
	ds_read2_b64 v[12:15], v3 offset0:8 offset1:12
	ds_read2_b64 v[40:43], v3 offset0:16 offset1:20
	;; [unrolled: 1-line block ×3, first 2 shown]
	s_add_i32 s6, s6, 8
	s_waitcnt lgkmcnt(3)
	v_add_co_u32_e32 v4, vcc, v8, v4
	v_addc_co_u32_e32 v5, vcc, v9, v5, vcc
	v_add_co_u32_e32 v4, vcc, v10, v4
	v_addc_co_u32_e32 v5, vcc, v11, v5, vcc
	s_waitcnt lgkmcnt(2)
	v_add_co_u32_e32 v4, vcc, v12, v4
	v_addc_co_u32_e32 v5, vcc, v13, v5, vcc
	v_add_co_u32_e32 v4, vcc, v14, v4
	v_addc_co_u32_e32 v5, vcc, v15, v5, vcc
	;; [unrolled: 5-line block ×3, first 2 shown]
	s_waitcnt lgkmcnt(0)
	v_add_co_u32_e32 v4, vcc, v44, v4
	v_addc_co_u32_e32 v5, vcc, v45, v5, vcc
	v_add_co_u32_e32 v4, vcc, v46, v4
	v_add_u32_e32 v3, 0x100, v3
	s_cmp_eq_u32 s13, s6
	v_addc_co_u32_e32 v5, vcc, v47, v5, vcc
	s_cbranch_scc0 .LBB165_94
; %bb.95:                               ;   in Loop: Header=BB165_31 Depth=1
	s_mov_b32 s6, s13
	s_branch .LBB165_98
.LBB165_96:                             ;   in Loop: Header=BB165_31 Depth=1
                                        ; implicit-def: $vgpr4_vgpr5
	s_branch .LBB165_64
.LBB165_97:                             ;   in Loop: Header=BB165_31 Depth=1
	s_mov_b32 s6, 0
	v_pk_mov_b32 v[4:5], 0, 0
.LBB165_98:                             ;   in Loop: Header=BB165_31 Depth=1
	v_readlane_b32 s14, v73, 38
	v_readlane_b32 s15, v73, 39
	s_andn2_b64 vcc, exec, s[14:15]
	s_cbranch_vccnz .LBB165_101
; %bb.99:                               ;   in Loop: Header=BB165_31 Depth=1
	v_readlane_b32 s7, v73, 51
	s_lshl_b32 s7, s7, 9
	s_lshl_b32 s6, s6, 5
	s_add_i32 s7, s7, s6
	v_add_u32_e32 v3, s7, v60
	v_readlane_b32 s6, v73, 37
.LBB165_100:                            ;   Parent Loop BB165_31 Depth=1
                                        ; =>  This Inner Loop Header: Depth=2
	ds_read_b64 v[8:9], v3
	s_add_i32 s6, s6, -1
	v_add_u32_e32 v3, 32, v3
	s_cmp_lg_u32 s6, 0
	s_waitcnt lgkmcnt(0)
	v_add_co_u32_e32 v4, vcc, v8, v4
	v_addc_co_u32_e32 v5, vcc, v9, v5, vcc
	s_cbranch_scc1 .LBB165_100
.LBB165_101:                            ;   in Loop: Header=BB165_31 Depth=1
	v_add_lshl_u32 v3, s3, v55, 3
	ds_write_b64 v3, v[4:5] offset:3072
.LBB165_102:                            ;   in Loop: Header=BB165_31 Depth=1
	s_or_b64 exec, exec, s[0:1]
	s_lshl_b32 s0, s3, 3
	v_mov_b32_e32 v3, s0
	s_waitcnt lgkmcnt(0)
	s_barrier
	ds_read_b128 v[8:11], v3 offset:3072
	ds_read_b128 v[12:15], v3 offset:3088
	v_readlane_b32 s0, v73, 50
	s_and_b32 s86, s0, 0xfe
	v_readlane_b32 s0, v73, 16
	s_lshl_b64 s[18:19], 3, s86
	v_readlane_b32 s1, v73, 17
	s_waitcnt lgkmcnt(1)
	v_readfirstlane_b32 s17, v9
	v_readfirstlane_b32 s16, v8
	;; [unrolled: 1-line block ×4, first 2 shown]
	s_waitcnt lgkmcnt(0)
	v_readfirstlane_b32 s27, v13
	v_readfirstlane_b32 s26, v12
	;; [unrolled: 1-line block ×4, first 2 shown]
	s_not_b64 s[20:21], s[18:19]
	s_andn2_b64 vcc, exec, s[0:1]
	v_cmp_eq_u64_e64 s[14:15], 1, v[38:39]
	s_cbranch_vccnz .LBB165_118
; %bb.103:                              ;   in Loop: Header=BB165_31 Depth=1
	s_cmp_eq_u64 s[16:17], 1
	s_cselect_b64 s[0:1], -1, 0
	s_and_b64 s[6:7], s[0:1], s[14:15]
	s_mov_b64 s[0:1], -1
	v_pk_mov_b32 v[12:13], v[36:37], v[36:37] op_sel:[0,1]
	v_pk_mov_b32 v[14:15], v[34:35], v[34:35] op_sel:[0,1]
	;; [unrolled: 1-line block ×3, first 2 shown]
                                        ; implicit-def: $sgpr24_sgpr25
                                        ; implicit-def: $sgpr40_sgpr41
                                        ; implicit-def: $sgpr38_sgpr39
	s_and_saveexec_b64 s[34:35], s[6:7]
	s_cbranch_execz .LBB165_140
; %bb.104:                              ;   in Loop: Header=BB165_31 Depth=1
	s_waitcnt vmcnt(0)
	ds_read_b64 v[4:5], v21 offset:5120
	s_waitcnt lgkmcnt(0)
	s_barrier
	v_readfirstlane_b32 s0, v4
	v_readfirstlane_b32 s1, v5
	s_mov_b64 s[24:25], exec
	v_readlane_b32 s30, v73, 24
	v_readlane_b32 s31, v73, 25
	s_and_b64 s[30:31], s[24:25], s[30:31]
	s_mov_b64 exec, s[30:31]
	s_cbranch_execz .LBB165_106
; %bb.105:                              ;   in Loop: Header=BB165_31 Depth=1
	v_mov_b32_e32 v20, v21
	ds_write_b64 v58, v[20:21]
.LBB165_106:                            ;   in Loop: Header=BB165_31 Depth=1
	s_or_b64 exec, exec, s[24:25]
	v_and_b32_e32 v13, s21, v37
	v_and_b32_e32 v12, s20, v36
	v_or_b32_e32 v15, s19, v35
	v_or_b32_e32 v14, s18, v34
	s_cmp_eq_u64 s[0:1], 0
	s_waitcnt lgkmcnt(0)
	s_barrier
	s_cbranch_scc1 .LBB165_123
; %bb.107:                              ;   in Loop: Header=BB165_31 Depth=1
	v_readlane_b32 s3, v73, 28
	s_add_u32 s3, s3, s0
	v_readlane_b32 s24, v73, 30
	s_addc_u32 s25, s24, s1
	s_mov_b32 s24, s87
	s_cmp_lg_u64 s[24:25], 0
	s_cbranch_scc0 .LBB165_167
; %bb.108:                              ;   in Loop: Header=BB165_31 Depth=1
	v_cvt_f32_u32_e32 v3, s33
	s_sub_u32 s24, 0, s33
	s_subb_u32 s30, 0, 0
	v_mac_f32_e32 v3, 0, v61
	v_rcp_f32_e32 v3, v3
	v_mul_f32_e32 v3, 0x5f7ffffc, v3
	v_mul_f32_e32 v4, 0x2f800000, v3
	v_trunc_f32_e32 v4, v4
	v_mac_f32_e32 v3, 0xcf800000, v4
	v_cvt_u32_f32_e32 v4, v4
	v_cvt_u32_f32_e32 v3, v3
	v_readfirstlane_b32 s31, v4
	v_readfirstlane_b32 s36, v3
	s_mul_i32 s37, s24, s31
	s_mul_hi_u32 s39, s24, s36
	s_mul_i32 s38, s30, s36
	s_add_i32 s37, s39, s37
	s_mul_i32 s40, s24, s36
	s_add_i32 s37, s37, s38
	s_mul_hi_u32 s39, s36, s40
	s_mul_hi_u32 s38, s36, s37
	s_mul_i32 s36, s36, s37
	s_add_u32 s36, s39, s36
	s_addc_u32 s38, 0, s38
	s_mul_hi_u32 s41, s31, s40
	s_mul_i32 s40, s31, s40
	s_add_u32 s36, s36, s40
	s_mul_hi_u32 s39, s31, s37
	s_addc_u32 s36, s38, s41
	s_addc_u32 s38, s39, 0
	s_mul_i32 s37, s31, s37
	s_add_u32 s36, s36, s37
	s_addc_u32 s37, 0, s38
	v_add_co_u32_e32 v3, vcc, s36, v3
	s_cmp_lg_u64 vcc, 0
	s_addc_u32 s31, s31, s37
	v_readfirstlane_b32 s37, v3
	s_mul_i32 s36, s24, s31
	s_mul_hi_u32 s38, s24, s37
	s_add_i32 s36, s38, s36
	s_mul_i32 s30, s30, s37
	s_add_i32 s36, s36, s30
	s_mul_i32 s24, s24, s37
	s_mul_hi_u32 s38, s31, s24
	s_mul_i32 s39, s31, s24
	s_mul_i32 s41, s37, s36
	s_mul_hi_u32 s24, s37, s24
	s_mul_hi_u32 s40, s37, s36
	s_add_u32 s24, s24, s41
	s_addc_u32 s37, 0, s40
	s_add_u32 s24, s24, s39
	s_mul_hi_u32 s30, s31, s36
	s_addc_u32 s24, s37, s38
	s_addc_u32 s30, s30, 0
	s_mul_i32 s36, s31, s36
	s_add_u32 s24, s24, s36
	s_addc_u32 s30, 0, s30
	v_add_co_u32_e32 v3, vcc, s24, v3
	s_cmp_lg_u64 vcc, 0
	s_addc_u32 s24, s31, s30
	v_readfirstlane_b32 s36, v3
	s_mul_i32 s31, s3, s24
	s_mul_hi_u32 s37, s3, s36
	s_mul_hi_u32 s30, s3, s24
	s_add_u32 s31, s37, s31
	s_addc_u32 s30, 0, s30
	s_mul_hi_u32 s38, s25, s36
	s_mul_i32 s36, s25, s36
	s_add_u32 s31, s31, s36
	s_mul_hi_u32 s37, s25, s24
	s_addc_u32 s30, s30, s38
	s_addc_u32 s31, s37, 0
	s_mul_i32 s24, s25, s24
	s_add_u32 s24, s30, s24
	s_addc_u32 s30, 0, s31
	s_mul_hi_u32 s31, s33, s24
	s_mul_i32 s24, s33, s24
	s_mul_i32 s30, s33, s30
	v_mov_b32_e32 v3, s24
	s_add_i32 s31, s31, s30
	v_sub_co_u32_e32 v3, vcc, s3, v3
	s_cmp_lg_u64 vcc, 0
	s_subb_u32 s24, s25, s31
	v_subrev_co_u32_e32 v4, vcc, s33, v3
	s_cmp_lg_u64 vcc, 0
	s_subb_u32 s30, s24, 0
	v_subrev_co_u32_e32 v5, vcc, s33, v4
	s_cmp_lg_u64 vcc, 0
	s_subb_u32 s31, s30, 0
	v_cmp_le_u32_e32 vcc, s33, v4
	s_cmp_eq_u32 s30, 0
	v_cndmask_b32_e64 v8, 0, -1, vcc
	s_cselect_b64 vcc, -1, 0
	v_cndmask_b32_e32 v8, -1, v8, vcc
	v_mov_b32_e32 v9, s30
	v_mov_b32_e32 v10, s31
	v_cmp_ne_u32_e32 vcc, 0, v8
	v_cndmask_b32_e32 v8, v9, v10, vcc
	v_cndmask_b32_e32 v4, v4, v5, vcc
	v_cmp_le_u32_e32 vcc, s33, v3
	s_cmp_eq_u32 s24, 0
	v_cndmask_b32_e64 v5, 0, -1, vcc
	s_cselect_b64 vcc, -1, 0
	v_cndmask_b32_e32 v5, -1, v5, vcc
	v_mov_b32_e32 v9, s24
	v_cmp_ne_u32_e32 vcc, 0, v5
	v_cndmask_b32_e32 v5, v9, v8, vcc
	v_cndmask_b32_e32 v4, v3, v4, vcc
	s_cbranch_execnz .LBB165_110
.LBB165_109:                            ;   in Loop: Header=BB165_31 Depth=1
	v_cvt_f32_u32_e32 v3, s33
	s_sub_i32 s24, 0, s33
	v_rcp_iflag_f32_e32 v3, v3
	v_mul_f32_e32 v3, 0x4f7ffffe, v3
	v_cvt_u32_f32_e32 v3, v3
	v_mul_lo_u32 v4, s24, v3
	v_mul_hi_u32 v4, v3, v4
	v_add_u32_e32 v3, v3, v4
	v_mul_hi_u32 v3, s3, v3
	v_mul_lo_u32 v3, v3, s33
	v_sub_u32_e32 v3, s3, v3
	v_subrev_u32_e32 v4, s33, v3
	v_cmp_le_u32_e32 vcc, s33, v3
	v_cndmask_b32_e32 v3, v3, v4, vcc
	v_subrev_u32_e32 v4, s33, v3
	v_cmp_le_u32_e32 vcc, s33, v3
	v_cndmask_b32_e32 v20, v3, v4, vcc
	v_pk_mov_b32 v[4:5], v[20:21], v[20:21] op_sel:[0,1]
.LBB165_110:                            ;   in Loop: Header=BB165_31 Depth=1
	v_mov_b32_e32 v3, s25
	v_sub_co_u32_e32 v40, vcc, s3, v4
	v_subb_co_u32_e32 v41, vcc, v3, v5, vcc
	v_cmp_gt_u64_e32 vcc, v[40:41], v[0:1]
	s_mov_b64 s[36:37], 0
                                        ; implicit-def: $vgpr10_vgpr11
	s_and_saveexec_b64 s[24:25], vcc
	s_cbranch_execz .LBB165_125
; %bb.111:                              ;   in Loop: Header=BB165_31 Depth=1
	s_mov_b64 s[38:39], 0
	v_mov_b32_e32 v20, v57
	v_pk_mov_b32 v[42:43], v[0:1], v[0:1] op_sel:[0,1]
                                        ; implicit-def: $sgpr36_sgpr37
	s_branch .LBB165_113
.LBB165_112:                            ;   in Loop: Header=BB165_113 Depth=2
	s_or_b64 exec, exec, s[40:41]
	s_waitcnt lgkmcnt(0)
	s_barrier
	ds_read_b128 v[8:11], v21 offset:3072
	v_mov_b32_e32 v3, s92
	v_add_co_u32_e32 v42, vcc, s33, v42
	v_addc_co_u32_e32 v43, vcc, v43, v3, vcc
	s_waitcnt lgkmcnt(0)
	v_readfirstlane_b32 s31, v9
	v_readfirstlane_b32 s30, v8
	s_cmp_lg_u64 s[30:31], 0
	s_cselect_b64 s[30:31], -1, 0
	v_cmp_ge_u64_e32 vcc, v[42:43], v[40:41]
	s_or_b64 s[40:41], vcc, s[30:31]
	s_and_b64 s[40:41], exec, s[40:41]
	s_or_b64 s[38:39], s[40:41], s[38:39]
	s_andn2_b64 s[36:37], s[36:37], exec
	s_and_b64 s[30:31], s[30:31], exec
	v_add_u32_e32 v20, s2, v20
	s_or_b64 s[36:37], s[36:37], s[30:31]
	s_barrier
	s_andn2_b64 exec, exec, s[38:39]
	s_cbranch_execz .LBB165_124
.LBB165_113:                            ;   Parent Loop BB165_31 Depth=1
                                        ; =>  This Inner Loop Header: Depth=2
	v_cmp_gt_u64_e32 vcc, s[0:1], v[42:43]
	v_pk_mov_b32 v[4:5], 0, 0
	s_and_saveexec_b64 s[40:41], vcc
	s_cbranch_execz .LBB165_115
; %bb.114:                              ;   in Loop: Header=BB165_113 Depth=2
	ds_read_b64 v[4:5], v20
.LBB165_115:                            ;   in Loop: Header=BB165_113 Depth=2
	s_or_b64 exec, exec, s[40:41]
	s_and_saveexec_b64 s[40:41], vcc
	s_cbranch_execz .LBB165_112
; %bb.116:                              ;   in Loop: Header=BB165_113 Depth=2
	s_waitcnt lgkmcnt(0)
	v_xor_b32_e32 v3, 0x80000000, v5
	v_and_b32_e32 v9, v3, v15
	v_and_b32_e32 v8, v4, v14
	v_cmp_eq_u64_e32 vcc, v[8:9], v[12:13]
	s_and_b64 exec, exec, vcc
	s_cbranch_execz .LBB165_112
; %bb.117:                              ;   in Loop: Header=BB165_113 Depth=2
	v_mov_b32_e32 v3, v21
	ds_write_b128 v21, v[2:5] offset:3072
	s_branch .LBB165_112
.LBB165_118:                            ;   in Loop: Header=BB165_31 Depth=1
	s_mov_b64 s[36:37], 0
	s_mov_b64 s[34:35], 0
                                        ; implicit-def: $sgpr38_sgpr39
                                        ; implicit-def: $sgpr40_sgpr41
                                        ; implicit-def: $sgpr24_sgpr25
                                        ; implicit-def: $vgpr3
                                        ; implicit-def: $vgpr40_vgpr41
                                        ; implicit-def: $vgpr12_vgpr13
                                        ; implicit-def: $vgpr14_vgpr15
                                        ; implicit-def: $vgpr10_vgpr11
	s_cbranch_execnz .LBB165_305
.LBB165_119:                            ;   in Loop: Header=BB165_31 Depth=1
	s_mov_b64 s[14:15], s[24:25]
	s_mov_b64 s[42:43], s[24:25]
	s_and_saveexec_b64 s[0:1], s[36:37]
	s_cbranch_execnz .LBB165_501
	s_branch .LBB165_502
.LBB165_120:                            ;   in Loop: Header=BB165_31 Depth=1
	s_or_b64 exec, exec, s[0:1]
	s_waitcnt lgkmcnt(0)
	s_barrier
	s_mov_b64 s[0:1], exec
	v_readlane_b32 s6, v73, 10
	v_readlane_b32 s7, v73, 11
	s_and_b64 s[6:7], s[0:1], s[6:7]
	s_mov_b64 exec, s[6:7]
	s_cbranch_execz .LBB165_122
; %bb.121:                              ;   in Loop: Header=BB165_31 Depth=1
	s_waitcnt vmcnt(0)
	ds_read_b32 v4, v21 offset:5144
	s_waitcnt lgkmcnt(0)
	v_ashrrev_i32_e32 v5, 31, v4
	ds_write_b64 v21, v[4:5] offset:5120
.LBB165_122:                            ;   in Loop: Header=BB165_31 Depth=1
	s_or_b64 exec, exec, s[0:1]
	s_waitcnt lgkmcnt(0)
	s_barrier
	s_mov_b64 s[0:1], -1
	s_and_b64 vcc, exec, s[68:69]
	s_cbranch_vccnz .LBB165_49
	s_branch .LBB165_59
.LBB165_123:                            ;   in Loop: Header=BB165_31 Depth=1
	s_mov_b64 s[24:25], -1
	s_mov_b64 s[36:37], 0
                                        ; implicit-def: $sgpr38_sgpr39
                                        ; implicit-def: $vgpr10_vgpr11
	s_mov_b64 s[40:41], s[24:25]
	s_cbranch_execnz .LBB165_126
	s_branch .LBB165_139
.LBB165_124:                            ;   in Loop: Header=BB165_31 Depth=1
	s_or_b64 exec, exec, s[38:39]
	s_and_b64 s[36:37], s[36:37], exec
.LBB165_125:                            ;   in Loop: Header=BB165_31 Depth=1
	s_or_b64 exec, exec, s[24:25]
	s_mov_b64 s[38:39], -1
	s_mov_b64 s[24:25], 0
	s_mov_b64 s[40:41], s[24:25]
	s_branch .LBB165_139
.LBB165_126:                            ;   in Loop: Header=BB165_31 Depth=1
	v_readlane_b32 s38, v73, 31
	v_readlane_b32 s39, v73, 32
	s_mov_b32 s38, s87
	s_cmp_lg_u64 s[38:39], 0
	v_writelane_b32 v73, s38, 31
	v_writelane_b32 v73, s39, 32
	s_cbranch_scc0 .LBB165_168
; %bb.127:                              ;   in Loop: Header=BB165_31 Depth=1
	v_cvt_f32_u32_e32 v3, s33
	s_sub_u32 s0, 0, s33
	s_subb_u32 s1, 0, 0
	v_mac_f32_e32 v3, 0, v61
	v_rcp_f32_e32 v3, v3
	v_mul_f32_e32 v3, 0x5f7ffffc, v3
	v_mul_f32_e32 v4, 0x2f800000, v3
	v_trunc_f32_e32 v4, v4
	v_mac_f32_e32 v3, 0xcf800000, v4
	v_cvt_u32_f32_e32 v4, v4
	v_cvt_u32_f32_e32 v3, v3
	v_readfirstlane_b32 s3, v4
	v_readfirstlane_b32 s24, v3
	s_mul_i32 s25, s0, s3
	s_mul_hi_u32 s31, s0, s24
	s_mul_i32 s30, s1, s24
	s_add_i32 s25, s31, s25
	s_mul_i32 s36, s0, s24
	s_add_i32 s25, s25, s30
	s_mul_hi_u32 s31, s24, s36
	s_mul_hi_u32 s30, s24, s25
	s_mul_i32 s24, s24, s25
	s_add_u32 s24, s31, s24
	s_addc_u32 s30, 0, s30
	s_mul_hi_u32 s37, s3, s36
	s_mul_i32 s36, s3, s36
	s_add_u32 s24, s24, s36
	s_mul_hi_u32 s31, s3, s25
	s_addc_u32 s24, s30, s37
	s_addc_u32 s30, s31, 0
	s_mul_i32 s25, s3, s25
	s_add_u32 s24, s24, s25
	s_addc_u32 s25, 0, s30
	v_add_co_u32_e32 v3, vcc, s24, v3
	s_cmp_lg_u64 vcc, 0
	s_addc_u32 s3, s3, s25
	v_readfirstlane_b32 s25, v3
	s_mul_i32 s24, s0, s3
	s_mul_hi_u32 s30, s0, s25
	s_add_i32 s24, s30, s24
	s_mul_i32 s1, s1, s25
	s_add_i32 s24, s24, s1
	s_mul_i32 s0, s0, s25
	s_mul_hi_u32 s30, s3, s0
	s_mul_i32 s31, s3, s0
	s_mul_i32 s37, s25, s24
	s_mul_hi_u32 s0, s25, s0
	s_mul_hi_u32 s36, s25, s24
	s_add_u32 s0, s0, s37
	s_addc_u32 s25, 0, s36
	s_add_u32 s0, s0, s31
	s_mul_hi_u32 s1, s3, s24
	s_addc_u32 s0, s25, s30
	s_addc_u32 s1, s1, 0
	s_mul_i32 s24, s3, s24
	s_add_u32 s0, s0, s24
	s_addc_u32 s1, 0, s1
	v_add_co_u32_e32 v3, vcc, s0, v3
	s_cmp_lg_u64 vcc, 0
	s_addc_u32 s0, s3, s1
	v_readlane_b32 s31, v73, 29
	v_readfirstlane_b32 s24, v3
	s_mul_i32 s3, s31, s0
	s_mul_hi_u32 s25, s31, s24
	s_mul_hi_u32 s1, s31, s0
	s_add_u32 s3, s25, s3
	s_addc_u32 s1, 0, s1
	s_mul_hi_u32 s30, s39, s24
	s_mul_i32 s24, s39, s24
	s_add_u32 s3, s3, s24
	s_mul_hi_u32 s25, s39, s0
	s_addc_u32 s1, s1, s30
	s_addc_u32 s3, s25, 0
	s_mul_i32 s0, s39, s0
	s_add_u32 s0, s1, s0
	s_addc_u32 s1, 0, s3
	s_mul_hi_u32 s3, s33, s0
	s_mul_i32 s0, s33, s0
	s_mul_i32 s1, s33, s1
	v_mov_b32_e32 v3, s0
	s_add_i32 s3, s3, s1
	v_sub_co_u32_e32 v3, vcc, s31, v3
	s_cmp_lg_u64 vcc, 0
	s_subb_u32 s0, s39, s3
	v_subrev_co_u32_e32 v4, vcc, s33, v3
	s_cmp_lg_u64 vcc, 0
	s_subb_u32 s1, s0, 0
	v_subrev_co_u32_e32 v5, vcc, s33, v4
	s_cmp_lg_u64 vcc, 0
	s_subb_u32 s3, s1, 0
	v_cmp_le_u32_e32 vcc, s33, v4
	s_cmp_eq_u32 s1, 0
	v_cndmask_b32_e64 v8, 0, -1, vcc
	s_cselect_b64 vcc, -1, 0
	v_cndmask_b32_e32 v8, -1, v8, vcc
	v_mov_b32_e32 v9, s1
	v_mov_b32_e32 v10, s3
	v_cmp_ne_u32_e32 vcc, 0, v8
	v_cndmask_b32_e32 v8, v9, v10, vcc
	v_cndmask_b32_e32 v4, v4, v5, vcc
	v_cmp_le_u32_e32 vcc, s33, v3
	s_cmp_eq_u32 s0, 0
	v_cndmask_b32_e64 v5, 0, -1, vcc
	s_cselect_b64 vcc, -1, 0
	v_cndmask_b32_e32 v5, -1, v5, vcc
	v_mov_b32_e32 v9, s0
	v_cmp_ne_u32_e32 vcc, 0, v5
	v_cndmask_b32_e32 v5, v9, v8, vcc
	v_cndmask_b32_e32 v4, v3, v4, vcc
	s_cbranch_execnz .LBB165_129
.LBB165_128:                            ;   in Loop: Header=BB165_31 Depth=1
	v_cvt_f32_u32_e32 v3, s33
	s_sub_i32 s0, 0, s33
	v_rcp_iflag_f32_e32 v3, v3
	v_mul_f32_e32 v3, 0x4f7ffffe, v3
	v_cvt_u32_f32_e32 v3, v3
	v_mul_lo_u32 v4, s0, v3
	v_mul_hi_u32 v4, v3, v4
	v_add_u32_e32 v3, v3, v4
	v_readlane_b32 s0, v73, 29
	v_mul_hi_u32 v3, s0, v3
	v_mul_lo_u32 v3, v3, s33
	v_sub_u32_e32 v3, s0, v3
	v_subrev_u32_e32 v4, s33, v3
	v_cmp_le_u32_e32 vcc, s33, v3
	v_cndmask_b32_e32 v3, v3, v4, vcc
	v_subrev_u32_e32 v4, s33, v3
	v_cmp_le_u32_e32 vcc, s33, v3
	v_cndmask_b32_e32 v20, v3, v4, vcc
	v_pk_mov_b32 v[4:5], v[20:21], v[20:21] op_sel:[0,1]
.LBB165_129:                            ;   in Loop: Header=BB165_31 Depth=1
	v_readlane_b32 s0, v73, 31
	v_readlane_b32 s1, v73, 32
	;; [unrolled: 1-line block ×3, first 2 shown]
	v_mov_b32_e32 v3, s1
	v_sub_co_u32_e32 v40, vcc, s0, v4
	v_subb_co_u32_e32 v41, vcc, v3, v5, vcc
	v_cmp_gt_u64_e32 vcc, v[40:41], v[0:1]
	s_mov_b64 s[36:37], 0
                                        ; implicit-def: $vgpr10_vgpr11
	s_and_saveexec_b64 s[0:1], vcc
	s_cbranch_execz .LBB165_138
; %bb.130:                              ;   in Loop: Header=BB165_31 Depth=1
	v_pk_mov_b32 v[42:43], v[32:33], v[32:33] op_sel:[0,1]
	v_pk_mov_b32 v[44:45], v[0:1], v[0:1] op_sel:[0,1]
                                        ; implicit-def: $sgpr24_sgpr25
	s_branch .LBB165_132
.LBB165_131:                            ;   in Loop: Header=BB165_132 Depth=2
	s_or_b64 exec, exec, s[38:39]
	s_waitcnt lgkmcnt(0)
	s_barrier
	ds_read_b128 v[8:11], v21 offset:3072
	v_mov_b32_e32 v3, s92
	v_add_co_u32_e32 v44, vcc, s33, v44
	v_addc_co_u32_e32 v45, vcc, v45, v3, vcc
	s_waitcnt lgkmcnt(0)
	v_readfirstlane_b32 s31, v9
	v_readfirstlane_b32 s30, v8
	s_cmp_lg_u64 s[30:31], 0
	s_cselect_b64 s[30:31], -1, 0
	v_cmp_ge_u64_e32 vcc, v[44:45], v[40:41]
	s_or_b64 s[38:39], vcc, s[30:31]
	s_and_b64 s[38:39], exec, s[38:39]
	s_or_b64 s[36:37], s[38:39], s[36:37]
	v_mov_b32_e32 v3, s65
	v_add_co_u32_e32 v42, vcc, s64, v42
	s_andn2_b64 s[24:25], s[24:25], exec
	s_and_b64 s[30:31], s[30:31], exec
	v_addc_co_u32_e32 v43, vcc, v43, v3, vcc
	s_or_b64 s[24:25], s[24:25], s[30:31]
	s_barrier
	s_andn2_b64 exec, exec, s[36:37]
	s_cbranch_execz .LBB165_137
.LBB165_132:                            ;   Parent Loop BB165_31 Depth=1
                                        ; =>  This Inner Loop Header: Depth=2
	v_cmp_gt_u64_e32 vcc, s[60:61], v[44:45]
	s_waitcnt vmcnt(0)
	v_pk_mov_b32 v[4:5], 0, 0
	s_and_saveexec_b64 s[38:39], vcc
	s_cbranch_execz .LBB165_134
; %bb.133:                              ;   in Loop: Header=BB165_132 Depth=2
	global_load_dwordx2 v[4:5], v[42:43], off
.LBB165_134:                            ;   in Loop: Header=BB165_132 Depth=2
	s_or_b64 exec, exec, s[38:39]
	s_and_saveexec_b64 s[38:39], vcc
	s_cbranch_execz .LBB165_131
; %bb.135:                              ;   in Loop: Header=BB165_132 Depth=2
	s_waitcnt vmcnt(0)
	v_xor_b32_e32 v3, 0x80000000, v5
	v_and_b32_e32 v9, v3, v15
	v_and_b32_e32 v8, v4, v14
	v_cmp_eq_u64_e32 vcc, v[8:9], v[12:13]
	s_and_b64 exec, exec, vcc
	s_cbranch_execz .LBB165_131
; %bb.136:                              ;   in Loop: Header=BB165_132 Depth=2
	v_mov_b32_e32 v3, v21
	ds_write_b128 v21, v[2:5] offset:3072
	s_branch .LBB165_131
.LBB165_137:                            ;   in Loop: Header=BB165_31 Depth=1
	s_or_b64 exec, exec, s[36:37]
	s_and_b64 s[36:37], s[24:25], exec
.LBB165_138:                            ;   in Loop: Header=BB165_31 Depth=1
	s_or_b64 exec, exec, s[0:1]
	s_mov_b64 s[40:41], -1
	s_mov_b64 s[24:25], 0
	s_mov_b64 s[38:39], 0
.LBB165_139:                            ;   in Loop: Header=BB165_31 Depth=1
	s_orn2_b64 s[0:1], s[36:37], exec
.LBB165_140:                            ;   in Loop: Header=BB165_31 Depth=1
	s_or_b64 exec, exec, s[34:35]
	s_mov_b64 s[42:43], 0
	s_mov_b64 s[36:37], 0
	;; [unrolled: 1-line block ×3, first 2 shown]
                                        ; implicit-def: $vgpr3
                                        ; implicit-def: $vgpr40_vgpr41
	s_and_saveexec_b64 s[44:45], s[0:1]
	s_cbranch_execz .LBB165_304
; %bb.141:                              ;   in Loop: Header=BB165_31 Depth=1
	s_waitcnt vmcnt(0)
	v_mov_b32_e32 v40, 1
	s_xor_b64 s[30:31], s[6:7], -1
	s_mov_b64 s[6:7], 0
	v_mov_b32_e32 v41, 0
	v_mov_b32_e32 v3, 1
	s_and_saveexec_b64 s[0:1], s[30:31]
	s_cbranch_execz .LBB165_151
; %bb.142:                              ;   in Loop: Header=BB165_31 Depth=1
	v_cmp_ge_u64_e32 vcc, s[16:17], v[38:39]
                                        ; implicit-def: $sgpr3
                                        ; implicit-def: $sgpr6_sgpr7
	s_and_saveexec_b64 s[30:31], vcc
	s_xor_b64 s[34:35], exec, s[30:31]
	s_cbranch_execz .LBB165_148
; %bb.143:                              ;   in Loop: Header=BB165_31 Depth=1
	ds_read_b64 v[4:5], v21 offset:5120
	s_waitcnt lgkmcnt(0)
	v_cmp_ne_u64_e32 vcc, 0, v[4:5]
	s_cbranch_vccnz .LBB165_147
; %bb.144:                              ;   in Loop: Header=BB165_31 Depth=1
	s_mov_b64 s[6:7], exec
	v_readlane_b32 s30, v73, 10
	v_readlane_b32 s31, v73, 11
	s_and_b64 s[30:31], s[6:7], s[30:31]
	s_mov_b64 exec, s[30:31]
	s_cbranch_execz .LBB165_146
; %bb.145:                              ;   in Loop: Header=BB165_31 Depth=1
	v_pk_mov_b32 v[4:5], s[16:17], s[16:17] op_sel:[0,1]
	ds_write_b64 v21, v[4:5] offset:5128
.LBB165_146:                            ;   in Loop: Header=BB165_31 Depth=1
	s_or_b64 exec, exec, s[6:7]
	s_waitcnt lgkmcnt(0)
	s_barrier
.LBB165_147:                            ;   in Loop: Header=BB165_31 Depth=1
	v_and_b32_e32 v13, s21, v13
	v_and_b32_e32 v12, s20, v12
	v_or_b32_e32 v15, s19, v15
	v_or_b32_e32 v14, s18, v14
	s_mov_b64 s[6:7], 0
	s_mov_b32 s3, 8
.LBB165_148:                            ;   in Loop: Header=BB165_31 Depth=1
	s_or_saveexec_b64 s[34:35], s[34:35]
	v_mov_b32_e32 v3, s3
	v_pk_mov_b32 v[40:41], v[38:39], v[38:39] op_sel:[0,1]
	s_xor_b64 exec, exec, s[34:35]
; %bb.149:                              ;   in Loop: Header=BB165_31 Depth=1
	v_mov_b32_e32 v3, s17
	v_subrev_co_u32_e32 v40, vcc, s16, v38
	v_subb_co_u32_e32 v41, vcc, v39, v3, vcc
	v_mov_b32_e32 v3, 0
	s_or_b64 s[6:7], s[6:7], exec
; %bb.150:                              ;   in Loop: Header=BB165_31 Depth=1
	s_or_b64 exec, exec, s[34:35]
	s_and_b64 s[6:7], s[6:7], exec
.LBB165_151:                            ;   in Loop: Header=BB165_31 Depth=1
	s_or_b64 exec, exec, s[0:1]
	s_mov_b64 s[46:47], -1
                                        ; implicit-def: $sgpr0_sgpr1
                                        ; implicit-def: $sgpr34_sgpr35
                                        ; implicit-def: $sgpr48_sgpr49
	s_and_saveexec_b64 s[30:31], s[6:7]
	s_xor_b64 s[6:7], exec, s[30:31]
	s_cbranch_execz .LBB165_301
; %bb.152:                              ;   in Loop: Header=BB165_31 Depth=1
	s_cmp_eq_u64 s[22:23], 1
	s_cselect_b64 s[0:1], -1, 0
	v_cmp_eq_u64_e32 vcc, 1, v[40:41]
	s_and_b64 s[50:51], s[0:1], vcc
	s_mov_b64 s[0:1], -1
                                        ; implicit-def: $sgpr34_sgpr35
                                        ; implicit-def: $sgpr46_sgpr47
                                        ; implicit-def: $sgpr36_sgpr37
	s_and_saveexec_b64 s[48:49], s[50:51]
	s_cbranch_execz .LBB165_186
; %bb.153:                              ;   in Loop: Header=BB165_31 Depth=1
	ds_read_b64 v[4:5], v21 offset:5120
	s_waitcnt lgkmcnt(0)
	s_barrier
	v_readfirstlane_b32 s0, v4
	v_readfirstlane_b32 s1, v5
	s_mov_b64 s[34:35], exec
	v_readlane_b32 s30, v73, 24
	v_readlane_b32 s31, v73, 25
	s_and_b64 s[30:31], s[34:35], s[30:31]
	s_mov_b64 exec, s[30:31]
	s_cbranch_execz .LBB165_155
; %bb.154:                              ;   in Loop: Header=BB165_31 Depth=1
	v_mov_b32_e32 v20, v21
	ds_write_b64 v58, v[20:21]
.LBB165_155:                            ;   in Loop: Header=BB165_31 Depth=1
	s_or_b64 exec, exec, s[34:35]
	s_lshl_b64 s[30:31], 1, s86
	v_and_b32_e32 v3, s21, v13
	v_and_b32_e32 v4, s20, v12
	v_or_b32_e32 v13, s31, v3
	v_or_b32_e32 v12, s30, v4
	;; [unrolled: 1-line block ×4, first 2 shown]
	s_cmp_eq_u64 s[0:1], 0
	s_waitcnt lgkmcnt(0)
	s_barrier
	s_cbranch_scc1 .LBB165_169
; %bb.156:                              ;   in Loop: Header=BB165_31 Depth=1
	v_readlane_b32 s3, v73, 28
	s_add_u32 s3, s3, s0
	v_readlane_b32 s30, v73, 30
	s_addc_u32 s35, s30, s1
	s_mov_b32 s34, s87
	s_cmp_lg_u64 s[34:35], 0
	s_cbranch_scc0 .LBB165_213
; %bb.157:                              ;   in Loop: Header=BB165_31 Depth=1
	v_cvt_f32_u32_e32 v3, s33
	s_sub_u32 s30, 0, s33
	s_subb_u32 s31, 0, 0
	v_mac_f32_e32 v3, 0, v61
	v_rcp_f32_e32 v3, v3
	v_mul_f32_e32 v3, 0x5f7ffffc, v3
	v_mul_f32_e32 v4, 0x2f800000, v3
	v_trunc_f32_e32 v4, v4
	v_mac_f32_e32 v3, 0xcf800000, v4
	v_cvt_u32_f32_e32 v4, v4
	v_cvt_u32_f32_e32 v3, v3
	v_readfirstlane_b32 s34, v4
	v_readfirstlane_b32 s36, v3
	s_mul_i32 s37, s30, s34
	s_mul_hi_u32 s47, s30, s36
	s_mul_i32 s46, s31, s36
	s_add_i32 s37, s47, s37
	s_mul_i32 s52, s30, s36
	s_add_i32 s37, s37, s46
	s_mul_hi_u32 s47, s36, s52
	s_mul_hi_u32 s46, s36, s37
	s_mul_i32 s36, s36, s37
	s_add_u32 s36, s47, s36
	s_addc_u32 s46, 0, s46
	s_mul_hi_u32 s53, s34, s52
	s_mul_i32 s52, s34, s52
	s_add_u32 s36, s36, s52
	s_mul_hi_u32 s47, s34, s37
	s_addc_u32 s36, s46, s53
	s_addc_u32 s46, s47, 0
	s_mul_i32 s37, s34, s37
	s_add_u32 s36, s36, s37
	s_addc_u32 s37, 0, s46
	v_add_co_u32_e32 v3, vcc, s36, v3
	s_cmp_lg_u64 vcc, 0
	s_addc_u32 s34, s34, s37
	v_readfirstlane_b32 s37, v3
	s_mul_i32 s36, s30, s34
	s_mul_hi_u32 s46, s30, s37
	s_add_i32 s36, s46, s36
	s_mul_i32 s31, s31, s37
	s_add_i32 s36, s36, s31
	s_mul_i32 s30, s30, s37
	s_mul_hi_u32 s46, s34, s30
	s_mul_i32 s47, s34, s30
	s_mul_i32 s53, s37, s36
	s_mul_hi_u32 s30, s37, s30
	s_mul_hi_u32 s52, s37, s36
	s_add_u32 s30, s30, s53
	s_addc_u32 s37, 0, s52
	s_add_u32 s30, s30, s47
	s_mul_hi_u32 s31, s34, s36
	s_addc_u32 s30, s37, s46
	s_addc_u32 s31, s31, 0
	s_mul_i32 s36, s34, s36
	s_add_u32 s30, s30, s36
	s_addc_u32 s31, 0, s31
	v_add_co_u32_e32 v3, vcc, s30, v3
	s_cmp_lg_u64 vcc, 0
	s_addc_u32 s30, s34, s31
	v_readfirstlane_b32 s36, v3
	s_mul_i32 s34, s3, s30
	s_mul_hi_u32 s37, s3, s36
	s_mul_hi_u32 s31, s3, s30
	s_add_u32 s34, s37, s34
	s_addc_u32 s31, 0, s31
	s_mul_hi_u32 s46, s35, s36
	s_mul_i32 s36, s35, s36
	s_add_u32 s34, s34, s36
	s_mul_hi_u32 s37, s35, s30
	s_addc_u32 s31, s31, s46
	s_addc_u32 s34, s37, 0
	s_mul_i32 s30, s35, s30
	s_add_u32 s30, s31, s30
	s_addc_u32 s31, 0, s34
	s_mul_hi_u32 s34, s33, s30
	s_mul_i32 s30, s33, s30
	s_mul_i32 s31, s33, s31
	v_mov_b32_e32 v3, s30
	s_add_i32 s34, s34, s31
	v_sub_co_u32_e32 v3, vcc, s3, v3
	s_cmp_lg_u64 vcc, 0
	s_subb_u32 s30, s35, s34
	v_subrev_co_u32_e32 v4, vcc, s33, v3
	s_cmp_lg_u64 vcc, 0
	s_subb_u32 s31, s30, 0
	v_subrev_co_u32_e32 v5, vcc, s33, v4
	s_cmp_lg_u64 vcc, 0
	s_subb_u32 s34, s31, 0
	v_cmp_le_u32_e32 vcc, s33, v4
	s_cmp_eq_u32 s31, 0
	v_cndmask_b32_e64 v8, 0, -1, vcc
	s_cselect_b64 vcc, -1, 0
	v_cndmask_b32_e32 v8, -1, v8, vcc
	v_mov_b32_e32 v9, s31
	v_mov_b32_e32 v10, s34
	v_cmp_ne_u32_e32 vcc, 0, v8
	v_cndmask_b32_e32 v8, v9, v10, vcc
	v_cndmask_b32_e32 v4, v4, v5, vcc
	v_cmp_le_u32_e32 vcc, s33, v3
	s_cmp_eq_u32 s30, 0
	v_cndmask_b32_e64 v5, 0, -1, vcc
	s_cselect_b64 vcc, -1, 0
	v_cndmask_b32_e32 v5, -1, v5, vcc
	v_mov_b32_e32 v9, s30
	v_cmp_ne_u32_e32 vcc, 0, v5
	v_cndmask_b32_e32 v5, v9, v8, vcc
	v_cndmask_b32_e32 v4, v3, v4, vcc
	s_cbranch_execnz .LBB165_159
.LBB165_158:                            ;   in Loop: Header=BB165_31 Depth=1
	v_cvt_f32_u32_e32 v3, s33
	s_sub_i32 s30, 0, s33
	v_rcp_iflag_f32_e32 v3, v3
	v_mul_f32_e32 v3, 0x4f7ffffe, v3
	v_cvt_u32_f32_e32 v3, v3
	v_mul_lo_u32 v4, s30, v3
	v_mul_hi_u32 v4, v3, v4
	v_add_u32_e32 v3, v3, v4
	v_mul_hi_u32 v3, s3, v3
	v_mul_lo_u32 v3, v3, s33
	v_sub_u32_e32 v3, s3, v3
	v_subrev_u32_e32 v4, s33, v3
	v_cmp_le_u32_e32 vcc, s33, v3
	v_cndmask_b32_e32 v3, v3, v4, vcc
	v_subrev_u32_e32 v4, s33, v3
	v_cmp_le_u32_e32 vcc, s33, v3
	v_cndmask_b32_e32 v20, v3, v4, vcc
	v_pk_mov_b32 v[4:5], v[20:21], v[20:21] op_sel:[0,1]
.LBB165_159:                            ;   in Loop: Header=BB165_31 Depth=1
	v_mov_b32_e32 v3, s35
	v_sub_co_u32_e32 v42, vcc, s3, v4
	v_subb_co_u32_e32 v43, vcc, v3, v5, vcc
	v_cmp_gt_u64_e32 vcc, v[42:43], v[0:1]
	s_mov_b64 s[52:53], 0
                                        ; implicit-def: $vgpr10_vgpr11
	s_and_saveexec_b64 s[34:35], vcc
	s_cbranch_execz .LBB165_171
; %bb.160:                              ;   in Loop: Header=BB165_31 Depth=1
	s_mov_b64 s[46:47], 0
	v_mov_b32_e32 v20, v57
	v_pk_mov_b32 v[44:45], v[0:1], v[0:1] op_sel:[0,1]
                                        ; implicit-def: $sgpr36_sgpr37
	s_branch .LBB165_162
.LBB165_161:                            ;   in Loop: Header=BB165_162 Depth=2
	s_or_b64 exec, exec, s[52:53]
	s_waitcnt lgkmcnt(0)
	s_barrier
	ds_read_b128 v[8:11], v21 offset:3072
	v_mov_b32_e32 v3, s92
	v_add_co_u32_e32 v44, vcc, s33, v44
	v_addc_co_u32_e32 v45, vcc, v45, v3, vcc
	s_waitcnt lgkmcnt(0)
	v_readfirstlane_b32 s31, v9
	v_readfirstlane_b32 s30, v8
	s_cmp_lg_u64 s[30:31], 0
	s_cselect_b64 s[30:31], -1, 0
	v_cmp_ge_u64_e32 vcc, v[44:45], v[42:43]
	s_or_b64 s[52:53], vcc, s[30:31]
	s_and_b64 s[52:53], exec, s[52:53]
	s_or_b64 s[46:47], s[52:53], s[46:47]
	s_andn2_b64 s[36:37], s[36:37], exec
	s_and_b64 s[30:31], s[30:31], exec
	v_add_u32_e32 v20, s2, v20
	s_or_b64 s[36:37], s[36:37], s[30:31]
	s_barrier
	s_andn2_b64 exec, exec, s[46:47]
	s_cbranch_execz .LBB165_170
.LBB165_162:                            ;   Parent Loop BB165_31 Depth=1
                                        ; =>  This Inner Loop Header: Depth=2
	v_cmp_gt_u64_e32 vcc, s[0:1], v[44:45]
	v_pk_mov_b32 v[4:5], 0, 0
	s_and_saveexec_b64 s[52:53], vcc
	s_cbranch_execz .LBB165_164
; %bb.163:                              ;   in Loop: Header=BB165_162 Depth=2
	ds_read_b64 v[4:5], v20
.LBB165_164:                            ;   in Loop: Header=BB165_162 Depth=2
	s_or_b64 exec, exec, s[52:53]
	s_and_saveexec_b64 s[52:53], vcc
	s_cbranch_execz .LBB165_161
; %bb.165:                              ;   in Loop: Header=BB165_162 Depth=2
	s_waitcnt lgkmcnt(0)
	v_xor_b32_e32 v3, 0x80000000, v5
	v_and_b32_e32 v9, v3, v15
	v_and_b32_e32 v8, v4, v14
	v_cmp_eq_u64_e32 vcc, v[8:9], v[12:13]
	s_and_b64 exec, exec, vcc
	s_cbranch_execz .LBB165_161
; %bb.166:                              ;   in Loop: Header=BB165_162 Depth=2
	v_mov_b32_e32 v3, v21
	ds_write_b128 v21, v[2:5] offset:3072
	s_branch .LBB165_161
.LBB165_167:                            ;   in Loop: Header=BB165_31 Depth=1
                                        ; implicit-def: $vgpr4_vgpr5
	s_branch .LBB165_109
.LBB165_168:                            ;   in Loop: Header=BB165_31 Depth=1
                                        ; implicit-def: $vgpr4_vgpr5
	s_branch .LBB165_128
.LBB165_169:                            ;   in Loop: Header=BB165_31 Depth=1
	s_mov_b64 s[34:35], -1
	s_mov_b64 s[52:53], 0
                                        ; implicit-def: $sgpr36_sgpr37
                                        ; implicit-def: $vgpr10_vgpr11
	s_mov_b64 s[46:47], s[34:35]
	s_cbranch_execnz .LBB165_172
	s_branch .LBB165_185
.LBB165_170:                            ;   in Loop: Header=BB165_31 Depth=1
	s_or_b64 exec, exec, s[46:47]
	s_and_b64 s[52:53], s[36:37], exec
.LBB165_171:                            ;   in Loop: Header=BB165_31 Depth=1
	s_or_b64 exec, exec, s[34:35]
	s_mov_b64 s[36:37], -1
	s_mov_b64 s[34:35], 0
	s_mov_b64 s[46:47], s[34:35]
	s_branch .LBB165_185
.LBB165_172:                            ;   in Loop: Header=BB165_31 Depth=1
	v_readlane_b32 s46, v73, 31
	v_readlane_b32 s47, v73, 32
	s_mov_b32 s46, s87
	s_cmp_lg_u64 s[46:47], 0
	v_writelane_b32 v73, s46, 31
	v_writelane_b32 v73, s47, 32
	s_cbranch_scc0 .LBB165_214
; %bb.173:                              ;   in Loop: Header=BB165_31 Depth=1
	v_cvt_f32_u32_e32 v3, s33
	s_sub_u32 s0, 0, s33
	s_subb_u32 s1, 0, 0
	v_mac_f32_e32 v3, 0, v61
	v_rcp_f32_e32 v3, v3
	v_mul_f32_e32 v3, 0x5f7ffffc, v3
	v_mul_f32_e32 v4, 0x2f800000, v3
	v_trunc_f32_e32 v4, v4
	v_mac_f32_e32 v3, 0xcf800000, v4
	v_cvt_u32_f32_e32 v4, v4
	v_cvt_u32_f32_e32 v3, v3
	v_readfirstlane_b32 s3, v4
	v_readfirstlane_b32 s30, v3
	s_mul_i32 s31, s0, s3
	s_mul_hi_u32 s35, s0, s30
	s_mul_i32 s34, s1, s30
	s_add_i32 s31, s35, s31
	s_mul_i32 s36, s0, s30
	s_add_i32 s31, s31, s34
	s_mul_hi_u32 s35, s30, s36
	s_mul_hi_u32 s34, s30, s31
	s_mul_i32 s30, s30, s31
	s_add_u32 s30, s35, s30
	s_addc_u32 s34, 0, s34
	s_mul_hi_u32 s37, s3, s36
	s_mul_i32 s36, s3, s36
	s_add_u32 s30, s30, s36
	s_mul_hi_u32 s35, s3, s31
	s_addc_u32 s30, s34, s37
	s_addc_u32 s34, s35, 0
	s_mul_i32 s31, s3, s31
	s_add_u32 s30, s30, s31
	s_addc_u32 s31, 0, s34
	v_add_co_u32_e32 v3, vcc, s30, v3
	s_cmp_lg_u64 vcc, 0
	s_addc_u32 s3, s3, s31
	v_readfirstlane_b32 s31, v3
	s_mul_i32 s30, s0, s3
	s_mul_hi_u32 s34, s0, s31
	s_add_i32 s30, s34, s30
	s_mul_i32 s1, s1, s31
	s_add_i32 s30, s30, s1
	s_mul_i32 s0, s0, s31
	s_mul_hi_u32 s34, s3, s0
	s_mul_i32 s35, s3, s0
	s_mul_i32 s37, s31, s30
	s_mul_hi_u32 s0, s31, s0
	s_mul_hi_u32 s36, s31, s30
	s_add_u32 s0, s0, s37
	s_addc_u32 s31, 0, s36
	s_add_u32 s0, s0, s35
	s_mul_hi_u32 s1, s3, s30
	s_addc_u32 s0, s31, s34
	s_addc_u32 s1, s1, 0
	s_mul_i32 s30, s3, s30
	s_add_u32 s0, s0, s30
	s_addc_u32 s1, 0, s1
	v_add_co_u32_e32 v3, vcc, s0, v3
	s_cmp_lg_u64 vcc, 0
	s_addc_u32 s0, s3, s1
	v_readlane_b32 s35, v73, 29
	v_readfirstlane_b32 s30, v3
	s_mul_i32 s3, s35, s0
	s_mul_hi_u32 s31, s35, s30
	s_mul_hi_u32 s1, s35, s0
	s_add_u32 s3, s31, s3
	s_addc_u32 s1, 0, s1
	s_mul_hi_u32 s34, s47, s30
	s_mul_i32 s30, s47, s30
	s_add_u32 s3, s3, s30
	s_mul_hi_u32 s31, s47, s0
	s_addc_u32 s1, s1, s34
	s_addc_u32 s3, s31, 0
	s_mul_i32 s0, s47, s0
	s_add_u32 s0, s1, s0
	s_addc_u32 s1, 0, s3
	s_mul_hi_u32 s3, s33, s0
	s_mul_i32 s0, s33, s0
	s_mul_i32 s1, s33, s1
	v_mov_b32_e32 v3, s0
	s_add_i32 s3, s3, s1
	v_sub_co_u32_e32 v3, vcc, s35, v3
	s_cmp_lg_u64 vcc, 0
	s_subb_u32 s0, s47, s3
	v_subrev_co_u32_e32 v4, vcc, s33, v3
	s_cmp_lg_u64 vcc, 0
	s_subb_u32 s1, s0, 0
	v_subrev_co_u32_e32 v5, vcc, s33, v4
	s_cmp_lg_u64 vcc, 0
	s_subb_u32 s3, s1, 0
	v_cmp_le_u32_e32 vcc, s33, v4
	s_cmp_eq_u32 s1, 0
	v_cndmask_b32_e64 v8, 0, -1, vcc
	s_cselect_b64 vcc, -1, 0
	v_cndmask_b32_e32 v8, -1, v8, vcc
	v_mov_b32_e32 v9, s1
	v_mov_b32_e32 v10, s3
	v_cmp_ne_u32_e32 vcc, 0, v8
	v_cndmask_b32_e32 v8, v9, v10, vcc
	v_cndmask_b32_e32 v4, v4, v5, vcc
	v_cmp_le_u32_e32 vcc, s33, v3
	s_cmp_eq_u32 s0, 0
	v_cndmask_b32_e64 v5, 0, -1, vcc
	s_cselect_b64 vcc, -1, 0
	v_cndmask_b32_e32 v5, -1, v5, vcc
	v_mov_b32_e32 v9, s0
	v_cmp_ne_u32_e32 vcc, 0, v5
	v_cndmask_b32_e32 v5, v9, v8, vcc
	v_cndmask_b32_e32 v4, v3, v4, vcc
	s_cbranch_execnz .LBB165_175
.LBB165_174:                            ;   in Loop: Header=BB165_31 Depth=1
	v_cvt_f32_u32_e32 v3, s33
	s_sub_i32 s0, 0, s33
	v_rcp_iflag_f32_e32 v3, v3
	v_mul_f32_e32 v3, 0x4f7ffffe, v3
	v_cvt_u32_f32_e32 v3, v3
	v_mul_lo_u32 v4, s0, v3
	v_mul_hi_u32 v4, v3, v4
	v_add_u32_e32 v3, v3, v4
	v_readlane_b32 s0, v73, 29
	v_mul_hi_u32 v3, s0, v3
	v_mul_lo_u32 v3, v3, s33
	v_sub_u32_e32 v3, s0, v3
	v_subrev_u32_e32 v4, s33, v3
	v_cmp_le_u32_e32 vcc, s33, v3
	v_cndmask_b32_e32 v3, v3, v4, vcc
	v_subrev_u32_e32 v4, s33, v3
	v_cmp_le_u32_e32 vcc, s33, v3
	v_cndmask_b32_e32 v20, v3, v4, vcc
	v_pk_mov_b32 v[4:5], v[20:21], v[20:21] op_sel:[0,1]
.LBB165_175:                            ;   in Loop: Header=BB165_31 Depth=1
	v_readlane_b32 s0, v73, 31
	v_readlane_b32 s1, v73, 32
	;; [unrolled: 1-line block ×3, first 2 shown]
	v_mov_b32_e32 v3, s1
	v_sub_co_u32_e32 v42, vcc, s0, v4
	v_subb_co_u32_e32 v43, vcc, v3, v5, vcc
	v_cmp_gt_u64_e32 vcc, v[42:43], v[0:1]
	s_mov_b64 s[52:53], 0
                                        ; implicit-def: $vgpr10_vgpr11
	s_and_saveexec_b64 s[0:1], vcc
	s_cbranch_execz .LBB165_184
; %bb.176:                              ;   in Loop: Header=BB165_31 Depth=1
	s_mov_b64 s[36:37], 0
	v_pk_mov_b32 v[44:45], v[32:33], v[32:33] op_sel:[0,1]
	v_pk_mov_b32 v[46:47], v[0:1], v[0:1] op_sel:[0,1]
                                        ; implicit-def: $sgpr34_sgpr35
	s_branch .LBB165_178
.LBB165_177:                            ;   in Loop: Header=BB165_178 Depth=2
	s_or_b64 exec, exec, s[46:47]
	s_waitcnt lgkmcnt(0)
	s_barrier
	ds_read_b128 v[8:11], v21 offset:3072
	v_mov_b32_e32 v3, s92
	v_add_co_u32_e32 v46, vcc, s33, v46
	v_addc_co_u32_e32 v47, vcc, v47, v3, vcc
	s_waitcnt lgkmcnt(0)
	v_readfirstlane_b32 s31, v9
	v_readfirstlane_b32 s30, v8
	s_cmp_lg_u64 s[30:31], 0
	s_cselect_b64 s[30:31], -1, 0
	v_cmp_ge_u64_e32 vcc, v[46:47], v[42:43]
	s_or_b64 s[46:47], vcc, s[30:31]
	s_and_b64 s[46:47], exec, s[46:47]
	s_or_b64 s[36:37], s[46:47], s[36:37]
	v_mov_b32_e32 v3, s65
	v_add_co_u32_e32 v44, vcc, s64, v44
	s_andn2_b64 s[34:35], s[34:35], exec
	s_and_b64 s[30:31], s[30:31], exec
	v_addc_co_u32_e32 v45, vcc, v45, v3, vcc
	s_or_b64 s[34:35], s[34:35], s[30:31]
	s_barrier
	s_andn2_b64 exec, exec, s[36:37]
	s_cbranch_execz .LBB165_183
.LBB165_178:                            ;   Parent Loop BB165_31 Depth=1
                                        ; =>  This Inner Loop Header: Depth=2
	v_cmp_gt_u64_e32 vcc, s[60:61], v[46:47]
	s_waitcnt vmcnt(0)
	v_pk_mov_b32 v[4:5], 0, 0
	s_and_saveexec_b64 s[46:47], vcc
	s_cbranch_execz .LBB165_180
; %bb.179:                              ;   in Loop: Header=BB165_178 Depth=2
	global_load_dwordx2 v[4:5], v[44:45], off
.LBB165_180:                            ;   in Loop: Header=BB165_178 Depth=2
	s_or_b64 exec, exec, s[46:47]
	s_and_saveexec_b64 s[46:47], vcc
	s_cbranch_execz .LBB165_177
; %bb.181:                              ;   in Loop: Header=BB165_178 Depth=2
	s_waitcnt vmcnt(0)
	v_xor_b32_e32 v3, 0x80000000, v5
	v_and_b32_e32 v9, v3, v15
	v_and_b32_e32 v8, v4, v14
	v_cmp_eq_u64_e32 vcc, v[8:9], v[12:13]
	s_and_b64 exec, exec, vcc
	s_cbranch_execz .LBB165_177
; %bb.182:                              ;   in Loop: Header=BB165_178 Depth=2
	v_mov_b32_e32 v3, v21
	ds_write_b128 v21, v[2:5] offset:3072
	s_branch .LBB165_177
.LBB165_183:                            ;   in Loop: Header=BB165_31 Depth=1
	s_or_b64 exec, exec, s[36:37]
	s_and_b64 s[52:53], s[34:35], exec
.LBB165_184:                            ;   in Loop: Header=BB165_31 Depth=1
	s_or_b64 exec, exec, s[0:1]
	s_mov_b64 s[46:47], -1
	s_mov_b64 s[34:35], 0
	s_mov_b64 s[36:37], 0
.LBB165_185:                            ;   in Loop: Header=BB165_31 Depth=1
	s_orn2_b64 s[0:1], s[52:53], exec
.LBB165_186:                            ;   in Loop: Header=BB165_31 Depth=1
	s_or_b64 exec, exec, s[48:49]
	s_mov_b64 s[52:53], 0
                                        ; implicit-def: $vgpr3
	s_and_saveexec_b64 s[48:49], s[0:1]
	s_cbranch_execz .LBB165_300
; %bb.187:                              ;   in Loop: Header=BB165_31 Depth=1
	v_mov_b32_e32 v42, 1
	s_xor_b64 s[30:31], s[50:51], -1
	s_mov_b64 s[68:69], 0
	v_mov_b32_e32 v43, 0
	v_mov_b32_e32 v3, 1
	s_and_saveexec_b64 s[0:1], s[30:31]
	s_cbranch_execz .LBB165_197
; %bb.188:                              ;   in Loop: Header=BB165_31 Depth=1
	v_cmp_ge_u64_e32 vcc, s[22:23], v[40:41]
                                        ; implicit-def: $sgpr3
                                        ; implicit-def: $sgpr50_sgpr51
	s_and_saveexec_b64 s[30:31], vcc
	s_xor_b64 s[52:53], exec, s[30:31]
	s_cbranch_execz .LBB165_194
; %bb.189:                              ;   in Loop: Header=BB165_31 Depth=1
	s_waitcnt vmcnt(0)
	ds_read_b64 v[4:5], v21 offset:5120
	s_waitcnt lgkmcnt(0)
	v_cmp_ne_u64_e32 vcc, 0, v[4:5]
	s_cbranch_vccnz .LBB165_193
; %bb.190:                              ;   in Loop: Header=BB165_31 Depth=1
	s_mov_b64 s[50:51], exec
	v_readlane_b32 s30, v73, 10
	v_readlane_b32 s31, v73, 11
	s_and_b64 s[30:31], s[50:51], s[30:31]
	s_mov_b64 exec, s[30:31]
	s_cbranch_execz .LBB165_192
; %bb.191:                              ;   in Loop: Header=BB165_31 Depth=1
	v_pk_mov_b32 v[4:5], s[22:23], s[22:23] op_sel:[0,1]
	ds_write_b64 v21, v[4:5] offset:5128
.LBB165_192:                            ;   in Loop: Header=BB165_31 Depth=1
	s_or_b64 exec, exec, s[50:51]
	s_waitcnt lgkmcnt(0)
	s_barrier
.LBB165_193:                            ;   in Loop: Header=BB165_31 Depth=1
	s_lshl_b64 s[30:31], 1, s86
	v_and_b32_e32 v3, s21, v13
	v_and_b32_e32 v4, s20, v12
	v_or_b32_e32 v13, s31, v3
	v_or_b32_e32 v12, s30, v4
	;; [unrolled: 1-line block ×4, first 2 shown]
	s_mov_b64 s[50:51], 0
	s_mov_b32 s3, 8
.LBB165_194:                            ;   in Loop: Header=BB165_31 Depth=1
	s_or_saveexec_b64 s[52:53], s[52:53]
	v_mov_b32_e32 v3, s3
	s_xor_b64 exec, exec, s[52:53]
; %bb.195:                              ;   in Loop: Header=BB165_31 Depth=1
	v_mov_b32_e32 v3, s23
	v_subrev_co_u32_e32 v40, vcc, s22, v40
	v_subb_co_u32_e32 v41, vcc, v41, v3, vcc
	v_mov_b32_e32 v3, 0
	s_or_b64 s[50:51], s[50:51], exec
; %bb.196:                              ;   in Loop: Header=BB165_31 Depth=1
	s_or_b64 exec, exec, s[52:53]
	s_and_b64 s[68:69], s[50:51], exec
	v_pk_mov_b32 v[42:43], v[40:41], v[40:41] op_sel:[0,1]
.LBB165_197:                            ;   in Loop: Header=BB165_31 Depth=1
	s_or_b64 exec, exec, s[0:1]
	s_mov_b64 s[0:1], -1
                                        ; implicit-def: $sgpr52_sgpr53
                                        ; implicit-def: $sgpr54_sgpr55
                                        ; implicit-def: $sgpr66_sgpr67
	s_and_saveexec_b64 s[50:51], s[68:69]
	s_cbranch_execz .LBB165_299
; %bb.198:                              ;   in Loop: Header=BB165_31 Depth=1
	s_cmp_eq_u64 s[26:27], 1
	s_cselect_b64 s[0:1], -1, 0
	v_cmp_eq_u64_e32 vcc, 1, v[42:43]
	s_and_b64 s[68:69], s[0:1], vcc
	s_mov_b64 s[66:67], -1
                                        ; implicit-def: $sgpr52_sgpr53
                                        ; implicit-def: $sgpr0_sgpr1
                                        ; kill: killed $sgpr0_sgpr1
                                        ; implicit-def: $vcc
	s_and_saveexec_b64 s[54:55], s[68:69]
                                        ; implicit-def: $vgpr72 : SGPR spill to VGPR lane
	s_cbranch_execz .LBB165_233
; %bb.199:                              ;   in Loop: Header=BB165_31 Depth=1
	s_waitcnt vmcnt(0)
	ds_read_b64 v[4:5], v21 offset:5120
	s_waitcnt lgkmcnt(0)
	s_barrier
	v_readfirstlane_b32 s0, v4
	v_readfirstlane_b32 s1, v5
	s_mov_b64 s[52:53], exec
	v_readlane_b32 s30, v73, 24
	v_readlane_b32 s31, v73, 25
	s_and_b64 s[30:31], s[52:53], s[30:31]
	s_mov_b64 exec, s[30:31]
	s_cbranch_execz .LBB165_201
; %bb.200:                              ;   in Loop: Header=BB165_31 Depth=1
	v_mov_b32_e32 v20, v21
	ds_write_b64 v58, v[20:21]
.LBB165_201:                            ;   in Loop: Header=BB165_31 Depth=1
	s_or_b64 exec, exec, s[52:53]
	s_lshl_b64 s[30:31], 2, s86
	v_and_b32_e32 v3, s21, v13
	v_and_b32_e32 v4, s20, v12
	v_or_b32_e32 v13, s31, v3
	v_or_b32_e32 v12, s30, v4
	;; [unrolled: 1-line block ×4, first 2 shown]
	s_cmp_eq_u64 s[0:1], 0
	s_waitcnt lgkmcnt(0)
	s_barrier
	s_cbranch_scc1 .LBB165_215
; %bb.202:                              ;   in Loop: Header=BB165_31 Depth=1
	v_readlane_b32 s3, v73, 28
	s_add_u32 s3, s3, s0
	v_readlane_b32 s30, v73, 30
	s_addc_u32 s53, s30, s1
	s_mov_b32 s52, s87
	s_cmp_lg_u64 s[52:53], 0
	s_cbranch_scc0 .LBB165_251
; %bb.203:                              ;   in Loop: Header=BB165_31 Depth=1
	v_cvt_f32_u32_e32 v3, s33
	s_sub_u32 s30, 0, s33
	s_subb_u32 s31, 0, 0
	v_mac_f32_e32 v3, 0, v61
	v_rcp_f32_e32 v3, v3
	v_mul_f32_e32 v3, 0x5f7ffffc, v3
	v_mul_f32_e32 v4, 0x2f800000, v3
	v_trunc_f32_e32 v4, v4
	v_mac_f32_e32 v3, 0xcf800000, v4
	v_cvt_u32_f32_e32 v4, v4
	v_cvt_u32_f32_e32 v3, v3
	v_readfirstlane_b32 s52, v4
	v_readfirstlane_b32 s66, v3
	s_mul_i32 s67, s30, s52
	s_mul_hi_u32 s81, s30, s66
	s_mul_i32 s80, s31, s66
	s_add_i32 s67, s81, s67
	s_mul_i32 s88, s30, s66
	s_add_i32 s67, s67, s80
	s_mul_hi_u32 s81, s66, s88
	s_mul_hi_u32 s80, s66, s67
	s_mul_i32 s66, s66, s67
	s_add_u32 s66, s81, s66
	s_addc_u32 s80, 0, s80
	s_mul_hi_u32 s89, s52, s88
	s_mul_i32 s88, s52, s88
	s_add_u32 s66, s66, s88
	s_mul_hi_u32 s81, s52, s67
	s_addc_u32 s66, s80, s89
	s_addc_u32 s80, s81, 0
	s_mul_i32 s67, s52, s67
	s_add_u32 s66, s66, s67
	s_addc_u32 s67, 0, s80
	v_add_co_u32_e32 v3, vcc, s66, v3
	s_cmp_lg_u64 vcc, 0
	s_addc_u32 s52, s52, s67
	v_readfirstlane_b32 s67, v3
	s_mul_i32 s66, s30, s52
	s_mul_hi_u32 s80, s30, s67
	s_add_i32 s66, s80, s66
	s_mul_i32 s31, s31, s67
	s_add_i32 s66, s66, s31
	s_mul_i32 s30, s30, s67
	s_mul_hi_u32 s80, s52, s30
	s_mul_i32 s81, s52, s30
	s_mul_i32 s89, s67, s66
	s_mul_hi_u32 s30, s67, s30
	s_mul_hi_u32 s88, s67, s66
	s_add_u32 s30, s30, s89
	s_addc_u32 s67, 0, s88
	s_add_u32 s30, s30, s81
	s_mul_hi_u32 s31, s52, s66
	s_addc_u32 s30, s67, s80
	s_addc_u32 s31, s31, 0
	s_mul_i32 s66, s52, s66
	s_add_u32 s30, s30, s66
	s_addc_u32 s31, 0, s31
	v_add_co_u32_e32 v3, vcc, s30, v3
	s_cmp_lg_u64 vcc, 0
	s_addc_u32 s30, s52, s31
	v_readfirstlane_b32 s66, v3
	s_mul_i32 s52, s3, s30
	s_mul_hi_u32 s67, s3, s66
	s_mul_hi_u32 s31, s3, s30
	s_add_u32 s52, s67, s52
	s_addc_u32 s31, 0, s31
	s_mul_hi_u32 s80, s53, s66
	s_mul_i32 s66, s53, s66
	s_add_u32 s52, s52, s66
	s_mul_hi_u32 s67, s53, s30
	s_addc_u32 s31, s31, s80
	s_addc_u32 s52, s67, 0
	s_mul_i32 s30, s53, s30
	s_add_u32 s30, s31, s30
	s_addc_u32 s31, 0, s52
	s_mul_hi_u32 s52, s33, s30
	s_mul_i32 s30, s33, s30
	s_mul_i32 s31, s33, s31
	v_mov_b32_e32 v3, s30
	s_add_i32 s52, s52, s31
	v_sub_co_u32_e32 v3, vcc, s3, v3
	s_cmp_lg_u64 vcc, 0
	s_subb_u32 s30, s53, s52
	v_subrev_co_u32_e32 v4, vcc, s33, v3
	s_cmp_lg_u64 vcc, 0
	s_subb_u32 s31, s30, 0
	v_subrev_co_u32_e32 v5, vcc, s33, v4
	s_cmp_lg_u64 vcc, 0
	s_subb_u32 s52, s31, 0
	v_cmp_le_u32_e32 vcc, s33, v4
	s_cmp_eq_u32 s31, 0
	v_cndmask_b32_e64 v8, 0, -1, vcc
	s_cselect_b64 vcc, -1, 0
	v_cndmask_b32_e32 v8, -1, v8, vcc
	v_mov_b32_e32 v9, s31
	v_mov_b32_e32 v10, s52
	v_cmp_ne_u32_e32 vcc, 0, v8
	v_cndmask_b32_e32 v8, v9, v10, vcc
	v_cndmask_b32_e32 v4, v4, v5, vcc
	v_cmp_le_u32_e32 vcc, s33, v3
	s_cmp_eq_u32 s30, 0
	v_cndmask_b32_e64 v5, 0, -1, vcc
	s_cselect_b64 vcc, -1, 0
	v_cndmask_b32_e32 v5, -1, v5, vcc
	v_mov_b32_e32 v9, s30
	v_cmp_ne_u32_e32 vcc, 0, v5
	v_cndmask_b32_e32 v5, v9, v8, vcc
	v_cndmask_b32_e32 v4, v3, v4, vcc
	s_cbranch_execnz .LBB165_205
.LBB165_204:                            ;   in Loop: Header=BB165_31 Depth=1
	v_cvt_f32_u32_e32 v3, s33
	s_sub_i32 s30, 0, s33
	v_rcp_iflag_f32_e32 v3, v3
	v_mul_f32_e32 v3, 0x4f7ffffe, v3
	v_cvt_u32_f32_e32 v3, v3
	v_mul_lo_u32 v4, s30, v3
	v_mul_hi_u32 v4, v3, v4
	v_add_u32_e32 v3, v3, v4
	v_mul_hi_u32 v3, s3, v3
	v_mul_lo_u32 v3, v3, s33
	v_sub_u32_e32 v3, s3, v3
	v_subrev_u32_e32 v4, s33, v3
	v_cmp_le_u32_e32 vcc, s33, v3
	v_cndmask_b32_e32 v3, v3, v4, vcc
	v_subrev_u32_e32 v4, s33, v3
	v_cmp_le_u32_e32 vcc, s33, v3
	v_cndmask_b32_e32 v20, v3, v4, vcc
	v_pk_mov_b32 v[4:5], v[20:21], v[20:21] op_sel:[0,1]
.LBB165_205:                            ;   in Loop: Header=BB165_31 Depth=1
	v_mov_b32_e32 v3, s53
	v_sub_co_u32_e32 v40, vcc, s3, v4
	v_subb_co_u32_e32 v41, vcc, v3, v5, vcc
	v_cmp_gt_u64_e32 vcc, v[40:41], v[0:1]
	s_mov_b64 s[66:67], 0
                                        ; implicit-def: $vgpr10_vgpr11
	s_and_saveexec_b64 s[52:53], vcc
	s_cbranch_execz .LBB165_217
; %bb.206:                              ;   in Loop: Header=BB165_31 Depth=1
	s_mov_b64 s[80:81], 0
	v_mov_b32_e32 v20, v57
	v_pk_mov_b32 v[44:45], v[0:1], v[0:1] op_sel:[0,1]
                                        ; implicit-def: $sgpr66_sgpr67
	s_branch .LBB165_208
.LBB165_207:                            ;   in Loop: Header=BB165_208 Depth=2
	s_or_b64 exec, exec, s[88:89]
	s_waitcnt lgkmcnt(0)
	s_barrier
	ds_read_b128 v[8:11], v21 offset:3072
	v_mov_b32_e32 v3, s92
	v_add_co_u32_e32 v44, vcc, s33, v44
	v_addc_co_u32_e32 v45, vcc, v45, v3, vcc
	s_waitcnt lgkmcnt(0)
	v_readfirstlane_b32 s31, v9
	v_readfirstlane_b32 s30, v8
	s_cmp_lg_u64 s[30:31], 0
	s_cselect_b64 s[30:31], -1, 0
	v_cmp_ge_u64_e32 vcc, v[44:45], v[40:41]
	s_or_b64 s[88:89], vcc, s[30:31]
	s_and_b64 s[88:89], exec, s[88:89]
	s_or_b64 s[80:81], s[88:89], s[80:81]
	s_andn2_b64 s[66:67], s[66:67], exec
	s_and_b64 s[30:31], s[30:31], exec
	v_add_u32_e32 v20, s2, v20
	s_or_b64 s[66:67], s[66:67], s[30:31]
	s_barrier
	s_andn2_b64 exec, exec, s[80:81]
	s_cbranch_execz .LBB165_216
.LBB165_208:                            ;   Parent Loop BB165_31 Depth=1
                                        ; =>  This Inner Loop Header: Depth=2
	v_cmp_gt_u64_e32 vcc, s[0:1], v[44:45]
	v_pk_mov_b32 v[4:5], 0, 0
	s_and_saveexec_b64 s[88:89], vcc
	s_cbranch_execz .LBB165_210
; %bb.209:                              ;   in Loop: Header=BB165_208 Depth=2
	ds_read_b64 v[4:5], v20
.LBB165_210:                            ;   in Loop: Header=BB165_208 Depth=2
	s_or_b64 exec, exec, s[88:89]
	s_and_saveexec_b64 s[88:89], vcc
	s_cbranch_execz .LBB165_207
; %bb.211:                              ;   in Loop: Header=BB165_208 Depth=2
	s_waitcnt lgkmcnt(0)
	v_xor_b32_e32 v3, 0x80000000, v5
	v_and_b32_e32 v9, v3, v15
	v_and_b32_e32 v8, v4, v14
	v_cmp_eq_u64_e32 vcc, v[8:9], v[12:13]
	s_and_b64 exec, exec, vcc
	s_cbranch_execz .LBB165_207
; %bb.212:                              ;   in Loop: Header=BB165_208 Depth=2
	v_mov_b32_e32 v3, v21
	ds_write_b128 v21, v[2:5] offset:3072
	s_branch .LBB165_207
.LBB165_213:                            ;   in Loop: Header=BB165_31 Depth=1
                                        ; implicit-def: $vgpr4_vgpr5
	s_branch .LBB165_158
.LBB165_214:                            ;   in Loop: Header=BB165_31 Depth=1
                                        ; implicit-def: $vgpr4_vgpr5
	s_branch .LBB165_174
.LBB165_215:                            ;   in Loop: Header=BB165_31 Depth=1
	s_mov_b64 s[52:53], -1
	s_mov_b64 s[66:67], 0
                                        ; implicit-def: $sgpr0_sgpr1
                                        ; implicit-def: $vgpr10_vgpr11
	s_branch .LBB165_218
.LBB165_216:                            ;   in Loop: Header=BB165_31 Depth=1
	s_or_b64 exec, exec, s[80:81]
	s_and_b64 s[66:67], s[66:67], exec
.LBB165_217:                            ;   in Loop: Header=BB165_31 Depth=1
	s_or_b64 exec, exec, s[52:53]
	s_mov_b64 s[0:1], -1
	s_mov_b64 s[52:53], 0
.LBB165_218:                            ;   in Loop: Header=BB165_31 Depth=1
	s_and_b64 vcc, exec, s[52:53]
	v_writelane_b32 v72, s52, 0
	v_writelane_b32 v72, s53, 1
	s_cbranch_vccz .LBB165_232
; %bb.219:                              ;   in Loop: Header=BB165_31 Depth=1
	v_readlane_b32 s80, v73, 31
	v_readlane_b32 s81, v73, 32
	s_mov_b32 s80, s87
	s_cmp_lg_u64 s[80:81], 0
	v_writelane_b32 v73, s80, 31
	v_writelane_b32 v73, s81, 32
	s_cbranch_scc0 .LBB165_252
; %bb.220:                              ;   in Loop: Header=BB165_31 Depth=1
	v_cvt_f32_u32_e32 v3, s33
	s_sub_u32 s0, 0, s33
	s_subb_u32 s1, 0, 0
	v_mac_f32_e32 v3, 0, v61
	v_rcp_f32_e32 v3, v3
	v_mul_f32_e32 v3, 0x5f7ffffc, v3
	v_mul_f32_e32 v4, 0x2f800000, v3
	v_trunc_f32_e32 v4, v4
	v_mac_f32_e32 v3, 0xcf800000, v4
	v_cvt_u32_f32_e32 v4, v4
	v_cvt_u32_f32_e32 v3, v3
	v_readfirstlane_b32 s3, v4
	v_readfirstlane_b32 s30, v3
	s_mul_i32 s31, s0, s3
	s_mul_hi_u32 s53, s0, s30
	s_mul_i32 s52, s1, s30
	s_add_i32 s31, s53, s31
	s_mul_i32 s66, s0, s30
	s_add_i32 s31, s31, s52
	s_mul_hi_u32 s53, s30, s66
	s_mul_hi_u32 s52, s30, s31
	s_mul_i32 s30, s30, s31
	s_add_u32 s30, s53, s30
	s_addc_u32 s52, 0, s52
	s_mul_hi_u32 s67, s3, s66
	s_mul_i32 s66, s3, s66
	s_add_u32 s30, s30, s66
	s_mul_hi_u32 s53, s3, s31
	s_addc_u32 s30, s52, s67
	s_addc_u32 s52, s53, 0
	s_mul_i32 s31, s3, s31
	s_add_u32 s30, s30, s31
	s_addc_u32 s31, 0, s52
	v_add_co_u32_e32 v3, vcc, s30, v3
	s_cmp_lg_u64 vcc, 0
	s_addc_u32 s3, s3, s31
	v_readfirstlane_b32 s31, v3
	s_mul_i32 s30, s0, s3
	s_mul_hi_u32 s52, s0, s31
	s_add_i32 s30, s52, s30
	s_mul_i32 s1, s1, s31
	s_add_i32 s30, s30, s1
	s_mul_i32 s0, s0, s31
	s_mul_hi_u32 s52, s3, s0
	s_mul_i32 s53, s3, s0
	s_mul_i32 s67, s31, s30
	s_mul_hi_u32 s0, s31, s0
	s_mul_hi_u32 s66, s31, s30
	s_add_u32 s0, s0, s67
	s_addc_u32 s31, 0, s66
	s_add_u32 s0, s0, s53
	s_mul_hi_u32 s1, s3, s30
	s_addc_u32 s0, s31, s52
	s_addc_u32 s1, s1, 0
	s_mul_i32 s30, s3, s30
	s_add_u32 s0, s0, s30
	s_addc_u32 s1, 0, s1
	v_add_co_u32_e32 v3, vcc, s0, v3
	s_cmp_lg_u64 vcc, 0
	s_addc_u32 s0, s3, s1
	v_readlane_b32 s53, v73, 29
	v_readfirstlane_b32 s30, v3
	s_mul_i32 s3, s53, s0
	s_mul_hi_u32 s31, s53, s30
	s_mul_hi_u32 s1, s53, s0
	s_add_u32 s3, s31, s3
	s_addc_u32 s1, 0, s1
	s_mul_hi_u32 s52, s81, s30
	s_mul_i32 s30, s81, s30
	s_add_u32 s3, s3, s30
	s_mul_hi_u32 s31, s81, s0
	s_addc_u32 s1, s1, s52
	s_addc_u32 s3, s31, 0
	s_mul_i32 s0, s81, s0
	s_add_u32 s0, s1, s0
	s_addc_u32 s1, 0, s3
	s_mul_hi_u32 s3, s33, s0
	s_mul_i32 s0, s33, s0
	s_mul_i32 s1, s33, s1
	v_mov_b32_e32 v3, s0
	s_add_i32 s3, s3, s1
	v_sub_co_u32_e32 v3, vcc, s53, v3
	s_cmp_lg_u64 vcc, 0
	s_subb_u32 s0, s81, s3
	v_subrev_co_u32_e32 v4, vcc, s33, v3
	s_cmp_lg_u64 vcc, 0
	s_subb_u32 s1, s0, 0
	v_subrev_co_u32_e32 v5, vcc, s33, v4
	s_cmp_lg_u64 vcc, 0
	s_subb_u32 s3, s1, 0
	v_cmp_le_u32_e32 vcc, s33, v4
	s_cmp_eq_u32 s1, 0
	v_cndmask_b32_e64 v8, 0, -1, vcc
	s_cselect_b64 vcc, -1, 0
	v_cndmask_b32_e32 v8, -1, v8, vcc
	v_mov_b32_e32 v9, s1
	v_mov_b32_e32 v10, s3
	v_cmp_ne_u32_e32 vcc, 0, v8
	v_cndmask_b32_e32 v8, v9, v10, vcc
	v_cndmask_b32_e32 v4, v4, v5, vcc
	v_cmp_le_u32_e32 vcc, s33, v3
	s_cmp_eq_u32 s0, 0
	v_cndmask_b32_e64 v5, 0, -1, vcc
	s_cselect_b64 vcc, -1, 0
	v_cndmask_b32_e32 v5, -1, v5, vcc
	v_mov_b32_e32 v9, s0
	v_cmp_ne_u32_e32 vcc, 0, v5
	v_cndmask_b32_e32 v5, v9, v8, vcc
	v_cndmask_b32_e32 v4, v3, v4, vcc
	s_cbranch_execnz .LBB165_222
.LBB165_221:                            ;   in Loop: Header=BB165_31 Depth=1
	v_cvt_f32_u32_e32 v3, s33
	s_sub_i32 s0, 0, s33
	v_rcp_iflag_f32_e32 v3, v3
	v_mul_f32_e32 v3, 0x4f7ffffe, v3
	v_cvt_u32_f32_e32 v3, v3
	v_mul_lo_u32 v4, s0, v3
	v_mul_hi_u32 v4, v3, v4
	v_add_u32_e32 v3, v3, v4
	v_readlane_b32 s0, v73, 29
	v_mul_hi_u32 v3, s0, v3
	v_mul_lo_u32 v3, v3, s33
	v_sub_u32_e32 v3, s0, v3
	v_subrev_u32_e32 v4, s33, v3
	v_cmp_le_u32_e32 vcc, s33, v3
	v_cndmask_b32_e32 v3, v3, v4, vcc
	v_subrev_u32_e32 v4, s33, v3
	v_cmp_le_u32_e32 vcc, s33, v3
	v_cndmask_b32_e32 v20, v3, v4, vcc
	v_pk_mov_b32 v[4:5], v[20:21], v[20:21] op_sel:[0,1]
.LBB165_222:                            ;   in Loop: Header=BB165_31 Depth=1
	v_readlane_b32 s0, v73, 31
	v_readlane_b32 s1, v73, 32
	;; [unrolled: 1-line block ×3, first 2 shown]
	v_mov_b32_e32 v3, s1
	v_sub_co_u32_e32 v40, vcc, s0, v4
	v_subb_co_u32_e32 v41, vcc, v3, v5, vcc
	v_cmp_gt_u64_e32 vcc, v[40:41], v[0:1]
	s_mov_b64 s[66:67], 0
                                        ; implicit-def: $vgpr10_vgpr11
	s_and_saveexec_b64 s[0:1], vcc
	s_cbranch_execz .LBB165_231
; %bb.223:                              ;   in Loop: Header=BB165_31 Depth=1
	v_pk_mov_b32 v[44:45], v[32:33], v[32:33] op_sel:[0,1]
	v_pk_mov_b32 v[46:47], v[0:1], v[0:1] op_sel:[0,1]
                                        ; implicit-def: $sgpr52_sgpr53
	s_branch .LBB165_225
.LBB165_224:                            ;   in Loop: Header=BB165_225 Depth=2
	s_or_b64 exec, exec, s[80:81]
	s_waitcnt lgkmcnt(0)
	s_barrier
	ds_read_b128 v[8:11], v21 offset:3072
	v_mov_b32_e32 v3, s92
	v_add_co_u32_e32 v46, vcc, s33, v46
	v_addc_co_u32_e32 v47, vcc, v47, v3, vcc
	s_waitcnt lgkmcnt(0)
	v_readfirstlane_b32 s31, v9
	v_readfirstlane_b32 s30, v8
	s_cmp_lg_u64 s[30:31], 0
	s_cselect_b64 s[30:31], -1, 0
	v_cmp_ge_u64_e32 vcc, v[46:47], v[40:41]
	s_or_b64 s[80:81], vcc, s[30:31]
	s_and_b64 s[80:81], exec, s[80:81]
	s_or_b64 s[66:67], s[80:81], s[66:67]
	v_mov_b32_e32 v3, s65
	v_add_co_u32_e32 v44, vcc, s64, v44
	s_andn2_b64 s[52:53], s[52:53], exec
	s_and_b64 s[30:31], s[30:31], exec
	v_addc_co_u32_e32 v45, vcc, v45, v3, vcc
	s_or_b64 s[52:53], s[52:53], s[30:31]
	s_barrier
	s_andn2_b64 exec, exec, s[66:67]
	s_cbranch_execz .LBB165_230
.LBB165_225:                            ;   Parent Loop BB165_31 Depth=1
                                        ; =>  This Inner Loop Header: Depth=2
	v_cmp_gt_u64_e32 vcc, s[60:61], v[46:47]
	s_waitcnt vmcnt(0)
	v_pk_mov_b32 v[4:5], 0, 0
	s_and_saveexec_b64 s[80:81], vcc
	s_cbranch_execz .LBB165_227
; %bb.226:                              ;   in Loop: Header=BB165_225 Depth=2
	global_load_dwordx2 v[4:5], v[44:45], off
.LBB165_227:                            ;   in Loop: Header=BB165_225 Depth=2
	s_or_b64 exec, exec, s[80:81]
	s_and_saveexec_b64 s[80:81], vcc
	s_cbranch_execz .LBB165_224
; %bb.228:                              ;   in Loop: Header=BB165_225 Depth=2
	s_waitcnt vmcnt(0)
	v_xor_b32_e32 v3, 0x80000000, v5
	v_and_b32_e32 v9, v3, v15
	v_and_b32_e32 v8, v4, v14
	v_cmp_eq_u64_e32 vcc, v[8:9], v[12:13]
	s_and_b64 exec, exec, vcc
	s_cbranch_execz .LBB165_224
; %bb.229:                              ;   in Loop: Header=BB165_225 Depth=2
	v_mov_b32_e32 v3, v21
	ds_write_b128 v21, v[2:5] offset:3072
	s_branch .LBB165_224
.LBB165_230:                            ;   in Loop: Header=BB165_31 Depth=1
	s_or_b64 exec, exec, s[66:67]
	s_and_b64 s[66:67], s[52:53], exec
.LBB165_231:                            ;   in Loop: Header=BB165_31 Depth=1
	s_or_b64 exec, exec, s[0:1]
	s_mov_b64 s[0:1], -1
	v_writelane_b32 v72, s0, 0
	v_writelane_b32 v72, s1, 1
	s_mov_b64 s[52:53], 0
	s_mov_b64 s[0:1], 0
.LBB165_232:                            ;   in Loop: Header=BB165_31 Depth=1
	s_orn2_b64 s[66:67], s[66:67], exec
	s_mov_b64 vcc, s[0:1]
.LBB165_233:                            ;   in Loop: Header=BB165_31 Depth=1
	s_or_b64 exec, exec, s[54:55]
	s_mov_b64 s[0:1], 0
                                        ; implicit-def: $vgpr3
	s_and_saveexec_b64 s[54:55], s[66:67]
	s_cbranch_execz .LBB165_298
; %bb.234:                              ;   in Loop: Header=BB165_31 Depth=1
	v_mov_b32_e32 v40, 1
	s_xor_b64 s[30:31], s[68:69], -1
	s_mov_b64 s[88:89], 0
	v_mov_b32_e32 v41, 0
	v_mov_b32_e32 v3, 1
	s_and_saveexec_b64 s[0:1], s[30:31]
	s_cbranch_execz .LBB165_244
; %bb.235:                              ;   in Loop: Header=BB165_31 Depth=1
	s_mov_b64 s[90:91], vcc
	v_cmp_ge_u64_e32 vcc, s[26:27], v[42:43]
                                        ; implicit-def: $sgpr3
                                        ; implicit-def: $sgpr66_sgpr67
	s_and_saveexec_b64 s[30:31], vcc
	s_xor_b64 s[68:69], exec, s[30:31]
	s_cbranch_execz .LBB165_241
; %bb.236:                              ;   in Loop: Header=BB165_31 Depth=1
	s_waitcnt vmcnt(0)
	ds_read_b64 v[4:5], v21 offset:5120
	s_waitcnt lgkmcnt(0)
	v_cmp_ne_u64_e32 vcc, 0, v[4:5]
	s_cbranch_vccnz .LBB165_240
; %bb.237:                              ;   in Loop: Header=BB165_31 Depth=1
	s_mov_b64 s[66:67], exec
	v_readlane_b32 s30, v73, 10
	v_readlane_b32 s31, v73, 11
	s_and_b64 s[30:31], s[66:67], s[30:31]
	s_mov_b64 exec, s[30:31]
	s_cbranch_execz .LBB165_239
; %bb.238:                              ;   in Loop: Header=BB165_31 Depth=1
	v_pk_mov_b32 v[4:5], s[26:27], s[26:27] op_sel:[0,1]
	ds_write_b64 v21, v[4:5] offset:5128
.LBB165_239:                            ;   in Loop: Header=BB165_31 Depth=1
	s_or_b64 exec, exec, s[66:67]
	s_waitcnt lgkmcnt(0)
	s_barrier
.LBB165_240:                            ;   in Loop: Header=BB165_31 Depth=1
	s_lshl_b64 s[30:31], 2, s86
	v_and_b32_e32 v3, s21, v13
	v_and_b32_e32 v4, s20, v12
	v_or_b32_e32 v13, s31, v3
	v_or_b32_e32 v12, s30, v4
	;; [unrolled: 1-line block ×4, first 2 shown]
	s_mov_b64 s[66:67], 0
	s_mov_b32 s3, 8
.LBB165_241:                            ;   in Loop: Header=BB165_31 Depth=1
	s_or_saveexec_b64 s[68:69], s[68:69]
	v_mov_b32_e32 v3, s3
	s_xor_b64 exec, exec, s[68:69]
; %bb.242:                              ;   in Loop: Header=BB165_31 Depth=1
	v_mov_b32_e32 v3, s27
	v_subrev_co_u32_e32 v42, vcc, s26, v42
	v_subb_co_u32_e32 v43, vcc, v43, v3, vcc
	v_mov_b32_e32 v3, 0
	s_or_b64 s[66:67], s[66:67], exec
; %bb.243:                              ;   in Loop: Header=BB165_31 Depth=1
	s_or_b64 exec, exec, s[68:69]
	s_and_b64 s[88:89], s[66:67], exec
	v_pk_mov_b32 v[40:41], v[42:43], v[42:43] op_sel:[0,1]
	s_mov_b64 vcc, s[90:91]
.LBB165_244:                            ;   in Loop: Header=BB165_31 Depth=1
	s_or_b64 exec, exec, s[0:1]
	s_mov_b64 s[68:69], -1
                                        ; implicit-def: $sgpr0_sgpr1
                                        ; implicit-def: $sgpr80_sgpr81
                                        ; implicit-def: $sgpr66_sgpr67
	s_mov_b64 s[30:31], exec
	v_writelane_b32 v72, s30, 2
	v_writelane_b32 v72, s31, 3
	s_and_b64 s[30:31], s[30:31], s[88:89]
	s_mov_b64 exec, s[30:31]
	s_cbranch_execz .LBB165_297
; %bb.245:                              ;   in Loop: Header=BB165_31 Depth=1
	v_writelane_b32 v72, vcc_lo, 4
	s_cmp_eq_u64 s[28:29], 1
	v_writelane_b32 v72, vcc_hi, 5
	s_cselect_b64 s[0:1], -1, 0
	v_cmp_eq_u64_e32 vcc, 1, v[40:41]
	s_mov_b64 s[88:89], -1
	s_and_b64 s[30:31], s[0:1], vcc
                                        ; implicit-def: $sgpr0_sgpr1
                                        ; implicit-def: $sgpr80_sgpr81
                                        ; implicit-def: $sgpr66_sgpr67
	s_mov_b64 s[68:69], exec
	v_writelane_b32 v72, s30, 6
	v_writelane_b32 v72, s31, 7
	s_and_b64 s[30:31], s[68:69], s[30:31]
	s_mov_b64 exec, s[30:31]
	s_cbranch_execz .LBB165_284
; %bb.246:                              ;   in Loop: Header=BB165_31 Depth=1
	s_waitcnt vmcnt(0)
	ds_read_b64 v[4:5], v21 offset:5120
	s_waitcnt lgkmcnt(0)
	s_barrier
	v_readfirstlane_b32 s0, v4
	v_readfirstlane_b32 s1, v5
	s_mov_b64 s[66:67], exec
	v_readlane_b32 s30, v73, 24
	v_readlane_b32 s31, v73, 25
	s_and_b64 s[30:31], s[66:67], s[30:31]
	s_mov_b64 exec, s[30:31]
	s_cbranch_execz .LBB165_248
; %bb.247:                              ;   in Loop: Header=BB165_31 Depth=1
	v_mov_b32_e32 v20, v21
	ds_write_b64 v58, v[20:21]
.LBB165_248:                            ;   in Loop: Header=BB165_31 Depth=1
	s_or_b64 exec, exec, s[66:67]
	v_or_b32_e32 v13, s19, v13
	v_or_b32_e32 v12, s18, v12
	;; [unrolled: 1-line block ×4, first 2 shown]
	s_cmp_eq_u64 s[0:1], 0
	s_waitcnt lgkmcnt(0)
	s_barrier
	s_cbranch_scc1 .LBB165_253
; %bb.249:                              ;   in Loop: Header=BB165_31 Depth=1
	v_readlane_b32 s3, v73, 28
	s_add_u32 s3, s3, s0
	v_readlane_b32 s30, v73, 30
	s_addc_u32 s67, s30, s1
	s_mov_b32 s66, s87
	s_cmp_lg_u64 s[66:67], 0
	s_cbranch_scc0 .LBB165_254
; %bb.250:                              ;   in Loop: Header=BB165_31 Depth=1
	v_cvt_f32_u32_e32 v3, s33
	s_sub_u32 s30, 0, s33
	s_subb_u32 s31, 0, 0
	v_mac_f32_e32 v3, 0, v61
	v_rcp_f32_e32 v3, v3
	v_mul_f32_e32 v3, 0x5f7ffffc, v3
	v_mul_f32_e32 v4, 0x2f800000, v3
	v_trunc_f32_e32 v4, v4
	v_mac_f32_e32 v3, 0xcf800000, v4
	v_cvt_u32_f32_e32 v4, v4
	v_cvt_u32_f32_e32 v3, v3
	v_readfirstlane_b32 s66, v4
	v_readfirstlane_b32 s80, v3
	s_mul_i32 s81, s30, s66
	s_mul_hi_u32 s89, s30, s80
	s_mul_i32 s88, s31, s80
	s_add_i32 s81, s89, s81
	s_mul_i32 s90, s30, s80
	s_add_i32 s81, s81, s88
	s_mul_hi_u32 s89, s80, s90
	s_mul_hi_u32 s88, s80, s81
	s_mul_i32 s80, s80, s81
	s_add_u32 s80, s89, s80
	s_addc_u32 s88, 0, s88
	s_mul_hi_u32 s91, s66, s90
	s_mul_i32 s90, s66, s90
	s_add_u32 s80, s80, s90
	s_mul_hi_u32 s89, s66, s81
	s_addc_u32 s80, s88, s91
	s_addc_u32 s88, s89, 0
	s_mul_i32 s81, s66, s81
	s_add_u32 s80, s80, s81
	s_addc_u32 s81, 0, s88
	v_add_co_u32_e32 v3, vcc, s80, v3
	s_cmp_lg_u64 vcc, 0
	s_addc_u32 s66, s66, s81
	v_readfirstlane_b32 s81, v3
	s_mul_i32 s80, s30, s66
	s_mul_hi_u32 s88, s30, s81
	s_add_i32 s80, s88, s80
	s_mul_i32 s31, s31, s81
	s_add_i32 s80, s80, s31
	s_mul_i32 s30, s30, s81
	s_mul_hi_u32 s88, s66, s30
	s_mul_i32 s89, s66, s30
	s_mul_i32 s91, s81, s80
	s_mul_hi_u32 s30, s81, s30
	s_mul_hi_u32 s90, s81, s80
	s_add_u32 s30, s30, s91
	s_addc_u32 s81, 0, s90
	s_add_u32 s30, s30, s89
	s_mul_hi_u32 s31, s66, s80
	s_addc_u32 s30, s81, s88
	s_addc_u32 s31, s31, 0
	s_mul_i32 s80, s66, s80
	s_add_u32 s30, s30, s80
	s_addc_u32 s31, 0, s31
	v_add_co_u32_e32 v3, vcc, s30, v3
	s_cmp_lg_u64 vcc, 0
	s_addc_u32 s30, s66, s31
	v_readfirstlane_b32 s80, v3
	s_mul_i32 s66, s3, s30
	s_mul_hi_u32 s81, s3, s80
	s_mul_hi_u32 s31, s3, s30
	s_add_u32 s66, s81, s66
	s_addc_u32 s31, 0, s31
	s_mul_hi_u32 s88, s67, s80
	s_mul_i32 s80, s67, s80
	s_add_u32 s66, s66, s80
	s_mul_hi_u32 s81, s67, s30
	s_addc_u32 s31, s31, s88
	s_addc_u32 s66, s81, 0
	s_mul_i32 s30, s67, s30
	s_add_u32 s30, s31, s30
	s_addc_u32 s31, 0, s66
	s_mul_hi_u32 s66, s33, s30
	s_mul_i32 s30, s33, s30
	s_mul_i32 s31, s33, s31
	v_mov_b32_e32 v3, s30
	s_add_i32 s66, s66, s31
	v_sub_co_u32_e32 v3, vcc, s3, v3
	s_cmp_lg_u64 vcc, 0
	s_subb_u32 s30, s67, s66
	v_subrev_co_u32_e32 v4, vcc, s33, v3
	s_cmp_lg_u64 vcc, 0
	s_subb_u32 s31, s30, 0
	v_subrev_co_u32_e32 v5, vcc, s33, v4
	s_cmp_lg_u64 vcc, 0
	s_subb_u32 s66, s31, 0
	v_cmp_le_u32_e32 vcc, s33, v4
	s_cmp_eq_u32 s31, 0
	v_cndmask_b32_e64 v8, 0, -1, vcc
	s_cselect_b64 vcc, -1, 0
	v_cndmask_b32_e32 v8, -1, v8, vcc
	v_mov_b32_e32 v9, s31
	v_mov_b32_e32 v10, s66
	v_cmp_ne_u32_e32 vcc, 0, v8
	v_cndmask_b32_e32 v8, v9, v10, vcc
	v_cndmask_b32_e32 v4, v4, v5, vcc
	v_cmp_le_u32_e32 vcc, s33, v3
	s_cmp_eq_u32 s30, 0
	v_cndmask_b32_e64 v5, 0, -1, vcc
	s_cselect_b64 vcc, -1, 0
	v_cndmask_b32_e32 v5, -1, v5, vcc
	v_mov_b32_e32 v9, s30
	v_cmp_ne_u32_e32 vcc, 0, v5
	v_cndmask_b32_e32 v5, v9, v8, vcc
	v_cndmask_b32_e32 v4, v3, v4, vcc
	s_mov_b64 s[80:81], 0
	s_branch .LBB165_255
.LBB165_251:                            ;   in Loop: Header=BB165_31 Depth=1
                                        ; implicit-def: $vgpr4_vgpr5
	s_andn2_b64 vcc, exec, s[66:67]
	s_cbranch_vccz .LBB165_204
	s_branch .LBB165_205
.LBB165_252:                            ;   in Loop: Header=BB165_31 Depth=1
                                        ; implicit-def: $vgpr4_vgpr5
	s_branch .LBB165_221
.LBB165_253:                            ;   in Loop: Header=BB165_31 Depth=1
	s_mov_b64 s[0:1], -1
	s_mov_b64 s[88:89], 0
                                        ; implicit-def: $sgpr66_sgpr67
                                        ; implicit-def: $vgpr10_vgpr11
	s_branch .LBB165_267
.LBB165_254:                            ;   in Loop: Header=BB165_31 Depth=1
	s_mov_b64 s[80:81], -1
                                        ; implicit-def: $vgpr4_vgpr5
.LBB165_255:                            ;   in Loop: Header=BB165_31 Depth=1
	s_andn2_b64 vcc, exec, s[80:81]
	s_cbranch_vccnz .LBB165_257
; %bb.256:                              ;   in Loop: Header=BB165_31 Depth=1
	v_cvt_f32_u32_e32 v3, s33
	s_sub_i32 s30, 0, s33
	v_rcp_iflag_f32_e32 v3, v3
	v_mul_f32_e32 v3, 0x4f7ffffe, v3
	v_cvt_u32_f32_e32 v3, v3
	v_mul_lo_u32 v4, s30, v3
	v_mul_hi_u32 v4, v3, v4
	v_add_u32_e32 v3, v3, v4
	v_mul_hi_u32 v3, s3, v3
	v_mul_lo_u32 v3, v3, s33
	v_sub_u32_e32 v3, s3, v3
	v_subrev_u32_e32 v4, s33, v3
	v_cmp_le_u32_e32 vcc, s33, v3
	v_cndmask_b32_e32 v3, v3, v4, vcc
	v_subrev_u32_e32 v4, s33, v3
	v_cmp_le_u32_e32 vcc, s33, v3
	v_cndmask_b32_e32 v20, v3, v4, vcc
	v_pk_mov_b32 v[4:5], v[20:21], v[20:21] op_sel:[0,1]
.LBB165_257:                            ;   in Loop: Header=BB165_31 Depth=1
	v_mov_b32_e32 v3, s67
	v_sub_co_u32_e32 v42, vcc, s3, v4
	v_subb_co_u32_e32 v43, vcc, v3, v5, vcc
	v_cmp_gt_u64_e32 vcc, v[42:43], v[0:1]
	s_mov_b64 s[88:89], 0
                                        ; implicit-def: $vgpr10_vgpr11
	s_and_saveexec_b64 s[66:67], vcc
	s_cbranch_execz .LBB165_266
; %bb.258:                              ;   in Loop: Header=BB165_31 Depth=1
	v_mov_b32_e32 v20, v57
	v_pk_mov_b32 v[44:45], v[0:1], v[0:1] op_sel:[0,1]
                                        ; implicit-def: $sgpr80_sgpr81
	s_branch .LBB165_260
.LBB165_259:                            ;   in Loop: Header=BB165_260 Depth=2
	s_or_b64 exec, exec, s[90:91]
	s_waitcnt lgkmcnt(0)
	s_barrier
	ds_read_b128 v[8:11], v21 offset:3072
	v_mov_b32_e32 v3, s92
	v_add_co_u32_e32 v44, vcc, s33, v44
	v_addc_co_u32_e32 v45, vcc, v45, v3, vcc
	s_waitcnt lgkmcnt(0)
	v_readfirstlane_b32 s31, v9
	v_readfirstlane_b32 s30, v8
	s_cmp_lg_u64 s[30:31], 0
	s_cselect_b64 s[30:31], -1, 0
	v_cmp_ge_u64_e32 vcc, v[44:45], v[42:43]
	s_or_b64 s[90:91], vcc, s[30:31]
	s_and_b64 s[90:91], exec, s[90:91]
	s_or_b64 s[88:89], s[90:91], s[88:89]
	s_andn2_b64 s[80:81], s[80:81], exec
	s_and_b64 s[30:31], s[30:31], exec
	v_add_u32_e32 v20, s2, v20
	s_or_b64 s[80:81], s[80:81], s[30:31]
	s_barrier
	s_andn2_b64 exec, exec, s[88:89]
	s_cbranch_execz .LBB165_265
.LBB165_260:                            ;   Parent Loop BB165_31 Depth=1
                                        ; =>  This Inner Loop Header: Depth=2
	v_cmp_gt_u64_e32 vcc, s[0:1], v[44:45]
	v_pk_mov_b32 v[4:5], 0, 0
	s_and_saveexec_b64 s[90:91], vcc
	s_cbranch_execz .LBB165_262
; %bb.261:                              ;   in Loop: Header=BB165_260 Depth=2
	ds_read_b64 v[4:5], v20
.LBB165_262:                            ;   in Loop: Header=BB165_260 Depth=2
	s_or_b64 exec, exec, s[90:91]
	s_and_saveexec_b64 s[90:91], vcc
	s_cbranch_execz .LBB165_259
; %bb.263:                              ;   in Loop: Header=BB165_260 Depth=2
	s_waitcnt lgkmcnt(0)
	v_xor_b32_e32 v3, 0x80000000, v5
	v_and_b32_e32 v9, v3, v15
	v_and_b32_e32 v8, v4, v14
	v_cmp_eq_u64_e32 vcc, v[8:9], v[12:13]
	s_and_b64 exec, exec, vcc
	s_cbranch_execz .LBB165_259
; %bb.264:                              ;   in Loop: Header=BB165_260 Depth=2
	v_mov_b32_e32 v3, v21
	ds_write_b128 v21, v[2:5] offset:3072
	s_branch .LBB165_259
.LBB165_265:                            ;   in Loop: Header=BB165_31 Depth=1
	s_or_b64 exec, exec, s[88:89]
	s_and_b64 s[88:89], s[80:81], exec
.LBB165_266:                            ;   in Loop: Header=BB165_31 Depth=1
	s_or_b64 exec, exec, s[66:67]
	s_mov_b64 s[66:67], -1
	s_mov_b64 s[0:1], 0
.LBB165_267:                            ;   in Loop: Header=BB165_31 Depth=1
	s_and_b64 vcc, exec, s[0:1]
	s_mov_b64 s[80:81], s[0:1]
	s_cbranch_vccz .LBB165_283
; %bb.268:                              ;   in Loop: Header=BB165_31 Depth=1
	v_readlane_b32 s88, v73, 31
	v_readlane_b32 s89, v73, 32
	s_mov_b32 s88, s87
	s_cmp_lg_u64 s[88:89], 0
	v_writelane_b32 v73, s88, 31
	v_writelane_b32 v73, s89, 32
	s_cbranch_scc0 .LBB165_270
; %bb.269:                              ;   in Loop: Header=BB165_31 Depth=1
	v_cvt_f32_u32_e32 v3, s33
	s_sub_u32 s0, 0, s33
	s_subb_u32 s1, 0, 0
	v_mac_f32_e32 v3, 0, v61
	v_rcp_f32_e32 v3, v3
	v_mul_f32_e32 v3, 0x5f7ffffc, v3
	v_mul_f32_e32 v4, 0x2f800000, v3
	v_trunc_f32_e32 v4, v4
	v_mac_f32_e32 v3, 0xcf800000, v4
	v_cvt_u32_f32_e32 v4, v4
	v_cvt_u32_f32_e32 v3, v3
	v_readfirstlane_b32 s3, v4
	v_readfirstlane_b32 s30, v3
	s_mul_i32 s31, s0, s3
	s_mul_hi_u32 s67, s0, s30
	s_mul_i32 s66, s1, s30
	s_add_i32 s31, s67, s31
	s_mul_i32 s80, s0, s30
	s_add_i32 s31, s31, s66
	s_mul_hi_u32 s67, s30, s80
	s_mul_hi_u32 s66, s30, s31
	s_mul_i32 s30, s30, s31
	s_add_u32 s30, s67, s30
	s_addc_u32 s66, 0, s66
	s_mul_hi_u32 s81, s3, s80
	s_mul_i32 s80, s3, s80
	s_add_u32 s30, s30, s80
	s_mul_hi_u32 s67, s3, s31
	s_addc_u32 s30, s66, s81
	s_addc_u32 s66, s67, 0
	s_mul_i32 s31, s3, s31
	s_add_u32 s30, s30, s31
	s_addc_u32 s31, 0, s66
	v_add_co_u32_e32 v3, vcc, s30, v3
	s_cmp_lg_u64 vcc, 0
	s_addc_u32 s3, s3, s31
	v_readfirstlane_b32 s31, v3
	s_mul_i32 s30, s0, s3
	s_mul_hi_u32 s66, s0, s31
	s_add_i32 s30, s66, s30
	s_mul_i32 s1, s1, s31
	s_add_i32 s30, s30, s1
	s_mul_i32 s0, s0, s31
	s_mul_hi_u32 s66, s3, s0
	s_mul_i32 s67, s3, s0
	s_mul_i32 s81, s31, s30
	s_mul_hi_u32 s0, s31, s0
	s_mul_hi_u32 s80, s31, s30
	s_add_u32 s0, s0, s81
	s_addc_u32 s31, 0, s80
	s_add_u32 s0, s0, s67
	s_mul_hi_u32 s1, s3, s30
	s_addc_u32 s0, s31, s66
	s_addc_u32 s1, s1, 0
	s_mul_i32 s30, s3, s30
	s_add_u32 s0, s0, s30
	s_addc_u32 s1, 0, s1
	v_add_co_u32_e32 v3, vcc, s0, v3
	s_cmp_lg_u64 vcc, 0
	s_addc_u32 s0, s3, s1
	v_readlane_b32 s67, v73, 29
	v_readfirstlane_b32 s30, v3
	s_mul_i32 s3, s67, s0
	s_mul_hi_u32 s31, s67, s30
	s_mul_hi_u32 s1, s67, s0
	s_add_u32 s3, s31, s3
	s_addc_u32 s1, 0, s1
	s_mul_hi_u32 s66, s89, s30
	s_mul_i32 s30, s89, s30
	s_add_u32 s3, s3, s30
	s_mul_hi_u32 s31, s89, s0
	s_addc_u32 s1, s1, s66
	s_addc_u32 s3, s31, 0
	s_mul_i32 s0, s89, s0
	s_add_u32 s0, s1, s0
	s_addc_u32 s1, 0, s3
	s_mul_hi_u32 s3, s33, s0
	s_mul_i32 s0, s33, s0
	s_mul_i32 s1, s33, s1
	v_mov_b32_e32 v3, s0
	s_add_i32 s3, s3, s1
	v_sub_co_u32_e32 v3, vcc, s67, v3
	s_cmp_lg_u64 vcc, 0
	s_subb_u32 s0, s89, s3
	v_subrev_co_u32_e32 v4, vcc, s33, v3
	s_cmp_lg_u64 vcc, 0
	s_subb_u32 s1, s0, 0
	v_subrev_co_u32_e32 v5, vcc, s33, v4
	s_cmp_lg_u64 vcc, 0
	s_subb_u32 s3, s1, 0
	v_cmp_le_u32_e32 vcc, s33, v4
	s_cmp_eq_u32 s1, 0
	v_cndmask_b32_e64 v8, 0, -1, vcc
	s_cselect_b64 vcc, -1, 0
	v_cndmask_b32_e32 v8, -1, v8, vcc
	v_mov_b32_e32 v9, s1
	v_mov_b32_e32 v10, s3
	v_cmp_ne_u32_e32 vcc, 0, v8
	v_cndmask_b32_e32 v8, v9, v10, vcc
	v_cndmask_b32_e32 v4, v4, v5, vcc
	v_cmp_le_u32_e32 vcc, s33, v3
	s_cmp_eq_u32 s0, 0
	v_cndmask_b32_e64 v5, 0, -1, vcc
	s_cselect_b64 vcc, -1, 0
	v_cndmask_b32_e32 v5, -1, v5, vcc
	v_mov_b32_e32 v9, s0
	v_cmp_ne_u32_e32 vcc, 0, v5
	v_cndmask_b32_e32 v5, v9, v8, vcc
	v_cndmask_b32_e32 v4, v3, v4, vcc
	s_mov_b64 s[0:1], 0
	s_branch .LBB165_271
.LBB165_270:                            ;   in Loop: Header=BB165_31 Depth=1
	s_mov_b64 s[0:1], -1
                                        ; implicit-def: $vgpr4_vgpr5
.LBB165_271:                            ;   in Loop: Header=BB165_31 Depth=1
	s_andn2_b64 vcc, exec, s[0:1]
	s_cbranch_vccnz .LBB165_273
; %bb.272:                              ;   in Loop: Header=BB165_31 Depth=1
	v_cvt_f32_u32_e32 v3, s33
	s_sub_i32 s0, 0, s33
	v_rcp_iflag_f32_e32 v3, v3
	v_mul_f32_e32 v3, 0x4f7ffffe, v3
	v_cvt_u32_f32_e32 v3, v3
	v_mul_lo_u32 v4, s0, v3
	v_mul_hi_u32 v4, v3, v4
	v_add_u32_e32 v3, v3, v4
	v_readlane_b32 s0, v73, 29
	v_mul_hi_u32 v3, s0, v3
	v_mul_lo_u32 v3, v3, s33
	v_sub_u32_e32 v3, s0, v3
	v_subrev_u32_e32 v4, s33, v3
	v_cmp_le_u32_e32 vcc, s33, v3
	v_cndmask_b32_e32 v3, v3, v4, vcc
	v_subrev_u32_e32 v4, s33, v3
	v_cmp_le_u32_e32 vcc, s33, v3
	v_cndmask_b32_e32 v20, v3, v4, vcc
	v_pk_mov_b32 v[4:5], v[20:21], v[20:21] op_sel:[0,1]
.LBB165_273:                            ;   in Loop: Header=BB165_31 Depth=1
	v_readlane_b32 s0, v73, 31
	v_readlane_b32 s1, v73, 32
	v_readlane_b32 s0, v73, 29
	v_mov_b32_e32 v3, s1
	v_sub_co_u32_e32 v42, vcc, s0, v4
	v_subb_co_u32_e32 v43, vcc, v3, v5, vcc
	v_cmp_gt_u64_e32 vcc, v[42:43], v[0:1]
	s_mov_b64 s[88:89], 0
                                        ; implicit-def: $vgpr10_vgpr11
	s_and_saveexec_b64 s[0:1], vcc
	s_cbranch_execz .LBB165_282
; %bb.274:                              ;   in Loop: Header=BB165_31 Depth=1
	s_mov_b64 s[80:81], 0
	v_pk_mov_b32 v[44:45], v[32:33], v[32:33] op_sel:[0,1]
	v_pk_mov_b32 v[46:47], v[0:1], v[0:1] op_sel:[0,1]
                                        ; implicit-def: $sgpr66_sgpr67
	s_branch .LBB165_276
.LBB165_275:                            ;   in Loop: Header=BB165_276 Depth=2
	s_or_b64 exec, exec, s[88:89]
	s_waitcnt lgkmcnt(0)
	s_barrier
	ds_read_b128 v[8:11], v21 offset:3072
	v_mov_b32_e32 v3, s92
	v_add_co_u32_e32 v46, vcc, s33, v46
	v_addc_co_u32_e32 v47, vcc, v47, v3, vcc
	s_waitcnt lgkmcnt(0)
	v_readfirstlane_b32 s31, v9
	v_readfirstlane_b32 s30, v8
	s_cmp_lg_u64 s[30:31], 0
	s_cselect_b64 s[30:31], -1, 0
	v_cmp_ge_u64_e32 vcc, v[46:47], v[42:43]
	s_or_b64 s[88:89], vcc, s[30:31]
	s_and_b64 s[88:89], exec, s[88:89]
	s_or_b64 s[80:81], s[88:89], s[80:81]
	v_mov_b32_e32 v3, s65
	v_add_co_u32_e32 v44, vcc, s64, v44
	s_andn2_b64 s[66:67], s[66:67], exec
	s_and_b64 s[30:31], s[30:31], exec
	v_addc_co_u32_e32 v45, vcc, v45, v3, vcc
	s_or_b64 s[66:67], s[66:67], s[30:31]
	s_barrier
	s_andn2_b64 exec, exec, s[80:81]
	s_cbranch_execz .LBB165_281
.LBB165_276:                            ;   Parent Loop BB165_31 Depth=1
                                        ; =>  This Inner Loop Header: Depth=2
	v_cmp_gt_u64_e32 vcc, s[60:61], v[46:47]
	s_waitcnt vmcnt(0)
	v_pk_mov_b32 v[4:5], 0, 0
	s_and_saveexec_b64 s[88:89], vcc
	s_cbranch_execz .LBB165_278
; %bb.277:                              ;   in Loop: Header=BB165_276 Depth=2
	global_load_dwordx2 v[4:5], v[44:45], off
.LBB165_278:                            ;   in Loop: Header=BB165_276 Depth=2
	s_or_b64 exec, exec, s[88:89]
	s_and_saveexec_b64 s[88:89], vcc
	s_cbranch_execz .LBB165_275
; %bb.279:                              ;   in Loop: Header=BB165_276 Depth=2
	s_waitcnt vmcnt(0)
	v_xor_b32_e32 v3, 0x80000000, v5
	v_and_b32_e32 v9, v3, v15
	v_and_b32_e32 v8, v4, v14
	v_cmp_eq_u64_e32 vcc, v[8:9], v[12:13]
	s_and_b64 exec, exec, vcc
	s_cbranch_execz .LBB165_275
; %bb.280:                              ;   in Loop: Header=BB165_276 Depth=2
	v_mov_b32_e32 v3, v21
	ds_write_b128 v21, v[2:5] offset:3072
	s_branch .LBB165_275
.LBB165_281:                            ;   in Loop: Header=BB165_31 Depth=1
	s_or_b64 exec, exec, s[80:81]
	s_and_b64 s[88:89], s[66:67], exec
.LBB165_282:                            ;   in Loop: Header=BB165_31 Depth=1
	s_or_b64 exec, exec, s[0:1]
	s_mov_b64 s[80:81], -1
	s_mov_b64 s[0:1], 0
	s_mov_b64 s[66:67], 0
.LBB165_283:                            ;   in Loop: Header=BB165_31 Depth=1
	s_orn2_b64 s[88:89], s[88:89], exec
.LBB165_284:                            ;   in Loop: Header=BB165_31 Depth=1
	s_or_b64 exec, exec, s[68:69]
	s_mov_b64 s[90:91], 0
                                        ; implicit-def: $vgpr3
                                        ; implicit-def: $vgpr4_vgpr5
	s_and_saveexec_b64 s[68:69], s[88:89]
	v_readlane_b32 vcc_lo, v72, 4
	v_readlane_b32 vcc_hi, v72, 5
	s_cbranch_execz .LBB165_296
; %bb.285:                              ;   in Loop: Header=BB165_31 Depth=1
	v_readlane_b32 s30, v72, 6
	v_readlane_b32 s31, v72, 7
	s_waitcnt vmcnt(0)
	v_mov_b32_e32 v4, 1
	s_xor_b64 s[30:31], s[30:31], -1
	v_mov_b32_e32 v3, 1
	v_mov_b32_e32 v5, 0
	s_and_saveexec_b64 s[88:89], s[30:31]
	s_cbranch_execz .LBB165_295
; %bb.286:                              ;   in Loop: Header=BB165_31 Depth=1
	v_cmp_ge_u64_e32 vcc, s[28:29], v[40:41]
                                        ; implicit-def: $sgpr3
	s_and_saveexec_b64 s[30:31], vcc
	s_xor_b64 s[90:91], exec, s[30:31]
	s_cbranch_execz .LBB165_292
; %bb.287:                              ;   in Loop: Header=BB165_31 Depth=1
	ds_read_b64 v[4:5], v21 offset:5120
	s_waitcnt lgkmcnt(0)
	v_cmp_ne_u64_e32 vcc, 0, v[4:5]
	s_cbranch_vccnz .LBB165_291
; %bb.288:                              ;   in Loop: Header=BB165_31 Depth=1
	s_mov_b64 s[94:95], exec
	v_readlane_b32 s30, v73, 10
	v_readlane_b32 s31, v73, 11
	s_and_b64 s[30:31], s[94:95], s[30:31]
	s_mov_b64 exec, s[30:31]
	s_cbranch_execz .LBB165_290
; %bb.289:                              ;   in Loop: Header=BB165_31 Depth=1
	v_pk_mov_b32 v[4:5], s[28:29], s[28:29] op_sel:[0,1]
	ds_write_b64 v21, v[4:5] offset:5128
.LBB165_290:                            ;   in Loop: Header=BB165_31 Depth=1
	s_or_b64 exec, exec, s[94:95]
	s_waitcnt lgkmcnt(0)
	s_barrier
.LBB165_291:                            ;   in Loop: Header=BB165_31 Depth=1
	v_or_b32_e32 v13, s19, v13
	v_or_b32_e32 v12, s18, v12
	;; [unrolled: 1-line block ×4, first 2 shown]
	s_mov_b32 s3, 8
.LBB165_292:                            ;   in Loop: Header=BB165_31 Depth=1
	s_or_saveexec_b64 s[90:91], s[90:91]
	v_mov_b32_e32 v3, s3
	s_xor_b64 exec, exec, s[90:91]
; %bb.293:                              ;   in Loop: Header=BB165_31 Depth=1
	v_mov_b32_e32 v3, s29
	v_subrev_co_u32_e32 v40, vcc, s28, v40
	v_subb_co_u32_e32 v41, vcc, v41, v3, vcc
	v_mov_b32_e32 v3, 8
; %bb.294:                              ;   in Loop: Header=BB165_31 Depth=1
	s_or_b64 exec, exec, s[90:91]
	v_readlane_b32 s94, v73, 52
	v_readlane_b32 vcc_lo, v72, 4
	v_pk_mov_b32 v[4:5], v[40:41], v[40:41] op_sel:[0,1]
	v_readlane_b32 s95, v73, 53
	v_readlane_b32 vcc_hi, v72, 5
.LBB165_295:                            ;   in Loop: Header=BB165_31 Depth=1
	s_or_b64 exec, exec, s[88:89]
	s_mov_b64 s[90:91], exec
.LBB165_296:                            ;   in Loop: Header=BB165_31 Depth=1
	s_or_b64 exec, exec, s[68:69]
	s_orn2_b64 s[68:69], s[90:91], exec
	s_waitcnt vmcnt(0)
	v_pk_mov_b32 v[40:41], v[4:5], v[4:5] op_sel:[0,1]
.LBB165_297:                            ;   in Loop: Header=BB165_31 Depth=1
	v_readlane_b32 s30, v72, 2
	v_readlane_b32 s31, v72, 3
	s_or_b64 exec, exec, s[30:31]
	s_andn2_b64 s[30:31], s[52:53], exec
	s_and_b64 s[0:1], s[0:1], exec
	s_or_b64 s[52:53], s[30:31], s[0:1]
	v_readlane_b32 s0, v72, 0
	v_readlane_b32 s1, v72, 1
	s_andn2_b64 s[0:1], s[0:1], exec
	s_and_b64 s[30:31], s[80:81], exec
	s_or_b64 s[0:1], s[0:1], s[30:31]
	v_writelane_b32 v72, s0, 0
	v_writelane_b32 v72, s1, 1
	s_andn2_b64 s[0:1], vcc, exec
	s_and_b64 s[30:31], s[66:67], exec
	s_or_b64 vcc, s[0:1], s[30:31]
	s_and_b64 s[0:1], s[68:69], exec
	v_pk_mov_b32 v[42:43], v[40:41], v[40:41] op_sel:[0,1]
.LBB165_298:                            ;   in Loop: Header=BB165_31 Depth=1
	s_or_b64 exec, exec, s[54:55]
	v_readlane_b32 s30, v72, 0
	v_readlane_b32 s31, v72, 1
	s_and_b64 s[66:67], s[52:53], exec
	s_and_b64 s[54:55], s[30:31], exec
	s_and_b64 s[52:53], vcc, exec
	s_orn2_b64 s[0:1], s[0:1], exec
.LBB165_299:                            ;   in Loop: Header=BB165_31 Depth=1
	s_or_b64 exec, exec, s[50:51]
	s_andn2_b64 s[30:31], s[34:35], exec
	s_and_b64 s[34:35], s[66:67], exec
	s_or_b64 s[34:35], s[30:31], s[34:35]
	s_andn2_b64 s[30:31], s[46:47], exec
	s_and_b64 s[46:47], s[54:55], exec
	s_or_b64 s[46:47], s[30:31], s[46:47]
	;; [unrolled: 3-line block ×3, first 2 shown]
	s_and_b64 s[52:53], s[0:1], exec
	v_pk_mov_b32 v[40:41], v[42:43], v[42:43] op_sel:[0,1]
.LBB165_300:                            ;   in Loop: Header=BB165_31 Depth=1
	s_or_b64 exec, exec, s[48:49]
	s_and_b64 s[48:49], s[34:35], exec
	s_and_b64 s[34:35], s[46:47], exec
	;; [unrolled: 1-line block ×3, first 2 shown]
	s_orn2_b64 s[46:47], s[52:53], exec
.LBB165_301:                            ;   in Loop: Header=BB165_31 Depth=1
	s_or_b64 exec, exec, s[6:7]
	s_mov_b64 s[6:7], 0
	s_mov_b64 s[36:37], 0
	s_and_saveexec_b64 s[30:31], s[46:47]
	s_xor_b64 s[46:47], exec, s[30:31]
; %bb.302:                              ;   in Loop: Header=BB165_31 Depth=1
	v_cmp_eq_u32_e32 vcc, 8, v3
	v_cmp_ne_u32_e64 s[6:7], 8, v3
	s_andn2_b64 s[48:49], s[48:49], exec
	s_andn2_b64 s[34:35], s[34:35], exec
	;; [unrolled: 1-line block ×3, first 2 shown]
	s_and_b64 s[36:37], s[6:7], exec
	s_and_b64 s[6:7], vcc, exec
; %bb.303:                              ;   in Loop: Header=BB165_31 Depth=1
	s_or_b64 exec, exec, s[46:47]
	s_andn2_b64 s[24:25], s[24:25], exec
	s_and_b64 s[30:31], s[48:49], exec
	s_or_b64 s[24:25], s[24:25], s[30:31]
	s_andn2_b64 s[30:31], s[40:41], exec
	s_and_b64 s[34:35], s[34:35], exec
	s_or_b64 s[40:41], s[30:31], s[34:35]
	;; [unrolled: 3-line block ×3, first 2 shown]
	s_and_b64 s[34:35], s[36:37], exec
	s_and_b64 s[36:37], s[6:7], exec
.LBB165_304:                            ;   in Loop: Header=BB165_31 Depth=1
	s_or_b64 exec, exec, s[44:45]
	s_and_b64 vcc, exec, s[42:43]
	s_cbranch_vccz .LBB165_119
.LBB165_305:                            ;   in Loop: Header=BB165_31 Depth=1
	s_cmp_eq_u64 s[28:29], 1
	s_cselect_b64 s[0:1], -1, 0
	s_and_b64 s[6:7], s[0:1], s[14:15]
	s_mov_b64 s[0:1], -1
                                        ; implicit-def: $sgpr14_sgpr15
                                        ; implicit-def: $sgpr42_sgpr43
                                        ; implicit-def: $sgpr24_sgpr25
	s_and_saveexec_b64 s[38:39], s[6:7]
	s_cbranch_execz .LBB165_337
; %bb.306:                              ;   in Loop: Header=BB165_31 Depth=1
	s_waitcnt vmcnt(0)
	ds_read_b64 v[4:5], v21 offset:5120
	s_waitcnt lgkmcnt(0)
	s_barrier
	v_readfirstlane_b32 s0, v4
	v_readfirstlane_b32 s1, v5
	s_mov_b64 s[14:15], exec
	v_readlane_b32 s24, v73, 24
	v_readlane_b32 s25, v73, 25
	s_and_b64 s[24:25], s[14:15], s[24:25]
	s_mov_b64 exec, s[24:25]
	s_cbranch_execz .LBB165_308
; %bb.307:                              ;   in Loop: Header=BB165_31 Depth=1
	v_mov_b32_e32 v20, v21
	ds_write_b64 v58, v[20:21]
.LBB165_308:                            ;   in Loop: Header=BB165_31 Depth=1
	s_or_b64 exec, exec, s[14:15]
	v_or_b32_e32 v37, s19, v37
	v_or_b32_e32 v36, s18, v36
	v_or_b32_e32 v35, s19, v35
	v_or_b32_e32 v34, s18, v34
	s_cmp_eq_u64 s[0:1], 0
	s_waitcnt lgkmcnt(0)
	s_barrier
	s_cbranch_scc1 .LBB165_320
; %bb.309:                              ;   in Loop: Header=BB165_31 Depth=1
	v_readlane_b32 s3, v73, 28
	s_add_u32 s3, s3, s0
	v_readlane_b32 s14, v73, 30
	s_addc_u32 s15, s14, s1
	s_mov_b32 s14, s87
	s_cmp_lg_u64 s[14:15], 0
	s_cbranch_scc0 .LBB165_364
; %bb.310:                              ;   in Loop: Header=BB165_31 Depth=1
	v_cvt_f32_u32_e32 v3, s33
	s_sub_u32 s14, 0, s33
	s_subb_u32 s24, 0, 0
	v_mac_f32_e32 v3, 0, v61
	v_rcp_f32_e32 v3, v3
	v_mul_f32_e32 v3, 0x5f7ffffc, v3
	v_mul_f32_e32 v4, 0x2f800000, v3
	v_trunc_f32_e32 v4, v4
	v_mac_f32_e32 v3, 0xcf800000, v4
	v_cvt_u32_f32_e32 v4, v4
	v_cvt_u32_f32_e32 v3, v3
	v_readfirstlane_b32 s25, v4
	v_readfirstlane_b32 s30, v3
	s_mul_i32 s31, s14, s25
	s_mul_hi_u32 s41, s14, s30
	s_mul_i32 s40, s24, s30
	s_add_i32 s31, s41, s31
	s_mul_i32 s42, s14, s30
	s_add_i32 s31, s31, s40
	s_mul_hi_u32 s41, s30, s42
	s_mul_hi_u32 s40, s30, s31
	s_mul_i32 s30, s30, s31
	s_add_u32 s30, s41, s30
	s_addc_u32 s40, 0, s40
	s_mul_hi_u32 s43, s25, s42
	s_mul_i32 s42, s25, s42
	s_add_u32 s30, s30, s42
	s_mul_hi_u32 s41, s25, s31
	s_addc_u32 s30, s40, s43
	s_addc_u32 s40, s41, 0
	s_mul_i32 s31, s25, s31
	s_add_u32 s30, s30, s31
	s_addc_u32 s31, 0, s40
	v_add_co_u32_e32 v3, vcc, s30, v3
	s_cmp_lg_u64 vcc, 0
	s_addc_u32 s25, s25, s31
	v_readfirstlane_b32 s31, v3
	s_mul_i32 s30, s14, s25
	s_mul_hi_u32 s40, s14, s31
	s_add_i32 s30, s40, s30
	s_mul_i32 s24, s24, s31
	s_add_i32 s30, s30, s24
	s_mul_i32 s14, s14, s31
	s_mul_hi_u32 s40, s25, s14
	s_mul_i32 s41, s25, s14
	s_mul_i32 s43, s31, s30
	s_mul_hi_u32 s14, s31, s14
	s_mul_hi_u32 s42, s31, s30
	s_add_u32 s14, s14, s43
	s_addc_u32 s31, 0, s42
	s_add_u32 s14, s14, s41
	s_mul_hi_u32 s24, s25, s30
	s_addc_u32 s14, s31, s40
	s_addc_u32 s24, s24, 0
	s_mul_i32 s30, s25, s30
	s_add_u32 s14, s14, s30
	s_addc_u32 s24, 0, s24
	v_add_co_u32_e32 v3, vcc, s14, v3
	s_cmp_lg_u64 vcc, 0
	s_addc_u32 s14, s25, s24
	v_readfirstlane_b32 s30, v3
	s_mul_i32 s25, s3, s14
	s_mul_hi_u32 s31, s3, s30
	s_mul_hi_u32 s24, s3, s14
	s_add_u32 s25, s31, s25
	s_addc_u32 s24, 0, s24
	s_mul_hi_u32 s40, s15, s30
	s_mul_i32 s30, s15, s30
	s_add_u32 s25, s25, s30
	s_mul_hi_u32 s31, s15, s14
	s_addc_u32 s24, s24, s40
	s_addc_u32 s25, s31, 0
	s_mul_i32 s14, s15, s14
	s_add_u32 s14, s24, s14
	s_addc_u32 s24, 0, s25
	s_mul_hi_u32 s25, s33, s14
	s_mul_i32 s14, s33, s14
	s_mul_i32 s24, s33, s24
	v_mov_b32_e32 v3, s14
	s_add_i32 s25, s25, s24
	v_sub_co_u32_e32 v3, vcc, s3, v3
	s_cmp_lg_u64 vcc, 0
	s_subb_u32 s14, s15, s25
	v_subrev_co_u32_e32 v4, vcc, s33, v3
	s_cmp_lg_u64 vcc, 0
	s_subb_u32 s24, s14, 0
	v_subrev_co_u32_e32 v5, vcc, s33, v4
	s_cmp_lg_u64 vcc, 0
	s_subb_u32 s25, s24, 0
	v_cmp_le_u32_e32 vcc, s33, v4
	s_cmp_eq_u32 s24, 0
	v_cndmask_b32_e64 v6, 0, -1, vcc
	s_cselect_b64 vcc, -1, 0
	v_cndmask_b32_e32 v6, -1, v6, vcc
	v_mov_b32_e32 v7, s24
	v_mov_b32_e32 v8, s25
	v_cmp_ne_u32_e32 vcc, 0, v6
	v_cndmask_b32_e32 v6, v7, v8, vcc
	v_cndmask_b32_e32 v4, v4, v5, vcc
	v_cmp_le_u32_e32 vcc, s33, v3
	s_cmp_eq_u32 s14, 0
	v_cndmask_b32_e64 v5, 0, -1, vcc
	s_cselect_b64 vcc, -1, 0
	v_cndmask_b32_e32 v5, -1, v5, vcc
	v_mov_b32_e32 v7, s14
	v_cmp_ne_u32_e32 vcc, 0, v5
	v_cndmask_b32_e32 v5, v7, v6, vcc
	v_cndmask_b32_e32 v4, v3, v4, vcc
	s_cbranch_execnz .LBB165_312
.LBB165_311:                            ;   in Loop: Header=BB165_31 Depth=1
	v_cvt_f32_u32_e32 v3, s33
	s_sub_i32 s14, 0, s33
	v_rcp_iflag_f32_e32 v3, v3
	v_mul_f32_e32 v3, 0x4f7ffffe, v3
	v_cvt_u32_f32_e32 v3, v3
	v_mul_lo_u32 v4, s14, v3
	v_mul_hi_u32 v4, v3, v4
	v_add_u32_e32 v3, v3, v4
	v_mul_hi_u32 v3, s3, v3
	v_mul_lo_u32 v3, v3, s33
	v_sub_u32_e32 v3, s3, v3
	v_subrev_u32_e32 v4, s33, v3
	v_cmp_le_u32_e32 vcc, s33, v3
	v_cndmask_b32_e32 v3, v3, v4, vcc
	v_subrev_u32_e32 v4, s33, v3
	v_cmp_le_u32_e32 vcc, s33, v3
	v_cndmask_b32_e32 v20, v3, v4, vcc
	v_pk_mov_b32 v[4:5], v[20:21], v[20:21] op_sel:[0,1]
.LBB165_312:                            ;   in Loop: Header=BB165_31 Depth=1
	v_mov_b32_e32 v3, s15
	v_sub_co_u32_e32 v8, vcc, s3, v4
	v_subb_co_u32_e32 v9, vcc, v3, v5, vcc
	v_cmp_gt_u64_e32 vcc, v[8:9], v[0:1]
	s_mov_b64 s[40:41], 0
                                        ; implicit-def: $vgpr6_vgpr7
	s_and_saveexec_b64 s[14:15], vcc
	s_cbranch_execz .LBB165_322
; %bb.313:                              ;   in Loop: Header=BB165_31 Depth=1
	v_mov_b32_e32 v12, v57
	v_pk_mov_b32 v[10:11], v[0:1], v[0:1] op_sel:[0,1]
                                        ; implicit-def: $sgpr24_sgpr25
	s_branch .LBB165_315
.LBB165_314:                            ;   in Loop: Header=BB165_315 Depth=2
	s_or_b64 exec, exec, s[42:43]
	s_waitcnt lgkmcnt(0)
	s_barrier
	ds_read_b128 v[4:7], v21 offset:3072
	v_mov_b32_e32 v3, s92
	v_add_co_u32_e32 v10, vcc, s33, v10
	v_addc_co_u32_e32 v11, vcc, v11, v3, vcc
	s_waitcnt lgkmcnt(0)
	v_readfirstlane_b32 s31, v5
	v_readfirstlane_b32 s30, v4
	s_cmp_lg_u64 s[30:31], 0
	s_cselect_b64 s[30:31], -1, 0
	v_cmp_ge_u64_e32 vcc, v[10:11], v[8:9]
	s_or_b64 s[42:43], vcc, s[30:31]
	s_and_b64 s[42:43], exec, s[42:43]
	s_or_b64 s[40:41], s[42:43], s[40:41]
	s_andn2_b64 s[24:25], s[24:25], exec
	s_and_b64 s[30:31], s[30:31], exec
	v_add_u32_e32 v12, s2, v12
	s_or_b64 s[24:25], s[24:25], s[30:31]
	s_barrier
	s_andn2_b64 exec, exec, s[40:41]
	s_cbranch_execz .LBB165_321
.LBB165_315:                            ;   Parent Loop BB165_31 Depth=1
                                        ; =>  This Inner Loop Header: Depth=2
	v_cmp_gt_u64_e32 vcc, s[0:1], v[10:11]
	v_pk_mov_b32 v[4:5], 0, 0
	s_and_saveexec_b64 s[42:43], vcc
	s_cbranch_execz .LBB165_317
; %bb.316:                              ;   in Loop: Header=BB165_315 Depth=2
	ds_read_b64 v[4:5], v12
.LBB165_317:                            ;   in Loop: Header=BB165_315 Depth=2
	s_or_b64 exec, exec, s[42:43]
	s_and_saveexec_b64 s[42:43], vcc
	s_cbranch_execz .LBB165_314
; %bb.318:                              ;   in Loop: Header=BB165_315 Depth=2
	s_waitcnt lgkmcnt(0)
	v_xor_b32_e32 v3, 0x80000000, v5
	v_and_b32_e32 v7, v3, v35
	v_and_b32_e32 v6, v4, v34
	v_cmp_eq_u64_e32 vcc, v[6:7], v[36:37]
	s_and_b64 exec, exec, vcc
	s_cbranch_execz .LBB165_314
; %bb.319:                              ;   in Loop: Header=BB165_315 Depth=2
	v_mov_b32_e32 v3, v21
	ds_write_b128 v21, v[2:5] offset:3072
	s_branch .LBB165_314
.LBB165_320:                            ;   in Loop: Header=BB165_31 Depth=1
	s_mov_b64 s[14:15], -1
	s_mov_b64 s[40:41], 0
                                        ; implicit-def: $sgpr42_sgpr43
                                        ; implicit-def: $vgpr6_vgpr7
	s_mov_b64 s[24:25], s[14:15]
	s_cbranch_execnz .LBB165_323
	s_branch .LBB165_336
.LBB165_321:                            ;   in Loop: Header=BB165_31 Depth=1
	s_or_b64 exec, exec, s[40:41]
	s_and_b64 s[40:41], s[24:25], exec
.LBB165_322:                            ;   in Loop: Header=BB165_31 Depth=1
	s_or_b64 exec, exec, s[14:15]
	s_mov_b64 s[14:15], 0
	s_mov_b64 s[42:43], -1
	s_mov_b64 s[24:25], s[14:15]
	s_branch .LBB165_336
.LBB165_323:                            ;   in Loop: Header=BB165_31 Depth=1
	v_readlane_b32 s40, v73, 31
	v_readlane_b32 s41, v73, 32
	s_mov_b32 s40, s87
	s_cmp_lg_u64 s[40:41], 0
	v_writelane_b32 v73, s40, 31
	v_writelane_b32 v73, s41, 32
	s_cbranch_scc0 .LBB165_365
; %bb.324:                              ;   in Loop: Header=BB165_31 Depth=1
	v_cvt_f32_u32_e32 v3, s33
	s_sub_u32 s0, 0, s33
	s_subb_u32 s1, 0, 0
	v_mac_f32_e32 v3, 0, v61
	v_rcp_f32_e32 v3, v3
	v_mul_f32_e32 v3, 0x5f7ffffc, v3
	v_mul_f32_e32 v4, 0x2f800000, v3
	v_trunc_f32_e32 v4, v4
	v_mac_f32_e32 v3, 0xcf800000, v4
	v_cvt_u32_f32_e32 v4, v4
	v_cvt_u32_f32_e32 v3, v3
	v_readfirstlane_b32 s3, v4
	v_readfirstlane_b32 s14, v3
	s_mul_i32 s15, s0, s3
	s_mul_hi_u32 s25, s0, s14
	s_mul_i32 s24, s1, s14
	s_add_i32 s15, s25, s15
	s_mul_i32 s30, s0, s14
	s_add_i32 s15, s15, s24
	s_mul_hi_u32 s25, s14, s30
	s_mul_hi_u32 s24, s14, s15
	s_mul_i32 s14, s14, s15
	s_add_u32 s14, s25, s14
	s_addc_u32 s24, 0, s24
	s_mul_hi_u32 s31, s3, s30
	s_mul_i32 s30, s3, s30
	s_add_u32 s14, s14, s30
	s_mul_hi_u32 s25, s3, s15
	s_addc_u32 s14, s24, s31
	s_addc_u32 s24, s25, 0
	s_mul_i32 s15, s3, s15
	s_add_u32 s14, s14, s15
	s_addc_u32 s15, 0, s24
	v_add_co_u32_e32 v3, vcc, s14, v3
	s_cmp_lg_u64 vcc, 0
	s_addc_u32 s3, s3, s15
	v_readfirstlane_b32 s15, v3
	s_mul_i32 s14, s0, s3
	s_mul_hi_u32 s24, s0, s15
	s_add_i32 s14, s24, s14
	s_mul_i32 s1, s1, s15
	s_add_i32 s14, s14, s1
	s_mul_i32 s0, s0, s15
	s_mul_hi_u32 s24, s3, s0
	s_mul_i32 s25, s3, s0
	s_mul_i32 s31, s15, s14
	s_mul_hi_u32 s0, s15, s0
	s_mul_hi_u32 s30, s15, s14
	s_add_u32 s0, s0, s31
	s_addc_u32 s15, 0, s30
	s_add_u32 s0, s0, s25
	s_mul_hi_u32 s1, s3, s14
	s_addc_u32 s0, s15, s24
	s_addc_u32 s1, s1, 0
	s_mul_i32 s14, s3, s14
	s_add_u32 s0, s0, s14
	s_addc_u32 s1, 0, s1
	v_add_co_u32_e32 v3, vcc, s0, v3
	s_cmp_lg_u64 vcc, 0
	s_addc_u32 s0, s3, s1
	v_readlane_b32 s25, v73, 29
	v_readfirstlane_b32 s14, v3
	s_mul_i32 s3, s25, s0
	s_mul_hi_u32 s15, s25, s14
	s_mul_hi_u32 s1, s25, s0
	s_add_u32 s3, s15, s3
	s_addc_u32 s1, 0, s1
	s_mul_hi_u32 s24, s41, s14
	s_mul_i32 s14, s41, s14
	s_add_u32 s3, s3, s14
	s_mul_hi_u32 s15, s41, s0
	s_addc_u32 s1, s1, s24
	s_addc_u32 s3, s15, 0
	s_mul_i32 s0, s41, s0
	s_add_u32 s0, s1, s0
	s_addc_u32 s1, 0, s3
	s_mul_hi_u32 s3, s33, s0
	s_mul_i32 s0, s33, s0
	s_mul_i32 s1, s33, s1
	v_mov_b32_e32 v3, s0
	s_add_i32 s3, s3, s1
	v_sub_co_u32_e32 v3, vcc, s25, v3
	s_cmp_lg_u64 vcc, 0
	s_subb_u32 s0, s41, s3
	v_subrev_co_u32_e32 v4, vcc, s33, v3
	s_cmp_lg_u64 vcc, 0
	s_subb_u32 s1, s0, 0
	v_subrev_co_u32_e32 v5, vcc, s33, v4
	s_cmp_lg_u64 vcc, 0
	s_subb_u32 s3, s1, 0
	v_cmp_le_u32_e32 vcc, s33, v4
	s_cmp_eq_u32 s1, 0
	v_cndmask_b32_e64 v6, 0, -1, vcc
	s_cselect_b64 vcc, -1, 0
	v_cndmask_b32_e32 v6, -1, v6, vcc
	v_mov_b32_e32 v7, s1
	v_mov_b32_e32 v8, s3
	v_cmp_ne_u32_e32 vcc, 0, v6
	v_cndmask_b32_e32 v6, v7, v8, vcc
	v_cndmask_b32_e32 v4, v4, v5, vcc
	v_cmp_le_u32_e32 vcc, s33, v3
	s_cmp_eq_u32 s0, 0
	v_cndmask_b32_e64 v5, 0, -1, vcc
	s_cselect_b64 vcc, -1, 0
	v_cndmask_b32_e32 v5, -1, v5, vcc
	v_mov_b32_e32 v7, s0
	v_cmp_ne_u32_e32 vcc, 0, v5
	v_cndmask_b32_e32 v5, v7, v6, vcc
	v_cndmask_b32_e32 v4, v3, v4, vcc
	s_cbranch_execnz .LBB165_326
.LBB165_325:                            ;   in Loop: Header=BB165_31 Depth=1
	v_cvt_f32_u32_e32 v3, s33
	s_sub_i32 s0, 0, s33
	v_rcp_iflag_f32_e32 v3, v3
	v_mul_f32_e32 v3, 0x4f7ffffe, v3
	v_cvt_u32_f32_e32 v3, v3
	v_mul_lo_u32 v4, s0, v3
	v_mul_hi_u32 v4, v3, v4
	v_add_u32_e32 v3, v3, v4
	v_readlane_b32 s0, v73, 29
	v_mul_hi_u32 v3, s0, v3
	v_mul_lo_u32 v3, v3, s33
	v_sub_u32_e32 v3, s0, v3
	v_subrev_u32_e32 v4, s33, v3
	v_cmp_le_u32_e32 vcc, s33, v3
	v_cndmask_b32_e32 v3, v3, v4, vcc
	v_subrev_u32_e32 v4, s33, v3
	v_cmp_le_u32_e32 vcc, s33, v3
	v_cndmask_b32_e32 v20, v3, v4, vcc
	v_pk_mov_b32 v[4:5], v[20:21], v[20:21] op_sel:[0,1]
.LBB165_326:                            ;   in Loop: Header=BB165_31 Depth=1
	v_readlane_b32 s0, v73, 31
	v_readlane_b32 s1, v73, 32
	;; [unrolled: 1-line block ×3, first 2 shown]
	v_mov_b32_e32 v3, s1
	v_sub_co_u32_e32 v8, vcc, s0, v4
	v_subb_co_u32_e32 v9, vcc, v3, v5, vcc
	v_cmp_gt_u64_e32 vcc, v[8:9], v[0:1]
	s_mov_b64 s[40:41], 0
                                        ; implicit-def: $vgpr6_vgpr7
	s_and_saveexec_b64 s[0:1], vcc
	s_cbranch_execz .LBB165_335
; %bb.327:                              ;   in Loop: Header=BB165_31 Depth=1
	s_mov_b64 s[24:25], 0
	v_pk_mov_b32 v[10:11], v[32:33], v[32:33] op_sel:[0,1]
	v_pk_mov_b32 v[12:13], v[0:1], v[0:1] op_sel:[0,1]
                                        ; implicit-def: $sgpr14_sgpr15
	s_branch .LBB165_329
.LBB165_328:                            ;   in Loop: Header=BB165_329 Depth=2
	s_or_b64 exec, exec, s[40:41]
	s_waitcnt lgkmcnt(0)
	s_barrier
	s_waitcnt vmcnt(0)
	ds_read_b128 v[4:7], v21 offset:3072
	v_mov_b32_e32 v3, s92
	v_add_co_u32_e32 v12, vcc, s33, v12
	v_addc_co_u32_e32 v13, vcc, v13, v3, vcc
	s_waitcnt lgkmcnt(0)
	v_readfirstlane_b32 s31, v5
	v_readfirstlane_b32 s30, v4
	s_cmp_lg_u64 s[30:31], 0
	s_cselect_b64 s[30:31], -1, 0
	v_cmp_ge_u64_e32 vcc, v[12:13], v[8:9]
	s_or_b64 s[40:41], vcc, s[30:31]
	s_and_b64 s[40:41], exec, s[40:41]
	s_or_b64 s[24:25], s[40:41], s[24:25]
	v_mov_b32_e32 v3, s65
	v_add_co_u32_e32 v10, vcc, s64, v10
	s_andn2_b64 s[14:15], s[14:15], exec
	s_and_b64 s[30:31], s[30:31], exec
	v_addc_co_u32_e32 v11, vcc, v11, v3, vcc
	s_or_b64 s[14:15], s[14:15], s[30:31]
	s_barrier
	s_andn2_b64 exec, exec, s[24:25]
	s_cbranch_execz .LBB165_334
.LBB165_329:                            ;   Parent Loop BB165_31 Depth=1
                                        ; =>  This Inner Loop Header: Depth=2
	v_cmp_gt_u64_e32 vcc, s[60:61], v[12:13]
	v_pk_mov_b32 v[4:5], 0, 0
	s_and_saveexec_b64 s[40:41], vcc
	s_cbranch_execz .LBB165_331
; %bb.330:                              ;   in Loop: Header=BB165_329 Depth=2
	global_load_dwordx2 v[4:5], v[10:11], off
.LBB165_331:                            ;   in Loop: Header=BB165_329 Depth=2
	s_or_b64 exec, exec, s[40:41]
	s_and_saveexec_b64 s[40:41], vcc
	s_cbranch_execz .LBB165_328
; %bb.332:                              ;   in Loop: Header=BB165_329 Depth=2
	s_waitcnt vmcnt(0)
	v_xor_b32_e32 v3, 0x80000000, v5
	v_and_b32_e32 v7, v3, v35
	v_and_b32_e32 v6, v4, v34
	v_cmp_eq_u64_e32 vcc, v[6:7], v[36:37]
	s_and_b64 exec, exec, vcc
	s_cbranch_execz .LBB165_328
; %bb.333:                              ;   in Loop: Header=BB165_329 Depth=2
	v_mov_b32_e32 v3, v21
	ds_write_b128 v21, v[2:5] offset:3072
	s_branch .LBB165_328
.LBB165_334:                            ;   in Loop: Header=BB165_31 Depth=1
	s_or_b64 exec, exec, s[24:25]
	s_and_b64 s[40:41], s[14:15], exec
.LBB165_335:                            ;   in Loop: Header=BB165_31 Depth=1
	s_or_b64 exec, exec, s[0:1]
	s_mov_b64 s[42:43], 0
	s_mov_b64 s[14:15], -1
	s_mov_b64 s[24:25], 0
.LBB165_336:                            ;   in Loop: Header=BB165_31 Depth=1
	s_orn2_b64 s[0:1], s[40:41], exec
.LBB165_337:                            ;   in Loop: Header=BB165_31 Depth=1
	s_or_b64 exec, exec, s[38:39]
                                        ; implicit-def: $vgpr3
                                        ; implicit-def: $vgpr40_vgpr41
                                        ; implicit-def: $vgpr12_vgpr13
                                        ; implicit-def: $vgpr14_vgpr15
                                        ; implicit-def: $vgpr10_vgpr11
	s_and_saveexec_b64 s[38:39], s[0:1]
	s_cbranch_execz .LBB165_500
; %bb.338:                              ;   in Loop: Header=BB165_31 Depth=1
	s_waitcnt vmcnt(0)
	v_mov_b32_e32 v40, 1
	s_xor_b64 s[30:31], s[6:7], -1
	s_mov_b64 s[6:7], 0
	v_mov_b32_e32 v41, 0
	v_mov_b32_e32 v3, 1
	s_and_saveexec_b64 s[0:1], s[30:31]
	s_cbranch_execz .LBB165_348
; %bb.339:                              ;   in Loop: Header=BB165_31 Depth=1
	v_cmp_ge_u64_e32 vcc, s[28:29], v[38:39]
                                        ; implicit-def: $sgpr3
                                        ; implicit-def: $sgpr6_sgpr7
	s_and_saveexec_b64 s[30:31], vcc
	s_xor_b64 s[40:41], exec, s[30:31]
	s_cbranch_execz .LBB165_345
; %bb.340:                              ;   in Loop: Header=BB165_31 Depth=1
	ds_read_b64 v[4:5], v21 offset:5120
	s_waitcnt lgkmcnt(0)
	v_cmp_ne_u64_e32 vcc, 0, v[4:5]
	s_cbranch_vccnz .LBB165_344
; %bb.341:                              ;   in Loop: Header=BB165_31 Depth=1
	s_mov_b64 s[6:7], exec
	v_readlane_b32 s30, v73, 10
	v_readlane_b32 s31, v73, 11
	s_and_b64 s[30:31], s[6:7], s[30:31]
	s_mov_b64 exec, s[30:31]
	s_cbranch_execz .LBB165_343
; %bb.342:                              ;   in Loop: Header=BB165_31 Depth=1
	v_pk_mov_b32 v[4:5], s[28:29], s[28:29] op_sel:[0,1]
	ds_write_b64 v21, v[4:5] offset:5128
.LBB165_343:                            ;   in Loop: Header=BB165_31 Depth=1
	s_or_b64 exec, exec, s[6:7]
	s_waitcnt lgkmcnt(0)
	s_barrier
.LBB165_344:                            ;   in Loop: Header=BB165_31 Depth=1
	v_or_b32_e32 v37, s19, v37
	v_or_b32_e32 v36, s18, v36
	;; [unrolled: 1-line block ×4, first 2 shown]
	s_mov_b64 s[6:7], 0
	s_mov_b32 s3, 5
.LBB165_345:                            ;   in Loop: Header=BB165_31 Depth=1
	s_or_saveexec_b64 s[40:41], s[40:41]
	v_mov_b32_e32 v3, s3
	s_xor_b64 exec, exec, s[40:41]
; %bb.346:                              ;   in Loop: Header=BB165_31 Depth=1
	v_mov_b32_e32 v3, s29
	v_subrev_co_u32_e32 v38, vcc, s28, v38
	v_subb_co_u32_e32 v39, vcc, v39, v3, vcc
	v_mov_b32_e32 v3, 0
	s_or_b64 s[6:7], s[6:7], exec
; %bb.347:                              ;   in Loop: Header=BB165_31 Depth=1
	s_or_b64 exec, exec, s[40:41]
	s_and_b64 s[6:7], s[6:7], exec
	v_pk_mov_b32 v[40:41], v[38:39], v[38:39] op_sel:[0,1]
.LBB165_348:                            ;   in Loop: Header=BB165_31 Depth=1
	s_or_b64 exec, exec, s[0:1]
	s_mov_b64 s[40:41], -1
                                        ; implicit-def: $sgpr0_sgpr1
                                        ; implicit-def: $sgpr28_sgpr29
                                        ; implicit-def: $sgpr46_sgpr47
	s_and_saveexec_b64 s[30:31], s[6:7]
	s_xor_b64 s[6:7], exec, s[30:31]
	s_cbranch_execz .LBB165_497
; %bb.349:                              ;   in Loop: Header=BB165_31 Depth=1
	s_cmp_eq_u64 s[26:27], 1
	s_cselect_b64 s[0:1], -1, 0
	v_cmp_eq_u64_e32 vcc, 1, v[40:41]
	s_and_b64 s[48:49], s[0:1], vcc
	s_mov_b64 s[0:1], -1
                                        ; implicit-def: $sgpr28_sgpr29
                                        ; implicit-def: $sgpr40_sgpr41
                                        ; implicit-def: $sgpr44_sgpr45
	s_and_saveexec_b64 s[46:47], s[48:49]
	s_cbranch_execz .LBB165_383
; %bb.350:                              ;   in Loop: Header=BB165_31 Depth=1
	ds_read_b64 v[4:5], v21 offset:5120
	s_waitcnt lgkmcnt(0)
	s_barrier
	v_readfirstlane_b32 s0, v4
	v_readfirstlane_b32 s1, v5
	s_mov_b64 s[28:29], exec
	v_readlane_b32 s30, v73, 24
	v_readlane_b32 s31, v73, 25
	s_and_b64 s[30:31], s[28:29], s[30:31]
	s_mov_b64 exec, s[30:31]
	s_cbranch_execz .LBB165_352
; %bb.351:                              ;   in Loop: Header=BB165_31 Depth=1
	v_mov_b32_e32 v20, v21
	ds_write_b64 v58, v[20:21]
.LBB165_352:                            ;   in Loop: Header=BB165_31 Depth=1
	s_or_b64 exec, exec, s[28:29]
	s_lshl_b64 s[28:29], 2, s86
	v_and_b32_e32 v3, s21, v37
	v_and_b32_e32 v4, s20, v36
	v_or_b32_e32 v37, s29, v3
	v_or_b32_e32 v36, s28, v4
	;; [unrolled: 1-line block ×4, first 2 shown]
	s_cmp_eq_u64 s[0:1], 0
	s_waitcnt lgkmcnt(0)
	s_barrier
	s_cbranch_scc1 .LBB165_366
; %bb.353:                              ;   in Loop: Header=BB165_31 Depth=1
	v_readlane_b32 s3, v73, 28
	s_add_u32 s3, s3, s0
	v_readlane_b32 s28, v73, 30
	s_addc_u32 s29, s28, s1
	s_mov_b32 s28, s87
	s_cmp_lg_u64 s[28:29], 0
	s_cbranch_scc0 .LBB165_410
; %bb.354:                              ;   in Loop: Header=BB165_31 Depth=1
	v_cvt_f32_u32_e32 v3, s33
	s_sub_u32 s28, 0, s33
	s_subb_u32 s30, 0, 0
	v_mac_f32_e32 v3, 0, v61
	v_rcp_f32_e32 v3, v3
	v_mul_f32_e32 v3, 0x5f7ffffc, v3
	v_mul_f32_e32 v4, 0x2f800000, v3
	v_trunc_f32_e32 v4, v4
	v_mac_f32_e32 v3, 0xcf800000, v4
	v_cvt_u32_f32_e32 v4, v4
	v_cvt_u32_f32_e32 v3, v3
	v_readfirstlane_b32 s31, v4
	v_readfirstlane_b32 s40, v3
	s_mul_i32 s41, s28, s31
	s_mul_hi_u32 s45, s28, s40
	s_mul_i32 s44, s30, s40
	s_add_i32 s41, s45, s41
	s_mul_i32 s50, s28, s40
	s_add_i32 s41, s41, s44
	s_mul_hi_u32 s45, s40, s50
	s_mul_hi_u32 s44, s40, s41
	s_mul_i32 s40, s40, s41
	s_add_u32 s40, s45, s40
	s_addc_u32 s44, 0, s44
	s_mul_hi_u32 s51, s31, s50
	s_mul_i32 s50, s31, s50
	s_add_u32 s40, s40, s50
	s_mul_hi_u32 s45, s31, s41
	s_addc_u32 s40, s44, s51
	s_addc_u32 s44, s45, 0
	s_mul_i32 s41, s31, s41
	s_add_u32 s40, s40, s41
	s_addc_u32 s41, 0, s44
	v_add_co_u32_e32 v3, vcc, s40, v3
	s_cmp_lg_u64 vcc, 0
	s_addc_u32 s31, s31, s41
	v_readfirstlane_b32 s41, v3
	s_mul_i32 s40, s28, s31
	s_mul_hi_u32 s44, s28, s41
	s_add_i32 s40, s44, s40
	s_mul_i32 s30, s30, s41
	s_add_i32 s40, s40, s30
	s_mul_i32 s28, s28, s41
	s_mul_hi_u32 s44, s31, s28
	s_mul_i32 s45, s31, s28
	s_mul_i32 s51, s41, s40
	s_mul_hi_u32 s28, s41, s28
	s_mul_hi_u32 s50, s41, s40
	s_add_u32 s28, s28, s51
	s_addc_u32 s41, 0, s50
	s_add_u32 s28, s28, s45
	s_mul_hi_u32 s30, s31, s40
	s_addc_u32 s28, s41, s44
	s_addc_u32 s30, s30, 0
	s_mul_i32 s40, s31, s40
	s_add_u32 s28, s28, s40
	s_addc_u32 s30, 0, s30
	v_add_co_u32_e32 v3, vcc, s28, v3
	s_cmp_lg_u64 vcc, 0
	s_addc_u32 s28, s31, s30
	v_readfirstlane_b32 s40, v3
	s_mul_i32 s31, s3, s28
	s_mul_hi_u32 s41, s3, s40
	s_mul_hi_u32 s30, s3, s28
	s_add_u32 s31, s41, s31
	s_addc_u32 s30, 0, s30
	s_mul_hi_u32 s44, s29, s40
	s_mul_i32 s40, s29, s40
	s_add_u32 s31, s31, s40
	s_mul_hi_u32 s41, s29, s28
	s_addc_u32 s30, s30, s44
	s_addc_u32 s31, s41, 0
	s_mul_i32 s28, s29, s28
	s_add_u32 s28, s30, s28
	s_addc_u32 s30, 0, s31
	s_mul_hi_u32 s31, s33, s28
	s_mul_i32 s28, s33, s28
	s_mul_i32 s30, s33, s30
	v_mov_b32_e32 v3, s28
	s_add_i32 s31, s31, s30
	v_sub_co_u32_e32 v3, vcc, s3, v3
	s_cmp_lg_u64 vcc, 0
	s_subb_u32 s28, s29, s31
	v_subrev_co_u32_e32 v4, vcc, s33, v3
	s_cmp_lg_u64 vcc, 0
	s_subb_u32 s30, s28, 0
	v_subrev_co_u32_e32 v5, vcc, s33, v4
	s_cmp_lg_u64 vcc, 0
	s_subb_u32 s31, s30, 0
	v_cmp_le_u32_e32 vcc, s33, v4
	s_cmp_eq_u32 s30, 0
	v_cndmask_b32_e64 v6, 0, -1, vcc
	s_cselect_b64 vcc, -1, 0
	v_cndmask_b32_e32 v6, -1, v6, vcc
	v_mov_b32_e32 v7, s30
	v_mov_b32_e32 v8, s31
	v_cmp_ne_u32_e32 vcc, 0, v6
	v_cndmask_b32_e32 v6, v7, v8, vcc
	v_cndmask_b32_e32 v4, v4, v5, vcc
	v_cmp_le_u32_e32 vcc, s33, v3
	s_cmp_eq_u32 s28, 0
	v_cndmask_b32_e64 v5, 0, -1, vcc
	s_cselect_b64 vcc, -1, 0
	v_cndmask_b32_e32 v5, -1, v5, vcc
	v_mov_b32_e32 v7, s28
	v_cmp_ne_u32_e32 vcc, 0, v5
	v_cndmask_b32_e32 v5, v7, v6, vcc
	v_cndmask_b32_e32 v4, v3, v4, vcc
	s_cbranch_execnz .LBB165_356
.LBB165_355:                            ;   in Loop: Header=BB165_31 Depth=1
	v_cvt_f32_u32_e32 v3, s33
	s_sub_i32 s28, 0, s33
	v_rcp_iflag_f32_e32 v3, v3
	v_mul_f32_e32 v3, 0x4f7ffffe, v3
	v_cvt_u32_f32_e32 v3, v3
	v_mul_lo_u32 v4, s28, v3
	v_mul_hi_u32 v4, v3, v4
	v_add_u32_e32 v3, v3, v4
	v_mul_hi_u32 v3, s3, v3
	v_mul_lo_u32 v3, v3, s33
	v_sub_u32_e32 v3, s3, v3
	v_subrev_u32_e32 v4, s33, v3
	v_cmp_le_u32_e32 vcc, s33, v3
	v_cndmask_b32_e32 v3, v3, v4, vcc
	v_subrev_u32_e32 v4, s33, v3
	v_cmp_le_u32_e32 vcc, s33, v3
	v_cndmask_b32_e32 v20, v3, v4, vcc
	v_pk_mov_b32 v[4:5], v[20:21], v[20:21] op_sel:[0,1]
.LBB165_356:                            ;   in Loop: Header=BB165_31 Depth=1
	v_mov_b32_e32 v3, s29
	v_sub_co_u32_e32 v8, vcc, s3, v4
	v_subb_co_u32_e32 v9, vcc, v3, v5, vcc
	v_cmp_gt_u64_e32 vcc, v[8:9], v[0:1]
	s_mov_b64 s[50:51], 0
                                        ; implicit-def: $vgpr6_vgpr7
	s_and_saveexec_b64 s[28:29], vcc
	s_cbranch_execz .LBB165_368
; %bb.357:                              ;   in Loop: Header=BB165_31 Depth=1
	s_mov_b64 s[44:45], 0
	v_mov_b32_e32 v12, v57
	v_pk_mov_b32 v[10:11], v[0:1], v[0:1] op_sel:[0,1]
                                        ; implicit-def: $sgpr40_sgpr41
	s_branch .LBB165_359
.LBB165_358:                            ;   in Loop: Header=BB165_359 Depth=2
	s_or_b64 exec, exec, s[50:51]
	s_waitcnt lgkmcnt(0)
	s_barrier
	ds_read_b128 v[4:7], v21 offset:3072
	v_mov_b32_e32 v3, s92
	v_add_co_u32_e32 v10, vcc, s33, v10
	v_addc_co_u32_e32 v11, vcc, v11, v3, vcc
	s_waitcnt lgkmcnt(0)
	v_readfirstlane_b32 s31, v5
	v_readfirstlane_b32 s30, v4
	s_cmp_lg_u64 s[30:31], 0
	s_cselect_b64 s[30:31], -1, 0
	v_cmp_ge_u64_e32 vcc, v[10:11], v[8:9]
	s_or_b64 s[50:51], vcc, s[30:31]
	s_and_b64 s[50:51], exec, s[50:51]
	s_or_b64 s[44:45], s[50:51], s[44:45]
	s_andn2_b64 s[40:41], s[40:41], exec
	s_and_b64 s[30:31], s[30:31], exec
	v_add_u32_e32 v12, s2, v12
	s_or_b64 s[40:41], s[40:41], s[30:31]
	s_barrier
	s_andn2_b64 exec, exec, s[44:45]
	s_cbranch_execz .LBB165_367
.LBB165_359:                            ;   Parent Loop BB165_31 Depth=1
                                        ; =>  This Inner Loop Header: Depth=2
	v_cmp_gt_u64_e32 vcc, s[0:1], v[10:11]
	v_pk_mov_b32 v[4:5], 0, 0
	s_and_saveexec_b64 s[50:51], vcc
	s_cbranch_execz .LBB165_361
; %bb.360:                              ;   in Loop: Header=BB165_359 Depth=2
	ds_read_b64 v[4:5], v12
.LBB165_361:                            ;   in Loop: Header=BB165_359 Depth=2
	s_or_b64 exec, exec, s[50:51]
	s_and_saveexec_b64 s[50:51], vcc
	s_cbranch_execz .LBB165_358
; %bb.362:                              ;   in Loop: Header=BB165_359 Depth=2
	s_waitcnt lgkmcnt(0)
	v_xor_b32_e32 v3, 0x80000000, v5
	v_and_b32_e32 v7, v3, v35
	v_and_b32_e32 v6, v4, v34
	v_cmp_eq_u64_e32 vcc, v[6:7], v[36:37]
	s_and_b64 exec, exec, vcc
	s_cbranch_execz .LBB165_358
; %bb.363:                              ;   in Loop: Header=BB165_359 Depth=2
	v_mov_b32_e32 v3, v21
	ds_write_b128 v21, v[2:5] offset:3072
	s_branch .LBB165_358
.LBB165_364:                            ;   in Loop: Header=BB165_31 Depth=1
                                        ; implicit-def: $vgpr4_vgpr5
	s_branch .LBB165_311
.LBB165_365:                            ;   in Loop: Header=BB165_31 Depth=1
                                        ; implicit-def: $vgpr4_vgpr5
	s_branch .LBB165_325
.LBB165_366:                            ;   in Loop: Header=BB165_31 Depth=1
	s_mov_b64 s[28:29], -1
	s_mov_b64 s[50:51], 0
                                        ; implicit-def: $sgpr40_sgpr41
                                        ; implicit-def: $vgpr6_vgpr7
	s_mov_b64 s[44:45], s[28:29]
	s_cbranch_execnz .LBB165_369
	s_branch .LBB165_382
.LBB165_367:                            ;   in Loop: Header=BB165_31 Depth=1
	s_or_b64 exec, exec, s[44:45]
	s_and_b64 s[50:51], s[40:41], exec
.LBB165_368:                            ;   in Loop: Header=BB165_31 Depth=1
	s_or_b64 exec, exec, s[28:29]
	s_mov_b64 s[28:29], 0
	s_mov_b64 s[40:41], -1
	s_mov_b64 s[44:45], s[28:29]
	s_branch .LBB165_382
.LBB165_369:                            ;   in Loop: Header=BB165_31 Depth=1
	v_readlane_b32 s44, v73, 31
	v_readlane_b32 s45, v73, 32
	s_mov_b32 s44, s87
	s_cmp_lg_u64 s[44:45], 0
	v_writelane_b32 v73, s44, 31
	v_writelane_b32 v73, s45, 32
	s_cbranch_scc0 .LBB165_411
; %bb.370:                              ;   in Loop: Header=BB165_31 Depth=1
	v_cvt_f32_u32_e32 v3, s33
	s_sub_u32 s0, 0, s33
	s_subb_u32 s1, 0, 0
	v_mac_f32_e32 v3, 0, v61
	v_rcp_f32_e32 v3, v3
	v_mul_f32_e32 v3, 0x5f7ffffc, v3
	v_mul_f32_e32 v4, 0x2f800000, v3
	v_trunc_f32_e32 v4, v4
	v_mac_f32_e32 v3, 0xcf800000, v4
	v_cvt_u32_f32_e32 v4, v4
	v_cvt_u32_f32_e32 v3, v3
	v_readfirstlane_b32 s3, v4
	v_readfirstlane_b32 s28, v3
	s_mul_i32 s29, s0, s3
	s_mul_hi_u32 s31, s0, s28
	s_mul_i32 s30, s1, s28
	s_add_i32 s29, s31, s29
	s_mul_i32 s40, s0, s28
	s_add_i32 s29, s29, s30
	s_mul_hi_u32 s31, s28, s40
	s_mul_hi_u32 s30, s28, s29
	s_mul_i32 s28, s28, s29
	s_add_u32 s28, s31, s28
	s_addc_u32 s30, 0, s30
	s_mul_hi_u32 s41, s3, s40
	s_mul_i32 s40, s3, s40
	s_add_u32 s28, s28, s40
	s_mul_hi_u32 s31, s3, s29
	s_addc_u32 s28, s30, s41
	s_addc_u32 s30, s31, 0
	s_mul_i32 s29, s3, s29
	s_add_u32 s28, s28, s29
	s_addc_u32 s29, 0, s30
	v_add_co_u32_e32 v3, vcc, s28, v3
	s_cmp_lg_u64 vcc, 0
	s_addc_u32 s3, s3, s29
	v_readfirstlane_b32 s29, v3
	s_mul_i32 s28, s0, s3
	s_mul_hi_u32 s30, s0, s29
	s_add_i32 s28, s30, s28
	s_mul_i32 s1, s1, s29
	s_add_i32 s28, s28, s1
	s_mul_i32 s0, s0, s29
	s_mul_hi_u32 s30, s3, s0
	s_mul_i32 s31, s3, s0
	s_mul_i32 s41, s29, s28
	s_mul_hi_u32 s0, s29, s0
	s_mul_hi_u32 s40, s29, s28
	s_add_u32 s0, s0, s41
	s_addc_u32 s29, 0, s40
	s_add_u32 s0, s0, s31
	s_mul_hi_u32 s1, s3, s28
	s_addc_u32 s0, s29, s30
	s_addc_u32 s1, s1, 0
	s_mul_i32 s28, s3, s28
	s_add_u32 s0, s0, s28
	s_addc_u32 s1, 0, s1
	v_add_co_u32_e32 v3, vcc, s0, v3
	s_cmp_lg_u64 vcc, 0
	s_addc_u32 s0, s3, s1
	v_readlane_b32 s31, v73, 29
	v_readfirstlane_b32 s28, v3
	s_mul_i32 s3, s31, s0
	s_mul_hi_u32 s29, s31, s28
	s_mul_hi_u32 s1, s31, s0
	s_add_u32 s3, s29, s3
	s_addc_u32 s1, 0, s1
	s_mul_hi_u32 s30, s45, s28
	s_mul_i32 s28, s45, s28
	s_add_u32 s3, s3, s28
	s_mul_hi_u32 s29, s45, s0
	s_addc_u32 s1, s1, s30
	s_addc_u32 s3, s29, 0
	s_mul_i32 s0, s45, s0
	s_add_u32 s0, s1, s0
	s_addc_u32 s1, 0, s3
	s_mul_hi_u32 s3, s33, s0
	s_mul_i32 s0, s33, s0
	s_mul_i32 s1, s33, s1
	v_mov_b32_e32 v3, s0
	s_add_i32 s3, s3, s1
	v_sub_co_u32_e32 v3, vcc, s31, v3
	s_cmp_lg_u64 vcc, 0
	s_subb_u32 s0, s45, s3
	v_subrev_co_u32_e32 v4, vcc, s33, v3
	s_cmp_lg_u64 vcc, 0
	s_subb_u32 s1, s0, 0
	v_subrev_co_u32_e32 v5, vcc, s33, v4
	s_cmp_lg_u64 vcc, 0
	s_subb_u32 s3, s1, 0
	v_cmp_le_u32_e32 vcc, s33, v4
	s_cmp_eq_u32 s1, 0
	v_cndmask_b32_e64 v6, 0, -1, vcc
	s_cselect_b64 vcc, -1, 0
	v_cndmask_b32_e32 v6, -1, v6, vcc
	v_mov_b32_e32 v7, s1
	v_mov_b32_e32 v8, s3
	v_cmp_ne_u32_e32 vcc, 0, v6
	v_cndmask_b32_e32 v6, v7, v8, vcc
	v_cndmask_b32_e32 v4, v4, v5, vcc
	v_cmp_le_u32_e32 vcc, s33, v3
	s_cmp_eq_u32 s0, 0
	v_cndmask_b32_e64 v5, 0, -1, vcc
	s_cselect_b64 vcc, -1, 0
	v_cndmask_b32_e32 v5, -1, v5, vcc
	v_mov_b32_e32 v7, s0
	v_cmp_ne_u32_e32 vcc, 0, v5
	v_cndmask_b32_e32 v5, v7, v6, vcc
	v_cndmask_b32_e32 v4, v3, v4, vcc
	s_cbranch_execnz .LBB165_372
.LBB165_371:                            ;   in Loop: Header=BB165_31 Depth=1
	v_cvt_f32_u32_e32 v3, s33
	s_sub_i32 s0, 0, s33
	v_rcp_iflag_f32_e32 v3, v3
	v_mul_f32_e32 v3, 0x4f7ffffe, v3
	v_cvt_u32_f32_e32 v3, v3
	v_mul_lo_u32 v4, s0, v3
	v_mul_hi_u32 v4, v3, v4
	v_add_u32_e32 v3, v3, v4
	v_readlane_b32 s0, v73, 29
	v_mul_hi_u32 v3, s0, v3
	v_mul_lo_u32 v3, v3, s33
	v_sub_u32_e32 v3, s0, v3
	v_subrev_u32_e32 v4, s33, v3
	v_cmp_le_u32_e32 vcc, s33, v3
	v_cndmask_b32_e32 v3, v3, v4, vcc
	v_subrev_u32_e32 v4, s33, v3
	v_cmp_le_u32_e32 vcc, s33, v3
	v_cndmask_b32_e32 v20, v3, v4, vcc
	v_pk_mov_b32 v[4:5], v[20:21], v[20:21] op_sel:[0,1]
.LBB165_372:                            ;   in Loop: Header=BB165_31 Depth=1
	v_readlane_b32 s0, v73, 31
	v_readlane_b32 s1, v73, 32
	;; [unrolled: 1-line block ×3, first 2 shown]
	v_mov_b32_e32 v3, s1
	v_sub_co_u32_e32 v8, vcc, s0, v4
	v_subb_co_u32_e32 v9, vcc, v3, v5, vcc
	v_cmp_gt_u64_e32 vcc, v[8:9], v[0:1]
	s_mov_b64 s[50:51], 0
                                        ; implicit-def: $vgpr6_vgpr7
	s_and_saveexec_b64 s[0:1], vcc
	s_cbranch_execz .LBB165_381
; %bb.373:                              ;   in Loop: Header=BB165_31 Depth=1
	s_mov_b64 s[40:41], 0
	v_pk_mov_b32 v[10:11], v[32:33], v[32:33] op_sel:[0,1]
	v_pk_mov_b32 v[12:13], v[0:1], v[0:1] op_sel:[0,1]
                                        ; implicit-def: $sgpr28_sgpr29
	s_branch .LBB165_375
.LBB165_374:                            ;   in Loop: Header=BB165_375 Depth=2
	s_or_b64 exec, exec, s[44:45]
	s_waitcnt lgkmcnt(0)
	s_barrier
	s_waitcnt vmcnt(0)
	ds_read_b128 v[4:7], v21 offset:3072
	v_mov_b32_e32 v3, s92
	v_add_co_u32_e32 v12, vcc, s33, v12
	v_addc_co_u32_e32 v13, vcc, v13, v3, vcc
	s_waitcnt lgkmcnt(0)
	v_readfirstlane_b32 s31, v5
	v_readfirstlane_b32 s30, v4
	s_cmp_lg_u64 s[30:31], 0
	s_cselect_b64 s[30:31], -1, 0
	v_cmp_ge_u64_e32 vcc, v[12:13], v[8:9]
	s_or_b64 s[44:45], vcc, s[30:31]
	s_and_b64 s[44:45], exec, s[44:45]
	s_or_b64 s[40:41], s[44:45], s[40:41]
	v_mov_b32_e32 v3, s65
	v_add_co_u32_e32 v10, vcc, s64, v10
	s_andn2_b64 s[28:29], s[28:29], exec
	s_and_b64 s[30:31], s[30:31], exec
	v_addc_co_u32_e32 v11, vcc, v11, v3, vcc
	s_or_b64 s[28:29], s[28:29], s[30:31]
	s_barrier
	s_andn2_b64 exec, exec, s[40:41]
	s_cbranch_execz .LBB165_380
.LBB165_375:                            ;   Parent Loop BB165_31 Depth=1
                                        ; =>  This Inner Loop Header: Depth=2
	v_cmp_gt_u64_e32 vcc, s[60:61], v[12:13]
	v_pk_mov_b32 v[4:5], 0, 0
	s_and_saveexec_b64 s[44:45], vcc
	s_cbranch_execz .LBB165_377
; %bb.376:                              ;   in Loop: Header=BB165_375 Depth=2
	global_load_dwordx2 v[4:5], v[10:11], off
.LBB165_377:                            ;   in Loop: Header=BB165_375 Depth=2
	s_or_b64 exec, exec, s[44:45]
	s_and_saveexec_b64 s[44:45], vcc
	s_cbranch_execz .LBB165_374
; %bb.378:                              ;   in Loop: Header=BB165_375 Depth=2
	s_waitcnt vmcnt(0)
	v_xor_b32_e32 v3, 0x80000000, v5
	v_and_b32_e32 v7, v3, v35
	v_and_b32_e32 v6, v4, v34
	v_cmp_eq_u64_e32 vcc, v[6:7], v[36:37]
	s_and_b64 exec, exec, vcc
	s_cbranch_execz .LBB165_374
; %bb.379:                              ;   in Loop: Header=BB165_375 Depth=2
	v_mov_b32_e32 v3, v21
	ds_write_b128 v21, v[2:5] offset:3072
	s_branch .LBB165_374
.LBB165_380:                            ;   in Loop: Header=BB165_31 Depth=1
	s_or_b64 exec, exec, s[40:41]
	s_and_b64 s[50:51], s[28:29], exec
.LBB165_381:                            ;   in Loop: Header=BB165_31 Depth=1
	s_or_b64 exec, exec, s[0:1]
	s_mov_b64 s[40:41], 0
	s_mov_b64 s[28:29], -1
	s_mov_b64 s[44:45], 0
.LBB165_382:                            ;   in Loop: Header=BB165_31 Depth=1
	s_orn2_b64 s[0:1], s[50:51], exec
.LBB165_383:                            ;   in Loop: Header=BB165_31 Depth=1
	s_or_b64 exec, exec, s[46:47]
	s_mov_b64 s[50:51], 0
                                        ; implicit-def: $vgpr3
	s_and_saveexec_b64 s[46:47], s[0:1]
	s_cbranch_execz .LBB165_496
; %bb.384:                              ;   in Loop: Header=BB165_31 Depth=1
	v_mov_b32_e32 v8, 1
	s_xor_b64 s[30:31], s[48:49], -1
	s_mov_b64 s[52:53], 0
	v_mov_b32_e32 v9, 0
	v_mov_b32_e32 v3, 1
	s_and_saveexec_b64 s[0:1], s[30:31]
	s_cbranch_execz .LBB165_394
; %bb.385:                              ;   in Loop: Header=BB165_31 Depth=1
	v_cmp_ge_u64_e32 vcc, s[26:27], v[40:41]
                                        ; implicit-def: $sgpr3
                                        ; implicit-def: $sgpr48_sgpr49
	s_and_saveexec_b64 s[30:31], vcc
	s_xor_b64 s[50:51], exec, s[30:31]
	s_cbranch_execz .LBB165_391
; %bb.386:                              ;   in Loop: Header=BB165_31 Depth=1
	ds_read_b64 v[4:5], v21 offset:5120
	s_waitcnt lgkmcnt(0)
	v_cmp_ne_u64_e32 vcc, 0, v[4:5]
	s_cbranch_vccnz .LBB165_390
; %bb.387:                              ;   in Loop: Header=BB165_31 Depth=1
	s_mov_b64 s[48:49], exec
	v_readlane_b32 s30, v73, 10
	v_readlane_b32 s31, v73, 11
	s_and_b64 s[30:31], s[48:49], s[30:31]
	s_mov_b64 exec, s[30:31]
	s_cbranch_execz .LBB165_389
; %bb.388:                              ;   in Loop: Header=BB165_31 Depth=1
	v_pk_mov_b32 v[4:5], s[26:27], s[26:27] op_sel:[0,1]
	ds_write_b64 v21, v[4:5] offset:5128
.LBB165_389:                            ;   in Loop: Header=BB165_31 Depth=1
	s_or_b64 exec, exec, s[48:49]
	s_waitcnt lgkmcnt(0)
	s_barrier
.LBB165_390:                            ;   in Loop: Header=BB165_31 Depth=1
	s_lshl_b64 s[30:31], 2, s86
	v_and_b32_e32 v3, s21, v37
	v_and_b32_e32 v4, s20, v36
	v_or_b32_e32 v37, s31, v3
	v_or_b32_e32 v36, s30, v4
	;; [unrolled: 1-line block ×4, first 2 shown]
	s_mov_b64 s[48:49], 0
	s_mov_b32 s3, 5
.LBB165_391:                            ;   in Loop: Header=BB165_31 Depth=1
	s_or_saveexec_b64 s[50:51], s[50:51]
	v_mov_b32_e32 v3, s3
	s_xor_b64 exec, exec, s[50:51]
; %bb.392:                              ;   in Loop: Header=BB165_31 Depth=1
	v_mov_b32_e32 v3, s27
	v_subrev_co_u32_e32 v40, vcc, s26, v40
	v_subb_co_u32_e32 v41, vcc, v41, v3, vcc
	v_mov_b32_e32 v3, 0
	s_or_b64 s[48:49], s[48:49], exec
; %bb.393:                              ;   in Loop: Header=BB165_31 Depth=1
	s_or_b64 exec, exec, s[50:51]
	s_and_b64 s[52:53], s[48:49], exec
	v_pk_mov_b32 v[8:9], v[40:41], v[40:41] op_sel:[0,1]
.LBB165_394:                            ;   in Loop: Header=BB165_31 Depth=1
	s_or_b64 exec, exec, s[0:1]
	s_mov_b64 s[0:1], -1
                                        ; implicit-def: $sgpr48_sgpr49
                                        ; implicit-def: $sgpr50_sgpr51
                                        ; implicit-def: $sgpr54_sgpr55
	s_and_saveexec_b64 s[26:27], s[52:53]
	s_cbranch_execz .LBB165_495
; %bb.395:                              ;   in Loop: Header=BB165_31 Depth=1
	s_cmp_eq_u64 s[22:23], 1
	s_cselect_b64 s[0:1], -1, 0
	v_cmp_eq_u64_e32 vcc, 1, v[8:9]
	s_and_b64 s[68:69], s[0:1], vcc
	s_mov_b64 s[66:67], -1
                                        ; implicit-def: $sgpr48_sgpr49
                                        ; implicit-def: $sgpr50_sgpr51
                                        ; implicit-def: $sgpr52_sgpr53
	s_and_saveexec_b64 s[54:55], s[68:69]
	s_cbranch_execz .LBB165_429
; %bb.396:                              ;   in Loop: Header=BB165_31 Depth=1
	ds_read_b64 v[4:5], v21 offset:5120
	s_waitcnt lgkmcnt(0)
	s_barrier
	v_readfirstlane_b32 s0, v4
	v_readfirstlane_b32 s1, v5
	s_mov_b64 s[48:49], exec
	v_readlane_b32 s30, v73, 24
	v_readlane_b32 s31, v73, 25
	s_and_b64 s[30:31], s[48:49], s[30:31]
	s_mov_b64 exec, s[30:31]
	s_cbranch_execz .LBB165_398
; %bb.397:                              ;   in Loop: Header=BB165_31 Depth=1
	v_mov_b32_e32 v20, v21
	ds_write_b64 v58, v[20:21]
.LBB165_398:                            ;   in Loop: Header=BB165_31 Depth=1
	s_or_b64 exec, exec, s[48:49]
	s_lshl_b64 s[30:31], 1, s86
	v_and_b32_e32 v3, s21, v37
	v_and_b32_e32 v4, s20, v36
	v_or_b32_e32 v37, s31, v3
	v_or_b32_e32 v36, s30, v4
	v_or_b32_e32 v35, s19, v35
	v_or_b32_e32 v34, s18, v34
	s_cmp_eq_u64 s[0:1], 0
	s_waitcnt lgkmcnt(0)
	s_barrier
	s_cbranch_scc1 .LBB165_412
; %bb.399:                              ;   in Loop: Header=BB165_31 Depth=1
	v_readlane_b32 s3, v73, 28
	s_add_u32 s3, s3, s0
	v_readlane_b32 s30, v73, 30
	s_addc_u32 s49, s30, s1
	s_mov_b32 s48, s87
	s_cmp_lg_u64 s[48:49], 0
	s_cbranch_scc0 .LBB165_447
; %bb.400:                              ;   in Loop: Header=BB165_31 Depth=1
	v_cvt_f32_u32_e32 v3, s33
	s_sub_u32 s30, 0, s33
	s_subb_u32 s31, 0, 0
	v_mac_f32_e32 v3, 0, v61
	v_rcp_f32_e32 v3, v3
	v_mul_f32_e32 v3, 0x5f7ffffc, v3
	v_mul_f32_e32 v4, 0x2f800000, v3
	v_trunc_f32_e32 v4, v4
	v_mac_f32_e32 v3, 0xcf800000, v4
	v_cvt_u32_f32_e32 v4, v4
	v_cvt_u32_f32_e32 v3, v3
	v_readfirstlane_b32 s48, v4
	v_readfirstlane_b32 s50, v3
	s_mul_i32 s51, s30, s48
	s_mul_hi_u32 s53, s30, s50
	s_mul_i32 s52, s31, s50
	s_add_i32 s51, s53, s51
	s_mul_i32 s66, s30, s50
	s_add_i32 s51, s51, s52
	s_mul_hi_u32 s53, s50, s66
	s_mul_hi_u32 s52, s50, s51
	s_mul_i32 s50, s50, s51
	s_add_u32 s50, s53, s50
	s_addc_u32 s52, 0, s52
	s_mul_hi_u32 s67, s48, s66
	s_mul_i32 s66, s48, s66
	s_add_u32 s50, s50, s66
	s_mul_hi_u32 s53, s48, s51
	s_addc_u32 s50, s52, s67
	s_addc_u32 s52, s53, 0
	s_mul_i32 s51, s48, s51
	s_add_u32 s50, s50, s51
	s_addc_u32 s51, 0, s52
	v_add_co_u32_e32 v3, vcc, s50, v3
	s_cmp_lg_u64 vcc, 0
	s_addc_u32 s48, s48, s51
	v_readfirstlane_b32 s51, v3
	s_mul_i32 s50, s30, s48
	s_mul_hi_u32 s52, s30, s51
	s_add_i32 s50, s52, s50
	s_mul_i32 s31, s31, s51
	s_add_i32 s50, s50, s31
	s_mul_i32 s30, s30, s51
	s_mul_hi_u32 s52, s48, s30
	s_mul_i32 s53, s48, s30
	s_mul_i32 s67, s51, s50
	s_mul_hi_u32 s30, s51, s30
	s_mul_hi_u32 s66, s51, s50
	s_add_u32 s30, s30, s67
	s_addc_u32 s51, 0, s66
	s_add_u32 s30, s30, s53
	s_mul_hi_u32 s31, s48, s50
	s_addc_u32 s30, s51, s52
	s_addc_u32 s31, s31, 0
	s_mul_i32 s50, s48, s50
	s_add_u32 s30, s30, s50
	s_addc_u32 s31, 0, s31
	v_add_co_u32_e32 v3, vcc, s30, v3
	s_cmp_lg_u64 vcc, 0
	s_addc_u32 s30, s48, s31
	v_readfirstlane_b32 s50, v3
	s_mul_i32 s48, s3, s30
	s_mul_hi_u32 s51, s3, s50
	s_mul_hi_u32 s31, s3, s30
	s_add_u32 s48, s51, s48
	s_addc_u32 s31, 0, s31
	s_mul_hi_u32 s52, s49, s50
	s_mul_i32 s50, s49, s50
	s_add_u32 s48, s48, s50
	s_mul_hi_u32 s51, s49, s30
	s_addc_u32 s31, s31, s52
	s_addc_u32 s48, s51, 0
	s_mul_i32 s30, s49, s30
	s_add_u32 s30, s31, s30
	s_addc_u32 s31, 0, s48
	s_mul_hi_u32 s48, s33, s30
	s_mul_i32 s30, s33, s30
	s_mul_i32 s31, s33, s31
	v_mov_b32_e32 v3, s30
	s_add_i32 s48, s48, s31
	v_sub_co_u32_e32 v3, vcc, s3, v3
	s_cmp_lg_u64 vcc, 0
	s_subb_u32 s30, s49, s48
	v_subrev_co_u32_e32 v4, vcc, s33, v3
	s_cmp_lg_u64 vcc, 0
	s_subb_u32 s31, s30, 0
	v_subrev_co_u32_e32 v5, vcc, s33, v4
	s_cmp_lg_u64 vcc, 0
	s_subb_u32 s48, s31, 0
	v_cmp_le_u32_e32 vcc, s33, v4
	s_cmp_eq_u32 s31, 0
	v_cndmask_b32_e64 v6, 0, -1, vcc
	s_cselect_b64 vcc, -1, 0
	v_cndmask_b32_e32 v6, -1, v6, vcc
	v_mov_b32_e32 v7, s31
	v_mov_b32_e32 v10, s48
	v_cmp_ne_u32_e32 vcc, 0, v6
	v_cndmask_b32_e32 v6, v7, v10, vcc
	v_cndmask_b32_e32 v4, v4, v5, vcc
	v_cmp_le_u32_e32 vcc, s33, v3
	s_cmp_eq_u32 s30, 0
	v_cndmask_b32_e64 v5, 0, -1, vcc
	s_cselect_b64 vcc, -1, 0
	v_cndmask_b32_e32 v5, -1, v5, vcc
	v_mov_b32_e32 v7, s30
	v_cmp_ne_u32_e32 vcc, 0, v5
	v_cndmask_b32_e32 v5, v7, v6, vcc
	v_cndmask_b32_e32 v4, v3, v4, vcc
	s_cbranch_execnz .LBB165_402
.LBB165_401:                            ;   in Loop: Header=BB165_31 Depth=1
	v_cvt_f32_u32_e32 v3, s33
	s_sub_i32 s30, 0, s33
	v_rcp_iflag_f32_e32 v3, v3
	v_mul_f32_e32 v3, 0x4f7ffffe, v3
	v_cvt_u32_f32_e32 v3, v3
	v_mul_lo_u32 v4, s30, v3
	v_mul_hi_u32 v4, v3, v4
	v_add_u32_e32 v3, v3, v4
	v_mul_hi_u32 v3, s3, v3
	v_mul_lo_u32 v3, v3, s33
	v_sub_u32_e32 v3, s3, v3
	v_subrev_u32_e32 v4, s33, v3
	v_cmp_le_u32_e32 vcc, s33, v3
	v_cndmask_b32_e32 v3, v3, v4, vcc
	v_subrev_u32_e32 v4, s33, v3
	v_cmp_le_u32_e32 vcc, s33, v3
	v_cndmask_b32_e32 v20, v3, v4, vcc
	v_pk_mov_b32 v[4:5], v[20:21], v[20:21] op_sel:[0,1]
.LBB165_402:                            ;   in Loop: Header=BB165_31 Depth=1
	v_mov_b32_e32 v3, s49
	v_sub_co_u32_e32 v10, vcc, s3, v4
	v_subb_co_u32_e32 v11, vcc, v3, v5, vcc
	v_cmp_gt_u64_e32 vcc, v[10:11], v[0:1]
	s_mov_b64 s[66:67], 0
                                        ; implicit-def: $vgpr6_vgpr7
	s_and_saveexec_b64 s[48:49], vcc
	s_cbranch_execz .LBB165_414
; %bb.403:                              ;   in Loop: Header=BB165_31 Depth=1
	s_mov_b64 s[52:53], 0
	v_mov_b32_e32 v14, v57
	v_pk_mov_b32 v[12:13], v[0:1], v[0:1] op_sel:[0,1]
                                        ; implicit-def: $sgpr50_sgpr51
	s_branch .LBB165_405
.LBB165_404:                            ;   in Loop: Header=BB165_405 Depth=2
	s_or_b64 exec, exec, s[66:67]
	s_waitcnt lgkmcnt(0)
	s_barrier
	ds_read_b128 v[4:7], v21 offset:3072
	v_mov_b32_e32 v3, s92
	v_add_co_u32_e32 v12, vcc, s33, v12
	v_addc_co_u32_e32 v13, vcc, v13, v3, vcc
	s_waitcnt lgkmcnt(0)
	v_readfirstlane_b32 s31, v5
	v_readfirstlane_b32 s30, v4
	s_cmp_lg_u64 s[30:31], 0
	s_cselect_b64 s[30:31], -1, 0
	v_cmp_ge_u64_e32 vcc, v[12:13], v[10:11]
	s_or_b64 s[66:67], vcc, s[30:31]
	s_and_b64 s[66:67], exec, s[66:67]
	s_or_b64 s[52:53], s[66:67], s[52:53]
	s_andn2_b64 s[50:51], s[50:51], exec
	s_and_b64 s[30:31], s[30:31], exec
	v_add_u32_e32 v14, s2, v14
	s_or_b64 s[50:51], s[50:51], s[30:31]
	s_barrier
	s_andn2_b64 exec, exec, s[52:53]
	s_cbranch_execz .LBB165_413
.LBB165_405:                            ;   Parent Loop BB165_31 Depth=1
                                        ; =>  This Inner Loop Header: Depth=2
	v_cmp_gt_u64_e32 vcc, s[0:1], v[12:13]
	v_pk_mov_b32 v[4:5], 0, 0
	s_and_saveexec_b64 s[66:67], vcc
	s_cbranch_execz .LBB165_407
; %bb.406:                              ;   in Loop: Header=BB165_405 Depth=2
	ds_read_b64 v[4:5], v14
.LBB165_407:                            ;   in Loop: Header=BB165_405 Depth=2
	s_or_b64 exec, exec, s[66:67]
	s_and_saveexec_b64 s[66:67], vcc
	s_cbranch_execz .LBB165_404
; %bb.408:                              ;   in Loop: Header=BB165_405 Depth=2
	s_waitcnt lgkmcnt(0)
	v_xor_b32_e32 v3, 0x80000000, v5
	v_and_b32_e32 v7, v3, v35
	v_and_b32_e32 v6, v4, v34
	v_cmp_eq_u64_e32 vcc, v[6:7], v[36:37]
	s_and_b64 exec, exec, vcc
	s_cbranch_execz .LBB165_404
; %bb.409:                              ;   in Loop: Header=BB165_405 Depth=2
	v_mov_b32_e32 v3, v21
	ds_write_b128 v21, v[2:5] offset:3072
	s_branch .LBB165_404
.LBB165_410:                            ;   in Loop: Header=BB165_31 Depth=1
                                        ; implicit-def: $vgpr4_vgpr5
	s_branch .LBB165_355
.LBB165_411:                            ;   in Loop: Header=BB165_31 Depth=1
                                        ; implicit-def: $vgpr4_vgpr5
	s_branch .LBB165_371
.LBB165_412:                            ;   in Loop: Header=BB165_31 Depth=1
	s_mov_b64 s[48:49], -1
	s_mov_b64 s[66:67], 0
                                        ; implicit-def: $sgpr50_sgpr51
                                        ; implicit-def: $vgpr6_vgpr7
	s_mov_b64 s[52:53], s[48:49]
	s_cbranch_execnz .LBB165_415
	s_branch .LBB165_428
.LBB165_413:                            ;   in Loop: Header=BB165_31 Depth=1
	s_or_b64 exec, exec, s[52:53]
	s_and_b64 s[66:67], s[50:51], exec
.LBB165_414:                            ;   in Loop: Header=BB165_31 Depth=1
	s_or_b64 exec, exec, s[48:49]
	s_mov_b64 s[48:49], 0
	s_mov_b64 s[50:51], -1
	s_mov_b64 s[52:53], s[48:49]
	s_branch .LBB165_428
.LBB165_415:                            ;   in Loop: Header=BB165_31 Depth=1
	v_readlane_b32 s52, v73, 31
	v_readlane_b32 s53, v73, 32
	s_mov_b32 s52, s87
	s_cmp_lg_u64 s[52:53], 0
	v_writelane_b32 v73, s52, 31
	v_writelane_b32 v73, s53, 32
	s_cbranch_scc0 .LBB165_448
; %bb.416:                              ;   in Loop: Header=BB165_31 Depth=1
	v_cvt_f32_u32_e32 v3, s33
	s_sub_u32 s0, 0, s33
	s_subb_u32 s1, 0, 0
	v_mac_f32_e32 v3, 0, v61
	v_rcp_f32_e32 v3, v3
	v_mul_f32_e32 v3, 0x5f7ffffc, v3
	v_mul_f32_e32 v4, 0x2f800000, v3
	v_trunc_f32_e32 v4, v4
	v_mac_f32_e32 v3, 0xcf800000, v4
	v_cvt_u32_f32_e32 v4, v4
	v_cvt_u32_f32_e32 v3, v3
	v_readfirstlane_b32 s3, v4
	v_readfirstlane_b32 s30, v3
	s_mul_i32 s31, s0, s3
	s_mul_hi_u32 s49, s0, s30
	s_mul_i32 s48, s1, s30
	s_add_i32 s31, s49, s31
	s_mul_i32 s50, s0, s30
	s_add_i32 s31, s31, s48
	s_mul_hi_u32 s49, s30, s50
	s_mul_hi_u32 s48, s30, s31
	s_mul_i32 s30, s30, s31
	s_add_u32 s30, s49, s30
	s_addc_u32 s48, 0, s48
	s_mul_hi_u32 s51, s3, s50
	s_mul_i32 s50, s3, s50
	s_add_u32 s30, s30, s50
	s_mul_hi_u32 s49, s3, s31
	s_addc_u32 s30, s48, s51
	s_addc_u32 s48, s49, 0
	s_mul_i32 s31, s3, s31
	s_add_u32 s30, s30, s31
	s_addc_u32 s31, 0, s48
	v_add_co_u32_e32 v3, vcc, s30, v3
	s_cmp_lg_u64 vcc, 0
	s_addc_u32 s3, s3, s31
	v_readfirstlane_b32 s31, v3
	s_mul_i32 s30, s0, s3
	s_mul_hi_u32 s48, s0, s31
	s_add_i32 s30, s48, s30
	s_mul_i32 s1, s1, s31
	s_add_i32 s30, s30, s1
	s_mul_i32 s0, s0, s31
	s_mul_hi_u32 s48, s3, s0
	s_mul_i32 s49, s3, s0
	s_mul_i32 s51, s31, s30
	s_mul_hi_u32 s0, s31, s0
	s_mul_hi_u32 s50, s31, s30
	s_add_u32 s0, s0, s51
	s_addc_u32 s31, 0, s50
	s_add_u32 s0, s0, s49
	s_mul_hi_u32 s1, s3, s30
	s_addc_u32 s0, s31, s48
	s_addc_u32 s1, s1, 0
	s_mul_i32 s30, s3, s30
	s_add_u32 s0, s0, s30
	s_addc_u32 s1, 0, s1
	v_add_co_u32_e32 v3, vcc, s0, v3
	s_cmp_lg_u64 vcc, 0
	s_addc_u32 s0, s3, s1
	v_readlane_b32 s49, v73, 29
	v_readfirstlane_b32 s30, v3
	s_mul_i32 s3, s49, s0
	s_mul_hi_u32 s31, s49, s30
	s_mul_hi_u32 s1, s49, s0
	s_add_u32 s3, s31, s3
	s_addc_u32 s1, 0, s1
	s_mul_hi_u32 s48, s53, s30
	s_mul_i32 s30, s53, s30
	s_add_u32 s3, s3, s30
	s_mul_hi_u32 s31, s53, s0
	s_addc_u32 s1, s1, s48
	s_addc_u32 s3, s31, 0
	s_mul_i32 s0, s53, s0
	s_add_u32 s0, s1, s0
	s_addc_u32 s1, 0, s3
	s_mul_hi_u32 s3, s33, s0
	s_mul_i32 s0, s33, s0
	s_mul_i32 s1, s33, s1
	v_mov_b32_e32 v3, s0
	s_add_i32 s3, s3, s1
	v_sub_co_u32_e32 v3, vcc, s49, v3
	s_cmp_lg_u64 vcc, 0
	s_subb_u32 s0, s53, s3
	v_subrev_co_u32_e32 v4, vcc, s33, v3
	s_cmp_lg_u64 vcc, 0
	s_subb_u32 s1, s0, 0
	v_subrev_co_u32_e32 v5, vcc, s33, v4
	s_cmp_lg_u64 vcc, 0
	s_subb_u32 s3, s1, 0
	v_cmp_le_u32_e32 vcc, s33, v4
	s_cmp_eq_u32 s1, 0
	v_cndmask_b32_e64 v6, 0, -1, vcc
	s_cselect_b64 vcc, -1, 0
	v_cndmask_b32_e32 v6, -1, v6, vcc
	v_mov_b32_e32 v7, s1
	v_mov_b32_e32 v10, s3
	v_cmp_ne_u32_e32 vcc, 0, v6
	v_cndmask_b32_e32 v6, v7, v10, vcc
	v_cndmask_b32_e32 v4, v4, v5, vcc
	v_cmp_le_u32_e32 vcc, s33, v3
	s_cmp_eq_u32 s0, 0
	v_cndmask_b32_e64 v5, 0, -1, vcc
	s_cselect_b64 vcc, -1, 0
	v_cndmask_b32_e32 v5, -1, v5, vcc
	v_mov_b32_e32 v7, s0
	v_cmp_ne_u32_e32 vcc, 0, v5
	v_cndmask_b32_e32 v5, v7, v6, vcc
	v_cndmask_b32_e32 v4, v3, v4, vcc
	s_cbranch_execnz .LBB165_418
.LBB165_417:                            ;   in Loop: Header=BB165_31 Depth=1
	v_cvt_f32_u32_e32 v3, s33
	s_sub_i32 s0, 0, s33
	v_rcp_iflag_f32_e32 v3, v3
	v_mul_f32_e32 v3, 0x4f7ffffe, v3
	v_cvt_u32_f32_e32 v3, v3
	v_mul_lo_u32 v4, s0, v3
	v_mul_hi_u32 v4, v3, v4
	v_add_u32_e32 v3, v3, v4
	v_readlane_b32 s0, v73, 29
	v_mul_hi_u32 v3, s0, v3
	v_mul_lo_u32 v3, v3, s33
	v_sub_u32_e32 v3, s0, v3
	v_subrev_u32_e32 v4, s33, v3
	v_cmp_le_u32_e32 vcc, s33, v3
	v_cndmask_b32_e32 v3, v3, v4, vcc
	v_subrev_u32_e32 v4, s33, v3
	v_cmp_le_u32_e32 vcc, s33, v3
	v_cndmask_b32_e32 v20, v3, v4, vcc
	v_pk_mov_b32 v[4:5], v[20:21], v[20:21] op_sel:[0,1]
.LBB165_418:                            ;   in Loop: Header=BB165_31 Depth=1
	v_readlane_b32 s0, v73, 31
	v_readlane_b32 s1, v73, 32
	;; [unrolled: 1-line block ×3, first 2 shown]
	v_mov_b32_e32 v3, s1
	v_sub_co_u32_e32 v10, vcc, s0, v4
	v_subb_co_u32_e32 v11, vcc, v3, v5, vcc
	v_cmp_gt_u64_e32 vcc, v[10:11], v[0:1]
	s_mov_b64 s[66:67], 0
                                        ; implicit-def: $vgpr6_vgpr7
	s_and_saveexec_b64 s[0:1], vcc
	s_cbranch_execz .LBB165_427
; %bb.419:                              ;   in Loop: Header=BB165_31 Depth=1
	s_mov_b64 s[50:51], 0
	v_pk_mov_b32 v[12:13], v[32:33], v[32:33] op_sel:[0,1]
	v_pk_mov_b32 v[14:15], v[0:1], v[0:1] op_sel:[0,1]
                                        ; implicit-def: $sgpr48_sgpr49
	s_branch .LBB165_421
.LBB165_420:                            ;   in Loop: Header=BB165_421 Depth=2
	s_or_b64 exec, exec, s[52:53]
	s_waitcnt lgkmcnt(0)
	s_barrier
	s_waitcnt vmcnt(0)
	ds_read_b128 v[4:7], v21 offset:3072
	v_mov_b32_e32 v3, s92
	v_add_co_u32_e32 v14, vcc, s33, v14
	v_addc_co_u32_e32 v15, vcc, v15, v3, vcc
	s_waitcnt lgkmcnt(0)
	v_readfirstlane_b32 s31, v5
	v_readfirstlane_b32 s30, v4
	s_cmp_lg_u64 s[30:31], 0
	s_cselect_b64 s[30:31], -1, 0
	v_cmp_ge_u64_e32 vcc, v[14:15], v[10:11]
	s_or_b64 s[52:53], vcc, s[30:31]
	s_and_b64 s[52:53], exec, s[52:53]
	s_or_b64 s[50:51], s[52:53], s[50:51]
	v_mov_b32_e32 v3, s65
	v_add_co_u32_e32 v12, vcc, s64, v12
	s_andn2_b64 s[48:49], s[48:49], exec
	s_and_b64 s[30:31], s[30:31], exec
	v_addc_co_u32_e32 v13, vcc, v13, v3, vcc
	s_or_b64 s[48:49], s[48:49], s[30:31]
	s_barrier
	s_andn2_b64 exec, exec, s[50:51]
	s_cbranch_execz .LBB165_426
.LBB165_421:                            ;   Parent Loop BB165_31 Depth=1
                                        ; =>  This Inner Loop Header: Depth=2
	v_cmp_gt_u64_e32 vcc, s[60:61], v[14:15]
	v_pk_mov_b32 v[4:5], 0, 0
	s_and_saveexec_b64 s[52:53], vcc
	s_cbranch_execz .LBB165_423
; %bb.422:                              ;   in Loop: Header=BB165_421 Depth=2
	global_load_dwordx2 v[4:5], v[12:13], off
.LBB165_423:                            ;   in Loop: Header=BB165_421 Depth=2
	s_or_b64 exec, exec, s[52:53]
	s_and_saveexec_b64 s[52:53], vcc
	s_cbranch_execz .LBB165_420
; %bb.424:                              ;   in Loop: Header=BB165_421 Depth=2
	s_waitcnt vmcnt(0)
	v_xor_b32_e32 v3, 0x80000000, v5
	v_and_b32_e32 v7, v3, v35
	v_and_b32_e32 v6, v4, v34
	v_cmp_eq_u64_e32 vcc, v[6:7], v[36:37]
	s_and_b64 exec, exec, vcc
	s_cbranch_execz .LBB165_420
; %bb.425:                              ;   in Loop: Header=BB165_421 Depth=2
	v_mov_b32_e32 v3, v21
	ds_write_b128 v21, v[2:5] offset:3072
	s_branch .LBB165_420
.LBB165_426:                            ;   in Loop: Header=BB165_31 Depth=1
	s_or_b64 exec, exec, s[50:51]
	s_and_b64 s[66:67], s[48:49], exec
.LBB165_427:                            ;   in Loop: Header=BB165_31 Depth=1
	s_or_b64 exec, exec, s[0:1]
	s_mov_b64 s[50:51], 0
	s_mov_b64 s[48:49], -1
	s_mov_b64 s[52:53], 0
.LBB165_428:                            ;   in Loop: Header=BB165_31 Depth=1
	s_orn2_b64 s[66:67], s[66:67], exec
.LBB165_429:                            ;   in Loop: Header=BB165_31 Depth=1
	s_or_b64 exec, exec, s[54:55]
	s_mov_b64 s[0:1], 0
                                        ; implicit-def: $vgpr3
	s_and_saveexec_b64 s[54:55], s[66:67]
	s_cbranch_execz .LBB165_494
; %bb.430:                              ;   in Loop: Header=BB165_31 Depth=1
	v_mov_b32_e32 v10, 1
	s_xor_b64 s[30:31], s[68:69], -1
	s_mov_b64 s[88:89], 0
	v_mov_b32_e32 v11, 0
	v_mov_b32_e32 v3, 1
	s_and_saveexec_b64 s[0:1], s[30:31]
	s_cbranch_execz .LBB165_440
; %bb.431:                              ;   in Loop: Header=BB165_31 Depth=1
	v_cmp_ge_u64_e32 vcc, s[22:23], v[8:9]
                                        ; implicit-def: $sgpr3
                                        ; implicit-def: $sgpr66_sgpr67
	s_and_saveexec_b64 s[30:31], vcc
	s_xor_b64 s[68:69], exec, s[30:31]
	s_cbranch_execz .LBB165_437
; %bb.432:                              ;   in Loop: Header=BB165_31 Depth=1
	ds_read_b64 v[4:5], v21 offset:5120
	s_waitcnt lgkmcnt(0)
	v_cmp_ne_u64_e32 vcc, 0, v[4:5]
	s_cbranch_vccnz .LBB165_436
; %bb.433:                              ;   in Loop: Header=BB165_31 Depth=1
	s_mov_b64 s[66:67], exec
	v_readlane_b32 s30, v73, 10
	v_readlane_b32 s31, v73, 11
	s_and_b64 s[30:31], s[66:67], s[30:31]
	s_mov_b64 exec, s[30:31]
	s_cbranch_execz .LBB165_435
; %bb.434:                              ;   in Loop: Header=BB165_31 Depth=1
	v_pk_mov_b32 v[4:5], s[22:23], s[22:23] op_sel:[0,1]
	ds_write_b64 v21, v[4:5] offset:5128
.LBB165_435:                            ;   in Loop: Header=BB165_31 Depth=1
	s_or_b64 exec, exec, s[66:67]
	s_waitcnt lgkmcnt(0)
	s_barrier
.LBB165_436:                            ;   in Loop: Header=BB165_31 Depth=1
	s_lshl_b64 s[30:31], 1, s86
	v_and_b32_e32 v3, s21, v37
	v_and_b32_e32 v4, s20, v36
	v_or_b32_e32 v37, s31, v3
	v_or_b32_e32 v36, s30, v4
	;; [unrolled: 1-line block ×4, first 2 shown]
	s_mov_b64 s[66:67], 0
	s_mov_b32 s3, 5
.LBB165_437:                            ;   in Loop: Header=BB165_31 Depth=1
	s_or_saveexec_b64 s[68:69], s[68:69]
	v_mov_b32_e32 v3, s3
	s_xor_b64 exec, exec, s[68:69]
; %bb.438:                              ;   in Loop: Header=BB165_31 Depth=1
	v_mov_b32_e32 v3, s23
	v_subrev_co_u32_e32 v8, vcc, s22, v8
	v_subb_co_u32_e32 v9, vcc, v9, v3, vcc
	v_mov_b32_e32 v3, 0
	s_or_b64 s[66:67], s[66:67], exec
; %bb.439:                              ;   in Loop: Header=BB165_31 Depth=1
	s_or_b64 exec, exec, s[68:69]
	s_and_b64 s[88:89], s[66:67], exec
	v_pk_mov_b32 v[10:11], v[8:9], v[8:9] op_sel:[0,1]
.LBB165_440:                            ;   in Loop: Header=BB165_31 Depth=1
	s_or_b64 exec, exec, s[0:1]
	s_mov_b64 s[68:69], -1
                                        ; implicit-def: $sgpr0_sgpr1
                                        ; implicit-def: $sgpr66_sgpr67
                                        ; implicit-def: $sgpr80_sgpr81
	s_and_saveexec_b64 s[22:23], s[88:89]
	s_cbranch_execz .LBB165_493
; %bb.441:                              ;   in Loop: Header=BB165_31 Depth=1
	s_cmp_eq_u64 s[16:17], 1
	s_cselect_b64 s[0:1], -1, 0
	v_cmp_eq_u64_e32 vcc, 1, v[10:11]
	s_and_b64 vcc, s[0:1], vcc
	s_mov_b64 s[88:89], -1
                                        ; implicit-def: $sgpr0_sgpr1
                                        ; implicit-def: $sgpr66_sgpr67
                                        ; implicit-def: $sgpr80_sgpr81
	s_and_saveexec_b64 s[68:69], vcc
	s_cbranch_execz .LBB165_480
; %bb.442:                              ;   in Loop: Header=BB165_31 Depth=1
	ds_read_b64 v[4:5], v21 offset:5120
	s_waitcnt lgkmcnt(0)
	s_barrier
	v_readfirstlane_b32 s0, v4
	v_readfirstlane_b32 s1, v5
	s_mov_b64 s[66:67], exec
	v_readlane_b32 s30, v73, 24
	v_readlane_b32 s31, v73, 25
	s_and_b64 s[30:31], s[66:67], s[30:31]
	s_mov_b64 exec, s[30:31]
	s_cbranch_execz .LBB165_444
; %bb.443:                              ;   in Loop: Header=BB165_31 Depth=1
	v_mov_b32_e32 v20, v21
	ds_write_b64 v58, v[20:21]
.LBB165_444:                            ;   in Loop: Header=BB165_31 Depth=1
	s_or_b64 exec, exec, s[66:67]
	v_and_b32_e32 v37, s21, v37
	v_and_b32_e32 v36, s20, v36
	v_or_b32_e32 v35, s19, v35
	v_or_b32_e32 v34, s18, v34
	s_cmp_eq_u64 s[0:1], 0
	v_writelane_b32 v73, vcc_lo, 62
	s_waitcnt lgkmcnt(0)
	s_barrier
	v_writelane_b32 v73, vcc_hi, 63
	s_cbranch_scc1 .LBB165_449
; %bb.445:                              ;   in Loop: Header=BB165_31 Depth=1
	v_readlane_b32 s3, v73, 28
	s_add_u32 s3, s3, s0
	v_readlane_b32 s30, v73, 30
	s_addc_u32 s67, s30, s1
	s_mov_b32 s66, s87
	s_cmp_lg_u64 s[66:67], 0
	s_cbranch_scc0 .LBB165_450
; %bb.446:                              ;   in Loop: Header=BB165_31 Depth=1
	v_cvt_f32_u32_e32 v3, s33
	s_sub_u32 s30, 0, s33
	s_subb_u32 s31, 0, 0
	v_mac_f32_e32 v3, 0, v61
	v_rcp_f32_e32 v3, v3
	v_mul_f32_e32 v3, 0x5f7ffffc, v3
	v_mul_f32_e32 v4, 0x2f800000, v3
	v_trunc_f32_e32 v4, v4
	v_mac_f32_e32 v3, 0xcf800000, v4
	v_cvt_u32_f32_e32 v4, v4
	v_cvt_u32_f32_e32 v3, v3
	v_readfirstlane_b32 s66, v4
	v_readfirstlane_b32 s80, v3
	s_mul_i32 s81, s30, s66
	s_mul_hi_u32 s88, s30, s80
	s_mul_i32 s86, s31, s80
	s_add_i32 s81, s88, s81
	s_mul_i32 s89, s30, s80
	s_add_i32 s81, s81, s86
	s_mul_hi_u32 s88, s80, s89
	s_mul_hi_u32 s86, s80, s81
	s_mul_i32 s80, s80, s81
	s_add_u32 s80, s88, s80
	s_addc_u32 s86, 0, s86
	s_mul_hi_u32 s90, s66, s89
	s_mul_i32 s89, s66, s89
	s_add_u32 s80, s80, s89
	s_mul_hi_u32 s88, s66, s81
	s_addc_u32 s80, s86, s90
	s_addc_u32 s86, s88, 0
	s_mul_i32 s81, s66, s81
	s_add_u32 s80, s80, s81
	s_addc_u32 s81, 0, s86
	v_add_co_u32_e32 v3, vcc, s80, v3
	s_cmp_lg_u64 vcc, 0
	s_addc_u32 s66, s66, s81
	v_readfirstlane_b32 s81, v3
	s_mul_i32 s80, s30, s66
	s_mul_hi_u32 s86, s30, s81
	s_add_i32 s80, s86, s80
	s_mul_i32 s31, s31, s81
	s_add_i32 s80, s80, s31
	s_mul_i32 s30, s30, s81
	s_mul_hi_u32 s86, s66, s30
	s_mul_i32 s88, s66, s30
	s_mul_i32 s90, s81, s80
	s_mul_hi_u32 s30, s81, s30
	s_mul_hi_u32 s89, s81, s80
	s_add_u32 s30, s30, s90
	s_addc_u32 s81, 0, s89
	s_add_u32 s30, s30, s88
	s_mul_hi_u32 s31, s66, s80
	s_addc_u32 s30, s81, s86
	s_addc_u32 s31, s31, 0
	s_mul_i32 s80, s66, s80
	s_add_u32 s30, s30, s80
	s_addc_u32 s31, 0, s31
	v_add_co_u32_e32 v3, vcc, s30, v3
	s_cmp_lg_u64 vcc, 0
	s_addc_u32 s30, s66, s31
	v_readfirstlane_b32 s80, v3
	s_mul_i32 s66, s3, s30
	s_mul_hi_u32 s81, s3, s80
	s_mul_hi_u32 s31, s3, s30
	s_add_u32 s66, s81, s66
	s_addc_u32 s31, 0, s31
	s_mul_hi_u32 s86, s67, s80
	s_mul_i32 s80, s67, s80
	s_add_u32 s66, s66, s80
	s_mul_hi_u32 s81, s67, s30
	s_addc_u32 s31, s31, s86
	s_addc_u32 s66, s81, 0
	s_mul_i32 s30, s67, s30
	s_add_u32 s30, s31, s30
	s_addc_u32 s31, 0, s66
	s_mul_hi_u32 s66, s33, s30
	s_mul_i32 s30, s33, s30
	s_mul_i32 s31, s33, s31
	v_mov_b32_e32 v3, s30
	s_add_i32 s66, s66, s31
	v_sub_co_u32_e32 v3, vcc, s3, v3
	s_cmp_lg_u64 vcc, 0
	s_subb_u32 s30, s67, s66
	v_subrev_co_u32_e32 v4, vcc, s33, v3
	s_cmp_lg_u64 vcc, 0
	s_subb_u32 s31, s30, 0
	v_subrev_co_u32_e32 v5, vcc, s33, v4
	s_cmp_lg_u64 vcc, 0
	s_subb_u32 s66, s31, 0
	v_cmp_le_u32_e32 vcc, s33, v4
	s_cmp_eq_u32 s31, 0
	v_cndmask_b32_e64 v6, 0, -1, vcc
	s_cselect_b64 vcc, -1, 0
	v_cndmask_b32_e32 v6, -1, v6, vcc
	v_mov_b32_e32 v7, s31
	v_mov_b32_e32 v8, s66
	v_cmp_ne_u32_e32 vcc, 0, v6
	v_cndmask_b32_e32 v6, v7, v8, vcc
	v_cndmask_b32_e32 v4, v4, v5, vcc
	v_cmp_le_u32_e32 vcc, s33, v3
	s_cmp_eq_u32 s30, 0
	v_cndmask_b32_e64 v5, 0, -1, vcc
	s_cselect_b64 vcc, -1, 0
	v_cndmask_b32_e32 v5, -1, v5, vcc
	v_mov_b32_e32 v7, s30
	v_cmp_ne_u32_e32 vcc, 0, v5
	v_cndmask_b32_e32 v5, v7, v6, vcc
	v_cndmask_b32_e32 v4, v3, v4, vcc
	s_mov_b64 s[80:81], 0
	s_branch .LBB165_451
.LBB165_447:                            ;   in Loop: Header=BB165_31 Depth=1
                                        ; implicit-def: $vgpr4_vgpr5
	s_branch .LBB165_401
.LBB165_448:                            ;   in Loop: Header=BB165_31 Depth=1
                                        ; implicit-def: $vgpr4_vgpr5
	s_branch .LBB165_417
.LBB165_449:                            ;   in Loop: Header=BB165_31 Depth=1
	s_mov_b64 s[0:1], -1
	s_mov_b64 s[88:89], 0
                                        ; implicit-def: $sgpr66_sgpr67
                                        ; implicit-def: $vgpr6_vgpr7
	s_branch .LBB165_463
.LBB165_450:                            ;   in Loop: Header=BB165_31 Depth=1
	s_mov_b64 s[80:81], -1
                                        ; implicit-def: $vgpr4_vgpr5
.LBB165_451:                            ;   in Loop: Header=BB165_31 Depth=1
	s_andn2_b64 vcc, exec, s[80:81]
	s_cbranch_vccnz .LBB165_453
; %bb.452:                              ;   in Loop: Header=BB165_31 Depth=1
	v_cvt_f32_u32_e32 v3, s33
	s_sub_i32 s30, 0, s33
	v_rcp_iflag_f32_e32 v3, v3
	v_mul_f32_e32 v3, 0x4f7ffffe, v3
	v_cvt_u32_f32_e32 v3, v3
	v_mul_lo_u32 v4, s30, v3
	v_mul_hi_u32 v4, v3, v4
	v_add_u32_e32 v3, v3, v4
	v_mul_hi_u32 v3, s3, v3
	v_mul_lo_u32 v3, v3, s33
	v_sub_u32_e32 v3, s3, v3
	v_subrev_u32_e32 v4, s33, v3
	v_cmp_le_u32_e32 vcc, s33, v3
	v_cndmask_b32_e32 v3, v3, v4, vcc
	v_subrev_u32_e32 v4, s33, v3
	v_cmp_le_u32_e32 vcc, s33, v3
	v_cndmask_b32_e32 v20, v3, v4, vcc
	v_pk_mov_b32 v[4:5], v[20:21], v[20:21] op_sel:[0,1]
.LBB165_453:                            ;   in Loop: Header=BB165_31 Depth=1
	v_mov_b32_e32 v3, s67
	v_sub_co_u32_e32 v8, vcc, s3, v4
	v_subb_co_u32_e32 v9, vcc, v3, v5, vcc
	v_cmp_gt_u64_e32 vcc, v[8:9], v[0:1]
	s_mov_b64 s[88:89], 0
                                        ; implicit-def: $vgpr6_vgpr7
	s_and_saveexec_b64 s[66:67], vcc
	s_cbranch_execz .LBB165_462
; %bb.454:                              ;   in Loop: Header=BB165_31 Depth=1
	v_mov_b32_e32 v14, v57
	v_pk_mov_b32 v[12:13], v[0:1], v[0:1] op_sel:[0,1]
                                        ; implicit-def: $sgpr80_sgpr81
	s_branch .LBB165_456
.LBB165_455:                            ;   in Loop: Header=BB165_456 Depth=2
	s_or_b64 exec, exec, s[90:91]
	s_waitcnt lgkmcnt(0)
	s_barrier
	ds_read_b128 v[4:7], v21 offset:3072
	v_mov_b32_e32 v3, s92
	v_add_co_u32_e32 v12, vcc, s33, v12
	v_addc_co_u32_e32 v13, vcc, v13, v3, vcc
	s_waitcnt lgkmcnt(0)
	v_readfirstlane_b32 s31, v5
	v_readfirstlane_b32 s30, v4
	s_cmp_lg_u64 s[30:31], 0
	s_cselect_b64 s[30:31], -1, 0
	v_cmp_ge_u64_e32 vcc, v[12:13], v[8:9]
	s_or_b64 s[90:91], vcc, s[30:31]
	s_and_b64 s[90:91], exec, s[90:91]
	s_or_b64 s[88:89], s[90:91], s[88:89]
	s_andn2_b64 s[80:81], s[80:81], exec
	s_and_b64 s[30:31], s[30:31], exec
	v_add_u32_e32 v14, s2, v14
	s_or_b64 s[80:81], s[80:81], s[30:31]
	s_barrier
	s_andn2_b64 exec, exec, s[88:89]
	s_cbranch_execz .LBB165_461
.LBB165_456:                            ;   Parent Loop BB165_31 Depth=1
                                        ; =>  This Inner Loop Header: Depth=2
	v_cmp_gt_u64_e32 vcc, s[0:1], v[12:13]
	v_pk_mov_b32 v[4:5], 0, 0
	s_and_saveexec_b64 s[90:91], vcc
	s_cbranch_execz .LBB165_458
; %bb.457:                              ;   in Loop: Header=BB165_456 Depth=2
	ds_read_b64 v[4:5], v14
.LBB165_458:                            ;   in Loop: Header=BB165_456 Depth=2
	s_or_b64 exec, exec, s[90:91]
	s_and_saveexec_b64 s[90:91], vcc
	s_cbranch_execz .LBB165_455
; %bb.459:                              ;   in Loop: Header=BB165_456 Depth=2
	s_waitcnt lgkmcnt(0)
	v_xor_b32_e32 v3, 0x80000000, v5
	v_and_b32_e32 v7, v3, v35
	v_and_b32_e32 v6, v4, v34
	v_cmp_eq_u64_e32 vcc, v[6:7], v[36:37]
	s_and_b64 exec, exec, vcc
	s_cbranch_execz .LBB165_455
; %bb.460:                              ;   in Loop: Header=BB165_456 Depth=2
	v_mov_b32_e32 v3, v21
	ds_write_b128 v21, v[2:5] offset:3072
	s_branch .LBB165_455
.LBB165_461:                            ;   in Loop: Header=BB165_31 Depth=1
	s_or_b64 exec, exec, s[88:89]
	s_and_b64 s[88:89], s[80:81], exec
.LBB165_462:                            ;   in Loop: Header=BB165_31 Depth=1
	s_or_b64 exec, exec, s[66:67]
	s_mov_b64 s[0:1], 0
	s_mov_b64 s[66:67], -1
.LBB165_463:                            ;   in Loop: Header=BB165_31 Depth=1
	s_and_b64 vcc, exec, s[0:1]
	s_mov_b64 s[80:81], s[0:1]
	s_cbranch_vccz .LBB165_479
; %bb.464:                              ;   in Loop: Header=BB165_31 Depth=1
	v_readlane_b32 s88, v73, 31
	v_readlane_b32 s89, v73, 32
	s_mov_b32 s88, s87
	s_cmp_lg_u64 s[88:89], 0
	v_writelane_b32 v73, s88, 31
	v_writelane_b32 v73, s89, 32
	s_cbranch_scc0 .LBB165_466
; %bb.465:                              ;   in Loop: Header=BB165_31 Depth=1
	v_cvt_f32_u32_e32 v3, s33
	s_sub_u32 s0, 0, s33
	s_subb_u32 s1, 0, 0
	v_mac_f32_e32 v3, 0, v61
	v_rcp_f32_e32 v3, v3
	v_mul_f32_e32 v3, 0x5f7ffffc, v3
	v_mul_f32_e32 v4, 0x2f800000, v3
	v_trunc_f32_e32 v4, v4
	v_mac_f32_e32 v3, 0xcf800000, v4
	v_cvt_u32_f32_e32 v4, v4
	v_cvt_u32_f32_e32 v3, v3
	v_readfirstlane_b32 s3, v4
	v_readfirstlane_b32 s30, v3
	s_mul_i32 s31, s0, s3
	s_mul_hi_u32 s67, s0, s30
	s_mul_i32 s66, s1, s30
	s_add_i32 s31, s67, s31
	s_mul_i32 s80, s0, s30
	s_add_i32 s31, s31, s66
	s_mul_hi_u32 s67, s30, s80
	s_mul_hi_u32 s66, s30, s31
	s_mul_i32 s30, s30, s31
	s_add_u32 s30, s67, s30
	s_addc_u32 s66, 0, s66
	s_mul_hi_u32 s81, s3, s80
	s_mul_i32 s80, s3, s80
	s_add_u32 s30, s30, s80
	s_mul_hi_u32 s67, s3, s31
	s_addc_u32 s30, s66, s81
	s_addc_u32 s66, s67, 0
	s_mul_i32 s31, s3, s31
	s_add_u32 s30, s30, s31
	s_addc_u32 s31, 0, s66
	v_add_co_u32_e32 v3, vcc, s30, v3
	s_cmp_lg_u64 vcc, 0
	s_addc_u32 s3, s3, s31
	v_readfirstlane_b32 s31, v3
	s_mul_i32 s30, s0, s3
	s_mul_hi_u32 s66, s0, s31
	s_add_i32 s30, s66, s30
	s_mul_i32 s1, s1, s31
	s_add_i32 s30, s30, s1
	s_mul_i32 s0, s0, s31
	s_mul_hi_u32 s66, s3, s0
	s_mul_i32 s67, s3, s0
	s_mul_i32 s81, s31, s30
	s_mul_hi_u32 s0, s31, s0
	s_mul_hi_u32 s80, s31, s30
	s_add_u32 s0, s0, s81
	s_addc_u32 s31, 0, s80
	s_add_u32 s0, s0, s67
	s_mul_hi_u32 s1, s3, s30
	s_addc_u32 s0, s31, s66
	s_addc_u32 s1, s1, 0
	s_mul_i32 s30, s3, s30
	s_add_u32 s0, s0, s30
	s_addc_u32 s1, 0, s1
	v_add_co_u32_e32 v3, vcc, s0, v3
	s_cmp_lg_u64 vcc, 0
	s_addc_u32 s0, s3, s1
	v_readlane_b32 s67, v73, 29
	v_readfirstlane_b32 s30, v3
	s_mul_i32 s3, s67, s0
	s_mul_hi_u32 s31, s67, s30
	s_mul_hi_u32 s1, s67, s0
	s_add_u32 s3, s31, s3
	s_addc_u32 s1, 0, s1
	s_mul_hi_u32 s66, s89, s30
	s_mul_i32 s30, s89, s30
	s_add_u32 s3, s3, s30
	s_mul_hi_u32 s31, s89, s0
	s_addc_u32 s1, s1, s66
	s_addc_u32 s3, s31, 0
	s_mul_i32 s0, s89, s0
	s_add_u32 s0, s1, s0
	s_addc_u32 s1, 0, s3
	s_mul_hi_u32 s3, s33, s0
	s_mul_i32 s0, s33, s0
	s_mul_i32 s1, s33, s1
	v_mov_b32_e32 v3, s0
	s_add_i32 s3, s3, s1
	v_sub_co_u32_e32 v3, vcc, s67, v3
	s_cmp_lg_u64 vcc, 0
	s_subb_u32 s0, s89, s3
	v_subrev_co_u32_e32 v4, vcc, s33, v3
	s_cmp_lg_u64 vcc, 0
	s_subb_u32 s1, s0, 0
	v_subrev_co_u32_e32 v5, vcc, s33, v4
	s_cmp_lg_u64 vcc, 0
	s_subb_u32 s3, s1, 0
	v_cmp_le_u32_e32 vcc, s33, v4
	s_cmp_eq_u32 s1, 0
	v_cndmask_b32_e64 v6, 0, -1, vcc
	s_cselect_b64 vcc, -1, 0
	v_cndmask_b32_e32 v6, -1, v6, vcc
	v_mov_b32_e32 v7, s1
	v_mov_b32_e32 v8, s3
	v_cmp_ne_u32_e32 vcc, 0, v6
	v_cndmask_b32_e32 v6, v7, v8, vcc
	v_cndmask_b32_e32 v4, v4, v5, vcc
	v_cmp_le_u32_e32 vcc, s33, v3
	s_cmp_eq_u32 s0, 0
	v_cndmask_b32_e64 v5, 0, -1, vcc
	s_cselect_b64 vcc, -1, 0
	v_cndmask_b32_e32 v5, -1, v5, vcc
	v_mov_b32_e32 v7, s0
	v_cmp_ne_u32_e32 vcc, 0, v5
	v_cndmask_b32_e32 v5, v7, v6, vcc
	v_cndmask_b32_e32 v4, v3, v4, vcc
	s_mov_b64 s[0:1], 0
	s_branch .LBB165_467
.LBB165_466:                            ;   in Loop: Header=BB165_31 Depth=1
	s_mov_b64 s[0:1], -1
                                        ; implicit-def: $vgpr4_vgpr5
.LBB165_467:                            ;   in Loop: Header=BB165_31 Depth=1
	s_andn2_b64 vcc, exec, s[0:1]
	s_cbranch_vccnz .LBB165_469
; %bb.468:                              ;   in Loop: Header=BB165_31 Depth=1
	v_cvt_f32_u32_e32 v3, s33
	s_sub_i32 s0, 0, s33
	v_rcp_iflag_f32_e32 v3, v3
	v_mul_f32_e32 v3, 0x4f7ffffe, v3
	v_cvt_u32_f32_e32 v3, v3
	v_mul_lo_u32 v4, s0, v3
	v_mul_hi_u32 v4, v3, v4
	v_add_u32_e32 v3, v3, v4
	v_readlane_b32 s0, v73, 29
	v_mul_hi_u32 v3, s0, v3
	v_mul_lo_u32 v3, v3, s33
	v_sub_u32_e32 v3, s0, v3
	v_subrev_u32_e32 v4, s33, v3
	v_cmp_le_u32_e32 vcc, s33, v3
	v_cndmask_b32_e32 v3, v3, v4, vcc
	v_subrev_u32_e32 v4, s33, v3
	v_cmp_le_u32_e32 vcc, s33, v3
	v_cndmask_b32_e32 v20, v3, v4, vcc
	v_pk_mov_b32 v[4:5], v[20:21], v[20:21] op_sel:[0,1]
.LBB165_469:                            ;   in Loop: Header=BB165_31 Depth=1
	v_readlane_b32 s0, v73, 31
	v_readlane_b32 s1, v73, 32
	;; [unrolled: 1-line block ×3, first 2 shown]
	v_mov_b32_e32 v3, s1
	v_sub_co_u32_e32 v8, vcc, s0, v4
	v_subb_co_u32_e32 v9, vcc, v3, v5, vcc
	v_cmp_gt_u64_e32 vcc, v[8:9], v[0:1]
	s_mov_b64 s[88:89], 0
                                        ; implicit-def: $vgpr6_vgpr7
	s_and_saveexec_b64 s[0:1], vcc
	s_cbranch_execz .LBB165_478
; %bb.470:                              ;   in Loop: Header=BB165_31 Depth=1
	s_mov_b64 s[80:81], 0
	v_pk_mov_b32 v[12:13], v[32:33], v[32:33] op_sel:[0,1]
	v_pk_mov_b32 v[14:15], v[0:1], v[0:1] op_sel:[0,1]
                                        ; implicit-def: $sgpr66_sgpr67
	s_branch .LBB165_472
.LBB165_471:                            ;   in Loop: Header=BB165_472 Depth=2
	s_or_b64 exec, exec, s[88:89]
	s_waitcnt lgkmcnt(0)
	s_barrier
	s_waitcnt vmcnt(0)
	ds_read_b128 v[4:7], v21 offset:3072
	v_mov_b32_e32 v3, s92
	v_add_co_u32_e32 v14, vcc, s33, v14
	v_addc_co_u32_e32 v15, vcc, v15, v3, vcc
	s_waitcnt lgkmcnt(0)
	v_readfirstlane_b32 s31, v5
	v_readfirstlane_b32 s30, v4
	s_cmp_lg_u64 s[30:31], 0
	s_cselect_b64 s[30:31], -1, 0
	v_cmp_ge_u64_e32 vcc, v[14:15], v[8:9]
	s_or_b64 s[88:89], vcc, s[30:31]
	s_and_b64 s[88:89], exec, s[88:89]
	s_or_b64 s[80:81], s[88:89], s[80:81]
	v_mov_b32_e32 v3, s65
	v_add_co_u32_e32 v12, vcc, s64, v12
	s_andn2_b64 s[66:67], s[66:67], exec
	s_and_b64 s[30:31], s[30:31], exec
	v_addc_co_u32_e32 v13, vcc, v13, v3, vcc
	s_or_b64 s[66:67], s[66:67], s[30:31]
	s_barrier
	s_andn2_b64 exec, exec, s[80:81]
	s_cbranch_execz .LBB165_477
.LBB165_472:                            ;   Parent Loop BB165_31 Depth=1
                                        ; =>  This Inner Loop Header: Depth=2
	v_cmp_gt_u64_e32 vcc, s[60:61], v[14:15]
	v_pk_mov_b32 v[4:5], 0, 0
	s_and_saveexec_b64 s[88:89], vcc
	s_cbranch_execz .LBB165_474
; %bb.473:                              ;   in Loop: Header=BB165_472 Depth=2
	global_load_dwordx2 v[4:5], v[12:13], off
.LBB165_474:                            ;   in Loop: Header=BB165_472 Depth=2
	s_or_b64 exec, exec, s[88:89]
	s_and_saveexec_b64 s[88:89], vcc
	s_cbranch_execz .LBB165_471
; %bb.475:                              ;   in Loop: Header=BB165_472 Depth=2
	s_waitcnt vmcnt(0)
	v_xor_b32_e32 v3, 0x80000000, v5
	v_and_b32_e32 v7, v3, v35
	v_and_b32_e32 v6, v4, v34
	v_cmp_eq_u64_e32 vcc, v[6:7], v[36:37]
	s_and_b64 exec, exec, vcc
	s_cbranch_execz .LBB165_471
; %bb.476:                              ;   in Loop: Header=BB165_472 Depth=2
	v_mov_b32_e32 v3, v21
	ds_write_b128 v21, v[2:5] offset:3072
	s_branch .LBB165_471
.LBB165_477:                            ;   in Loop: Header=BB165_31 Depth=1
	s_or_b64 exec, exec, s[80:81]
	s_and_b64 s[88:89], s[66:67], exec
.LBB165_478:                            ;   in Loop: Header=BB165_31 Depth=1
	s_or_b64 exec, exec, s[0:1]
	s_mov_b64 s[66:67], 0
	s_mov_b64 s[0:1], -1
	s_mov_b64 s[80:81], 0
.LBB165_479:                            ;   in Loop: Header=BB165_31 Depth=1
	v_readlane_b32 vcc_lo, v73, 62
	s_orn2_b64 s[88:89], s[88:89], exec
	v_readlane_b32 vcc_hi, v73, 63
.LBB165_480:                            ;   in Loop: Header=BB165_31 Depth=1
	s_or_b64 exec, exec, s[68:69]
	s_mov_b64 s[90:91], 0
                                        ; implicit-def: $vgpr3
                                        ; implicit-def: $vgpr4_vgpr5
	s_and_saveexec_b64 s[68:69], s[88:89]
	s_cbranch_execz .LBB165_492
; %bb.481:                              ;   in Loop: Header=BB165_31 Depth=1
	v_mov_b32_e32 v4, 1
	s_xor_b64 s[30:31], vcc, -1
	v_mov_b32_e32 v3, 1
	v_mov_b32_e32 v5, 0
	s_and_saveexec_b64 s[88:89], s[30:31]
	s_cbranch_execz .LBB165_491
; %bb.482:                              ;   in Loop: Header=BB165_31 Depth=1
	v_cmp_ge_u64_e32 vcc, s[16:17], v[10:11]
                                        ; implicit-def: $sgpr3
	s_and_saveexec_b64 s[30:31], vcc
	s_xor_b64 s[90:91], exec, s[30:31]
	s_cbranch_execz .LBB165_488
; %bb.483:                              ;   in Loop: Header=BB165_31 Depth=1
	ds_read_b64 v[4:5], v21 offset:5120
	s_waitcnt lgkmcnt(0)
	v_cmp_ne_u64_e32 vcc, 0, v[4:5]
	s_cbranch_vccnz .LBB165_487
; %bb.484:                              ;   in Loop: Header=BB165_31 Depth=1
	s_mov_b64 s[94:95], exec
	v_readlane_b32 s30, v73, 10
	v_readlane_b32 s31, v73, 11
	s_and_b64 s[30:31], s[94:95], s[30:31]
	s_mov_b64 exec, s[30:31]
	s_cbranch_execz .LBB165_486
; %bb.485:                              ;   in Loop: Header=BB165_31 Depth=1
	v_pk_mov_b32 v[4:5], s[16:17], s[16:17] op_sel:[0,1]
	ds_write_b64 v21, v[4:5] offset:5128
.LBB165_486:                            ;   in Loop: Header=BB165_31 Depth=1
	s_or_b64 exec, exec, s[94:95]
	s_waitcnt lgkmcnt(0)
	s_barrier
.LBB165_487:                            ;   in Loop: Header=BB165_31 Depth=1
	v_and_b32_e32 v37, s21, v37
	v_and_b32_e32 v36, s20, v36
	v_or_b32_e32 v35, s19, v35
	v_or_b32_e32 v34, s18, v34
	s_mov_b32 s3, 5
.LBB165_488:                            ;   in Loop: Header=BB165_31 Depth=1
	s_or_saveexec_b64 s[18:19], s[90:91]
	v_mov_b32_e32 v3, s3
	s_xor_b64 exec, exec, s[18:19]
; %bb.489:                              ;   in Loop: Header=BB165_31 Depth=1
	v_mov_b32_e32 v3, s17
	v_subrev_co_u32_e32 v10, vcc, s16, v10
	v_subb_co_u32_e32 v11, vcc, v11, v3, vcc
	v_mov_b32_e32 v3, 5
; %bb.490:                              ;   in Loop: Header=BB165_31 Depth=1
	s_or_b64 exec, exec, s[18:19]
	v_readlane_b32 s94, v73, 52
	v_pk_mov_b32 v[4:5], v[10:11], v[10:11] op_sel:[0,1]
	v_readlane_b32 s95, v73, 53
.LBB165_491:                            ;   in Loop: Header=BB165_31 Depth=1
	s_or_b64 exec, exec, s[88:89]
	s_mov_b64 s[90:91], exec
.LBB165_492:                            ;   in Loop: Header=BB165_31 Depth=1
	s_or_b64 exec, exec, s[68:69]
	s_orn2_b64 s[68:69], s[90:91], exec
	v_pk_mov_b32 v[10:11], v[4:5], v[4:5] op_sel:[0,1]
.LBB165_493:                            ;   in Loop: Header=BB165_31 Depth=1
	s_or_b64 exec, exec, s[22:23]
	s_andn2_b64 s[16:17], s[48:49], exec
	s_and_b64 s[0:1], s[0:1], exec
	s_or_b64 s[48:49], s[16:17], s[0:1]
	s_andn2_b64 s[0:1], s[50:51], exec
	s_and_b64 s[16:17], s[66:67], exec
	s_or_b64 s[50:51], s[0:1], s[16:17]
	;; [unrolled: 3-line block ×3, first 2 shown]
	s_and_b64 s[0:1], s[68:69], exec
	v_pk_mov_b32 v[8:9], v[10:11], v[10:11] op_sel:[0,1]
.LBB165_494:                            ;   in Loop: Header=BB165_31 Depth=1
	s_or_b64 exec, exec, s[54:55]
	s_and_b64 s[54:55], s[48:49], exec
	s_and_b64 s[50:51], s[50:51], exec
	;; [unrolled: 1-line block ×3, first 2 shown]
	s_orn2_b64 s[0:1], s[0:1], exec
.LBB165_495:                            ;   in Loop: Header=BB165_31 Depth=1
	s_or_b64 exec, exec, s[26:27]
	s_andn2_b64 s[16:17], s[28:29], exec
	s_and_b64 s[18:19], s[54:55], exec
	s_or_b64 s[28:29], s[16:17], s[18:19]
	s_andn2_b64 s[16:17], s[40:41], exec
	s_and_b64 s[18:19], s[50:51], exec
	s_or_b64 s[40:41], s[16:17], s[18:19]
	;; [unrolled: 3-line block ×3, first 2 shown]
	s_and_b64 s[50:51], s[0:1], exec
	v_pk_mov_b32 v[40:41], v[8:9], v[8:9] op_sel:[0,1]
.LBB165_496:                            ;   in Loop: Header=BB165_31 Depth=1
	s_or_b64 exec, exec, s[46:47]
	s_and_b64 s[46:47], s[28:29], exec
	s_and_b64 s[28:29], s[40:41], exec
	;; [unrolled: 1-line block ×3, first 2 shown]
	s_orn2_b64 s[40:41], s[50:51], exec
.LBB165_497:                            ;   in Loop: Header=BB165_31 Depth=1
	s_or_b64 exec, exec, s[6:7]
	s_mov_b64 s[6:7], s[36:37]
	s_mov_b64 s[16:17], s[34:35]
	s_and_saveexec_b64 s[18:19], s[40:41]
; %bb.498:                              ;   in Loop: Header=BB165_31 Depth=1
	v_cmp_ne_u32_e64 s[6:7], 5, v3
	v_cmp_eq_u32_e32 vcc, 5, v3
	s_andn2_b64 s[16:17], s[34:35], exec
	s_and_b64 s[6:7], s[6:7], exec
	s_or_b64 s[16:17], s[16:17], s[6:7]
	s_andn2_b64 s[6:7], s[36:37], exec
	s_and_b64 s[20:21], vcc, exec
	s_andn2_b64 s[46:47], s[46:47], exec
	s_andn2_b64 s[28:29], s[28:29], exec
	;; [unrolled: 1-line block ×3, first 2 shown]
	s_or_b64 s[6:7], s[6:7], s[20:21]
; %bb.499:                              ;   in Loop: Header=BB165_31 Depth=1
	s_or_b64 exec, exec, s[18:19]
	s_andn2_b64 s[14:15], s[14:15], exec
	s_and_b64 s[18:19], s[46:47], exec
	s_or_b64 s[14:15], s[14:15], s[18:19]
	s_andn2_b64 s[18:19], s[42:43], exec
	s_and_b64 s[20:21], s[28:29], exec
	s_or_b64 s[42:43], s[18:19], s[20:21]
	;; [unrolled: 3-line block ×5, first 2 shown]
	v_pk_mov_b32 v[12:13], v[36:37], v[36:37] op_sel:[0,1]
	v_pk_mov_b32 v[14:15], v[34:35], v[34:35] op_sel:[0,1]
	;; [unrolled: 1-line block ×3, first 2 shown]
.LBB165_500:                            ;   in Loop: Header=BB165_31 Depth=1
	s_or_b64 exec, exec, s[38:39]
	s_mov_b64 s[40:41], s[24:25]
	s_mov_b64 s[38:39], s[24:25]
	s_and_saveexec_b64 s[0:1], s[36:37]
.LBB165_501:                            ;   in Loop: Header=BB165_31 Depth=1
	v_mov_b32_e32 v3, 0
	s_andn2_b64 s[24:25], s[24:25], exec
	s_andn2_b64 s[14:15], s[14:15], exec
	;; [unrolled: 1-line block ×5, first 2 shown]
	s_or_b64 s[34:35], s[34:35], exec
.LBB165_502:                            ;   in Loop: Header=BB165_31 Depth=1
	s_or_b64 exec, exec, s[0:1]
	s_andn2_b64 s[0:1], s[4:5], exec
	s_and_b64 s[4:5], s[24:25], exec
	s_or_b64 s[4:5], s[0:1], s[4:5]
	v_readlane_b32 s0, v73, 60
	v_readlane_b32 s1, v73, 61
	s_andn2_b64 s[0:1], s[0:1], exec
	s_and_b64 s[14:15], s[14:15], exec
	s_or_b64 s[16:17], s[0:1], s[14:15]
	v_readlane_b32 s0, v73, 58
	v_readlane_b32 s1, v73, 59
	;; [unrolled: 5-line block ×4, first 2 shown]
	s_andn2_b64 s[0:1], s[0:1], exec
	s_and_b64 s[14:15], s[38:39], exec
	s_mov_b64 s[6:7], -1
	s_or_b64 s[26:27], s[0:1], s[14:15]
                                        ; implicit-def: $vgpr34_vgpr35
                                        ; implicit-def: $vgpr36_vgpr37
                                        ; implicit-def: $vgpr38_vgpr39
                                        ; implicit-def: $vgpr6_vgpr7
	s_and_saveexec_b64 s[0:1], s[34:35]
	s_mov_b64 s[34:35], s[16:17]
	s_xor_b64 s[0:1], exec, s[0:1]
	s_cbranch_execz .LBB165_30
; %bb.503:                              ;   in Loop: Header=BB165_31 Depth=1
	v_cmp_eq_u32_e32 vcc, 0, v3
	s_mov_b64 s[14:15], -1
	s_and_saveexec_b64 s[16:17], vcc
	s_cbranch_execz .LBB165_29
; %bb.504:                              ;   in Loop: Header=BB165_31 Depth=1
	v_readlane_b32 s3, v73, 51
	s_xor_b32 s3, s3, 1
	v_writelane_b32 v73, s3, 51
	v_readlane_b32 s6, v73, 50
	s_add_i32 s3, s6, -2
	s_cmp_eq_u32 s6, 0
	s_cselect_b64 s[6:7], -1, 0
	s_xor_b64 s[14:15], exec, -1
	s_orn2_b64 s[6:7], s[6:7], exec
	v_writelane_b32 v73, s3, 50
	s_branch .LBB165_29
.LBB165_505:
	s_or_b64 exec, exec, s[70:71]
	s_xor_b64 s[2:3], s[10:11], -1
	s_xor_b64 s[10:11], s[8:9], -1
	;; [unrolled: 1-line block ×5, first 2 shown]
	s_mov_b64 s[4:5], 0
	s_and_saveexec_b64 s[12:13], s[6:7]
	s_xor_b64 s[6:7], exec, s[12:13]
	s_cbranch_execnz .LBB165_510
; %bb.506:
	s_andn2_saveexec_b64 s[0:1], s[6:7]
	s_cbranch_execnz .LBB165_529
.LBB165_507:
	s_or_b64 exec, exec, s[0:1]
	s_and_saveexec_b64 s[0:1], s[4:5]
.LBB165_508:
	; divergent unreachable
.LBB165_509:
	s_endpgm
.LBB165_510:
	s_and_saveexec_b64 s[12:13], s[8:9]
	s_xor_b64 s[8:9], exec, s[12:13]
	s_cbranch_execz .LBB165_527
; %bb.511:
	s_and_saveexec_b64 s[12:13], s[10:11]
	s_xor_b64 s[10:11], exec, s[12:13]
	s_cbranch_execz .LBB165_525
; %bb.512:
	;; [unrolled: 4-line block ×3, first 2 shown]
	s_and_saveexec_b64 s[2:3], s[0:1]
	s_xor_b64 s[0:1], exec, s[2:3]
; %bb.514:
	v_xor_b32_e32 v13, 0x80000000, v13
	v_pk_mov_b32 v[10:11], v[12:13], v[12:13] op_sel:[0,1]
; %bb.515:
	s_or_b64 exec, exec, s[0:1]
	s_mov_b64 s[0:1], exec
	v_readlane_b32 s2, v73, 10
	v_readlane_b32 s3, v73, 11
	;; [unrolled: 1-line block ×3, first 2 shown]
	s_and_b64 s[2:3], s[0:1], s[2:3]
	v_readlane_b32 s37, v73, 15
	s_mov_b64 exec, s[2:3]
	s_cbranch_execz .LBB165_517
; %bb.516:
	v_mov_b32_e32 v2, 0
	v_mov_b32_e32 v3, v2
	ds_write_b64 v2, v[2:3] offset:5136
.LBB165_517:
	s_or_b64 exec, exec, s[0:1]
	v_pk_mov_b32 v[2:3], 0, 0
	s_waitcnt lgkmcnt(0)
	s_barrier
	s_mov_b64 s[0:1], exec
	v_readlane_b32 s2, v73, 22
	v_readlane_b32 s3, v73, 23
	s_and_b64 s[2:3], s[0:1], s[2:3]
	s_mov_b64 exec, s[2:3]
	s_cbranch_execz .LBB165_519
; %bb.518:
	global_load_dwordx2 v[2:3], v[18:19], off
.LBB165_519:
	s_or_b64 exec, exec, s[0:1]
	v_readlane_b32 s2, v73, 2
	s_add_u32 s0, s60, 63
	v_readlane_b32 s3, v73, 3
	v_readlane_b32 s4, v73, 0
	s_addc_u32 s15, s61, 0
	s_and_b32 s14, s0, 0xffffffc0
	v_readlane_b32 s5, v73, 1
	s_mul_i32 s0, s4, s3
	s_mul_hi_u32 s1, s4, s2
	s_add_i32 s0, s1, s0
	s_mul_i32 s1, s5, s2
	s_add_i32 s1, s0, s1
	s_mul_i32 s0, s4, s2
	v_readlane_b32 s4, v73, 6
	v_readlane_b32 s5, v73, 7
	s_mul_i32 s2, s4, s79
	s_mul_hi_u32 s3, s4, s78
	s_add_i32 s2, s3, s2
	s_mul_i32 s3, s5, s78
	s_add_i32 s3, s2, s3
	s_mul_i32 s2, s4, s78
	s_lshl_b64 s[0:1], s[0:1], 3
	v_readlane_b32 s4, v73, 4
	v_readlane_b32 s5, v73, 5
	s_add_u32 s4, s4, s0
	s_addc_u32 s5, s5, s1
	s_lshl_b64 s[0:1], s[56:57], 3
	s_add_u32 s44, s4, s0
	s_addc_u32 s45, s5, s1
	s_lshl_b64 s[0:1], s[2:3], 3
	v_readlane_b32 s2, v73, 8
	v_readlane_b32 s3, v73, 9
	s_add_u32 s2, s2, s0
	s_addc_u32 s3, s3, s1
	s_lshl_b64 s[0:1], s[74:75], 3
	s_add_u32 s46, s2, s0
	s_addc_u32 s47, s3, s1
	v_readlane_b32 s0, v73, 12
	v_readlane_b32 s1, v73, 13
	s_load_dwordx2 s[16:17], s[0:1], 0x368
	s_load_dwordx2 s[18:19], s[0:1], 0x510
	v_cmp_gt_u64_e32 vcc, s[14:15], v[0:1]
	s_mov_b64 s[22:23], -1
	s_mov_b64 s[2:3], 0
	v_add_u32_e32 v26, s33, v0
	s_mov_b64 s[0:1], 0
	s_and_saveexec_b64 s[20:21], vcc
	s_cbranch_execnz .LBB165_530
; %bb.520:
	s_or_b64 exec, exec, s[20:21]
	s_and_saveexec_b64 s[4:5], s[22:23]
	s_cbranch_execnz .LBB165_545
.LBB165_521:
	s_or_b64 exec, exec, s[4:5]
	s_and_saveexec_b64 s[4:5], s[0:1]
	s_xor_b64 s[0:1], exec, s[4:5]
	s_cbranch_execnz .LBB165_567
.LBB165_522:
	s_or_b64 exec, exec, s[0:1]
	s_and_b64 s[4:5], s[2:3], exec
.LBB165_523:
	s_andn2_saveexec_b64 s[0:1], s[12:13]
	s_cbranch_execnz .LBB165_570
.LBB165_524:
	s_or_b64 exec, exec, s[0:1]
	s_and_b64 s[4:5], s[4:5], exec
.LBB165_525:
	s_andn2_saveexec_b64 s[0:1], s[10:11]
	s_cbranch_execnz .LBB165_569
.LBB165_526:
	s_or_b64 exec, exec, s[0:1]
	s_and_b64 s[4:5], s[4:5], exec
.LBB165_527:
	s_andn2_saveexec_b64 s[0:1], s[8:9]
	s_cbranch_execnz .LBB165_568
.LBB165_528:
	s_or_b64 exec, exec, s[0:1]
	s_and_b64 s[4:5], s[4:5], exec
	s_andn2_saveexec_b64 s[0:1], s[6:7]
	s_cbranch_execz .LBB165_507
.LBB165_529:
	s_or_b64 s[4:5], s[4:5], exec
	s_trap 2
	s_or_b64 exec, exec, s[0:1]
	s_and_saveexec_b64 s[0:1], s[4:5]
	s_cbranch_execnz .LBB165_508
	s_branch .LBB165_509
.LBB165_530:
	v_mad_u64_u32 v[6:7], s[0:1], s58, v26, 0
	v_mov_b32_e32 v8, v7
	v_mad_u64_u32 v[8:9], s[0:1], s59, v26, v[8:9]
	v_readlane_b32 s0, v73, 46
	v_readlane_b32 s1, v73, 47
	s_add_u32 s0, s0, s72
	s_addc_u32 s1, s1, s73
	v_readlane_b32 s4, v73, 48
	v_mov_b32_e32 v7, v8
	v_readlane_b32 s5, v73, 49
	s_add_u32 s0, s0, s4
	v_lshlrev_b64 v[6:7], 3, v[6:7]
	s_addc_u32 s1, s1, s5
	v_mov_b32_e32 v8, s1
	v_add_co_u32_e32 v6, vcc, s0, v6
	s_waitcnt vmcnt(0)
	v_xor_b32_e32 v5, 0x80000000, v11
	v_mov_b32_e32 v4, v10
	v_addc_co_u32_e32 v7, vcc, v8, v7, vcc
	s_mov_b64 s[0:1], 0
	v_mov_b32_e32 v27, s92
	v_mov_b32_e32 v9, 0
	v_pk_mov_b32 v[22:23], v[0:1], v[0:1] op_sel:[0,1]
                                        ; implicit-def: $sgpr22_sgpr23
                                        ; implicit-def: $vgpr20_vgpr21
	s_branch .LBB165_532
.LBB165_531:                            ;   in Loop: Header=BB165_532 Depth=1
	s_or_b64 exec, exec, s[24:25]
	s_xor_b64 s[24:25], s[28:29], -1
	s_and_b64 s[4:5], exec, s[4:5]
	s_or_b64 s[0:1], s[4:5], s[0:1]
	s_andn2_b64 s[4:5], s[22:23], exec
	s_and_b64 s[22:23], s[24:25], exec
	s_or_b64 s[22:23], s[4:5], s[22:23]
	s_waitcnt vmcnt(0)
	v_pk_mov_b32 v[2:3], v[14:15], v[14:15] op_sel:[0,1]
	v_pk_mov_b32 v[22:23], v[12:13], v[12:13] op_sel:[0,1]
	s_andn2_b64 exec, exec, s[0:1]
	s_cbranch_execz .LBB165_544
.LBB165_532:                            ; =>This Inner Loop Header: Depth=1
	v_add_co_u32_e32 v12, vcc, s33, v22
	v_addc_co_u32_e32 v13, vcc, v23, v27, vcc
	v_cmp_gt_u64_e32 vcc, s[60:61], v[12:13]
	v_pk_mov_b32 v[14:15], 0, 0
	s_and_saveexec_b64 s[4:5], vcc
	s_cbranch_execz .LBB165_534
; %bb.533:                              ;   in Loop: Header=BB165_532 Depth=1
	global_load_dwordx2 v[14:15], v[6:7], off
.LBB165_534:                            ;   in Loop: Header=BB165_532 Depth=1
	s_or_b64 exec, exec, s[4:5]
	v_xor_b32_e32 v25, 0x80000000, v3
	v_mov_b32_e32 v24, v2
	v_cmp_gt_u64_e64 s[4:5], v[24:25], v[4:5]
	v_cndmask_b32_e64 v8, 0, 1, s[4:5]
	v_cmp_lt_u64_e64 s[4:5], v[24:25], v[4:5]
	v_cndmask_b32_e64 v24, 0, 1, s[4:5]
	v_cndmask_b32_e64 v8, v24, v8, s[36:37]
	v_and_b32_e32 v8, 1, v8
	v_cmp_gt_u64_e32 vcc, s[60:61], v[22:23]
	v_cmp_eq_u32_e64 s[4:5], 1, v8
	s_and_b64 s[26:27], vcc, s[4:5]
	v_cndmask_b32_e64 v8, 0, 1, s[26:27]
	v_cmp_ne_u32_e32 vcc, 0, v8
	s_cmp_lg_u64 vcc, 0
	s_cselect_b64 s[4:5], -1, 0
	s_and_b64 s[4:5], s[94:95], s[4:5]
	s_and_saveexec_b64 s[24:25], s[4:5]
	s_cbranch_execz .LBB165_538
; %bb.535:                              ;   in Loop: Header=BB165_532 Depth=1
	s_mov_b64 s[30:31], exec
	v_mbcnt_lo_u32_b32 v8, s30, 0
	v_mbcnt_hi_u32_b32 v24, s31, v8
	s_bcnt1_i32_b64 s34, vcc
	v_cmp_eq_u32_e64 s[4:5], 0, v24
                                        ; implicit-def: $vgpr20_vgpr21
	s_and_saveexec_b64 s[28:29], s[4:5]
	s_cbranch_execz .LBB165_537
; %bb.536:                              ;   in Loop: Header=BB165_532 Depth=1
	s_bcnt1_i32_b64 s4, s[30:31]
	s_mul_i32 s4, s34, s4
	v_mov_b32_e32 v8, s4
	s_waitcnt lgkmcnt(0)
	ds_add_rtn_u64 v[20:21], v9, v[8:9] offset:5136
.LBB165_537:                            ;   in Loop: Header=BB165_532 Depth=1
	s_or_b64 exec, exec, s[28:29]
	s_waitcnt lgkmcnt(0)
	v_readfirstlane_b32 s4, v21
	v_readfirstlane_b32 s5, v20
	v_mov_b32_e32 v20, s5
	v_mov_b32_e32 v21, s4
	v_mad_u64_u32 v[20:21], s[4:5], s34, v24, v[20:21]
.LBB165_538:                            ;   in Loop: Header=BB165_532 Depth=1
	s_or_b64 exec, exec, s[24:25]
	s_waitcnt lgkmcnt(0)
	ds_bpermute_b32 v20, v54, v20
	ds_bpermute_b32 v21, v54, v21
	s_mov_b64 s[4:5], -1
	s_mov_b64 s[30:31], -1
                                        ; implicit-def: $sgpr28_sgpr29
	s_and_saveexec_b64 s[24:25], s[26:27]
	s_cbranch_execz .LBB165_542
; %bb.539:                              ;   in Loop: Header=BB165_532 Depth=1
	v_and_b32_e32 v24, vcc_lo, v16
	v_and_b32_e32 v8, vcc_hi, v17
	v_bcnt_u32_b32 v24, v24, 0
	v_bcnt_u32_b32 v8, v8, v24
	s_waitcnt lgkmcnt(0)
	v_add_co_u32_e32 v24, vcc, v20, v8
	v_addc_co_u32_e32 v25, vcc, 0, v21, vcc
	v_cmp_gt_u64_e32 vcc, s[62:63], v[24:25]
	s_mov_b64 s[26:27], 0
	s_and_saveexec_b64 s[28:29], vcc
	s_cbranch_execz .LBB165_541
; %bb.540:                              ;   in Loop: Header=BB165_532 Depth=1
	v_mul_lo_u32 v8, v25, s16
	v_mul_lo_u32 v30, v24, s17
	v_mad_u64_u32 v[28:29], s[30:31], v24, s16, 0
	v_add3_u32 v29, v29, v30, v8
	v_mul_lo_u32 v8, v25, s18
	v_mul_lo_u32 v30, v24, s19
	v_mad_u64_u32 v[24:25], s[30:31], v24, s18, 0
	v_lshlrev_b64 v[28:29], 3, v[28:29]
	v_add3_u32 v25, v25, v30, v8
	v_mov_b32_e32 v8, s45
	v_add_co_u32_e32 v28, vcc, s44, v28
	v_addc_co_u32_e32 v29, vcc, v8, v29, vcc
	global_store_dwordx2 v[28:29], v[2:3], off
	v_lshlrev_b64 v[2:3], 3, v[24:25]
	v_mov_b32_e32 v8, s47
	v_add_co_u32_e32 v2, vcc, s46, v2
	s_mov_b64 s[26:27], exec
	v_addc_co_u32_e32 v3, vcc, v8, v3, vcc
	global_store_dwordx2 v[2:3], v[22:23], off
.LBB165_541:                            ;   in Loop: Header=BB165_532 Depth=1
	s_or_b64 exec, exec, s[28:29]
	s_mov_b64 s[28:29], -1
	s_orn2_b64 s[30:31], s[26:27], exec
.LBB165_542:                            ;   in Loop: Header=BB165_532 Depth=1
	s_or_b64 exec, exec, s[24:25]
	s_and_saveexec_b64 s[24:25], s[30:31]
	s_cbranch_execz .LBB165_531
; %bb.543:                              ;   in Loop: Header=BB165_532 Depth=1
	v_mov_b32_e32 v2, s65
	v_add_co_u32_e32 v6, vcc, s64, v6
	v_addc_co_u32_e32 v7, vcc, v7, v2, vcc
	v_cmp_le_u64_e32 vcc, s[14:15], v[12:13]
	s_andn2_b64 s[28:29], s[28:29], exec
	s_orn2_b64 s[4:5], vcc, exec
	s_branch .LBB165_531
.LBB165_544:
	s_or_b64 exec, exec, s[0:1]
	s_mov_b64 s[0:1], exec
	s_orn2_b64 s[22:23], s[22:23], exec
	s_or_b64 exec, exec, s[20:21]
	s_and_saveexec_b64 s[4:5], s[22:23]
	s_cbranch_execz .LBB165_521
.LBB165_545:
	v_pk_mov_b32 v[8:9], 0, 0
	s_waitcnt lgkmcnt(0)
	s_barrier
	s_mov_b64 s[2:3], exec
	v_readlane_b32 s20, v73, 22
	v_readlane_b32 s21, v73, 23
	s_and_b64 s[20:21], s[2:3], s[20:21]
	s_mov_b64 exec, s[20:21]
	s_cbranch_execz .LBB165_547
; %bb.546:
	global_load_dwordx2 v[8:9], v[18:19], off
.LBB165_547:
	s_or_b64 exec, exec, s[2:3]
	s_waitcnt vmcnt(0)
	v_mad_u64_u32 v[2:3], s[2:3], s58, v26, 0
	v_mov_b32_e32 v4, v3
	v_mad_u64_u32 v[4:5], s[2:3], s59, v26, v[4:5]
	v_readlane_b32 s2, v73, 46
	v_readlane_b32 s3, v73, 47
	s_add_u32 s2, s2, s72
	s_addc_u32 s3, s3, s73
	v_readlane_b32 s20, v73, 48
	v_mov_b32_e32 v3, v4
	v_readlane_b32 s21, v73, 49
	s_add_u32 s2, s2, s20
	v_lshlrev_b64 v[2:3], 3, v[2:3]
	s_addc_u32 s3, s3, s21
	v_mov_b32_e32 v4, s3
	v_add_co_u32_e32 v2, vcc, s2, v2
	v_addc_co_u32_e32 v3, vcc, v4, v3, vcc
	s_mov_b64 s[20:21], 0
	v_mov_b32_e32 v5, 0
                                        ; implicit-def: $sgpr22_sgpr23
                                        ; implicit-def: $sgpr24_sgpr25
                                        ; implicit-def: $sgpr26_sgpr27
                                        ; implicit-def: $vgpr6_vgpr7
	s_branch .LBB165_550
.LBB165_548:                            ;   in Loop: Header=BB165_550 Depth=1
	s_or_b64 exec, exec, s[34:35]
	s_andn2_b64 s[26:27], s[26:27], exec
	s_and_b64 s[30:31], s[38:39], exec
	s_andn2_b64 s[24:25], s[24:25], exec
	s_and_b64 s[2:3], s[2:3], exec
	s_or_b64 s[26:27], s[26:27], s[30:31]
	s_or_b64 s[24:25], s[24:25], s[2:3]
	v_pk_mov_b32 v[0:1], v[12:13], v[12:13] op_sel:[0,1]
.LBB165_549:                            ;   in Loop: Header=BB165_550 Depth=1
	s_or_b64 exec, exec, s[28:29]
	s_xor_b64 s[2:3], s[26:27], -1
	s_and_b64 s[28:29], exec, s[24:25]
	s_or_b64 s[20:21], s[28:29], s[20:21]
	s_andn2_b64 s[22:23], s[22:23], exec
	s_and_b64 s[2:3], s[2:3], exec
	s_or_b64 s[22:23], s[22:23], s[2:3]
	s_andn2_b64 exec, exec, s[20:21]
	s_cbranch_execz .LBB165_565
.LBB165_550:                            ; =>This Inner Loop Header: Depth=1
	v_cmp_gt_u64_e32 vcc, s[14:15], v[0:1]
	s_or_b64 s[26:27], s[26:27], exec
	s_or_b64 s[24:25], s[24:25], exec
	s_and_saveexec_b64 s[28:29], vcc
	s_cbranch_execz .LBB165_549
; %bb.551:                              ;   in Loop: Header=BB165_550 Depth=1
	v_mov_b32_e32 v4, s92
	v_add_co_u32_e32 v12, vcc, s33, v0
	v_addc_co_u32_e32 v13, vcc, v1, v4, vcc
	v_cmp_gt_u64_e32 vcc, s[60:61], v[12:13]
	v_pk_mov_b32 v[14:15], 0, 0
	s_and_saveexec_b64 s[2:3], vcc
	s_cbranch_execz .LBB165_553
; %bb.552:                              ;   in Loop: Header=BB165_550 Depth=1
	global_load_dwordx2 v[14:15], v[2:3], off
.LBB165_553:                            ;   in Loop: Header=BB165_550 Depth=1
	s_or_b64 exec, exec, s[2:3]
	v_cmp_gt_u64_e32 vcc, s[60:61], v[0:1]
	v_cmp_eq_u64_e64 s[2:3], v[8:9], v[10:11]
	s_and_b64 s[34:35], vcc, s[2:3]
	v_cndmask_b32_e64 v4, 0, 1, s[34:35]
	v_cmp_ne_u32_e32 vcc, 0, v4
	s_cmp_lg_u64 vcc, 0
	s_cselect_b64 s[2:3], -1, 0
	s_and_b64 s[2:3], s[94:95], s[2:3]
	s_and_saveexec_b64 s[30:31], s[2:3]
	s_cbranch_execz .LBB165_557
; %bb.554:                              ;   in Loop: Header=BB165_550 Depth=1
	s_mov_b64 s[38:39], exec
	v_mbcnt_lo_u32_b32 v4, s38, 0
	v_mbcnt_hi_u32_b32 v18, s39, v4
	s_bcnt1_i32_b64 s40, vcc
	v_cmp_eq_u32_e64 s[2:3], 0, v18
                                        ; implicit-def: $vgpr6_vgpr7
	s_and_saveexec_b64 s[36:37], s[2:3]
	s_cbranch_execz .LBB165_556
; %bb.555:                              ;   in Loop: Header=BB165_550 Depth=1
	s_bcnt1_i32_b64 s2, s[38:39]
	s_mul_i32 s2, s40, s2
	v_mov_b32_e32 v4, s2
	ds_add_rtn_u64 v[6:7], v5, v[4:5] offset:5136
.LBB165_556:                            ;   in Loop: Header=BB165_550 Depth=1
	s_or_b64 exec, exec, s[36:37]
	s_waitcnt lgkmcnt(0)
	v_readfirstlane_b32 s2, v7
	v_readfirstlane_b32 s3, v6
	v_mov_b32_e32 v6, s3
	v_mov_b32_e32 v7, s2
	v_mad_u64_u32 v[6:7], s[2:3], s40, v18, v[6:7]
.LBB165_557:                            ;   in Loop: Header=BB165_550 Depth=1
	s_or_b64 exec, exec, s[30:31]
	ds_bpermute_b32 v6, v54, v6
	ds_bpermute_b32 v7, v54, v7
	s_cmp_eq_u64 vcc, 0
	s_cselect_b64 s[30:31], -1, 0
	s_mov_b64 s[36:37], -1
	s_mov_b64 s[38:39], -1
	s_waitcnt lgkmcnt(0)
	v_cmp_gt_u64_e64 s[2:3], s[62:63], v[6:7]
	s_or_b64 s[30:31], s[30:31], s[2:3]
	s_waitcnt vmcnt(0)
	v_cndmask_b32_e64 v9, v9, v15, s[30:31]
	s_and_b64 s[40:41], s[34:35], s[30:31]
	v_cndmask_b32_e64 v8, v8, v14, s[30:31]
	s_mov_b64 s[2:3], -1
	s_and_saveexec_b64 s[34:35], s[40:41]
	s_cbranch_execz .LBB165_563
; %bb.558:                              ;   in Loop: Header=BB165_550 Depth=1
	v_and_b32_e32 v8, vcc_lo, v16
	v_and_b32_e32 v4, vcc_hi, v17
	v_bcnt_u32_b32 v8, v8, 0
	v_bcnt_u32_b32 v4, v4, v8
	v_mov_b32_e32 v9, s63
	v_sub_co_u32_e32 v8, vcc, s62, v6
	v_subb_co_u32_e32 v9, vcc, v9, v7, vcc
	v_cmp_le_u64_e64 s[36:37], v[8:9], v[4:5]
	v_cmp_gt_u64_e32 vcc, v[8:9], v[4:5]
	s_mov_b64 s[40:41], -1
	s_and_saveexec_b64 s[38:39], vcc
	s_cbranch_execz .LBB165_562
; %bb.559:                              ;   in Loop: Header=BB165_550 Depth=1
	v_add_co_u32_e32 v8, vcc, v6, v4
	v_addc_co_u32_e32 v9, vcc, 0, v7, vcc
	v_cmp_gt_u64_e32 vcc, s[62:63], v[8:9]
	s_mov_b64 s[42:43], s[36:37]
	s_and_saveexec_b64 s[40:41], vcc
	s_cbranch_execz .LBB165_561
; %bb.560:                              ;   in Loop: Header=BB165_550 Depth=1
	v_mul_lo_u32 v4, v9, s16
	v_mul_lo_u32 v20, v8, s17
	v_mad_u64_u32 v[18:19], s[42:43], v8, s16, 0
	v_add3_u32 v19, v19, v20, v4
	v_mul_lo_u32 v4, v9, s18
	v_mul_lo_u32 v20, v8, s19
	v_mad_u64_u32 v[8:9], s[42:43], v8, s18, 0
	v_lshlrev_b64 v[18:19], 3, v[18:19]
	v_add3_u32 v9, v9, v20, v4
	v_mov_b32_e32 v4, s45
	v_add_co_u32_e32 v18, vcc, s44, v18
	v_addc_co_u32_e32 v19, vcc, v4, v19, vcc
	v_lshlrev_b64 v[8:9], 3, v[8:9]
	v_mov_b32_e32 v4, s47
	v_add_co_u32_e32 v8, vcc, s46, v8
	v_addc_co_u32_e32 v9, vcc, v4, v9, vcc
	s_or_b64 s[42:43], s[36:37], exec
	global_store_dwordx2 v[18:19], v[10:11], off
	global_store_dwordx2 v[8:9], v[0:1], off
.LBB165_561:                            ;   in Loop: Header=BB165_550 Depth=1
	s_or_b64 exec, exec, s[40:41]
	s_andn2_b64 s[36:37], s[36:37], exec
	s_and_b64 s[42:43], s[42:43], exec
	s_xor_b64 s[40:41], exec, -1
	s_or_b64 s[36:37], s[36:37], s[42:43]
.LBB165_562:                            ;   in Loop: Header=BB165_550 Depth=1
	s_or_b64 exec, exec, s[38:39]
	s_orn2_b64 s[38:39], s[40:41], exec
	s_or_b64 s[30:31], s[30:31], exec
	s_orn2_b64 s[36:37], s[36:37], exec
	v_pk_mov_b32 v[8:9], v[14:15], v[14:15] op_sel:[0,1]
.LBB165_563:                            ;   in Loop: Header=BB165_550 Depth=1
	s_or_b64 exec, exec, s[34:35]
	s_and_saveexec_b64 s[34:35], s[36:37]
	s_cbranch_execz .LBB165_548
; %bb.564:                              ;   in Loop: Header=BB165_550 Depth=1
	s_xor_b64 s[2:3], s[30:31], -1
	v_mov_b32_e32 v0, s65
	v_add_co_u32_e32 v2, vcc, s64, v2
	v_addc_co_u32_e32 v3, vcc, v3, v0, vcc
	s_or_b64 s[38:39], s[38:39], exec
	s_orn2_b64 s[2:3], s[2:3], exec
	s_branch .LBB165_548
.LBB165_565:
	s_or_b64 exec, exec, s[20:21]
	s_mov_b64 s[2:3], 0
	s_and_saveexec_b64 s[14:15], s[22:23]
	s_xor_b64 s[14:15], exec, s[14:15]
	s_cbranch_execnz .LBB165_571
.LBB165_566:
	s_or_b64 exec, exec, s[14:15]
	s_and_b64 s[2:3], s[2:3], exec
	s_andn2_b64 s[0:1], s[0:1], exec
	s_or_b64 exec, exec, s[4:5]
	s_and_saveexec_b64 s[4:5], s[0:1]
	s_xor_b64 s[0:1], exec, s[4:5]
	s_cbranch_execz .LBB165_522
.LBB165_567:
	s_or_b64 s[2:3], s[2:3], exec
	s_trap 2
	s_branch .LBB165_522
.LBB165_568:
	s_or_b64 s[4:5], s[4:5], exec
	s_trap 2
	s_branch .LBB165_528
.LBB165_569:
	s_or_b64 s[4:5], s[4:5], exec
	s_trap 2
	s_branch .LBB165_526
.LBB165_570:
	s_trap 2
	s_or_b64 s[4:5], s[4:5], exec
	s_branch .LBB165_524
.LBB165_571:
	s_mov_b64 s[2:3], exec
	s_trap 2
	s_branch .LBB165_566
	.section	.rodata,"a",@progbits
	.p2align	6, 0x0
	.amdhsa_kernel _ZN2at6native6sbtopk10gatherTopKIlmLin1ELb0EEEvNS_4cuda6detail10TensorInfoIKT_T0_EES8_S8_bS8_S8_NS5_IS6_S8_EES8_NS5_IlS8_EES8_PS6_
		.amdhsa_group_segment_fixed_size 5152
		.amdhsa_private_segment_fixed_size 0
		.amdhsa_kernarg_size 1568
		.amdhsa_user_sgpr_count 6
		.amdhsa_user_sgpr_private_segment_buffer 1
		.amdhsa_user_sgpr_dispatch_ptr 0
		.amdhsa_user_sgpr_queue_ptr 0
		.amdhsa_user_sgpr_kernarg_segment_ptr 1
		.amdhsa_user_sgpr_dispatch_id 0
		.amdhsa_user_sgpr_flat_scratch_init 0
		.amdhsa_user_sgpr_kernarg_preload_length 0
		.amdhsa_user_sgpr_kernarg_preload_offset 0
		.amdhsa_user_sgpr_private_segment_size 0
		.amdhsa_uses_dynamic_stack 0
		.amdhsa_system_sgpr_private_segment_wavefront_offset 0
		.amdhsa_system_sgpr_workgroup_id_x 1
		.amdhsa_system_sgpr_workgroup_id_y 1
		.amdhsa_system_sgpr_workgroup_id_z 1
		.amdhsa_system_sgpr_workgroup_info 0
		.amdhsa_system_vgpr_workitem_id 0
		.amdhsa_next_free_vgpr 74
		.amdhsa_next_free_sgpr 96
		.amdhsa_accum_offset 76
		.amdhsa_reserve_vcc 1
		.amdhsa_reserve_flat_scratch 0
		.amdhsa_float_round_mode_32 0
		.amdhsa_float_round_mode_16_64 0
		.amdhsa_float_denorm_mode_32 3
		.amdhsa_float_denorm_mode_16_64 3
		.amdhsa_dx10_clamp 1
		.amdhsa_ieee_mode 1
		.amdhsa_fp16_overflow 0
		.amdhsa_tg_split 0
		.amdhsa_exception_fp_ieee_invalid_op 0
		.amdhsa_exception_fp_denorm_src 0
		.amdhsa_exception_fp_ieee_div_zero 0
		.amdhsa_exception_fp_ieee_overflow 0
		.amdhsa_exception_fp_ieee_underflow 0
		.amdhsa_exception_fp_ieee_inexact 0
		.amdhsa_exception_int_div_zero 0
	.end_amdhsa_kernel
	.section	.text._ZN2at6native6sbtopk10gatherTopKIlmLin1ELb0EEEvNS_4cuda6detail10TensorInfoIKT_T0_EES8_S8_bS8_S8_NS5_IS6_S8_EES8_NS5_IlS8_EES8_PS6_,"axG",@progbits,_ZN2at6native6sbtopk10gatherTopKIlmLin1ELb0EEEvNS_4cuda6detail10TensorInfoIKT_T0_EES8_S8_bS8_S8_NS5_IS6_S8_EES8_NS5_IlS8_EES8_PS6_,comdat
.Lfunc_end165:
	.size	_ZN2at6native6sbtopk10gatherTopKIlmLin1ELb0EEEvNS_4cuda6detail10TensorInfoIKT_T0_EES8_S8_bS8_S8_NS5_IS6_S8_EES8_NS5_IlS8_EES8_PS6_, .Lfunc_end165-_ZN2at6native6sbtopk10gatherTopKIlmLin1ELb0EEEvNS_4cuda6detail10TensorInfoIKT_T0_EES8_S8_bS8_S8_NS5_IS6_S8_EES8_NS5_IlS8_EES8_PS6_
                                        ; -- End function
	.section	.AMDGPU.csdata,"",@progbits
; Kernel info:
; codeLenInByte = 30168
; NumSgprs: 100
; NumVgprs: 74
; NumAgprs: 0
; TotalNumVgprs: 74
; ScratchSize: 0
; MemoryBound: 0
; FloatMode: 240
; IeeeMode: 1
; LDSByteSize: 5152 bytes/workgroup (compile time only)
; SGPRBlocks: 12
; VGPRBlocks: 9
; NumSGPRsForWavesPerEU: 100
; NumVGPRsForWavesPerEU: 74
; AccumOffset: 76
; Occupancy: 6
; WaveLimiterHint : 1
; COMPUTE_PGM_RSRC2:SCRATCH_EN: 0
; COMPUTE_PGM_RSRC2:USER_SGPR: 6
; COMPUTE_PGM_RSRC2:TRAP_HANDLER: 0
; COMPUTE_PGM_RSRC2:TGID_X_EN: 1
; COMPUTE_PGM_RSRC2:TGID_Y_EN: 1
; COMPUTE_PGM_RSRC2:TGID_Z_EN: 1
; COMPUTE_PGM_RSRC2:TIDIG_COMP_CNT: 0
; COMPUTE_PGM_RSRC3_GFX90A:ACCUM_OFFSET: 18
; COMPUTE_PGM_RSRC3_GFX90A:TG_SPLIT: 0
	.section	.text._ZN2at6native6mbtopk23computeBlockDigitCountsIsmjLi1EEEvNS_4cuda6detail10TensorInfoIKT_T0_EEjPjjS8_iijT1_PSB_Ps,"axG",@progbits,_ZN2at6native6mbtopk23computeBlockDigitCountsIsmjLi1EEEvNS_4cuda6detail10TensorInfoIKT_T0_EEjPjjS8_iijT1_PSB_Ps,comdat
	.protected	_ZN2at6native6mbtopk23computeBlockDigitCountsIsmjLi1EEEvNS_4cuda6detail10TensorInfoIKT_T0_EEjPjjS8_iijT1_PSB_Ps ; -- Begin function _ZN2at6native6mbtopk23computeBlockDigitCountsIsmjLi1EEEvNS_4cuda6detail10TensorInfoIKT_T0_EEjPjjS8_iijT1_PSB_Ps
	.globl	_ZN2at6native6mbtopk23computeBlockDigitCountsIsmjLi1EEEvNS_4cuda6detail10TensorInfoIKT_T0_EEjPjjS8_iijT1_PSB_Ps
	.p2align	8
	.type	_ZN2at6native6mbtopk23computeBlockDigitCountsIsmjLi1EEEvNS_4cuda6detail10TensorInfoIKT_T0_EEjPjjS8_iijT1_PSB_Ps,@function
_ZN2at6native6mbtopk23computeBlockDigitCountsIsmjLi1EEEvNS_4cuda6detail10TensorInfoIKT_T0_EEjPjjS8_iijT1_PSB_Ps: ; @_ZN2at6native6mbtopk23computeBlockDigitCountsIsmjLi1EEEvNS_4cuda6detail10TensorInfoIKT_T0_EEjPjjS8_iijT1_PSB_Ps
; %bb.0:
	s_load_dwordx4 s[12:15], s[4:5], 0x1c0
	s_load_dword s2, s[4:5], 0x1b0
	s_load_dwordx2 s[0:1], s[4:5], 0x1e0
	s_mov_b32 s9, 0
	s_waitcnt lgkmcnt(0)
	v_cvt_f32_u32_e32 v1, s14
	s_sub_i32 s3, 0, s14
	s_mul_i32 s1, s1, s8
	s_add_i32 s1, s1, s7
	v_rcp_iflag_f32_e32 v1, v1
	s_mul_i32 s10, s1, s0
	s_add_i32 s10, s10, s6
	v_mul_f32_e32 v1, 0x4f7ffffe, v1
	v_cvt_u32_f32_e32 v1, v1
	v_readfirstlane_b32 s0, v1
	s_mul_i32 s3, s3, s0
	s_mul_hi_u32 s1, s0, s3
	s_add_i32 s0, s0, s1
	s_mul_hi_u32 s0, s10, s0
	s_mul_i32 s1, s0, s14
	s_sub_i32 s1, s10, s1
	s_add_i32 s3, s0, 1
	s_sub_i32 s6, s1, s14
	s_cmp_ge_u32 s1, s14
	s_cselect_b32 s0, s3, s0
	s_cselect_b32 s1, s6, s1
	s_add_i32 s3, s0, 1
	s_cmp_ge_u32 s1, s14
	s_cselect_b32 s8, s3, s0
	s_cmp_ge_u32 s8, s2
	s_cbranch_scc1 .LBB166_23
; %bb.1:
	s_load_dwordx4 s[0:3], s[4:5], 0x1d0
	s_lshl_b64 s[6:7], s[8:9], 2
	s_movk_i32 s9, 0x100
	v_cmp_gt_u32_e32 vcc, s9, v0
	v_lshlrev_b32_e32 v1, 2, v0
	s_waitcnt lgkmcnt(0)
	s_add_u32 s0, s0, s6
	s_addc_u32 s1, s1, s7
	s_and_saveexec_b64 s[6:7], vcc
	s_cbranch_execz .LBB166_3
; %bb.2:
	v_mov_b32_e32 v2, 0
	ds_write_b32 v1, v2
.LBB166_3:
	s_or_b64 exec, exec, s[6:7]
	s_load_dword s9, s[4:5], 0x1a0
	s_mul_i32 s6, s8, s14
	s_sub_i32 s6, s10, s6
	s_add_i32 s7, s6, 1
	s_mul_i32 s6, s13, s6
	s_lshl_b32 s18, s6, 8
	s_waitcnt lgkmcnt(0)
	s_sub_i32 s6, s9, s18
	s_add_u32 s6, s6, 0xff
	s_addc_u32 s11, 0, 0
	v_mov_b32_e32 v2, s6
	v_alignbit_b32 v2, s11, v2, 8
	s_cmp_lt_u32 s7, s14
	v_readfirstlane_b32 s6, v2
	s_cselect_b32 s13, s13, s6
	s_cmp_lt_i32 s13, 1
	s_mov_b32 s17, 0
	s_barrier
	s_cbranch_scc1 .LBB166_19
; %bb.4:
	s_load_dwordx2 s[20:21], s[4:5], 0xd0
	s_load_dwordx2 s[6:7], s[4:5], 0x1b8
	;; [unrolled: 1-line block ×3, first 2 shown]
	s_load_dword s11, s[0:1], 0x0
	v_add_u32_e32 v2, s18, v0
	s_waitcnt lgkmcnt(0)
	s_mul_i32 s0, s21, s8
	s_mul_hi_u32 s1, s20, s8
	s_add_i32 s1, s1, s0
	s_mul_i32 s0, s20, s8
	s_lshl_b64 s[0:1], s[0:1], 1
	s_add_u32 s14, s22, s0
	s_addc_u32 s16, s23, s1
	s_and_b32 s8, s12, 0xff
	s_cmp_eq_u32 s13, 1
	s_cbranch_scc1 .LBB166_14
; %bb.5:
	s_and_b32 s12, s13, 0x7ffffffe
	v_mov_b32_e32 v3, 1
	v_mov_b32_e32 v4, v2
	s_branch .LBB166_7
.LBB166_6:                              ;   in Loop: Header=BB166_7 Depth=1
	s_or_b64 exec, exec, s[4:5]
	s_add_i32 s17, s17, 2
	s_cmp_eq_u32 s12, s17
	v_add_u32_e32 v4, 0x200, v4
	s_cbranch_scc1 .LBB166_13
.LBB166_7:                              ; =>This Inner Loop Header: Depth=1
	v_cmp_gt_u32_e64 s[0:1], s9, v4
	s_and_saveexec_b64 s[4:5], s[0:1]
	s_cbranch_execz .LBB166_10
; %bb.8:                                ;   in Loop: Header=BB166_7 Depth=1
	v_mad_u64_u32 v[6:7], s[0:1], v4, s6, 0
	v_mov_b32_e32 v8, v7
	v_mad_u64_u32 v[8:9], s[0:1], v4, s7, v[8:9]
	v_mov_b32_e32 v7, v8
	v_lshlrev_b64 v[6:7], 1, v[6:7]
	v_mov_b32_e32 v5, s16
	v_add_co_u32_e64 v6, s[0:1], s14, v6
	v_addc_co_u32_e64 v7, s[0:1], v5, v7, s[0:1]
	global_load_sshort v5, v[6:7], off
	s_waitcnt vmcnt(0)
	v_add_u32_e32 v5, 0x8000, v5
	v_xor_b32_e32 v6, s11, v5
	v_and_b32_e32 v6, s15, v6
	v_cmp_eq_u32_e64 s[0:1], 0, v6
	s_and_b64 exec, exec, s[0:1]
	s_cbranch_execz .LBB166_10
; %bb.9:                                ;   in Loop: Header=BB166_7 Depth=1
	v_bfe_u32 v5, v5, s8, 8
	v_lshlrev_b32_e32 v5, 2, v5
	ds_add_u32 v5, v3
.LBB166_10:                             ;   in Loop: Header=BB166_7 Depth=1
	s_or_b64 exec, exec, s[4:5]
	v_add_u32_e32 v5, 0x100, v4
	v_cmp_gt_u32_e64 s[0:1], s9, v5
	s_and_saveexec_b64 s[4:5], s[0:1]
	s_cbranch_execz .LBB166_6
; %bb.11:                               ;   in Loop: Header=BB166_7 Depth=1
	v_mad_u64_u32 v[6:7], s[0:1], v5, s6, 0
	v_mov_b32_e32 v8, v7
	v_mad_u64_u32 v[8:9], s[0:1], v5, s7, v[8:9]
	v_mov_b32_e32 v7, v8
	v_lshlrev_b64 v[6:7], 1, v[6:7]
	v_mov_b32_e32 v5, s16
	v_add_co_u32_e64 v6, s[0:1], s14, v6
	v_addc_co_u32_e64 v7, s[0:1], v5, v7, s[0:1]
	global_load_sshort v5, v[6:7], off
	s_waitcnt vmcnt(0)
	v_add_u32_e32 v5, 0x8000, v5
	v_xor_b32_e32 v6, s11, v5
	v_and_b32_e32 v6, s15, v6
	v_cmp_eq_u32_e64 s[0:1], 0, v6
	s_and_b64 exec, exec, s[0:1]
	s_cbranch_execz .LBB166_6
; %bb.12:                               ;   in Loop: Header=BB166_7 Depth=1
	v_bfe_u32 v5, v5, s8, 8
	v_lshlrev_b32_e32 v5, 2, v5
	ds_add_u32 v5, v3
	s_branch .LBB166_6
.LBB166_13:
	s_lshl_b32 s17, s12, 8
.LBB166_14:
	s_bitcmp0_b32 s13, 0
	s_cbranch_scc1 .LBB166_19
; %bb.15:
	v_add_u32_e32 v2, s17, v2
	v_cmp_gt_u32_e64 s[0:1], s9, v2
	s_and_saveexec_b64 s[4:5], s[0:1]
	s_cbranch_execz .LBB166_18
; %bb.16:
	v_mad_u64_u32 v[4:5], s[0:1], v2, s6, 0
	v_mov_b32_e32 v6, v5
	v_mad_u64_u32 v[2:3], s[0:1], v2, s7, v[6:7]
	v_mov_b32_e32 v5, v2
	v_lshlrev_b64 v[2:3], 1, v[4:5]
	v_mov_b32_e32 v4, s16
	v_add_co_u32_e64 v2, s[0:1], s14, v2
	v_addc_co_u32_e64 v3, s[0:1], v4, v3, s[0:1]
	global_load_sshort v2, v[2:3], off
	s_waitcnt vmcnt(0)
	v_add_u32_e32 v2, 0x8000, v2
	v_xor_b32_e32 v3, s11, v2
	v_and_b32_e32 v3, s15, v3
	v_cmp_eq_u32_e64 s[0:1], 0, v3
	s_and_b64 exec, exec, s[0:1]
	s_cbranch_execz .LBB166_18
; %bb.17:
	v_bfe_u32 v2, v2, s8, 8
	v_lshlrev_b32_e32 v2, 2, v2
	v_mov_b32_e32 v3, 1
	ds_add_u32 v2, v3
.LBB166_18:
	s_or_b64 exec, exec, s[4:5]
.LBB166_19:
	v_mov_b32_e32 v2, 0
	s_waitcnt lgkmcnt(0)
	s_barrier
	s_and_saveexec_b64 s[0:1], vcc
	s_cbranch_execz .LBB166_21
; %bb.20:
	ds_read_b32 v2, v1
.LBB166_21:
	s_or_b64 exec, exec, s[0:1]
	s_and_saveexec_b64 s[0:1], vcc
	s_cbranch_execz .LBB166_23
; %bb.22:
	v_lshl_or_b32 v0, s10, 8, v0
	v_mov_b32_e32 v1, 0
	v_lshlrev_b64 v[0:1], 1, v[0:1]
	v_mov_b32_e32 v3, s3
	v_add_co_u32_e32 v0, vcc, s2, v0
	v_addc_co_u32_e32 v1, vcc, v3, v1, vcc
	s_waitcnt lgkmcnt(0)
	global_store_short v[0:1], v2, off
.LBB166_23:
	s_endpgm
	.section	.rodata,"a",@progbits
	.p2align	6, 0x0
	.amdhsa_kernel _ZN2at6native6mbtopk23computeBlockDigitCountsIsmjLi1EEEvNS_4cuda6detail10TensorInfoIKT_T0_EEjPjjS8_iijT1_PSB_Ps
		.amdhsa_group_segment_fixed_size 1024
		.amdhsa_private_segment_fixed_size 0
		.amdhsa_kernarg_size 736
		.amdhsa_user_sgpr_count 6
		.amdhsa_user_sgpr_private_segment_buffer 1
		.amdhsa_user_sgpr_dispatch_ptr 0
		.amdhsa_user_sgpr_queue_ptr 0
		.amdhsa_user_sgpr_kernarg_segment_ptr 1
		.amdhsa_user_sgpr_dispatch_id 0
		.amdhsa_user_sgpr_flat_scratch_init 0
		.amdhsa_user_sgpr_kernarg_preload_length 0
		.amdhsa_user_sgpr_kernarg_preload_offset 0
		.amdhsa_user_sgpr_private_segment_size 0
		.amdhsa_uses_dynamic_stack 0
		.amdhsa_system_sgpr_private_segment_wavefront_offset 0
		.amdhsa_system_sgpr_workgroup_id_x 1
		.amdhsa_system_sgpr_workgroup_id_y 1
		.amdhsa_system_sgpr_workgroup_id_z 1
		.amdhsa_system_sgpr_workgroup_info 0
		.amdhsa_system_vgpr_workitem_id 0
		.amdhsa_next_free_vgpr 10
		.amdhsa_next_free_sgpr 24
		.amdhsa_accum_offset 12
		.amdhsa_reserve_vcc 1
		.amdhsa_reserve_flat_scratch 0
		.amdhsa_float_round_mode_32 0
		.amdhsa_float_round_mode_16_64 0
		.amdhsa_float_denorm_mode_32 3
		.amdhsa_float_denorm_mode_16_64 3
		.amdhsa_dx10_clamp 1
		.amdhsa_ieee_mode 1
		.amdhsa_fp16_overflow 0
		.amdhsa_tg_split 0
		.amdhsa_exception_fp_ieee_invalid_op 0
		.amdhsa_exception_fp_denorm_src 0
		.amdhsa_exception_fp_ieee_div_zero 0
		.amdhsa_exception_fp_ieee_overflow 0
		.amdhsa_exception_fp_ieee_underflow 0
		.amdhsa_exception_fp_ieee_inexact 0
		.amdhsa_exception_int_div_zero 0
	.end_amdhsa_kernel
	.section	.text._ZN2at6native6mbtopk23computeBlockDigitCountsIsmjLi1EEEvNS_4cuda6detail10TensorInfoIKT_T0_EEjPjjS8_iijT1_PSB_Ps,"axG",@progbits,_ZN2at6native6mbtopk23computeBlockDigitCountsIsmjLi1EEEvNS_4cuda6detail10TensorInfoIKT_T0_EEjPjjS8_iijT1_PSB_Ps,comdat
.Lfunc_end166:
	.size	_ZN2at6native6mbtopk23computeBlockDigitCountsIsmjLi1EEEvNS_4cuda6detail10TensorInfoIKT_T0_EEjPjjS8_iijT1_PSB_Ps, .Lfunc_end166-_ZN2at6native6mbtopk23computeBlockDigitCountsIsmjLi1EEEvNS_4cuda6detail10TensorInfoIKT_T0_EEjPjjS8_iijT1_PSB_Ps
                                        ; -- End function
	.section	.AMDGPU.csdata,"",@progbits
; Kernel info:
; codeLenInByte = 940
; NumSgprs: 28
; NumVgprs: 10
; NumAgprs: 0
; TotalNumVgprs: 10
; ScratchSize: 0
; MemoryBound: 0
; FloatMode: 240
; IeeeMode: 1
; LDSByteSize: 1024 bytes/workgroup (compile time only)
; SGPRBlocks: 3
; VGPRBlocks: 1
; NumSGPRsForWavesPerEU: 28
; NumVGPRsForWavesPerEU: 10
; AccumOffset: 12
; Occupancy: 8
; WaveLimiterHint : 1
; COMPUTE_PGM_RSRC2:SCRATCH_EN: 0
; COMPUTE_PGM_RSRC2:USER_SGPR: 6
; COMPUTE_PGM_RSRC2:TRAP_HANDLER: 0
; COMPUTE_PGM_RSRC2:TGID_X_EN: 1
; COMPUTE_PGM_RSRC2:TGID_Y_EN: 1
; COMPUTE_PGM_RSRC2:TGID_Z_EN: 1
; COMPUTE_PGM_RSRC2:TIDIG_COMP_CNT: 0
; COMPUTE_PGM_RSRC3_GFX90A:ACCUM_OFFSET: 2
; COMPUTE_PGM_RSRC3_GFX90A:TG_SPLIT: 0
	.section	.text._ZN2at6native6mbtopk10gatherTopKIsmLi1EEEvNS_4cuda6detail10TensorInfoIKT_T0_EES8_S8_bjS8_NS5_IS6_S8_EES8_NS5_IlS8_EES8_jjPS6_PjSD_j,"axG",@progbits,_ZN2at6native6mbtopk10gatherTopKIsmLi1EEEvNS_4cuda6detail10TensorInfoIKT_T0_EES8_S8_bjS8_NS5_IS6_S8_EES8_NS5_IlS8_EES8_jjPS6_PjSD_j,comdat
	.protected	_ZN2at6native6mbtopk10gatherTopKIsmLi1EEEvNS_4cuda6detail10TensorInfoIKT_T0_EES8_S8_bjS8_NS5_IS6_S8_EES8_NS5_IlS8_EES8_jjPS6_PjSD_j ; -- Begin function _ZN2at6native6mbtopk10gatherTopKIsmLi1EEEvNS_4cuda6detail10TensorInfoIKT_T0_EES8_S8_bjS8_NS5_IS6_S8_EES8_NS5_IlS8_EES8_jjPS6_PjSD_j
	.globl	_ZN2at6native6mbtopk10gatherTopKIsmLi1EEEvNS_4cuda6detail10TensorInfoIKT_T0_EES8_S8_bjS8_NS5_IS6_S8_EES8_NS5_IlS8_EES8_jjPS6_PjSD_j
	.p2align	8
	.type	_ZN2at6native6mbtopk10gatherTopKIsmLi1EEEvNS_4cuda6detail10TensorInfoIKT_T0_EES8_S8_bjS8_NS5_IS6_S8_EES8_NS5_IlS8_EES8_jjPS6_PjSD_j,@function
_ZN2at6native6mbtopk10gatherTopKIsmLi1EEEvNS_4cuda6detail10TensorInfoIKT_T0_EES8_S8_bjS8_NS5_IS6_S8_EES8_NS5_IlS8_EES8_jjPS6_PjSD_j: ; @_ZN2at6native6mbtopk10gatherTopKIsmLi1EEEvNS_4cuda6detail10TensorInfoIKT_T0_EES8_S8_bjS8_NS5_IS6_S8_EES8_NS5_IlS8_EES8_jjPS6_PjSD_j
; %bb.0:
	s_load_dwordx2 s[0:1], s[4:5], 0x538
	s_load_dword s2, s[4:5], 0x530
	s_waitcnt lgkmcnt(0)
	s_mul_i32 s1, s1, s8
	s_add_i32 s1, s1, s7
	s_mul_i32 s0, s1, s0
	s_add_i32 s0, s0, s6
	s_cmp_ge_u32 s0, s2
	s_cbranch_scc1 .LBB167_42
; %bb.1:
	s_load_dwordx2 s[20:21], s[4:5], 0x510
	s_load_dwordx4 s[8:11], s[4:5], 0x1a0
	s_mov_b32 s7, 0
	s_waitcnt lgkmcnt(0)
	v_cvt_f32_u32_e32 v1, s21
	s_sub_i32 s2, 0, s21
	s_lshl_b32 s1, s20, 8
	v_rcp_iflag_f32_e32 v1, v1
	v_mul_f32_e32 v1, 0x4f7ffffe, v1
	v_cvt_u32_f32_e32 v1, v1
	v_readfirstlane_b32 s3, v1
	s_mul_i32 s2, s2, s3
	s_mul_hi_u32 s2, s3, s2
	s_add_i32 s3, s3, s2
	s_mul_hi_u32 s2, s0, s3
	s_mul_i32 s3, s2, s21
	s_sub_i32 s3, s0, s3
	s_add_i32 s6, s2, 1
	s_sub_i32 s12, s3, s21
	s_cmp_ge_u32 s3, s21
	s_cselect_b32 s2, s6, s2
	s_cselect_b32 s3, s12, s3
	s_add_i32 s6, s2, 1
	s_cmp_ge_u32 s3, s21
	s_cselect_b32 s6, s6, s2
	s_mul_i32 s24, s6, s21
	s_sub_i32 s40, s0, s24
	s_add_i32 s0, s40, 1
	s_cmp_lt_u32 s0, s21
	s_mul_i32 s33, s40, s1
	s_cbranch_scc1 .LBB167_3
; %bb.2:
	s_sub_u32 s0, s8, s33
	s_subb_u32 s1, s9, 0
	s_add_u32 s0, s0, 0xff
	s_addc_u32 s1, s1, 0
	s_ashr_i32 s2, s1, 31
	s_lshr_b32 s2, s2, 24
	s_add_u32 s0, s0, s2
	s_addc_u32 s1, s1, 0
	v_mov_b32_e32 v1, s0
	v_alignbit_b32 v1, s1, v1, 8
	v_readfirstlane_b32 s20, v1
.LBB167_3:
	s_load_dwordx4 s[12:15], s[4:5], 0x518
	s_lshl_b64 s[0:1], s[6:7], 1
	v_mov_b32_e32 v1, 0
	v_cmp_eq_u32_e64 s[2:3], 0, v0
	s_waitcnt lgkmcnt(0)
	s_add_u32 s0, s12, s0
	s_addc_u32 s1, s13, s1
	global_load_ushort v5, v1, s[0:1]
	s_load_dwordx2 s[22:23], s[4:5], 0x0
	s_load_dwordx2 s[30:31], s[4:5], 0xd0
	;; [unrolled: 1-line block ×4, first 2 shown]
	v_cmp_ne_u32_e64 s[0:1], 0, v0
	s_and_saveexec_b64 s[12:13], s[2:3]
	s_cbranch_execz .LBB167_19
; %bb.4:
	s_load_dwordx2 s[34:35], s[4:5], 0x528
	s_mov_b32 s25, 0
	s_lshl_b64 s[36:37], s[24:25], 2
	s_add_u32 s16, s14, s36
	s_addc_u32 s17, s15, s37
	s_waitcnt lgkmcnt(0)
	s_add_u32 s18, s34, s36
	s_addc_u32 s19, s35, s37
	s_mov_b32 s24, 0
	s_cmp_lt_u32 s21, 4
	s_cbranch_scc1 .LBB167_16
; %bb.5:
	s_mov_b32 s41, 0
.LBB167_6:                              ; =>This Inner Loop Header: Depth=1
	s_add_u32 s16, s14, s36
	s_addc_u32 s17, s15, s37
	s_load_dwordx4 s[16:19], s[16:17], 0x0
	s_add_u32 s38, s34, s36
	s_addc_u32 s39, s35, s37
	s_cmp_ge_u32 s41, s40
	s_cbranch_scc0 .LBB167_13
; %bb.7:                                ;   in Loop: Header=BB167_6 Depth=1
	s_add_i32 s42, s41, 1
	s_cmp_ge_u32 s42, s40
	s_cbranch_scc0 .LBB167_14
.LBB167_8:                              ;   in Loop: Header=BB167_6 Depth=1
	s_add_i32 s42, s42, 1
	s_cmp_ge_u32 s42, s40
	s_cbranch_scc0 .LBB167_15
.LBB167_9:                              ;   in Loop: Header=BB167_6 Depth=1
	s_add_i32 s42, s42, 1
	s_cmp_ge_u32 s42, s40
	s_cbranch_scc1 .LBB167_11
.LBB167_10:                             ;   in Loop: Header=BB167_6 Depth=1
	s_load_dword s38, s[38:39], 0xc
	s_waitcnt lgkmcnt(0)
	s_add_i32 s25, s25, s19
	s_add_i32 s7, s38, s7
.LBB167_11:                             ;   in Loop: Header=BB167_6 Depth=1
	s_waitcnt lgkmcnt(0)
	s_add_i32 s16, s16, s24
	s_add_i32 s16, s16, s17
	;; [unrolled: 1-line block ×4, first 2 shown]
	s_add_u32 s14, s14, 16
	s_addc_u32 s15, s15, 0
	s_add_u32 s34, s34, 16
	s_addc_u32 s35, s35, 0
	s_add_i32 s39, s42, 4
	s_add_u32 s18, s34, s36
	s_addc_u32 s19, s35, s37
	s_add_u32 s16, s14, s36
	s_addc_u32 s17, s15, s37
	s_add_i32 s38, s42, 1
	s_cmp_ge_u32 s39, s21
	s_cbranch_scc1 .LBB167_17
; %bb.12:                               ;   in Loop: Header=BB167_6 Depth=1
	s_mov_b32 s41, s38
	s_branch .LBB167_6
.LBB167_13:                             ;   in Loop: Header=BB167_6 Depth=1
	s_load_dword s42, s[38:39], 0x0
	s_waitcnt lgkmcnt(0)
	s_add_i32 s25, s16, s25
	s_add_i32 s7, s42, s7
	;; [unrolled: 1-line block ×3, first 2 shown]
	s_cmp_ge_u32 s42, s40
	s_cbranch_scc1 .LBB167_8
.LBB167_14:                             ;   in Loop: Header=BB167_6 Depth=1
	s_load_dword s43, s[38:39], 0x4
	s_waitcnt lgkmcnt(0)
	s_add_i32 s25, s25, s17
	s_add_i32 s7, s43, s7
	;; [unrolled: 1-line block ×3, first 2 shown]
	s_cmp_ge_u32 s42, s40
	s_cbranch_scc1 .LBB167_9
.LBB167_15:                             ;   in Loop: Header=BB167_6 Depth=1
	s_load_dword s43, s[38:39], 0x8
	s_waitcnt lgkmcnt(0)
	s_add_i32 s25, s25, s18
	s_add_i32 s7, s43, s7
	;; [unrolled: 1-line block ×3, first 2 shown]
	s_cmp_ge_u32 s42, s40
	s_cbranch_scc0 .LBB167_10
	s_branch .LBB167_11
.LBB167_16:
	s_mov_b32 s14, 0
	s_cmp_ge_u32 s14, s21
	s_cbranch_scc0 .LBB167_40
	s_branch .LBB167_18
.LBB167_17:
	s_add_i32 s14, s41, 4
	s_cmp_ge_u32 s14, s21
	s_cbranch_scc0 .LBB167_40
.LBB167_18:
	v_mov_b32_e32 v2, s7
	v_mov_b32_e32 v3, s24
	;; [unrolled: 1-line block ×4, first 2 shown]
	ds_write_b96 v1, v[2:4] offset:1056
.LBB167_19:
	s_or_b64 exec, exec, s[12:13]
	s_load_dwordx4 s[12:15], s[4:5], 0x1b8
	s_load_dwordx4 s[16:19], s[4:5], 0x360
	s_cmp_eq_u32 s20, 0
	s_waitcnt lgkmcnt(0)
	s_barrier
	s_cbranch_scc1 .LBB167_42
; %bb.20:
	s_mul_i32 s7, s31, s6
	s_mul_hi_u32 s21, s30, s6
	s_add_i32 s25, s21, s7
	s_mul_i32 s7, s29, s6
	s_mul_hi_u32 s21, s28, s6
	s_mul_i32 s24, s30, s6
	s_add_i32 s29, s21, s7
	s_mul_i32 s7, s27, s6
	s_mul_hi_u32 s21, s26, s6
	v_mov_b32_e32 v1, 0
	s_add_i32 s7, s21, s7
	s_lshl_b64 s[24:25], s[24:25], 1
	ds_read_b96 v[2:4], v1 offset:1056
	s_mul_i32 s28, s28, s6
	s_add_u32 s21, s22, s24
	s_addc_u32 s22, s23, s25
	s_lshl_b64 s[24:25], s[28:29], 1
	s_mul_i32 s6, s26, s6
	s_add_u32 s23, s14, s24
	s_addc_u32 s24, s15, s25
	s_lshl_b64 s[6:7], s[6:7], 3
	s_add_u32 s25, s18, s6
	s_load_dword s6, s[4:5], 0x1b0
	s_load_dwordx2 s[14:15], s[4:5], 0x508
	s_waitcnt lgkmcnt(0)
	v_add_u32_e32 v2, v2, v3
	v_lshrrev_b32_e32 v3, 5, v0
	v_add_lshl_u32 v9, v3, v0, 2
	v_lshlrev_b32_e32 v3, 2, v0
	v_lshrrev_b32_e32 v6, 3, v0
	v_add_lshl_u32 v10, v6, v3, 2
	v_add_u32_e32 v3, -1, v0
	v_lshrrev_b32_e32 v6, 5, v3
	s_addc_u32 s26, s19, s7
	v_add_lshl_u32 v11, v6, v3, 2
	v_mbcnt_lo_u32_b32 v3, -1, 0
	s_mov_b32 s27, 0x8000
	s_bitcmp1_b32 s6, 0
	v_mbcnt_hi_u32_b32 v12, -1, v3
	s_waitcnt vmcnt(0)
	v_add_u32_sdwa v8, sext(v5), s27 dst_sel:DWORD dst_unused:UNUSED_PAD src0_sel:WORD_0 src1_sel:DWORD
	s_cselect_b64 s[4:5], -1, 0
	v_cmp_gt_u32_e64 s[6:7], 64, v0
	v_add_u32_e32 v0, s33, v0
	v_and_b32_e32 v13, 15, v12
	v_bfe_i32 v14, v12, 4, 1
	v_add_u32_e32 v15, -1, v12
	v_and_b32_e32 v16, 64, v12
                                        ; implicit-def: $vgpr17
	s_branch .LBB167_23
.LBB167_21:                             ;   in Loop: Header=BB167_23 Depth=1
	s_or_b64 exec, exec, s[18:19]
	v_add_u32_e32 v2, v3, v2
.LBB167_22:                             ;   in Loop: Header=BB167_23 Depth=1
	s_add_i32 s20, s20, -1
	v_add_u32_e32 v4, v18, v4
	s_cmp_lg_u32 s20, 0
	v_add_u32_e32 v0, 0x100, v0
	s_cbranch_scc0 .LBB167_42
.LBB167_23:                             ; =>This Inner Loop Header: Depth=1
	v_cmp_gt_u64_e32 vcc, s[8:9], v[0:1]
	v_mov_b32_e32 v3, v1
	v_mov_b32_e32 v6, v1
	s_and_saveexec_b64 s[18:19], vcc
	s_cbranch_execz .LBB167_25
; %bb.24:                               ;   in Loop: Header=BB167_23 Depth=1
	v_mad_u64_u32 v[6:7], s[28:29], v0, s12, 0
	v_mov_b32_e32 v18, v7
	v_mad_u64_u32 v[18:19], s[28:29], v0, s13, v[18:19]
	v_mov_b32_e32 v7, v18
	v_lshlrev_b64 v[6:7], 1, v[6:7]
	v_mov_b32_e32 v3, s22
	v_add_co_u32_e32 v6, vcc, s21, v6
	v_addc_co_u32_e32 v7, vcc, v3, v7, vcc
	global_load_ushort v17, v[6:7], off
	s_waitcnt vmcnt(0)
	v_add_u32_sdwa v3, sext(v17), s27 dst_sel:DWORD dst_unused:UNUSED_PAD src0_sel:WORD_0 src1_sel:DWORD
	v_cmp_gt_u32_e32 vcc, v3, v8
	v_cndmask_b32_e64 v6, 0, 1, vcc
	v_cmp_lt_u32_e32 vcc, v3, v8
	v_cndmask_b32_e64 v3, 0, 1, vcc
	v_cndmask_b32_e64 v3, v3, v6, s[4:5]
	v_cmp_eq_u16_e32 vcc, v17, v5
	v_and_b32_e32 v3, 1, v3
	v_cndmask_b32_e64 v6, 0, 1, vcc
.LBB167_25:                             ;   in Loop: Header=BB167_23 Depth=1
	s_or_b64 exec, exec, s[18:19]
	ds_write_b32 v9, v3
	s_waitcnt lgkmcnt(0)
	s_barrier
	s_and_saveexec_b64 s[18:19], s[6:7]
	s_cbranch_execz .LBB167_27
; %bb.26:                               ;   in Loop: Header=BB167_23 Depth=1
	ds_read2_b32 v[18:19], v10 offset1:1
	ds_read2_b32 v[20:21], v10 offset0:2 offset1:3
	v_cmp_ne_u32_e32 vcc, 0, v13
	; wave barrier
	s_waitcnt lgkmcnt(1)
	v_add_u32_e32 v7, v19, v18
	s_waitcnt lgkmcnt(0)
	v_add3_u32 v7, v7, v20, v21
	s_nop 1
	v_mov_b32_dpp v19, v7 row_shr:1 row_mask:0xf bank_mask:0xf
	v_cndmask_b32_e32 v19, 0, v19, vcc
	v_add_u32_e32 v7, v19, v7
	v_cmp_lt_u32_e32 vcc, 1, v13
	s_nop 0
	v_mov_b32_dpp v19, v7 row_shr:2 row_mask:0xf bank_mask:0xf
	v_cndmask_b32_e32 v19, 0, v19, vcc
	v_add_u32_e32 v7, v7, v19
	v_cmp_lt_u32_e32 vcc, 3, v13
	s_nop 0
	v_mov_b32_dpp v19, v7 row_shr:4 row_mask:0xf bank_mask:0xf
	v_cndmask_b32_e32 v19, 0, v19, vcc
	v_add_u32_e32 v7, v7, v19
	v_cmp_lt_u32_e32 vcc, 7, v13
	s_nop 0
	v_mov_b32_dpp v19, v7 row_shr:8 row_mask:0xf bank_mask:0xf
	v_cndmask_b32_e32 v19, 0, v19, vcc
	v_add_u32_e32 v7, v7, v19
	v_cmp_lt_u32_e32 vcc, 31, v12
	s_nop 0
	v_mov_b32_dpp v19, v7 row_bcast:15 row_mask:0xf bank_mask:0xf
	v_and_b32_e32 v19, v14, v19
	v_add_u32_e32 v7, v7, v19
	s_nop 1
	v_mov_b32_dpp v19, v7 row_bcast:31 row_mask:0xf bank_mask:0xf
	v_cndmask_b32_e32 v19, 0, v19, vcc
	v_cmp_lt_i32_e32 vcc, v15, v16
	v_add_u32_e32 v7, v7, v19
	v_cndmask_b32_e32 v19, v15, v12, vcc
	v_lshlrev_b32_e32 v19, 2, v19
	ds_bpermute_b32 v7, v19, v7
	s_waitcnt lgkmcnt(0)
	v_add_u32_e32 v7, v7, v18
	v_cndmask_b32_e64 v7, v7, v3, s[2:3]
	ds_write_b32 v10, v7
	; wave barrier
	ds_read2_b32 v[18:19], v10 offset0:1 offset1:2
	ds_read_b32 v20, v10 offset:12
	s_waitcnt lgkmcnt(1)
	v_add_u32_e32 v7, v18, v7
	v_add_u32_e32 v18, v19, v7
	ds_write2_b32 v10, v7, v18 offset0:1 offset1:2
	s_waitcnt lgkmcnt(1)
	v_add_u32_e32 v7, v20, v18
	ds_write_b32 v10, v7 offset:12
.LBB167_27:                             ;   in Loop: Header=BB167_23 Depth=1
	s_or_b64 exec, exec, s[18:19]
	v_mov_b32_e32 v7, 0
	s_waitcnt lgkmcnt(0)
	s_barrier
	s_and_saveexec_b64 s[18:19], s[0:1]
	s_cbranch_execz .LBB167_29
; %bb.28:                               ;   in Loop: Header=BB167_23 Depth=1
	ds_read_b32 v7, v11
.LBB167_29:                             ;   in Loop: Header=BB167_23 Depth=1
	s_or_b64 exec, exec, s[18:19]
	ds_read_b32 v18, v1 offset:1048
	v_cmp_ne_u32_e32 vcc, 0, v3
	s_waitcnt lgkmcnt(0)
	s_barrier
	s_and_saveexec_b64 s[18:19], vcc
	s_cbranch_execz .LBB167_31
; %bb.30:                               ;   in Loop: Header=BB167_23 Depth=1
	v_add_u32_e32 v3, v7, v4
	v_mad_u64_u32 v[20:21], s[28:29], v3, s16, 0
	v_mov_b32_e32 v22, v21
	v_mad_u64_u32 v[22:23], s[28:29], v3, s17, v[22:23]
	v_mov_b32_e32 v21, v22
	v_lshlrev_b64 v[20:21], 1, v[20:21]
	v_mov_b32_e32 v7, s24
	v_add_co_u32_e32 v20, vcc, s23, v20
	v_addc_co_u32_e32 v21, vcc, v7, v21, vcc
	global_store_short v[20:21], v17, off
	v_mad_u64_u32 v[20:21], s[28:29], v3, s14, 0
	v_mov_b32_e32 v22, v21
	v_mad_u64_u32 v[22:23], s[28:29], v3, s15, v[22:23]
	v_mov_b32_e32 v21, v22
	v_lshlrev_b64 v[20:21], 3, v[20:21]
	v_mov_b32_e32 v3, s26
	v_add_co_u32_e32 v20, vcc, s25, v20
	v_addc_co_u32_e32 v21, vcc, v3, v21, vcc
	global_store_dwordx2 v[20:21], v[0:1], off
.LBB167_31:                             ;   in Loop: Header=BB167_23 Depth=1
	s_or_b64 exec, exec, s[18:19]
	v_mov_b32_e32 v3, v1
	v_cmp_le_u64_e32 vcc, s[10:11], v[2:3]
	s_cbranch_vccnz .LBB167_22
; %bb.32:                               ;   in Loop: Header=BB167_23 Depth=1
	ds_write_b32 v9, v6
	s_waitcnt lgkmcnt(0)
	s_barrier
	s_and_saveexec_b64 s[18:19], s[6:7]
	s_cbranch_execz .LBB167_34
; %bb.33:                               ;   in Loop: Header=BB167_23 Depth=1
	ds_read2_b32 v[20:21], v10 offset1:1
	ds_read2_b32 v[22:23], v10 offset0:2 offset1:3
	v_cmp_ne_u32_e32 vcc, 0, v13
	; wave barrier
	s_waitcnt lgkmcnt(1)
	v_add_u32_e32 v3, v21, v20
	s_waitcnt lgkmcnt(0)
	v_add3_u32 v3, v3, v22, v23
	s_nop 1
	v_mov_b32_dpp v7, v3 row_shr:1 row_mask:0xf bank_mask:0xf
	v_cndmask_b32_e32 v7, 0, v7, vcc
	v_add_u32_e32 v3, v7, v3
	v_cmp_lt_u32_e32 vcc, 1, v13
	s_nop 0
	v_mov_b32_dpp v7, v3 row_shr:2 row_mask:0xf bank_mask:0xf
	v_cndmask_b32_e32 v7, 0, v7, vcc
	v_add_u32_e32 v3, v3, v7
	v_cmp_lt_u32_e32 vcc, 3, v13
	;; [unrolled: 5-line block ×4, first 2 shown]
	s_nop 0
	v_mov_b32_dpp v7, v3 row_bcast:15 row_mask:0xf bank_mask:0xf
	v_and_b32_e32 v7, v14, v7
	v_add_u32_e32 v3, v3, v7
	s_nop 1
	v_mov_b32_dpp v7, v3 row_bcast:31 row_mask:0xf bank_mask:0xf
	v_cndmask_b32_e32 v7, 0, v7, vcc
	v_cmp_lt_i32_e32 vcc, v15, v16
	v_add_u32_e32 v3, v3, v7
	v_cndmask_b32_e32 v7, v15, v12, vcc
	v_lshlrev_b32_e32 v7, 2, v7
	ds_bpermute_b32 v3, v7, v3
	s_waitcnt lgkmcnt(0)
	v_add_u32_e32 v3, v3, v20
	v_cndmask_b32_e64 v3, v3, v6, s[2:3]
	ds_write_b32 v10, v3
	; wave barrier
	ds_read2_b32 v[20:21], v10 offset0:1 offset1:2
	ds_read_b32 v7, v10 offset:12
	s_waitcnt lgkmcnt(1)
	v_add_u32_e32 v3, v20, v3
	v_add_u32_e32 v19, v21, v3
	ds_write2_b32 v10, v3, v19 offset0:1 offset1:2
	s_waitcnt lgkmcnt(1)
	v_add_u32_e32 v3, v7, v19
	ds_write_b32 v10, v3 offset:12
.LBB167_34:                             ;   in Loop: Header=BB167_23 Depth=1
	s_or_b64 exec, exec, s[18:19]
	v_mov_b32_e32 v7, 0
	s_waitcnt lgkmcnt(0)
	s_barrier
	s_and_saveexec_b64 s[18:19], s[0:1]
	s_cbranch_execz .LBB167_36
; %bb.35:                               ;   in Loop: Header=BB167_23 Depth=1
	ds_read_b32 v7, v11
.LBB167_36:                             ;   in Loop: Header=BB167_23 Depth=1
	s_or_b64 exec, exec, s[18:19]
	ds_read_b32 v3, v1 offset:1048
	v_cmp_ne_u32_e32 vcc, 0, v6
	s_waitcnt lgkmcnt(0)
	s_barrier
	s_and_saveexec_b64 s[18:19], vcc
	s_cbranch_execz .LBB167_21
; %bb.37:                               ;   in Loop: Header=BB167_23 Depth=1
	v_add_u32_e32 v6, v7, v2
	v_mov_b32_e32 v7, v1
	v_cmp_gt_u64_e32 vcc, s[10:11], v[6:7]
	s_and_b64 exec, exec, vcc
	s_cbranch_execz .LBB167_21
; %bb.38:                               ;   in Loop: Header=BB167_23 Depth=1
	v_mad_u64_u32 v[20:21], s[28:29], v6, s16, 0
	v_mov_b32_e32 v22, v21
	v_mad_u64_u32 v[22:23], s[28:29], v6, s17, v[22:23]
	v_mov_b32_e32 v21, v22
	v_lshlrev_b64 v[20:21], 1, v[20:21]
	v_mov_b32_e32 v7, s24
	v_add_co_u32_e32 v20, vcc, s23, v20
	v_addc_co_u32_e32 v21, vcc, v7, v21, vcc
	global_store_short v[20:21], v17, off
	v_mad_u64_u32 v[20:21], s[28:29], v6, s14, 0
	v_mov_b32_e32 v22, v21
	v_mad_u64_u32 v[6:7], s[28:29], v6, s15, v[22:23]
	v_mov_b32_e32 v21, v6
	v_lshlrev_b64 v[6:7], 3, v[20:21]
	v_mov_b32_e32 v19, s26
	v_add_co_u32_e32 v6, vcc, s25, v6
	v_addc_co_u32_e32 v7, vcc, v19, v7, vcc
	global_store_dwordx2 v[6:7], v[0:1], off
	s_branch .LBB167_21
.LBB167_39:                             ;   in Loop: Header=BB167_40 Depth=1
	s_add_u32 s16, s16, 4
	s_addc_u32 s17, s17, 0
	s_waitcnt lgkmcnt(0)
	s_add_i32 s24, s15, s24
	s_add_u32 s18, s18, 4
	s_addc_u32 s19, s19, 0
	s_add_i32 s14, s14, 1
	s_cmp_lt_u32 s14, s21
	s_cbranch_scc0 .LBB167_18
.LBB167_40:                             ; =>This Inner Loop Header: Depth=1
	s_load_dword s15, s[16:17], 0x0
	s_cmp_ge_u32 s14, s40
	s_cbranch_scc1 .LBB167_39
; %bb.41:                               ;   in Loop: Header=BB167_40 Depth=1
	s_load_dword s34, s[18:19], 0x0
	s_waitcnt lgkmcnt(0)
	s_add_i32 s25, s15, s25
	s_add_i32 s7, s34, s7
	s_branch .LBB167_39
.LBB167_42:
	s_endpgm
	.section	.rodata,"a",@progbits
	.p2align	6, 0x0
	.amdhsa_kernel _ZN2at6native6mbtopk10gatherTopKIsmLi1EEEvNS_4cuda6detail10TensorInfoIKT_T0_EES8_S8_bjS8_NS5_IS6_S8_EES8_NS5_IlS8_EES8_jjPS6_PjSD_j
		.amdhsa_group_segment_fixed_size 1068
		.amdhsa_private_segment_fixed_size 0
		.amdhsa_kernarg_size 1592
		.amdhsa_user_sgpr_count 6
		.amdhsa_user_sgpr_private_segment_buffer 1
		.amdhsa_user_sgpr_dispatch_ptr 0
		.amdhsa_user_sgpr_queue_ptr 0
		.amdhsa_user_sgpr_kernarg_segment_ptr 1
		.amdhsa_user_sgpr_dispatch_id 0
		.amdhsa_user_sgpr_flat_scratch_init 0
		.amdhsa_user_sgpr_kernarg_preload_length 0
		.amdhsa_user_sgpr_kernarg_preload_offset 0
		.amdhsa_user_sgpr_private_segment_size 0
		.amdhsa_uses_dynamic_stack 0
		.amdhsa_system_sgpr_private_segment_wavefront_offset 0
		.amdhsa_system_sgpr_workgroup_id_x 1
		.amdhsa_system_sgpr_workgroup_id_y 1
		.amdhsa_system_sgpr_workgroup_id_z 1
		.amdhsa_system_sgpr_workgroup_info 0
		.amdhsa_system_vgpr_workitem_id 0
		.amdhsa_next_free_vgpr 24
		.amdhsa_next_free_sgpr 44
		.amdhsa_accum_offset 24
		.amdhsa_reserve_vcc 1
		.amdhsa_reserve_flat_scratch 0
		.amdhsa_float_round_mode_32 0
		.amdhsa_float_round_mode_16_64 0
		.amdhsa_float_denorm_mode_32 3
		.amdhsa_float_denorm_mode_16_64 3
		.amdhsa_dx10_clamp 1
		.amdhsa_ieee_mode 1
		.amdhsa_fp16_overflow 0
		.amdhsa_tg_split 0
		.amdhsa_exception_fp_ieee_invalid_op 0
		.amdhsa_exception_fp_denorm_src 0
		.amdhsa_exception_fp_ieee_div_zero 0
		.amdhsa_exception_fp_ieee_overflow 0
		.amdhsa_exception_fp_ieee_underflow 0
		.amdhsa_exception_fp_ieee_inexact 0
		.amdhsa_exception_int_div_zero 0
	.end_amdhsa_kernel
	.section	.text._ZN2at6native6mbtopk10gatherTopKIsmLi1EEEvNS_4cuda6detail10TensorInfoIKT_T0_EES8_S8_bjS8_NS5_IS6_S8_EES8_NS5_IlS8_EES8_jjPS6_PjSD_j,"axG",@progbits,_ZN2at6native6mbtopk10gatherTopKIsmLi1EEEvNS_4cuda6detail10TensorInfoIKT_T0_EES8_S8_bjS8_NS5_IS6_S8_EES8_NS5_IlS8_EES8_jjPS6_PjSD_j,comdat
.Lfunc_end167:
	.size	_ZN2at6native6mbtopk10gatherTopKIsmLi1EEEvNS_4cuda6detail10TensorInfoIKT_T0_EES8_S8_bjS8_NS5_IS6_S8_EES8_NS5_IlS8_EES8_jjPS6_PjSD_j, .Lfunc_end167-_ZN2at6native6mbtopk10gatherTopKIsmLi1EEEvNS_4cuda6detail10TensorInfoIKT_T0_EES8_S8_bjS8_NS5_IS6_S8_EES8_NS5_IlS8_EES8_jjPS6_PjSD_j
                                        ; -- End function
	.section	.AMDGPU.csdata,"",@progbits
; Kernel info:
; codeLenInByte = 2192
; NumSgprs: 48
; NumVgprs: 24
; NumAgprs: 0
; TotalNumVgprs: 24
; ScratchSize: 0
; MemoryBound: 0
; FloatMode: 240
; IeeeMode: 1
; LDSByteSize: 1068 bytes/workgroup (compile time only)
; SGPRBlocks: 5
; VGPRBlocks: 2
; NumSGPRsForWavesPerEU: 48
; NumVGPRsForWavesPerEU: 24
; AccumOffset: 24
; Occupancy: 8
; WaveLimiterHint : 1
; COMPUTE_PGM_RSRC2:SCRATCH_EN: 0
; COMPUTE_PGM_RSRC2:USER_SGPR: 6
; COMPUTE_PGM_RSRC2:TRAP_HANDLER: 0
; COMPUTE_PGM_RSRC2:TGID_X_EN: 1
; COMPUTE_PGM_RSRC2:TGID_Y_EN: 1
; COMPUTE_PGM_RSRC2:TGID_Z_EN: 1
; COMPUTE_PGM_RSRC2:TIDIG_COMP_CNT: 0
; COMPUTE_PGM_RSRC3_GFX90A:ACCUM_OFFSET: 5
; COMPUTE_PGM_RSRC3_GFX90A:TG_SPLIT: 0
	.section	.text._ZN2at6native6sbtopk10gatherTopKIsmLi1ELb0EEEvNS_4cuda6detail10TensorInfoIKT_T0_EES8_S8_bS8_S8_NS5_IS6_S8_EES8_NS5_IlS8_EES8_PS6_,"axG",@progbits,_ZN2at6native6sbtopk10gatherTopKIsmLi1ELb0EEEvNS_4cuda6detail10TensorInfoIKT_T0_EES8_S8_bS8_S8_NS5_IS6_S8_EES8_NS5_IlS8_EES8_PS6_,comdat
	.protected	_ZN2at6native6sbtopk10gatherTopKIsmLi1ELb0EEEvNS_4cuda6detail10TensorInfoIKT_T0_EES8_S8_bS8_S8_NS5_IS6_S8_EES8_NS5_IlS8_EES8_PS6_ ; -- Begin function _ZN2at6native6sbtopk10gatherTopKIsmLi1ELb0EEEvNS_4cuda6detail10TensorInfoIKT_T0_EES8_S8_bS8_S8_NS5_IS6_S8_EES8_NS5_IlS8_EES8_PS6_
	.globl	_ZN2at6native6sbtopk10gatherTopKIsmLi1ELb0EEEvNS_4cuda6detail10TensorInfoIKT_T0_EES8_S8_bS8_S8_NS5_IS6_S8_EES8_NS5_IlS8_EES8_PS6_
	.p2align	8
	.type	_ZN2at6native6sbtopk10gatherTopKIsmLi1ELb0EEEvNS_4cuda6detail10TensorInfoIKT_T0_EES8_S8_bS8_S8_NS5_IS6_S8_EES8_NS5_IlS8_EES8_PS6_,@function
_ZN2at6native6sbtopk10gatherTopKIsmLi1ELb0EEEvNS_4cuda6detail10TensorInfoIKT_T0_EES8_S8_bS8_S8_NS5_IS6_S8_EES8_NS5_IlS8_EES8_PS6_: ; @_ZN2at6native6sbtopk10gatherTopKIsmLi1ELb0EEEvNS_4cuda6detail10TensorInfoIKT_T0_EES8_S8_bS8_S8_NS5_IS6_S8_EES8_NS5_IlS8_EES8_PS6_
; %bb.0:
	s_load_dwordx4 s[60:63], s[4:5], 0x1b8
	s_load_dwordx2 s[14:15], s[4:5], 0x520
	s_add_u32 s2, s4, 0x520
	s_addc_u32 s3, s5, 0
	s_mov_b32 s17, 0
	s_waitcnt lgkmcnt(0)
	v_mov_b32_e32 v2, s60
	s_mul_i32 s0, s15, s8
	s_add_i32 s0, s0, s7
	s_mul_i32 s0, s0, s14
	v_mov_b32_e32 v3, s61
	s_add_i32 s16, s0, s6
	v_cmp_ge_u64_e32 vcc, s[16:17], v[2:3]
	s_cbranch_vccnz .LBB168_480
; %bb.1:
	s_load_dwordx2 s[0:1], s[4:5], 0x440
                                        ; implicit-def: $vgpr52 : SGPR spill to VGPR lane
	v_cmp_eq_u32_e64 s[10:11], 0, v0
	s_waitcnt lgkmcnt(0)
	v_writelane_b32 v52, s0, 0
	v_writelane_b32 v52, s1, 1
	s_load_dwordx2 s[0:1], s[4:5], 0x370
	s_waitcnt lgkmcnt(0)
	v_writelane_b32 v52, s0, 2
	v_writelane_b32 v52, s1, 3
	s_load_dwordx2 s[0:1], s[4:5], 0x298
	s_waitcnt lgkmcnt(0)
	v_writelane_b32 v52, s0, 4
	v_writelane_b32 v52, s1, 5
	s_load_dwordx4 s[56:59], s[4:5], 0x1a0
	s_load_dwordx2 s[0:1], s[4:5], 0x1c8
	s_waitcnt lgkmcnt(0)
	v_writelane_b32 v52, s0, 6
	v_writelane_b32 v52, s1, 7
	s_load_dwordx2 s[0:1], s[4:5], 0xd0
	s_load_dwordx2 s[12:13], s[4:5], 0x0
	s_mov_b64 s[8:9], exec
	v_writelane_b32 v52, s10, 8
	v_writelane_b32 v52, s11, 9
	s_and_b64 s[10:11], s[8:9], s[10:11]
	s_mov_b64 exec, s[10:11]
	s_cbranch_execz .LBB168_3
; %bb.2:
	v_mov_b32_e32 v2, 0
	v_mov_b32_e32 v4, s56
	;; [unrolled: 1-line block ×4, first 2 shown]
	ds_write_b32 v2, v2 offset:5144
	ds_write_b128 v2, v[2:5] offset:5120
.LBB168_3:
	s_or_b64 exec, exec, s[8:9]
	s_waitcnt lgkmcnt(0)
	s_mul_i32 s1, s1, s16
	s_mul_hi_u32 s7, s0, s16
	v_writelane_b32 v52, s4, 10
	s_add_i32 s1, s7, s1
	v_writelane_b32 v52, s5, 11
	s_load_dword s5, s[4:5], 0x1b0
	s_mov_b32 s4, s16
	s_mul_i32 s0, s0, s16
	s_waitcnt lgkmcnt(0)
	v_writelane_b32 v52, s4, 12
	s_lshl_b64 s[0:1], s[0:1], 1
	v_writelane_b32 v52, s5, 13
	s_add_u32 s72, s12, s0
	v_writelane_b32 v52, s0, 14
	s_addc_u32 s73, s13, s1
	s_bitcmp1_b32 s5, 0
	v_mbcnt_lo_u32_b32 v1, -1, 0
	v_writelane_b32 v52, s1, 15
	s_cselect_b64 s[0:1], -1, 0
	v_mbcnt_hi_u32_b32 v33, -1, v1
	v_writelane_b32 v52, s0, 16
	v_cmp_gt_u32_e32 vcc, 64, v0
	v_cmp_gt_i32_e64 s[10:11], 4, v33
	v_writelane_b32 v52, s1, 17
	s_xor_b64 s[84:85], s[0:1], -1
	s_and_b64 s[0:1], vcc, s[10:11]
	v_mov_b32_e32 v2, 0x600
	v_writelane_b32 v52, s0, 18
	v_mov_b32_e32 v3, 0
	v_writelane_b32 v52, s1, 19
	v_cmp_gt_u64_e64 s[0:1], s[56:57], v[2:3]
	v_writelane_b32 v52, s0, 20
	v_writelane_b32 v52, s1, 21
	v_mad_u64_u32 v[2:3], s[0:1], v0, s62, 0
	v_mov_b32_e32 v15, 0
	v_mov_b32_e32 v4, v3
	v_mov_b32_e32 v1, v15
	v_mad_u64_u32 v[4:5], s[0:1], v0, s63, v[4:5]
	v_cmp_gt_u64_e64 s[0:1], s[56:57], v[0:1]
	v_writelane_b32 v52, s0, 22
	v_writelane_b32 v52, s1, 23
	v_cmp_gt_u32_e64 s[0:1], 2, v0
	v_writelane_b32 v52, s0, 24
	s_barrier
	v_writelane_b32 v52, s1, 25
	s_load_dword s0, s[2:3], 0xc
	v_mov_b32_e32 v3, v4
	v_lshlrev_b64 v[4:5], 1, v[2:3]
	v_add_co_u32_e32 v12, vcc, s72, v4
	s_waitcnt lgkmcnt(0)
	s_and_b32 s33, s0, 0xffff
	s_bfe_u32 s1, s0, 0xa0006
	v_cmp_gt_u16_e64 s[4:5], s0, 63
	v_writelane_b32 v52, s4, 26
	s_add_u32 s0, s33, -1
	v_writelane_b32 v52, s5, 27
	s_addc_u32 s4, 0, -1
	v_writelane_b32 v52, s0, 28
	s_add_u32 s0, s0, s56
	s_addc_u32 s5, s4, s57
	v_writelane_b32 v52, s0, 29
	s_cmp_lt_u32 s6, s14
	v_writelane_b32 v52, s4, 30
	s_cselect_b32 s0, 12, 18
	v_writelane_b32 v52, s4, 31
	s_add_u32 s2, s2, s0
	v_writelane_b32 v52, s5, 32
	s_addc_u32 s3, s3, 0
	v_writelane_b32 v52, s2, 33
	v_writelane_b32 v52, s3, 34
	s_add_i32 s0, s1, -1
	s_bfe_u32 s2, s33, 0x30006
	s_cmp_gt_u32 s0, 6
	s_cselect_b64 s[4:5], -1, 0
	v_writelane_b32 v52, s4, 35
	s_and_b32 s89, s1, 0x3f8
	v_writelane_b32 v52, s5, 36
	s_cmp_lg_u32 s2, 0
	v_lshrrev_b32_e32 v4, 4, v0
	v_writelane_b32 v52, s2, 37
	s_cselect_b64 s[0:1], -1, 0
	v_mov_b32_e32 v6, s73
	v_and_b32_e32 v34, 60, v4
	v_lshlrev_b32_e32 v4, 2, v33
	v_writelane_b32 v52, s0, 38
	v_addc_co_u32_e32 v13, vcc, v6, v5, vcc
	v_and_b32_e32 v32, 0x100, v4
	v_lshlrev_b64 v[4:5], v33, -1
	v_writelane_b32 v52, s1, 39
	s_lshl_b64 s[0:1], s[62:63], 1
	v_lshlrev_b32_e32 v37, 3, v0
	v_not_b32_e32 v11, v5
	v_writelane_b32 v52, s0, 40
	v_or_b32_e32 v5, 6, v37
	v_writelane_b32 v52, s1, 41
	v_mad_u64_u32 v[18:19], s[0:1], s62, v5, 0
	v_not_b32_e32 v10, v4
	v_mov_b32_e32 v4, v19
	v_mad_u64_u32 v[4:5], s[0:1], s63, v5, v[4:5]
	s_lshl_b64 s[0:1], s[62:63], 3
	v_writelane_b32 v52, s0, 42
	v_or_b32_e32 v5, 4, v37
	v_writelane_b32 v52, s1, 43
	v_mad_u64_u32 v[20:21], s[0:1], s62, v5, 0
	v_mov_b32_e32 v19, v4
	v_mov_b32_e32 v4, v21
	v_mad_u64_u32 v[4:5], s[0:1], s63, v5, v[4:5]
	v_or_b32_e32 v5, 2, v37
	v_mad_u64_u32 v[22:23], s[0:1], s62, v5, 0
	v_mov_b32_e32 v21, v4
	v_mov_b32_e32 v4, v23
	v_mad_u64_u32 v[4:5], s[0:1], s63, v5, v[4:5]
	s_mul_i32 s1, s63, s33
	s_mul_hi_u32 s2, s62, s33
	s_add_i32 s3, s2, s1
	s_mov_b32 s1, 14
	v_writelane_b32 v52, s1, 44
	s_mov_b32 s4, 0
	s_mov_b32 s83, 0
	v_lshlrev_b32_e32 v35, 1, v0
	v_lshlrev_b64 v[24:25], 3, v[2:3]
	v_mov_b32_e32 v2, 0xc00
	s_mul_i32 s2, s62, s33
	v_writelane_b32 v52, s4, 45
	v_cmp_eq_u32_e64 s[94:95], 0, v33
	v_lshlrev_b32_e32 v16, 2, v0
	v_mov_b32_e32 v17, v15
	v_add_u32_e32 v36, 0xc00, v35
	s_mov_b32 s88, s83
	v_mov_b32_e32 v23, v4
	v_lshl_or_b32 v38, v33, 3, v2
	s_lshl_b32 s0, s33, 1
	s_lshl_b64 s[60:61], s[2:3], 1
	s_mov_b64 s[74:75], 0
	v_pk_mov_b32 v[26:27], s[58:59], s[58:59] op_sel:[0,1]
	s_mov_b32 s1, 0x8000
	v_mov_b32_e32 v39, 0x4f800000
	v_mov_b32_e32 v40, 0x5040100
	;; [unrolled: 1-line block ×5, first 2 shown]
	v_writelane_b32 v52, s84, 46
                                        ; implicit-def: $sgpr64_sgpr65
                                        ; implicit-def: $sgpr2_sgpr3
                                        ; implicit-def: $sgpr76_sgpr77
                                        ; implicit-def: $sgpr92_sgpr93
                                        ; implicit-def: $sgpr66_sgpr67
                                        ; implicit-def: $sgpr24_sgpr25
                                        ; implicit-def: $sgpr28_sgpr29
                                        ; implicit-def: $sgpr30_sgpr31
                                        ; implicit-def: $sgpr8_sgpr9
                                        ; implicit-def: $sgpr10_sgpr11
	v_writelane_b32 v52, s85, 47
	s_branch .LBB168_6
.LBB168_4:                              ;   in Loop: Header=BB168_6 Depth=1
	s_or_b64 exec, exec, s[14:15]
	s_andn2_b64 s[10:11], s[10:11], exec
	s_and_b64 s[12:13], s[12:13], exec
	s_or_b64 s[10:11], s[10:11], s[12:13]
	s_andn2_b64 s[8:9], s[8:9], exec
	s_andn2_b64 s[30:31], s[30:31], exec
	;; [unrolled: 1-line block ×4, first 2 shown]
	s_orn2_b64 s[6:7], s[6:7], exec
	v_mov_b32_e32 v41, v29
	v_mov_b32_e32 v42, v28
	v_pk_mov_b32 v[26:27], v[2:3], v[2:3] op_sel:[0,1]
	v_mov_b32_e32 v43, v30
.LBB168_5:                              ;   in Loop: Header=BB168_6 Depth=1
	s_or_b64 exec, exec, s[4:5]
	s_and_b64 s[4:5], exec, s[6:7]
	s_or_b64 s[74:75], s[4:5], s[74:75]
	s_andn2_b64 s[4:5], s[66:67], exec
	s_and_b64 s[6:7], s[10:11], exec
	s_or_b64 s[66:67], s[4:5], s[6:7]
	s_andn2_b64 s[4:5], s[92:93], exec
	s_and_b64 s[6:7], s[8:9], exec
	;; [unrolled: 3-line block ×5, first 2 shown]
	s_or_b64 s[64:65], s[4:5], s[6:7]
	s_andn2_b64 exec, exec, s[74:75]
	s_cbranch_execz .LBB168_476
.LBB168_6:                              ; =>This Loop Header: Depth=1
                                        ;     Child Loop BB168_11 Depth 2
                                        ;     Child Loop BB168_26 Depth 2
	;; [unrolled: 1-line block ×24, first 2 shown]
	ds_read_b128 v[2:5], v15 offset:5120
	s_waitcnt lgkmcnt(0)
	v_readfirstlane_b32 s87, v3
	v_readfirstlane_b32 s86, v2
	s_cmp_lg_u64 s[86:87], 0
	s_cbranch_scc1 .LBB168_33
; %bb.7:                                ;   in Loop: Header=BB168_6 Depth=1
	v_readlane_b32 s4, v52, 20
	v_readlane_b32 s5, v52, 21
	s_and_b64 vcc, exec, s[4:5]
	s_cbranch_vccz .LBB168_19
; %bb.8:                                ;   in Loop: Header=BB168_6 Depth=1
	s_mov_b64 s[4:5], 0x601
	v_cmp_gt_u64_e32 vcc, s[4:5], v[4:5]
	s_mov_b64 s[86:87], 0
	s_mov_b64 s[4:5], 0
	s_cbranch_vccz .LBB168_20
; %bb.9:                                ;   in Loop: Header=BB168_6 Depth=1
	v_readlane_b32 s4, v52, 33
	v_readlane_b32 s5, v52, 34
	s_nop 4
	global_load_ushort v6, v15, s[4:5]
	global_load_ushort v7, v[12:13], off
	v_readlane_b32 s14, v52, 40
	v_pk_mov_b32 v[2:3], s[72:73], s[72:73] op_sel:[0,1]
	v_readlane_b32 s15, v52, 41
	s_mov_b64 s[4:5], 0
	s_waitcnt vmcnt(1)
	v_readfirstlane_b32 s6, v6
	s_and_b32 s6, 0xffff, s6
	v_add_u32_e32 v5, s6, v0
	s_mul_i32 s12, s15, s6
	s_mul_hi_u32 s13, s14, s6
	s_mul_i32 s20, s14, s6
	v_mad_u64_u32 v[2:3], s[6:7], s14, v5, v[2:3]
	v_mov_b32_e32 v4, v3
	v_mad_u64_u32 v[4:5], s[6:7], s15, v5, v[4:5]
	s_add_i32 s21, s13, s12
	v_mov_b32_e32 v3, v4
	v_pk_mov_b32 v[4:5], v[0:1], v[0:1] op_sel:[0,1]
	s_branch .LBB168_11
.LBB168_10:                             ;   in Loop: Header=BB168_11 Depth=2
	s_or_b64 exec, exec, s[6:7]
	v_mov_b32_e32 v7, s21
	v_add_co_u32_e32 v2, vcc, s20, v2
	v_addc_co_u32_e32 v3, vcc, v3, v7, vcc
	v_mov_b32_e32 v7, v8
	s_andn2_b64 exec, exec, s[4:5]
	s_cbranch_execz .LBB168_92
.LBB168_11:                             ;   Parent Loop BB168_6 Depth=1
                                        ; =>  This Inner Loop Header: Depth=2
	v_add_co_u32_sdwa v4, vcc, v4, v6 dst_sel:DWORD dst_unused:UNUSED_PAD src0_sel:DWORD src1_sel:WORD_0
	v_addc_co_u32_e32 v5, vcc, 0, v5, vcc
	v_cmp_gt_u64_e64 s[6:7], s[56:57], v[4:5]
	v_cmp_le_u64_e32 vcc, s[56:57], v[4:5]
	s_waitcnt lgkmcnt(0)
	v_mov_b32_e32 v9, 0
	v_mov_b32_e32 v8, 0
	s_and_saveexec_b64 s[12:13], s[6:7]
	s_cbranch_execz .LBB168_13
; %bb.12:                               ;   in Loop: Header=BB168_11 Depth=2
	global_load_ushort v8, v[2:3], off
.LBB168_13:                             ;   in Loop: Header=BB168_11 Depth=2
	s_or_b64 exec, exec, s[12:13]
	s_waitcnt vmcnt(0)
	v_add_u32_sdwa v14, sext(v7), s1 dst_sel:DWORD dst_unused:UNUSED_PAD src0_sel:WORD_0 src1_sel:DWORD
	v_and_b32_e32 v14, v14, v41
	v_cmp_eq_u32_e64 s[14:15], v14, v42
	s_cmp_lg_u64 s[14:15], 0
	s_cselect_b64 s[6:7], -1, 0
	s_and_b64 s[6:7], s[94:95], s[6:7]
	s_and_saveexec_b64 s[12:13], s[6:7]
	s_cbranch_execz .LBB168_17
; %bb.14:                               ;   in Loop: Header=BB168_11 Depth=2
	s_mov_b64 s[18:19], exec
	v_mbcnt_lo_u32_b32 v9, s18, 0
	v_mbcnt_hi_u32_b32 v9, s19, v9
	s_bcnt1_i32_b64 s22, s[14:15]
	v_cmp_eq_u32_e64 s[6:7], 0, v9
                                        ; implicit-def: $vgpr14
	s_and_saveexec_b64 s[16:17], s[6:7]
	s_cbranch_execz .LBB168_16
; %bb.15:                               ;   in Loop: Header=BB168_11 Depth=2
	s_bcnt1_i32_b64 s6, s[18:19]
	s_mul_i32 s6, s22, s6
	v_mov_b32_e32 v14, s6
	ds_add_rtn_u32 v14, v15, v14 offset:5144
.LBB168_16:                             ;   in Loop: Header=BB168_11 Depth=2
	s_or_b64 exec, exec, s[16:17]
	s_waitcnt lgkmcnt(0)
	v_readfirstlane_b32 s6, v14
	v_mov_b32_e32 v14, s6
	v_mad_u32_u24 v9, s22, v9, v14
.LBB168_17:                             ;   in Loop: Header=BB168_11 Depth=2
	s_or_b64 exec, exec, s[12:13]
	ds_bpermute_b32 v9, v32, v9
	s_and_b64 s[6:7], exec, vcc
	s_or_b64 s[4:5], s[6:7], s[4:5]
	s_and_saveexec_b64 s[6:7], s[14:15]
	s_cbranch_execz .LBB168_10
; %bb.18:                               ;   in Loop: Header=BB168_11 Depth=2
	v_and_b32_e32 v28, s14, v10
	v_and_b32_e32 v14, s15, v11
	v_bcnt_u32_b32 v28, v28, 0
	v_bcnt_u32_b32 v14, v14, v28
	v_lshlrev_b32_e32 v14, 1, v14
	s_waitcnt lgkmcnt(0)
	v_lshl_add_u32 v9, v9, 1, v14
	ds_write_b16 v9, v7
	s_branch .LBB168_10
.LBB168_19:                             ;   in Loop: Header=BB168_6 Depth=1
	s_mov_b64 s[86:87], -1
	s_mov_b64 s[4:5], 0
.LBB168_20:                             ;   in Loop: Header=BB168_6 Depth=1
	s_and_b64 vcc, exec, s[86:87]
	s_cbranch_vccz .LBB168_31
.LBB168_21:                             ;   in Loop: Header=BB168_6 Depth=1
	v_mov_b32_e32 v6, 0
	s_mov_b64 s[4:5], exec
	v_readlane_b32 s6, v52, 22
	v_readlane_b32 s7, v52, 23
	s_and_b64 s[6:7], s[4:5], s[6:7]
	s_mov_b64 exec, s[6:7]
	s_cbranch_execz .LBB168_23
; %bb.22:                               ;   in Loop: Header=BB168_6 Depth=1
	global_load_ushort v6, v[12:13], off
.LBB168_23:                             ;   in Loop: Header=BB168_6 Depth=1
	s_or_b64 exec, exec, s[4:5]
	s_mov_b64 s[4:5], exec
	v_readlane_b32 s6, v52, 22
	v_readlane_b32 s7, v52, 23
	s_and_b64 s[6:7], s[4:5], s[6:7]
	s_mov_b64 exec, s[6:7]
	s_cbranch_execz .LBB168_28
; %bb.24:                               ;   in Loop: Header=BB168_6 Depth=1
	v_readlane_b32 s6, v52, 33
	v_readlane_b32 s7, v52, 34
	;; [unrolled: 1-line block ×3, first 2 shown]
	v_pk_mov_b32 v[2:3], s[72:73], s[72:73] op_sel:[0,1]
	v_readlane_b32 s19, v52, 41
	s_mov_b64 s[12:13], 0
	v_mov_b32_e32 v8, v35
	global_load_ushort v7, v15, s[6:7]
	s_waitcnt vmcnt(0)
	v_readfirstlane_b32 s6, v7
	s_and_b32 s6, 0xffff, s6
	v_add_u32_e32 v5, s6, v0
	s_lshl_b32 s16, s6, 1
	s_mul_i32 s14, s19, s6
	s_mul_hi_u32 s15, s18, s6
	s_mul_i32 s17, s18, s6
	v_mad_u64_u32 v[2:3], s[6:7], s18, v5, v[2:3]
	v_mov_b32_e32 v4, v3
	v_mad_u64_u32 v[4:5], s[6:7], s19, v5, v[4:5]
	s_add_i32 s18, s15, s14
	v_mov_b32_e32 v3, v4
	v_pk_mov_b32 v[4:5], v[0:1], v[0:1] op_sel:[0,1]
	s_branch .LBB168_26
.LBB168_25:                             ;   in Loop: Header=BB168_26 Depth=2
	s_or_b64 exec, exec, s[14:15]
	s_and_b64 s[6:7], exec, vcc
	ds_write_b16 v8, v6
	v_mov_b32_e32 v6, s18
	v_add_co_u32_e32 v2, vcc, s17, v2
	s_or_b64 s[12:13], s[6:7], s[12:13]
	v_add_u32_e32 v8, s16, v8
	v_addc_co_u32_e32 v3, vcc, v3, v6, vcc
	s_waitcnt vmcnt(0)
	v_mov_b32_e32 v6, v9
	s_andn2_b64 exec, exec, s[12:13]
	s_cbranch_execz .LBB168_28
.LBB168_26:                             ;   Parent Loop BB168_6 Depth=1
                                        ; =>  This Inner Loop Header: Depth=2
	v_add_co_u32_sdwa v4, vcc, v4, v7 dst_sel:DWORD dst_unused:UNUSED_PAD src0_sel:DWORD src1_sel:WORD_0
	v_addc_co_u32_e32 v5, vcc, 0, v5, vcc
	v_cmp_gt_u64_e64 s[6:7], s[56:57], v[4:5]
	v_cmp_le_u64_e32 vcc, s[56:57], v[4:5]
	v_mov_b32_e32 v9, 0
	s_and_saveexec_b64 s[14:15], s[6:7]
	s_cbranch_execz .LBB168_25
; %bb.27:                               ;   in Loop: Header=BB168_26 Depth=2
	global_load_ushort v9, v[2:3], off
	s_branch .LBB168_25
.LBB168_28:                             ;   in Loop: Header=BB168_6 Depth=1
	s_or_b64 exec, exec, s[4:5]
	s_waitcnt lgkmcnt(0)
	s_barrier
	s_mov_b64 s[4:5], exec
	v_readlane_b32 s6, v52, 8
	v_readlane_b32 s7, v52, 9
	s_and_b64 s[6:7], s[4:5], s[6:7]
	s_mov_b64 exec, s[6:7]
	s_cbranch_execz .LBB168_30
; %bb.29:                               ;   in Loop: Header=BB168_6 Depth=1
	v_pk_mov_b32 v[2:3], s[56:57], s[56:57] op_sel:[0,1]
	ds_write_b64 v15, v[2:3] offset:5120
.LBB168_30:                             ;   in Loop: Header=BB168_6 Depth=1
	s_or_b64 exec, exec, s[4:5]
	s_mov_b64 s[4:5], -1
	s_waitcnt lgkmcnt(0)
	s_barrier
                                        ; implicit-def: $sgpr86_sgpr87
.LBB168_31:                             ;   in Loop: Header=BB168_6 Depth=1
	s_and_b64 vcc, exec, s[4:5]
	s_cbranch_vccz .LBB168_33
; %bb.32:                               ;   in Loop: Header=BB168_6 Depth=1
	ds_read_b64 v[2:3], v15 offset:5120
	s_waitcnt lgkmcnt(0)
	v_readfirstlane_b32 s86, v2
.LBB168_33:                             ;   in Loop: Header=BB168_6 Depth=1
	v_writelane_b32 v52, s24, 48
	v_writelane_b32 v52, s25, 49
	;; [unrolled: 1-line block ×4, first 2 shown]
	s_cmp_lt_i32 s86, 1
	v_writelane_b32 v52, s30, 52
	v_writelane_b32 v52, s31, 53
	s_cbranch_scc0 .LBB168_48
; %bb.34:                               ;   in Loop: Header=BB168_6 Depth=1
	v_readlane_b32 s4, v52, 33
	v_readlane_b32 s5, v52, 34
	s_nop 4
	global_load_ushort v2, v15, s[4:5]
	s_mov_b32 s4, s83
	s_waitcnt vmcnt(0)
	v_readfirstlane_b32 s5, v2
	s_and_b32 s82, s5, 0xffff
	s_lshl_b32 s87, s82, 2
	s_mov_b32 s5, s57
	s_cmp_lg_u64 s[4:5], 0
	s_cbranch_scc0 .LBB168_68
; %bb.35:                               ;   in Loop: Header=BB168_6 Depth=1
	v_cvt_f32_u32_e32 v2, s87
	s_sub_u32 s4, 0, s87
	s_subb_u32 s5, 0, 0
	v_mac_f32_e32 v2, 0, v39
	v_rcp_f32_e32 v2, v2
	v_mul_f32_e32 v2, 0x5f7ffffc, v2
	v_mul_f32_e32 v3, 0x2f800000, v2
	v_trunc_f32_e32 v3, v3
	v_mac_f32_e32 v2, 0xcf800000, v3
	v_cvt_u32_f32_e32 v3, v3
	v_cvt_u32_f32_e32 v2, v2
	v_readfirstlane_b32 s6, v3
	v_readfirstlane_b32 s7, v2
	s_mul_i32 s12, s4, s6
	s_mul_hi_u32 s14, s4, s7
	s_mul_i32 s13, s5, s7
	s_add_i32 s12, s14, s12
	s_mul_i32 s15, s4, s7
	s_add_i32 s12, s12, s13
	s_mul_hi_u32 s14, s7, s15
	s_mul_hi_u32 s13, s7, s12
	s_mul_i32 s7, s7, s12
	s_add_u32 s7, s14, s7
	s_addc_u32 s13, 0, s13
	s_mul_hi_u32 s16, s6, s15
	s_mul_i32 s15, s6, s15
	s_add_u32 s7, s7, s15
	s_mul_hi_u32 s14, s6, s12
	s_addc_u32 s7, s13, s16
	s_addc_u32 s13, s14, 0
	s_mul_i32 s12, s6, s12
	s_add_u32 s7, s7, s12
	s_addc_u32 s12, 0, s13
	v_add_co_u32_e32 v2, vcc, s7, v2
	s_cmp_lg_u64 vcc, 0
	s_addc_u32 s6, s6, s12
	v_readfirstlane_b32 s12, v2
	s_mul_i32 s7, s4, s6
	s_mul_hi_u32 s13, s4, s12
	s_add_i32 s7, s13, s7
	s_mul_i32 s5, s5, s12
	s_add_i32 s7, s7, s5
	s_mul_i32 s4, s4, s12
	s_mul_hi_u32 s13, s6, s4
	s_mul_i32 s14, s6, s4
	s_mul_i32 s16, s12, s7
	s_mul_hi_u32 s4, s12, s4
	s_mul_hi_u32 s15, s12, s7
	s_add_u32 s4, s4, s16
	s_addc_u32 s12, 0, s15
	s_add_u32 s4, s4, s14
	s_mul_hi_u32 s5, s6, s7
	s_addc_u32 s4, s12, s13
	s_addc_u32 s5, s5, 0
	s_mul_i32 s7, s6, s7
	s_add_u32 s4, s4, s7
	s_addc_u32 s5, 0, s5
	v_add_co_u32_e32 v2, vcc, s4, v2
	s_cmp_lg_u64 vcc, 0
	s_addc_u32 s4, s6, s5
	v_readfirstlane_b32 s7, v2
	s_mul_i32 s6, s56, s4
	s_mul_hi_u32 s12, s56, s7
	s_mul_hi_u32 s5, s56, s4
	s_add_u32 s6, s12, s6
	s_addc_u32 s5, 0, s5
	s_mul_hi_u32 s13, s57, s7
	s_mul_i32 s7, s57, s7
	s_add_u32 s6, s6, s7
	s_mul_hi_u32 s12, s57, s4
	s_addc_u32 s5, s5, s13
	s_addc_u32 s6, s12, 0
	s_mul_i32 s4, s57, s4
	s_add_u32 s4, s5, s4
	s_addc_u32 s5, 0, s6
	s_mul_hi_u32 s6, s87, s4
	s_mul_i32 s4, s87, s4
	s_mul_i32 s5, s87, s5
	v_mov_b32_e32 v2, s4
	s_add_i32 s6, s6, s5
	v_sub_co_u32_e32 v2, vcc, s56, v2
	s_cmp_lg_u64 vcc, 0
	s_subb_u32 s4, s57, s6
	v_subrev_co_u32_e32 v3, vcc, s87, v2
	s_cmp_lg_u64 vcc, 0
	s_subb_u32 s5, s4, 0
	v_subrev_co_u32_e32 v4, vcc, s87, v3
	s_cmp_lg_u64 vcc, 0
	s_subb_u32 s6, s5, 0
	v_cmp_le_u32_e32 vcc, s87, v3
	s_cmp_eq_u32 s5, 0
	v_cndmask_b32_e64 v5, 0, -1, vcc
	s_cselect_b64 vcc, -1, 0
	v_cndmask_b32_e32 v5, -1, v5, vcc
	v_mov_b32_e32 v6, s5
	v_mov_b32_e32 v7, s6
	v_cmp_ne_u32_e32 vcc, 0, v5
	v_cndmask_b32_e32 v5, v6, v7, vcc
	v_cndmask_b32_e32 v4, v3, v4, vcc
	v_cmp_le_u32_e32 vcc, s87, v2
	s_cmp_eq_u32 s4, 0
	v_cndmask_b32_e64 v3, 0, -1, vcc
	s_cselect_b64 vcc, -1, 0
	v_cndmask_b32_e32 v3, -1, v3, vcc
	v_mov_b32_e32 v6, s4
	v_cmp_ne_u32_e32 vcc, 0, v3
	v_cndmask_b32_e32 v3, v6, v5, vcc
	v_cndmask_b32_e32 v2, v2, v4, vcc
	s_cbranch_execnz .LBB168_37
.LBB168_36:                             ;   in Loop: Header=BB168_6 Depth=1
	v_cvt_f32_u32_e32 v2, s87
	s_sub_i32 s4, 0, s87
	v_rcp_iflag_f32_e32 v2, v2
	v_mul_f32_e32 v2, 0x4f7ffffe, v2
	v_cvt_u32_f32_e32 v2, v2
	v_mul_lo_u32 v3, s4, v2
	v_mul_hi_u32 v3, v2, v3
	v_add_u32_e32 v2, v2, v3
	v_mul_hi_u32 v2, s56, v2
	v_mul_lo_u32 v2, v2, s87
	v_sub_u32_e32 v2, s56, v2
	v_subrev_u32_e32 v3, s87, v2
	v_cmp_le_u32_e32 vcc, s87, v2
	v_cndmask_b32_e32 v2, v2, v3, vcc
	v_subrev_u32_e32 v3, s87, v2
	v_cmp_le_u32_e32 vcc, s87, v2
	v_cndmask_b32_e32 v14, v2, v3, vcc
	v_pk_mov_b32 v[2:3], v[14:15], v[14:15] op_sel:[0,1]
.LBB168_37:                             ;   in Loop: Header=BB168_6 Depth=1
	v_mov_b32_e32 v4, s57
	v_sub_co_u32_e32 v28, vcc, s56, v2
	v_subb_co_u32_e32 v29, vcc, v4, v3, vcc
	v_pk_mov_b32 v[2:3], 0, 0
	v_cmp_gt_u64_e32 vcc, v[28:29], v[16:17]
	s_mov_b64 s[12:13], 0
	v_pk_mov_b32 v[4:5], v[2:3], v[2:3] op_sel:[0,1]
	v_pk_mov_b32 v[6:7], v[2:3], v[2:3] op_sel:[0,1]
	;; [unrolled: 1-line block ×3, first 2 shown]
	s_and_saveexec_b64 s[4:5], vcc
	s_cbranch_execz .LBB168_41
; %bb.38:                               ;   in Loop: Header=BB168_6 Depth=1
	v_readlane_b32 s14, v52, 42
	v_readlane_b32 s6, v52, 44
	;; [unrolled: 1-line block ×3, first 2 shown]
	s_mov_b64 s[30:31], s[94:95]
	s_and_b32 s94, s6, 0xfe
	s_mul_i32 s6, s15, s82
	s_mul_hi_u32 s7, s14, s82
	s_add_i32 s95, s7, s6
	s_mul_i32 s68, s14, s82
	s_mov_b64 s[78:79], s[72:73]
	s_mov_b64 s[70:71], 0
	;; [unrolled: 1-line block ×5, first 2 shown]
	v_pk_mov_b32 v[30:31], v[16:17], v[16:17] op_sel:[0,1]
.LBB168_39:                             ;   Parent Loop BB168_6 Depth=1
                                        ; =>  This Inner Loop Header: Depth=2
	v_add_co_u32_e64 v30, s[6:7], s87, v30
	v_addc_co_u32_e64 v31, s[6:7], 0, v31, s[6:7]
	v_mov_b32_e32 v7, s79
	v_add_co_u32_e32 v2, vcc, s78, v22
	v_add_co_u32_e64 v8, s[6:7], s78, v24
	v_add_co_u32_e64 v4, s[14:15], s78, v20
	;; [unrolled: 1-line block ×3, first 2 shown]
	v_addc_co_u32_e64 v9, s[6:7], v7, v25, s[6:7]
	v_addc_co_u32_e32 v3, vcc, v7, v23, vcc
	v_addc_co_u32_e64 v5, vcc, v7, v21, s[14:15]
	v_addc_co_u32_e64 v7, vcc, v7, v19, s[16:17]
	global_load_sshort v8, v[8:9], off
	s_nop 0
	global_load_sshort v2, v[2:3], off
	s_nop 0
	;; [unrolled: 2-line block ×3, first 2 shown]
	global_load_sshort v4, v[6:7], off
	v_cmp_ge_u64_e32 vcc, v[30:31], v[28:29]
	s_waitcnt vmcnt(3)
	v_add_u32_e32 v5, 0x8000, v8
	s_waitcnt vmcnt(2)
	v_add_u32_e32 v2, 0x8000, v2
	v_and_b32_e32 v6, v5, v41
	v_bfe_u32 v5, v5, s94, 2
	s_waitcnt vmcnt(1)
	v_add_u32_e32 v3, 0x8000, v3
	v_and_b32_e32 v7, v2, v41
	v_bfe_u32 v2, v2, s94, 2
	v_cmp_eq_u32_e64 s[20:21], v6, v42
	v_cmp_eq_u32_e64 s[6:7], 0, v5
	s_waitcnt vmcnt(0)
	v_add_u32_e32 v4, 0x8000, v4
	v_and_b32_e32 v8, v3, v41
	v_bfe_u32 v3, v3, s94, 2
	v_cmp_eq_u32_e64 s[18:19], v7, v42
	v_cmp_eq_u32_e64 s[34:35], 0, v2
	s_and_b64 s[6:7], s[20:21], s[6:7]
	v_and_b32_e32 v9, v4, v41
	v_bfe_u32 v4, v4, s94, 2
	v_cmp_eq_u32_e64 s[16:17], v8, v42
	v_cmp_eq_u32_e64 s[36:37], 0, v3
	;; [unrolled: 1-line block ×5, first 2 shown]
	v_cndmask_b32_e64 v2, 0, 1, s[6:7]
	s_and_b64 s[6:7], s[18:19], s[34:35]
	v_cmp_eq_u32_e64 s[14:15], v9, v42
	v_cmp_eq_u32_e64 s[38:39], 0, v4
	;; [unrolled: 1-line block ×5, first 2 shown]
	v_cndmask_b32_e64 v3, 0, 1, s[6:7]
	s_and_b64 s[6:7], s[16:17], s[36:37]
	v_cmp_eq_u32_e64 s[46:47], 1, v4
	v_cmp_eq_u32_e64 s[54:55], 2, v4
	v_cmp_eq_u32_e64 s[22:23], 3, v4
	v_cndmask_b32_e64 v4, 0, 1, s[6:7]
	s_and_b64 s[6:7], s[14:15], s[38:39]
	v_cmp_eq_u32_e64 s[40:41], 1, v5
	v_cmp_eq_u32_e64 s[48:49], 2, v5
	;; [unrolled: 1-line block ×3, first 2 shown]
	v_cndmask_b32_e64 v5, 0, 1, s[6:7]
	v_cmp_ne_u32_e64 s[6:7], 0, v2
	v_cmp_ne_u32_e64 s[34:35], 0, v3
	v_cmp_ne_u32_e64 s[36:37], 0, v4
	v_cmp_ne_u32_e64 s[38:39], 0, v5
	s_bcnt1_i32_b64 s6, s[6:7]
	s_bcnt1_i32_b64 s7, s[34:35]
	s_bcnt1_i32_b64 s34, s[36:37]
	s_bcnt1_i32_b64 s35, s[38:39]
	s_add_u32 s6, s6, s90
	s_addc_u32 s36, 0, s91
	s_add_u32 s6, s6, s7
	s_addc_u32 s7, s36, 0
	s_add_u32 s6, s6, s34
	s_addc_u32 s7, s7, 0
	s_add_u32 s90, s6, s35
	s_addc_u32 s91, s7, 0
	s_and_b64 s[6:7], s[20:21], s[40:41]
	v_cndmask_b32_e64 v4, 0, 1, s[6:7]
	s_and_b64 s[6:7], s[18:19], s[42:43]
	v_cndmask_b32_e64 v5, 0, 1, s[6:7]
	s_and_b64 s[6:7], s[16:17], s[44:45]
	v_cndmask_b32_e64 v6, 0, 1, s[6:7]
	s_and_b64 s[6:7], s[14:15], s[46:47]
	v_cndmask_b32_e64 v7, 0, 1, s[6:7]
	v_cmp_ne_u32_e64 s[6:7], 0, v4
	v_cmp_ne_u32_e64 s[34:35], 0, v5
	v_cmp_ne_u32_e64 s[36:37], 0, v6
	v_cmp_ne_u32_e64 s[38:39], 0, v7
	s_bcnt1_i32_b64 s6, s[6:7]
	s_bcnt1_i32_b64 s7, s[34:35]
	s_bcnt1_i32_b64 s34, s[36:37]
	s_bcnt1_i32_b64 s35, s[38:39]
	s_add_u32 s6, s6, s84
	s_addc_u32 s36, 0, s85
	s_add_u32 s6, s6, s7
	s_addc_u32 s7, s36, 0
	s_add_u32 s6, s6, s34
	s_addc_u32 s7, s7, 0
	s_add_u32 s84, s6, s35
	s_addc_u32 s85, s7, 0
	s_and_b64 s[6:7], s[20:21], s[48:49]
	v_cndmask_b32_e64 v6, 0, 1, s[6:7]
	s_and_b64 s[6:7], s[18:19], s[50:51]
	v_cndmask_b32_e64 v7, 0, 1, s[6:7]
	s_and_b64 s[6:7], s[16:17], s[52:53]
	v_cndmask_b32_e64 v8, 0, 1, s[6:7]
	s_and_b64 s[6:7], s[14:15], s[54:55]
	;; [unrolled: 24-line block ×3, first 2 shown]
	v_cndmask_b32_e64 v44, 0, 1, s[6:7]
	v_cmp_ne_u32_e64 s[6:7], 0, v8
	v_cmp_ne_u32_e64 s[14:15], 0, v9
	v_cmp_ne_u32_e64 s[16:17], 0, v14
	v_cmp_ne_u32_e64 s[18:19], 0, v44
	s_bcnt1_i32_b64 s6, s[6:7]
	s_bcnt1_i32_b64 s7, s[14:15]
	;; [unrolled: 1-line block ×4, first 2 shown]
	s_add_u32 s6, s6, s70
	s_addc_u32 s16, 0, s71
	s_add_u32 s6, s6, s7
	s_addc_u32 s7, s16, 0
	;; [unrolled: 2-line block ×5, first 2 shown]
	v_pk_mov_b32 v[2:3], s[90:91], s[90:91] op_sel:[0,1]
	v_pk_mov_b32 v[4:5], s[84:85], s[84:85] op_sel:[0,1]
	v_pk_mov_b32 v[6:7], s[80:81], s[80:81] op_sel:[0,1]
	s_or_b64 s[12:13], vcc, s[12:13]
	v_pk_mov_b32 v[8:9], s[70:71], s[70:71] op_sel:[0,1]
	s_andn2_b64 exec, exec, s[12:13]
	s_cbranch_execnz .LBB168_39
; %bb.40:                               ;   in Loop: Header=BB168_6 Depth=1
	s_or_b64 exec, exec, s[12:13]
	v_readlane_b32 s84, v52, 46
	s_mov_b64 s[94:95], s[30:31]
	v_readlane_b32 s85, v52, 47
.LBB168_41:                             ;   in Loop: Header=BB168_6 Depth=1
	s_or_b64 exec, exec, s[4:5]
	v_add_co_u32_e32 v28, vcc, v28, v0
	v_addc_co_u32_e32 v29, vcc, 0, v29, vcc
	v_cmp_gt_u64_e32 vcc, s[56:57], v[28:29]
	v_mov_b32_e32 v14, 0
	s_and_saveexec_b64 s[4:5], vcc
	s_cbranch_execz .LBB168_43
; %bb.42:                               ;   in Loop: Header=BB168_6 Depth=1
	v_mul_lo_u32 v14, v29, s62
	v_mul_lo_u32 v44, v28, s63
	v_mad_u64_u32 v[30:31], s[6:7], v28, s62, 0
	v_add3_u32 v31, v31, v44, v14
	v_lshlrev_b64 v[30:31], 1, v[30:31]
	v_mov_b32_e32 v14, s73
	v_add_co_u32_e64 v30, s[6:7], s72, v30
	v_addc_co_u32_e64 v31, s[6:7], v14, v31, s[6:7]
	global_load_ushort v14, v[30:31], off
.LBB168_43:                             ;   in Loop: Header=BB168_6 Depth=1
	s_or_b64 exec, exec, s[4:5]
	s_and_saveexec_b64 s[4:5], vcc
	s_cbranch_execz .LBB168_50
; %bb.44:                               ;   in Loop: Header=BB168_6 Depth=1
	v_readlane_b32 s6, v52, 44
	s_and_b32 s16, s6, 0xfe
	s_mov_b64 s[12:13], 0
	s_branch .LBB168_46
.LBB168_45:                             ;   in Loop: Header=BB168_46 Depth=2
	s_or_b64 exec, exec, s[14:15]
	s_waitcnt vmcnt(0)
	v_add_u32_sdwa v14, sext(v14), s1 dst_sel:DWORD dst_unused:UNUSED_PAD src0_sel:WORD_0 src1_sel:DWORD
	s_and_b64 s[6:7], exec, vcc
	v_and_b32_e32 v31, v14, v41
	v_bfe_u32 v14, v14, s16, 2
	s_or_b64 s[12:13], s[6:7], s[12:13]
	v_cmp_eq_u32_e32 vcc, v31, v42
	v_cmp_eq_u32_e64 s[6:7], 0, v14
	s_and_b64 s[6:7], vcc, s[6:7]
	v_cndmask_b32_e64 v31, 0, 1, s[6:7]
	v_cmp_ne_u32_e64 s[6:7], 0, v31
	s_bcnt1_i32_b64 s6, s[6:7]
	v_add_co_u32_e64 v2, s[6:7], s6, v2
	v_addc_co_u32_e64 v3, s[6:7], 0, v3, s[6:7]
	v_cmp_eq_u32_e64 s[6:7], 1, v14
	s_and_b64 s[6:7], vcc, s[6:7]
	v_cndmask_b32_e64 v31, 0, 1, s[6:7]
	v_cmp_ne_u32_e64 s[6:7], 0, v31
	s_bcnt1_i32_b64 s6, s[6:7]
	v_add_co_u32_e64 v4, s[6:7], s6, v4
	v_addc_co_u32_e64 v5, s[6:7], 0, v5, s[6:7]
	;; [unrolled: 7-line block ×3, first 2 shown]
	v_cmp_eq_u32_e64 s[6:7], 3, v14
	s_and_b64 s[6:7], vcc, s[6:7]
	v_cndmask_b32_e64 v14, 0, 1, s[6:7]
	v_cmp_ne_u32_e32 vcc, 0, v14
	s_bcnt1_i32_b64 s6, vcc
	v_add_co_u32_e32 v8, vcc, s6, v8
	v_addc_co_u32_e32 v9, vcc, 0, v9, vcc
	v_mov_b32_e32 v14, v30
	s_andn2_b64 exec, exec, s[12:13]
	s_cbranch_execz .LBB168_49
.LBB168_46:                             ;   Parent Loop BB168_6 Depth=1
                                        ; =>  This Inner Loop Header: Depth=2
	v_mov_b32_e32 v30, s83
	v_add_co_u32_e32 v28, vcc, s82, v28
	v_addc_co_u32_e32 v29, vcc, v29, v30, vcc
	v_cmp_gt_u64_e64 s[6:7], s[56:57], v[28:29]
	v_cmp_le_u64_e32 vcc, s[56:57], v[28:29]
	v_mov_b32_e32 v30, 0
	s_and_saveexec_b64 s[14:15], s[6:7]
	s_cbranch_execz .LBB168_45
; %bb.47:                               ;   in Loop: Header=BB168_46 Depth=2
	v_mul_lo_u32 v44, v29, s62
	v_mul_lo_u32 v45, v28, s63
	v_mad_u64_u32 v[30:31], s[6:7], v28, s62, 0
	v_add3_u32 v31, v31, v45, v44
	v_lshlrev_b64 v[30:31], 1, v[30:31]
	v_mov_b32_e32 v44, s73
	v_add_co_u32_e64 v30, s[6:7], s72, v30
	v_addc_co_u32_e64 v31, s[6:7], v44, v31, s[6:7]
	global_load_ushort v30, v[30:31], off
	s_branch .LBB168_45
.LBB168_48:                             ;   in Loop: Header=BB168_6 Depth=1
                                        ; implicit-def: $vgpr8_vgpr9
                                        ; implicit-def: $vgpr4_vgpr5
	s_cbranch_execnz .LBB168_51
	s_branch .LBB168_60
.LBB168_49:                             ;   in Loop: Header=BB168_6 Depth=1
	s_or_b64 exec, exec, s[12:13]
.LBB168_50:                             ;   in Loop: Header=BB168_6 Depth=1
	s_or_b64 exec, exec, s[4:5]
	s_branch .LBB168_60
.LBB168_51:                             ;   in Loop: Header=BB168_6 Depth=1
	v_readlane_b32 s4, v52, 33
	v_readlane_b32 s5, v52, 34
	s_nop 4
	global_load_ushort v8, v15, s[4:5]
	s_waitcnt vmcnt(0)
	v_readfirstlane_b32 s4, v8
	s_and_b32 s4, 0xffff, s4
	s_lshl_b32 s87, s4, 2
	v_cvt_f32_u32_e32 v2, s87
	s_sub_i32 s6, 0, s87
	s_mov_b64 s[4:5], 0
	v_and_b32_e32 v30, 0xffff, v8
	v_rcp_iflag_f32_e32 v6, v2
	v_pk_mov_b32 v[2:3], 0, 0
	v_pk_mov_b32 v[4:5], v[2:3], v[2:3] op_sel:[0,1]
	v_mul_f32_e32 v6, 0x4f7ffffe, v6
	v_cvt_u32_f32_e32 v9, v6
	v_pk_mov_b32 v[6:7], v[2:3], v[2:3] op_sel:[0,1]
	v_readfirstlane_b32 s7, v9
	s_mul_i32 s6, s6, s7
	s_mul_hi_u32 s6, s7, s6
	s_add_i32 s7, s7, s6
	s_mul_hi_u32 s6, s86, s7
	s_mul_i32 s6, s6, s87
	s_sub_i32 s6, s86, s6
	s_sub_i32 s7, s6, s87
	s_cmp_ge_u32 s6, s87
	s_cselect_b32 s6, s7, s6
	s_sub_i32 s7, s6, s87
	s_cmp_ge_u32 s6, s87
	s_cselect_b32 s6, s7, s6
	s_sub_i32 s82, s86, s6
	v_cmp_gt_u32_e32 vcc, s82, v16
	v_pk_mov_b32 v[8:9], v[2:3], v[2:3] op_sel:[0,1]
	s_and_saveexec_b64 s[12:13], vcc
	s_cbranch_execz .LBB168_55
; %bb.52:                               ;   in Loop: Header=BB168_6 Depth=1
	v_readlane_b32 s6, v52, 44
	s_and_b32 s68, s6, 0xfe
	v_lshlrev_b32_e32 v14, 3, v30
	v_mov_b32_e32 v31, v37
	s_mov_b64 s[70:71], 0
	s_mov_b64 s[78:79], 0
	;; [unrolled: 1-line block ×4, first 2 shown]
	v_pk_mov_b32 v[28:29], v[16:17], v[16:17] op_sel:[0,1]
.LBB168_53:                             ;   Parent Loop BB168_6 Depth=1
                                        ; =>  This Inner Loop Header: Depth=2
	ds_read_b64 v[2:3], v31
	v_add_co_u32_e32 v28, vcc, s87, v28
	v_addc_co_u32_e32 v29, vcc, 0, v29, vcc
	s_waitcnt lgkmcnt(0)
	v_add_u32_sdwa v4, sext(v2), s1 dst_sel:DWORD dst_unused:UNUSED_PAD src0_sel:WORD_0 src1_sel:DWORD
	v_add_u32_sdwa v2, sext(v2), s1 dst_sel:DWORD dst_unused:UNUSED_PAD src0_sel:WORD_1 src1_sel:DWORD
	v_and_b32_e32 v6, v4, v41
	v_bfe_u32 v4, v4, s68, 2
	v_add_u32_sdwa v5, sext(v3), s1 dst_sel:DWORD dst_unused:UNUSED_PAD src0_sel:WORD_0 src1_sel:DWORD
	v_and_b32_e32 v7, v2, v41
	v_bfe_u32 v2, v2, s68, 2
	v_cmp_eq_u32_e64 s[20:21], v6, v42
	v_cmp_eq_u32_e64 s[6:7], 0, v4
	v_add_u32_sdwa v3, sext(v3), s1 dst_sel:DWORD dst_unused:UNUSED_PAD src0_sel:WORD_1 src1_sel:DWORD
	v_and_b32_e32 v8, v5, v41
	v_bfe_u32 v5, v5, s68, 2
	v_cmp_eq_u32_e64 s[18:19], v7, v42
	v_cmp_eq_u32_e64 s[34:35], 0, v2
	s_and_b64 s[6:7], s[20:21], s[6:7]
	v_and_b32_e32 v9, v3, v41
	v_bfe_u32 v3, v3, s68, 2
	v_cmp_eq_u32_e64 s[16:17], v8, v42
	v_cmp_eq_u32_e64 s[36:37], 0, v5
	;; [unrolled: 1-line block ×5, first 2 shown]
	v_cndmask_b32_e64 v2, 0, 1, s[6:7]
	s_and_b64 s[6:7], s[18:19], s[34:35]
	v_cmp_eq_u32_e64 s[14:15], v9, v42
	v_cmp_eq_u32_e64 s[38:39], 0, v3
	;; [unrolled: 1-line block ×5, first 2 shown]
	v_cndmask_b32_e64 v3, 0, 1, s[6:7]
	s_and_b64 s[6:7], s[16:17], s[36:37]
	v_cmp_eq_u32_e64 s[40:41], 1, v4
	v_cmp_eq_u32_e64 s[48:49], 2, v4
	;; [unrolled: 1-line block ×3, first 2 shown]
	v_cndmask_b32_e64 v4, 0, 1, s[6:7]
	s_and_b64 s[6:7], s[14:15], s[38:39]
	v_cmp_eq_u32_e64 s[44:45], 1, v5
	v_cmp_eq_u32_e64 s[52:53], 2, v5
	;; [unrolled: 1-line block ×3, first 2 shown]
	v_cndmask_b32_e64 v5, 0, 1, s[6:7]
	v_cmp_ne_u32_e64 s[6:7], 0, v2
	v_cmp_ne_u32_e64 s[34:35], 0, v3
	v_cmp_ne_u32_e64 s[36:37], 0, v4
	v_cmp_ne_u32_e64 s[38:39], 0, v5
	s_bcnt1_i32_b64 s6, s[6:7]
	s_bcnt1_i32_b64 s7, s[34:35]
	s_bcnt1_i32_b64 s34, s[36:37]
	s_bcnt1_i32_b64 s35, s[38:39]
	s_add_u32 s6, s6, s84
	s_addc_u32 s36, 0, s85
	s_add_u32 s6, s6, s7
	s_addc_u32 s7, s36, 0
	s_add_u32 s6, s6, s34
	s_addc_u32 s7, s7, 0
	s_add_u32 s84, s6, s35
	s_addc_u32 s85, s7, 0
	s_and_b64 s[6:7], s[20:21], s[40:41]
	v_cndmask_b32_e64 v4, 0, 1, s[6:7]
	s_and_b64 s[6:7], s[18:19], s[42:43]
	v_cndmask_b32_e64 v5, 0, 1, s[6:7]
	s_and_b64 s[6:7], s[16:17], s[44:45]
	v_cndmask_b32_e64 v6, 0, 1, s[6:7]
	s_and_b64 s[6:7], s[14:15], s[46:47]
	v_cndmask_b32_e64 v7, 0, 1, s[6:7]
	v_cmp_ne_u32_e64 s[6:7], 0, v4
	v_cmp_ne_u32_e64 s[34:35], 0, v5
	v_cmp_ne_u32_e64 s[36:37], 0, v6
	v_cmp_ne_u32_e64 s[38:39], 0, v7
	s_bcnt1_i32_b64 s6, s[6:7]
	s_bcnt1_i32_b64 s7, s[34:35]
	s_bcnt1_i32_b64 s34, s[36:37]
	s_bcnt1_i32_b64 s35, s[38:39]
	s_add_u32 s6, s6, s80
	s_addc_u32 s36, 0, s81
	s_add_u32 s6, s6, s7
	s_addc_u32 s7, s36, 0
	s_add_u32 s6, s6, s34
	s_addc_u32 s7, s7, 0
	s_add_u32 s80, s6, s35
	s_addc_u32 s81, s7, 0
	s_and_b64 s[6:7], s[20:21], s[48:49]
	v_cndmask_b32_e64 v6, 0, 1, s[6:7]
	s_and_b64 s[6:7], s[18:19], s[50:51]
	v_cndmask_b32_e64 v7, 0, 1, s[6:7]
	s_and_b64 s[6:7], s[16:17], s[52:53]
	v_cndmask_b32_e64 v8, 0, 1, s[6:7]
	s_and_b64 s[6:7], s[14:15], s[54:55]
	;; [unrolled: 24-line block ×3, first 2 shown]
	v_cndmask_b32_e64 v45, 0, 1, s[6:7]
	v_cmp_ne_u32_e64 s[6:7], 0, v8
	v_cmp_ne_u32_e64 s[14:15], 0, v9
	;; [unrolled: 1-line block ×4, first 2 shown]
	s_bcnt1_i32_b64 s6, s[6:7]
	s_bcnt1_i32_b64 s7, s[14:15]
	;; [unrolled: 1-line block ×4, first 2 shown]
	s_add_u32 s6, s6, s70
	s_addc_u32 s16, 0, s71
	s_add_u32 s6, s6, s7
	s_addc_u32 s7, s16, 0
	;; [unrolled: 2-line block ×3, first 2 shown]
	s_add_u32 s70, s6, s15
	v_cmp_le_u64_e32 vcc, s[82:83], v[28:29]
	s_addc_u32 s71, s7, 0
	v_add_u32_e32 v31, v31, v14
	v_pk_mov_b32 v[2:3], s[84:85], s[84:85] op_sel:[0,1]
	v_pk_mov_b32 v[4:5], s[80:81], s[80:81] op_sel:[0,1]
	;; [unrolled: 1-line block ×3, first 2 shown]
	s_or_b64 s[4:5], vcc, s[4:5]
	v_pk_mov_b32 v[8:9], s[70:71], s[70:71] op_sel:[0,1]
	s_andn2_b64 exec, exec, s[4:5]
	s_cbranch_execnz .LBB168_53
; %bb.54:                               ;   in Loop: Header=BB168_6 Depth=1
	s_or_b64 exec, exec, s[4:5]
	v_readlane_b32 s84, v52, 46
	v_readlane_b32 s85, v52, 47
.LBB168_55:                             ;   in Loop: Header=BB168_6 Depth=1
	s_or_b64 exec, exec, s[12:13]
	v_add_u32_e32 v14, s82, v0
	v_cmp_gt_u32_e32 vcc, s86, v14
	s_and_saveexec_b64 s[4:5], vcc
	s_cbranch_execz .LBB168_59
; %bb.56:                               ;   in Loop: Header=BB168_6 Depth=1
	v_readlane_b32 s6, v52, 44
	s_and_b32 s82, s86, 0x7fffffff
	s_and_b32 s22, s6, 0xfe
	v_lshlrev_b32_e32 v31, 1, v14
	v_lshlrev_b32_e32 v44, 1, v30
	s_mov_b64 s[12:13], 0
	v_pk_mov_b32 v[28:29], v[14:15], v[14:15] op_sel:[0,1]
.LBB168_57:                             ;   Parent Loop BB168_6 Depth=1
                                        ; =>  This Inner Loop Header: Depth=2
	ds_read_i16 v14, v31
	v_add_co_u32_e32 v28, vcc, v28, v30
	v_addc_co_u32_e32 v29, vcc, 0, v29, vcc
	s_waitcnt lgkmcnt(0)
	v_add_u32_e32 v14, 0x8000, v14
	v_and_b32_e32 v45, v14, v41
	v_bfe_u32 v14, v14, s22, 2
	v_cmp_eq_u32_e64 s[6:7], v45, v42
	v_cmp_eq_u32_e64 s[14:15], 0, v14
	;; [unrolled: 1-line block ×3, first 2 shown]
	s_and_b64 s[14:15], s[6:7], s[14:15]
	v_cmp_eq_u32_e64 s[18:19], 2, v14
	v_cmp_eq_u32_e64 s[20:21], 3, v14
	v_cndmask_b32_e64 v14, 0, 1, s[14:15]
	s_and_b64 s[14:15], s[6:7], s[16:17]
	v_cndmask_b32_e64 v45, 0, 1, s[14:15]
	s_and_b64 s[14:15], s[6:7], s[18:19]
	s_and_b64 s[6:7], s[6:7], s[20:21]
	v_cndmask_b32_e64 v46, 0, 1, s[14:15]
	v_cndmask_b32_e64 v47, 0, 1, s[6:7]
	v_cmp_ne_u32_e64 s[6:7], 0, v14
	v_cmp_ne_u32_e64 s[14:15], 0, v45
	;; [unrolled: 1-line block ×4, first 2 shown]
	v_cmp_le_u64_e32 vcc, s[82:83], v[28:29]
	s_bcnt1_i32_b64 s6, s[6:7]
	s_bcnt1_i32_b64 s7, s[14:15]
	s_bcnt1_i32_b64 s14, s[16:17]
	s_bcnt1_i32_b64 s15, s[18:19]
	s_or_b64 s[12:13], vcc, s[12:13]
	v_add_co_u32_e32 v2, vcc, s6, v2
	v_addc_co_u32_e32 v3, vcc, 0, v3, vcc
	v_add_co_u32_e32 v4, vcc, s7, v4
	v_addc_co_u32_e32 v5, vcc, 0, v5, vcc
	;; [unrolled: 2-line block ×3, first 2 shown]
	v_add_co_u32_e32 v8, vcc, s15, v8
	v_add_u32_e32 v31, v31, v44
	v_addc_co_u32_e32 v9, vcc, 0, v9, vcc
	s_andn2_b64 exec, exec, s[12:13]
	s_cbranch_execnz .LBB168_57
; %bb.58:                               ;   in Loop: Header=BB168_6 Depth=1
	s_or_b64 exec, exec, s[12:13]
.LBB168_59:                             ;   in Loop: Header=BB168_6 Depth=1
	s_or_b64 exec, exec, s[4:5]
.LBB168_60:                             ;   in Loop: Header=BB168_6 Depth=1
	v_readlane_b32 s4, v52, 45
	s_lshl_b32 s6, s4, 6
	s_and_saveexec_b64 s[4:5], s[94:95]
	s_cbranch_execz .LBB168_62
; %bb.61:                               ;   in Loop: Header=BB168_6 Depth=1
	s_waitcnt vmcnt(0)
	v_or_b32_e32 v14, s6, v34
	v_lshlrev_b32_e32 v14, 3, v14
	ds_write_b128 v14, v[2:5] offset:3072
	ds_write_b128 v14, v[6:9] offset:3088
.LBB168_62:                             ;   in Loop: Header=BB168_6 Depth=1
	s_or_b64 exec, exec, s[4:5]
	s_waitcnt lgkmcnt(0)
	s_barrier
	s_mov_b64 s[4:5], exec
	v_readlane_b32 s12, v52, 18
	v_readlane_b32 s13, v52, 19
	s_and_b64 s[12:13], s[4:5], s[12:13]
	s_mov_b64 exec, s[12:13]
	s_cbranch_execz .LBB168_74
; %bb.63:                               ;   in Loop: Header=BB168_6 Depth=1
	v_readlane_b32 s12, v52, 26
	v_readlane_b32 s13, v52, 27
	s_andn2_b64 vcc, exec, s[12:13]
	v_pk_mov_b32 v[2:3], 0, 0
	s_cbranch_vccnz .LBB168_73
; %bb.64:                               ;   in Loop: Header=BB168_6 Depth=1
	v_readlane_b32 s12, v52, 35
	v_readlane_b32 s13, v52, 36
	s_andn2_b64 vcc, exec, s[12:13]
	s_cbranch_vccnz .LBB168_69
; %bb.65:                               ;   in Loop: Header=BB168_6 Depth=1
	v_readlane_b32 s7, v52, 45
	v_lshl_add_u32 v4, s7, 9, v38
	s_mov_b32 s7, 0
	v_pk_mov_b32 v[2:3], 0, 0
.LBB168_66:                             ;   Parent Loop BB168_6 Depth=1
                                        ; =>  This Inner Loop Header: Depth=2
	s_waitcnt vmcnt(0)
	ds_read2_b64 v[6:9], v4 offset1:4
	ds_read2_b64 v[28:31], v4 offset0:8 offset1:12
	ds_read2_b64 v[44:47], v4 offset0:16 offset1:20
	;; [unrolled: 1-line block ×3, first 2 shown]
	s_add_i32 s7, s7, 8
	s_waitcnt lgkmcnt(3)
	v_add_co_u32_e32 v2, vcc, v6, v2
	v_addc_co_u32_e32 v3, vcc, v7, v3, vcc
	v_add_co_u32_e32 v2, vcc, v8, v2
	v_addc_co_u32_e32 v3, vcc, v9, v3, vcc
	s_waitcnt lgkmcnt(2)
	v_add_co_u32_e32 v2, vcc, v28, v2
	v_addc_co_u32_e32 v3, vcc, v29, v3, vcc
	v_add_co_u32_e32 v2, vcc, v30, v2
	v_addc_co_u32_e32 v3, vcc, v31, v3, vcc
	;; [unrolled: 5-line block ×3, first 2 shown]
	s_waitcnt lgkmcnt(0)
	v_add_co_u32_e32 v2, vcc, v48, v2
	v_addc_co_u32_e32 v3, vcc, v49, v3, vcc
	v_add_co_u32_e32 v2, vcc, v50, v2
	v_add_u32_e32 v4, 0x100, v4
	s_cmp_eq_u32 s89, s7
	v_addc_co_u32_e32 v3, vcc, v51, v3, vcc
	s_cbranch_scc0 .LBB168_66
; %bb.67:                               ;   in Loop: Header=BB168_6 Depth=1
	s_mov_b32 s7, s89
	s_branch .LBB168_70
.LBB168_68:                             ;   in Loop: Header=BB168_6 Depth=1
                                        ; implicit-def: $vgpr2_vgpr3
	s_branch .LBB168_36
.LBB168_69:                             ;   in Loop: Header=BB168_6 Depth=1
	s_mov_b32 s7, 0
	v_pk_mov_b32 v[2:3], 0, 0
.LBB168_70:                             ;   in Loop: Header=BB168_6 Depth=1
	v_readlane_b32 s12, v52, 38
	v_readlane_b32 s13, v52, 39
	s_andn2_b64 vcc, exec, s[12:13]
	s_cbranch_vccnz .LBB168_73
; %bb.71:                               ;   in Loop: Header=BB168_6 Depth=1
	v_readlane_b32 s12, v52, 45
	s_lshl_b32 s12, s12, 9
	s_lshl_b32 s7, s7, 5
	s_add_i32 s12, s12, s7
	v_add_u32_e32 v4, s12, v38
	v_readlane_b32 s7, v52, 37
.LBB168_72:                             ;   Parent Loop BB168_6 Depth=1
                                        ; =>  This Inner Loop Header: Depth=2
	s_waitcnt vmcnt(0)
	ds_read_b64 v[6:7], v4
	s_add_i32 s7, s7, -1
	v_add_u32_e32 v4, 32, v4
	s_cmp_lg_u32 s7, 0
	s_waitcnt lgkmcnt(0)
	v_add_co_u32_e32 v2, vcc, v6, v2
	v_addc_co_u32_e32 v3, vcc, v7, v3, vcc
	s_cbranch_scc1 .LBB168_72
.LBB168_73:                             ;   in Loop: Header=BB168_6 Depth=1
	v_add_lshl_u32 v4, s6, v33, 3
	ds_write_b64 v4, v[2:3] offset:3072
.LBB168_74:                             ;   in Loop: Header=BB168_6 Depth=1
	s_or_b64 exec, exec, s[4:5]
	s_lshl_b32 s4, s6, 3
	s_waitcnt vmcnt(0)
	v_mov_b32_e32 v6, s4
	s_waitcnt lgkmcnt(0)
	s_barrier
	ds_read_b128 v[2:5], v6 offset:3072
	ds_read_b128 v[6:9], v6 offset:3088
	v_readlane_b32 s4, v52, 44
	s_and_b32 s91, s4, 0xfe
	s_lshl_b32 s82, 3, s91
	s_waitcnt lgkmcnt(1)
	v_readfirstlane_b32 s17, v3
	v_readfirstlane_b32 s16, v2
	;; [unrolled: 1-line block ×4, first 2 shown]
	s_waitcnt lgkmcnt(0)
	v_readfirstlane_b32 s23, v7
	v_readfirstlane_b32 s22, v6
	;; [unrolled: 1-line block ×4, first 2 shown]
	s_not_b32 s90, s82
	s_andn2_b64 vcc, exec, s[84:85]
	v_cmp_eq_u64_e64 s[14:15], 1, v[26:27]
	s_cbranch_vccnz .LBB168_90
; %bb.75:                               ;   in Loop: Header=BB168_6 Depth=1
	s_cmp_eq_u64 s[16:17], 1
	s_cselect_b64 s[4:5], -1, 0
	s_and_b64 s[42:43], s[4:5], s[14:15]
	s_mov_b64 s[6:7], -1
	v_mov_b32_e32 v28, v42
	v_mov_b32_e32 v29, v41
	;; [unrolled: 1-line block ×3, first 2 shown]
                                        ; implicit-def: $sgpr20_sgpr21
                                        ; implicit-def: $sgpr36_sgpr37
                                        ; implicit-def: $sgpr34_sgpr35
	s_and_saveexec_b64 s[4:5], s[42:43]
	s_cbranch_execz .LBB168_112
; %bb.76:                               ;   in Loop: Header=BB168_6 Depth=1
	ds_read_b64 v[2:3], v15 offset:5120
	s_waitcnt lgkmcnt(0)
	s_barrier
	v_readfirstlane_b32 s12, v2
	v_readfirstlane_b32 s13, v3
	s_mov_b64 s[6:7], exec
	v_readlane_b32 s20, v52, 24
	v_readlane_b32 s21, v52, 25
	s_and_b64 s[20:21], s[6:7], s[20:21]
	s_mov_b64 exec, s[20:21]
	s_cbranch_execz .LBB168_78
; %bb.77:                               ;   in Loop: Header=BB168_6 Depth=1
	ds_write_b16 v36, v15
.LBB168_78:                             ;   in Loop: Header=BB168_6 Depth=1
	s_or_b64 exec, exec, s[6:7]
	v_and_b32_e32 v28, s90, v42
	v_or_b32_e32 v29, s82, v41
	s_cmp_eq_u64 s[12:13], 0
	s_waitcnt lgkmcnt(0)
	s_barrier
	s_cbranch_scc1 .LBB168_95
; %bb.79:                               ;   in Loop: Header=BB168_6 Depth=1
	v_readlane_b32 s6, v52, 28
	s_add_u32 s26, s6, s12
	v_readlane_b32 s6, v52, 30
	s_addc_u32 s7, s6, s13
	s_mov_b32 s6, s83
	s_cmp_lg_u64 s[6:7], 0
	s_cbranch_scc0 .LBB168_139
; %bb.80:                               ;   in Loop: Header=BB168_6 Depth=1
	v_cvt_f32_u32_e32 v2, s33
	s_sub_u32 s6, 0, s33
	s_subb_u32 s20, 0, 0
	v_mac_f32_e32 v2, 0, v39
	v_rcp_f32_e32 v2, v2
	v_mul_f32_e32 v2, 0x5f7ffffc, v2
	v_mul_f32_e32 v3, 0x2f800000, v2
	v_trunc_f32_e32 v3, v3
	v_mac_f32_e32 v2, 0xcf800000, v3
	v_cvt_u32_f32_e32 v3, v3
	v_cvt_u32_f32_e32 v2, v2
	v_readfirstlane_b32 s21, v3
	v_readfirstlane_b32 s27, v2
	s_mul_i32 s28, s6, s21
	s_mul_hi_u32 s34, s6, s27
	s_mul_i32 s29, s20, s27
	s_add_i32 s28, s34, s28
	s_mul_i32 s35, s6, s27
	s_add_i32 s28, s28, s29
	s_mul_hi_u32 s34, s27, s35
	s_mul_hi_u32 s29, s27, s28
	s_mul_i32 s27, s27, s28
	s_add_u32 s27, s34, s27
	s_addc_u32 s29, 0, s29
	s_mul_hi_u32 s36, s21, s35
	s_mul_i32 s35, s21, s35
	s_add_u32 s27, s27, s35
	s_mul_hi_u32 s34, s21, s28
	s_addc_u32 s27, s29, s36
	s_addc_u32 s29, s34, 0
	s_mul_i32 s28, s21, s28
	s_add_u32 s27, s27, s28
	s_addc_u32 s28, 0, s29
	v_add_co_u32_e32 v2, vcc, s27, v2
	s_cmp_lg_u64 vcc, 0
	s_addc_u32 s21, s21, s28
	v_readfirstlane_b32 s28, v2
	s_mul_i32 s27, s6, s21
	s_mul_hi_u32 s29, s6, s28
	s_add_i32 s27, s29, s27
	s_mul_i32 s20, s20, s28
	s_add_i32 s27, s27, s20
	s_mul_i32 s6, s6, s28
	s_mul_hi_u32 s29, s21, s6
	s_mul_i32 s34, s21, s6
	s_mul_i32 s36, s28, s27
	s_mul_hi_u32 s6, s28, s6
	s_mul_hi_u32 s35, s28, s27
	s_add_u32 s6, s6, s36
	s_addc_u32 s28, 0, s35
	s_add_u32 s6, s6, s34
	s_mul_hi_u32 s20, s21, s27
	s_addc_u32 s6, s28, s29
	s_addc_u32 s20, s20, 0
	s_mul_i32 s27, s21, s27
	s_add_u32 s6, s6, s27
	s_addc_u32 s20, 0, s20
	v_add_co_u32_e32 v2, vcc, s6, v2
	s_cmp_lg_u64 vcc, 0
	s_addc_u32 s6, s21, s20
	v_readfirstlane_b32 s27, v2
	s_mul_i32 s21, s26, s6
	s_mul_hi_u32 s28, s26, s27
	s_mul_hi_u32 s20, s26, s6
	s_add_u32 s21, s28, s21
	s_addc_u32 s20, 0, s20
	s_mul_hi_u32 s29, s7, s27
	s_mul_i32 s27, s7, s27
	s_add_u32 s21, s21, s27
	s_mul_hi_u32 s28, s7, s6
	s_addc_u32 s20, s20, s29
	s_addc_u32 s21, s28, 0
	s_mul_i32 s6, s7, s6
	s_add_u32 s6, s20, s6
	s_addc_u32 s20, 0, s21
	s_mul_hi_u32 s21, s33, s6
	s_mul_i32 s6, s33, s6
	s_mul_i32 s20, s33, s20
	v_mov_b32_e32 v2, s6
	s_add_i32 s21, s21, s20
	v_sub_co_u32_e32 v2, vcc, s26, v2
	s_cmp_lg_u64 vcc, 0
	s_subb_u32 s6, s7, s21
	v_subrev_co_u32_e32 v3, vcc, s33, v2
	s_cmp_lg_u64 vcc, 0
	s_subb_u32 s20, s6, 0
	v_subrev_co_u32_e32 v4, vcc, s33, v3
	s_cmp_lg_u64 vcc, 0
	s_subb_u32 s21, s20, 0
	v_cmp_le_u32_e32 vcc, s33, v3
	s_cmp_eq_u32 s20, 0
	v_cndmask_b32_e64 v5, 0, -1, vcc
	s_cselect_b64 vcc, -1, 0
	v_cndmask_b32_e32 v5, -1, v5, vcc
	v_mov_b32_e32 v6, s20
	v_mov_b32_e32 v7, s21
	v_cmp_ne_u32_e32 vcc, 0, v5
	v_cndmask_b32_e32 v5, v6, v7, vcc
	v_cndmask_b32_e32 v4, v3, v4, vcc
	v_cmp_le_u32_e32 vcc, s33, v2
	s_cmp_eq_u32 s6, 0
	v_cndmask_b32_e64 v3, 0, -1, vcc
	s_cselect_b64 vcc, -1, 0
	v_cndmask_b32_e32 v3, -1, v3, vcc
	v_mov_b32_e32 v6, s6
	v_cmp_ne_u32_e32 vcc, 0, v3
	v_cndmask_b32_e32 v3, v6, v5, vcc
	v_cndmask_b32_e32 v2, v2, v4, vcc
	s_cbranch_execnz .LBB168_82
.LBB168_81:                             ;   in Loop: Header=BB168_6 Depth=1
	v_cvt_f32_u32_e32 v2, s33
	s_sub_i32 s6, 0, s33
	v_rcp_iflag_f32_e32 v2, v2
	v_mul_f32_e32 v2, 0x4f7ffffe, v2
	v_cvt_u32_f32_e32 v2, v2
	v_mul_lo_u32 v3, s6, v2
	v_mul_hi_u32 v3, v2, v3
	v_add_u32_e32 v2, v2, v3
	v_mul_hi_u32 v2, s26, v2
	v_mul_lo_u32 v2, v2, s33
	v_sub_u32_e32 v2, s26, v2
	v_subrev_u32_e32 v3, s33, v2
	v_cmp_le_u32_e32 vcc, s33, v2
	v_cndmask_b32_e32 v2, v2, v3, vcc
	v_subrev_u32_e32 v3, s33, v2
	v_cmp_le_u32_e32 vcc, s33, v2
	v_cndmask_b32_e32 v14, v2, v3, vcc
	v_pk_mov_b32 v[2:3], v[14:15], v[14:15] op_sel:[0,1]
.LBB168_82:                             ;   in Loop: Header=BB168_6 Depth=1
	v_mov_b32_e32 v4, s7
	v_sub_co_u32_e32 v2, vcc, s26, v2
	v_subb_co_u32_e32 v3, vcc, v4, v3, vcc
	v_cmp_gt_u64_e32 vcc, v[2:3], v[0:1]
	s_mov_b64 s[6:7], 0
                                        ; implicit-def: $vgpr30
	s_and_saveexec_b64 s[20:21], vcc
	s_cbranch_execz .LBB168_97
; %bb.83:                               ;   in Loop: Header=BB168_6 Depth=1
	s_mov_b64 s[26:27], 0
	v_mov_b32_e32 v6, v35
	v_pk_mov_b32 v[4:5], v[0:1], v[0:1] op_sel:[0,1]
                                        ; implicit-def: $sgpr28_sgpr29
	s_branch .LBB168_85
.LBB168_84:                             ;   in Loop: Header=BB168_85 Depth=2
	s_or_b64 exec, exec, s[6:7]
	s_waitcnt lgkmcnt(0)
	s_barrier
	ds_read_b32 v7, v15 offset:3072
	v_mov_b32_e32 v8, s88
	v_add_co_u32_e64 v4, s[6:7], s33, v4
	v_addc_co_u32_e64 v5, s[6:7], v5, v8, s[6:7]
	s_waitcnt lgkmcnt(0)
	v_cmp_ne_u16_e32 vcc, 0, v7
	v_cmp_ge_u64_e64 s[6:7], v[4:5], v[2:3]
	s_or_b64 s[6:7], s[6:7], vcc
	s_and_b64 s[6:7], exec, s[6:7]
	s_or_b64 s[26:27], s[6:7], s[26:27]
	s_andn2_b64 s[6:7], s[28:29], exec
	s_and_b64 s[28:29], vcc, exec
	v_add_u32_e32 v6, s0, v6
	s_or_b64 s[28:29], s[6:7], s[28:29]
	s_barrier
	s_andn2_b64 exec, exec, s[26:27]
	s_cbranch_execz .LBB168_96
.LBB168_85:                             ;   Parent Loop BB168_6 Depth=1
                                        ; =>  This Inner Loop Header: Depth=2
	v_cmp_gt_u64_e32 vcc, s[12:13], v[4:5]
	v_mov_b32_e32 v7, 0
	s_and_saveexec_b64 s[6:7], vcc
	s_cbranch_execz .LBB168_87
; %bb.86:                               ;   in Loop: Header=BB168_85 Depth=2
	ds_read_u16 v7, v6
.LBB168_87:                             ;   in Loop: Header=BB168_85 Depth=2
	s_or_b64 exec, exec, s[6:7]
	s_and_saveexec_b64 s[6:7], vcc
	s_cbranch_execz .LBB168_84
; %bb.88:                               ;   in Loop: Header=BB168_85 Depth=2
	s_waitcnt lgkmcnt(0)
	v_add_u32_sdwa v8, sext(v7), s1 dst_sel:DWORD dst_unused:UNUSED_PAD src0_sel:WORD_0 src1_sel:DWORD
	v_and_b32_e32 v8, v8, v29
	v_cmp_eq_u32_e32 vcc, v8, v28
	s_and_b64 exec, exec, vcc
	s_cbranch_execz .LBB168_84
; %bb.89:                               ;   in Loop: Header=BB168_85 Depth=2
	v_perm_b32 v7, v7, 1, v40
	ds_write_b32 v15, v7 offset:3072
	s_branch .LBB168_84
.LBB168_90:                             ;   in Loop: Header=BB168_6 Depth=1
	s_mov_b64 s[28:29], 0
	s_mov_b64 s[26:27], 0
                                        ; implicit-def: $sgpr34_sgpr35
                                        ; implicit-def: $sgpr36_sgpr37
                                        ; implicit-def: $sgpr20_sgpr21
                                        ; implicit-def: $vgpr6
                                        ; implicit-def: $vgpr2_vgpr3
                                        ; implicit-def: $vgpr28
                                        ; implicit-def: $vgpr29
                                        ; implicit-def: $vgpr30
	s_cbranch_execnz .LBB168_276
.LBB168_91:                             ;   in Loop: Header=BB168_6 Depth=1
	s_mov_b64 s[14:15], s[20:21]
	s_mov_b64 s[38:39], s[20:21]
	s_and_saveexec_b64 s[4:5], s[28:29]
	s_cbranch_execnz .LBB168_472
	s_branch .LBB168_473
.LBB168_92:                             ;   in Loop: Header=BB168_6 Depth=1
	s_or_b64 exec, exec, s[4:5]
	s_waitcnt lgkmcnt(0)
	s_barrier
	s_mov_b64 s[4:5], exec
	v_readlane_b32 s6, v52, 8
	v_readlane_b32 s7, v52, 9
	s_and_b64 s[6:7], s[4:5], s[6:7]
	s_mov_b64 exec, s[6:7]
	s_cbranch_execz .LBB168_94
; %bb.93:                               ;   in Loop: Header=BB168_6 Depth=1
	ds_read_b32 v2, v15 offset:5144
	s_waitcnt lgkmcnt(0)
	v_ashrrev_i32_e32 v3, 31, v2
	ds_write_b64 v15, v[2:3] offset:5120
.LBB168_94:                             ;   in Loop: Header=BB168_6 Depth=1
	s_or_b64 exec, exec, s[4:5]
	s_waitcnt lgkmcnt(0)
	s_barrier
	s_mov_b64 s[4:5], -1
	s_and_b64 vcc, exec, s[86:87]
	s_cbranch_vccnz .LBB168_21
	s_branch .LBB168_31
.LBB168_95:                             ;   in Loop: Header=BB168_6 Depth=1
	s_mov_b64 s[20:21], -1
	s_mov_b64 s[6:7], 0
                                        ; implicit-def: $sgpr34_sgpr35
                                        ; implicit-def: $vgpr30
	s_mov_b64 s[36:37], s[20:21]
	s_cbranch_execnz .LBB168_98
	s_branch .LBB168_111
.LBB168_96:                             ;   in Loop: Header=BB168_6 Depth=1
	s_or_b64 exec, exec, s[26:27]
	v_lshrrev_b32_e32 v30, 16, v7
	s_and_b64 s[6:7], s[28:29], exec
.LBB168_97:                             ;   in Loop: Header=BB168_6 Depth=1
	s_or_b64 exec, exec, s[20:21]
	s_mov_b64 s[34:35], -1
	s_mov_b64 s[20:21], 0
	s_mov_b64 s[36:37], s[20:21]
	s_branch .LBB168_111
.LBB168_98:                             ;   in Loop: Header=BB168_6 Depth=1
	v_readlane_b32 s28, v52, 31
	v_readlane_b32 s29, v52, 32
	s_mov_b32 s28, s83
	s_cmp_lg_u64 s[28:29], 0
	v_writelane_b32 v52, s28, 31
	v_writelane_b32 v52, s29, 32
	s_cbranch_scc0 .LBB168_140
; %bb.99:                               ;   in Loop: Header=BB168_6 Depth=1
	v_cvt_f32_u32_e32 v2, s33
	s_sub_u32 s6, 0, s33
	s_subb_u32 s7, 0, 0
	v_mac_f32_e32 v2, 0, v39
	v_rcp_f32_e32 v2, v2
	v_mul_f32_e32 v2, 0x5f7ffffc, v2
	v_mul_f32_e32 v3, 0x2f800000, v2
	v_trunc_f32_e32 v3, v3
	v_mac_f32_e32 v2, 0xcf800000, v3
	v_cvt_u32_f32_e32 v3, v3
	v_cvt_u32_f32_e32 v2, v2
	v_readfirstlane_b32 s12, v3
	v_readfirstlane_b32 s13, v2
	s_mul_i32 s20, s6, s12
	s_mul_hi_u32 s26, s6, s13
	s_mul_i32 s21, s7, s13
	s_add_i32 s20, s26, s20
	s_mul_i32 s27, s6, s13
	s_add_i32 s20, s20, s21
	s_mul_hi_u32 s26, s13, s27
	s_mul_hi_u32 s21, s13, s20
	s_mul_i32 s13, s13, s20
	s_add_u32 s13, s26, s13
	s_addc_u32 s21, 0, s21
	s_mul_hi_u32 s28, s12, s27
	s_mul_i32 s27, s12, s27
	s_add_u32 s13, s13, s27
	s_mul_hi_u32 s26, s12, s20
	s_addc_u32 s13, s21, s28
	s_addc_u32 s21, s26, 0
	s_mul_i32 s20, s12, s20
	s_add_u32 s13, s13, s20
	s_addc_u32 s20, 0, s21
	v_add_co_u32_e32 v2, vcc, s13, v2
	s_cmp_lg_u64 vcc, 0
	s_addc_u32 s12, s12, s20
	v_readfirstlane_b32 s20, v2
	s_mul_i32 s13, s6, s12
	s_mul_hi_u32 s21, s6, s20
	s_add_i32 s13, s21, s13
	s_mul_i32 s7, s7, s20
	s_add_i32 s13, s13, s7
	s_mul_i32 s6, s6, s20
	s_mul_hi_u32 s21, s12, s6
	s_mul_i32 s26, s12, s6
	s_mul_i32 s28, s20, s13
	s_mul_hi_u32 s6, s20, s6
	s_mul_hi_u32 s27, s20, s13
	s_add_u32 s6, s6, s28
	s_addc_u32 s20, 0, s27
	s_add_u32 s6, s6, s26
	s_mul_hi_u32 s7, s12, s13
	s_addc_u32 s6, s20, s21
	s_addc_u32 s7, s7, 0
	s_mul_i32 s13, s12, s13
	s_add_u32 s6, s6, s13
	s_addc_u32 s7, 0, s7
	v_add_co_u32_e32 v2, vcc, s6, v2
	s_cmp_lg_u64 vcc, 0
	s_addc_u32 s6, s12, s7
	v_readlane_b32 s26, v52, 29
	v_readfirstlane_b32 s13, v2
	s_mul_i32 s12, s26, s6
	s_mul_hi_u32 s20, s26, s13
	s_mul_hi_u32 s7, s26, s6
	s_add_u32 s12, s20, s12
	s_addc_u32 s7, 0, s7
	s_mul_hi_u32 s21, s29, s13
	s_mul_i32 s13, s29, s13
	s_add_u32 s12, s12, s13
	s_mul_hi_u32 s20, s29, s6
	s_addc_u32 s7, s7, s21
	s_addc_u32 s12, s20, 0
	s_mul_i32 s6, s29, s6
	s_add_u32 s6, s7, s6
	s_addc_u32 s7, 0, s12
	s_mul_hi_u32 s12, s33, s6
	s_mul_i32 s6, s33, s6
	s_mul_i32 s7, s33, s7
	v_mov_b32_e32 v2, s6
	s_add_i32 s12, s12, s7
	v_sub_co_u32_e32 v2, vcc, s26, v2
	s_cmp_lg_u64 vcc, 0
	s_subb_u32 s6, s29, s12
	v_subrev_co_u32_e32 v3, vcc, s33, v2
	s_cmp_lg_u64 vcc, 0
	s_subb_u32 s7, s6, 0
	v_subrev_co_u32_e32 v4, vcc, s33, v3
	s_cmp_lg_u64 vcc, 0
	s_subb_u32 s12, s7, 0
	v_cmp_le_u32_e32 vcc, s33, v3
	s_cmp_eq_u32 s7, 0
	v_cndmask_b32_e64 v5, 0, -1, vcc
	s_cselect_b64 vcc, -1, 0
	v_cndmask_b32_e32 v5, -1, v5, vcc
	v_mov_b32_e32 v6, s7
	v_mov_b32_e32 v7, s12
	v_cmp_ne_u32_e32 vcc, 0, v5
	v_cndmask_b32_e32 v5, v6, v7, vcc
	v_cndmask_b32_e32 v4, v3, v4, vcc
	v_cmp_le_u32_e32 vcc, s33, v2
	s_cmp_eq_u32 s6, 0
	v_cndmask_b32_e64 v3, 0, -1, vcc
	s_cselect_b64 vcc, -1, 0
	v_cndmask_b32_e32 v3, -1, v3, vcc
	v_mov_b32_e32 v6, s6
	v_cmp_ne_u32_e32 vcc, 0, v3
	v_cndmask_b32_e32 v3, v6, v5, vcc
	v_cndmask_b32_e32 v2, v2, v4, vcc
	s_cbranch_execnz .LBB168_101
.LBB168_100:                            ;   in Loop: Header=BB168_6 Depth=1
	v_cvt_f32_u32_e32 v2, s33
	s_sub_i32 s6, 0, s33
	v_rcp_iflag_f32_e32 v2, v2
	v_mul_f32_e32 v2, 0x4f7ffffe, v2
	v_cvt_u32_f32_e32 v2, v2
	v_mul_lo_u32 v3, s6, v2
	v_mul_hi_u32 v3, v2, v3
	v_add_u32_e32 v2, v2, v3
	v_readlane_b32 s6, v52, 29
	v_mul_hi_u32 v2, s6, v2
	v_mul_lo_u32 v2, v2, s33
	v_sub_u32_e32 v2, s6, v2
	v_subrev_u32_e32 v3, s33, v2
	v_cmp_le_u32_e32 vcc, s33, v2
	v_cndmask_b32_e32 v2, v2, v3, vcc
	v_subrev_u32_e32 v3, s33, v2
	v_cmp_le_u32_e32 vcc, s33, v2
	v_cndmask_b32_e32 v14, v2, v3, vcc
	v_pk_mov_b32 v[2:3], v[14:15], v[14:15] op_sel:[0,1]
.LBB168_101:                            ;   in Loop: Header=BB168_6 Depth=1
	v_readlane_b32 s6, v52, 31
	v_readlane_b32 s7, v52, 32
	;; [unrolled: 1-line block ×3, first 2 shown]
	v_mov_b32_e32 v4, s7
	v_sub_co_u32_e32 v2, vcc, s6, v2
	v_subb_co_u32_e32 v3, vcc, v4, v3, vcc
	v_cmp_gt_u64_e32 vcc, v[2:3], v[0:1]
	s_mov_b64 s[6:7], 0
                                        ; implicit-def: $vgpr30
	s_and_saveexec_b64 s[12:13], vcc
	s_cbranch_execz .LBB168_110
; %bb.102:                              ;   in Loop: Header=BB168_6 Depth=1
	s_mov_b64 s[20:21], 0
	v_pk_mov_b32 v[4:5], v[12:13], v[12:13] op_sel:[0,1]
	v_pk_mov_b32 v[6:7], v[0:1], v[0:1] op_sel:[0,1]
                                        ; implicit-def: $sgpr26_sgpr27
	s_branch .LBB168_104
.LBB168_103:                            ;   in Loop: Header=BB168_104 Depth=2
	s_or_b64 exec, exec, s[6:7]
	s_waitcnt lgkmcnt(0)
	s_barrier
	s_waitcnt vmcnt(0)
	ds_read_b32 v8, v15 offset:3072
	v_mov_b32_e32 v9, s88
	v_add_co_u32_e64 v6, s[6:7], s33, v6
	v_addc_co_u32_e64 v7, s[6:7], v7, v9, s[6:7]
	s_waitcnt lgkmcnt(0)
	v_cmp_ne_u16_e32 vcc, 0, v8
	v_cmp_ge_u64_e64 s[6:7], v[6:7], v[2:3]
	s_or_b64 s[28:29], s[6:7], vcc
	v_mov_b32_e32 v9, s61
	v_add_co_u32_e64 v4, s[6:7], s60, v4
	v_addc_co_u32_e64 v5, s[6:7], v5, v9, s[6:7]
	s_and_b64 s[6:7], exec, s[28:29]
	s_or_b64 s[20:21], s[6:7], s[20:21]
	s_andn2_b64 s[6:7], s[26:27], exec
	s_and_b64 s[26:27], vcc, exec
	s_or_b64 s[26:27], s[6:7], s[26:27]
	s_barrier
	s_andn2_b64 exec, exec, s[20:21]
	s_cbranch_execz .LBB168_109
.LBB168_104:                            ;   Parent Loop BB168_6 Depth=1
                                        ; =>  This Inner Loop Header: Depth=2
	v_cmp_gt_u64_e32 vcc, s[56:57], v[6:7]
	v_mov_b32_e32 v8, 0
	s_and_saveexec_b64 s[6:7], vcc
	s_cbranch_execz .LBB168_106
; %bb.105:                              ;   in Loop: Header=BB168_104 Depth=2
	global_load_ushort v8, v[4:5], off
.LBB168_106:                            ;   in Loop: Header=BB168_104 Depth=2
	s_or_b64 exec, exec, s[6:7]
	s_and_saveexec_b64 s[6:7], vcc
	s_cbranch_execz .LBB168_103
; %bb.107:                              ;   in Loop: Header=BB168_104 Depth=2
	s_waitcnt vmcnt(0)
	v_add_u32_sdwa v9, sext(v8), s1 dst_sel:DWORD dst_unused:UNUSED_PAD src0_sel:WORD_0 src1_sel:DWORD
	v_and_b32_e32 v9, v9, v29
	v_cmp_eq_u32_e32 vcc, v9, v28
	s_and_b64 exec, exec, vcc
	s_cbranch_execz .LBB168_103
; %bb.108:                              ;   in Loop: Header=BB168_104 Depth=2
	v_perm_b32 v8, v8, 1, v40
	ds_write_b32 v15, v8 offset:3072
	s_branch .LBB168_103
.LBB168_109:                            ;   in Loop: Header=BB168_6 Depth=1
	s_or_b64 exec, exec, s[20:21]
	v_lshrrev_b32_e32 v30, 16, v8
	s_and_b64 s[6:7], s[26:27], exec
.LBB168_110:                            ;   in Loop: Header=BB168_6 Depth=1
	s_or_b64 exec, exec, s[12:13]
	s_mov_b64 s[36:37], -1
	s_mov_b64 s[20:21], 0
	s_mov_b64 s[34:35], 0
.LBB168_111:                            ;   in Loop: Header=BB168_6 Depth=1
	s_orn2_b64 s[6:7], s[6:7], exec
.LBB168_112:                            ;   in Loop: Header=BB168_6 Depth=1
	s_or_b64 exec, exec, s[4:5]
	s_mov_b64 s[38:39], 0
	s_mov_b64 s[28:29], 0
	;; [unrolled: 1-line block ×3, first 2 shown]
                                        ; implicit-def: $vgpr6
                                        ; implicit-def: $vgpr2_vgpr3
	s_and_saveexec_b64 s[40:41], s[6:7]
	s_cbranch_execz .LBB168_275
; %bb.113:                              ;   in Loop: Header=BB168_6 Depth=1
	v_mov_b32_e32 v2, 1
	s_xor_b64 s[12:13], s[42:43], -1
	s_mov_b64 s[6:7], 0
	v_mov_b32_e32 v3, 0
	v_mov_b32_e32 v6, 1
	s_and_saveexec_b64 s[4:5], s[12:13]
	s_cbranch_execz .LBB168_123
; %bb.114:                              ;   in Loop: Header=BB168_6 Depth=1
	v_cmp_ge_u64_e32 vcc, s[16:17], v[26:27]
                                        ; implicit-def: $sgpr26
                                        ; implicit-def: $sgpr6_sgpr7
	s_and_saveexec_b64 s[12:13], vcc
	s_xor_b64 s[12:13], exec, s[12:13]
	s_cbranch_execz .LBB168_120
; %bb.115:                              ;   in Loop: Header=BB168_6 Depth=1
	ds_read_b64 v[2:3], v15 offset:5120
	s_waitcnt lgkmcnt(0)
	v_cmp_ne_u64_e32 vcc, 0, v[2:3]
	s_cbranch_vccnz .LBB168_119
; %bb.116:                              ;   in Loop: Header=BB168_6 Depth=1
	s_mov_b64 s[6:7], exec
	v_readlane_b32 s26, v52, 8
	v_readlane_b32 s27, v52, 9
	s_and_b64 s[26:27], s[6:7], s[26:27]
	s_mov_b64 exec, s[26:27]
	s_cbranch_execz .LBB168_118
; %bb.117:                              ;   in Loop: Header=BB168_6 Depth=1
	v_pk_mov_b32 v[2:3], s[16:17], s[16:17] op_sel:[0,1]
	ds_write_b64 v15, v[2:3] offset:5128
.LBB168_118:                            ;   in Loop: Header=BB168_6 Depth=1
	s_or_b64 exec, exec, s[6:7]
	s_waitcnt lgkmcnt(0)
	s_barrier
.LBB168_119:                            ;   in Loop: Header=BB168_6 Depth=1
	v_and_b32_e32 v28, s90, v28
	v_or_b32_e32 v29, s82, v29
	s_mov_b64 s[6:7], 0
	s_mov_b32 s26, 8
.LBB168_120:                            ;   in Loop: Header=BB168_6 Depth=1
	s_or_saveexec_b64 s[12:13], s[12:13]
	v_mov_b32_e32 v6, s26
	v_pk_mov_b32 v[2:3], v[26:27], v[26:27] op_sel:[0,1]
	s_xor_b64 exec, exec, s[12:13]
; %bb.121:                              ;   in Loop: Header=BB168_6 Depth=1
	v_mov_b32_e32 v3, s17
	v_subrev_co_u32_e32 v2, vcc, s16, v26
	v_subb_co_u32_e32 v3, vcc, v27, v3, vcc
	v_mov_b32_e32 v6, 0
	s_or_b64 s[6:7], s[6:7], exec
; %bb.122:                              ;   in Loop: Header=BB168_6 Depth=1
	s_or_b64 exec, exec, s[12:13]
	s_and_b64 s[6:7], s[6:7], exec
.LBB168_123:                            ;   in Loop: Header=BB168_6 Depth=1
	s_or_b64 exec, exec, s[4:5]
	s_mov_b64 s[42:43], -1
                                        ; implicit-def: $sgpr4_sgpr5
                                        ; implicit-def: $sgpr12_sgpr13
                                        ; implicit-def: $sgpr28_sgpr29
	s_and_saveexec_b64 s[26:27], s[6:7]
	s_xor_b64 s[26:27], exec, s[26:27]
	s_cbranch_execz .LBB168_272
; %bb.124:                              ;   in Loop: Header=BB168_6 Depth=1
	s_cmp_eq_u64 s[18:19], 1
	s_cselect_b64 s[4:5], -1, 0
	v_cmp_eq_u64_e32 vcc, 1, v[2:3]
	s_and_b64 s[48:49], s[4:5], vcc
	s_mov_b64 s[12:13], -1
                                        ; implicit-def: $sgpr28_sgpr29
                                        ; implicit-def: $sgpr44_sgpr45
                                        ; implicit-def: $sgpr42_sgpr43
	s_and_saveexec_b64 s[4:5], s[48:49]
	s_cbranch_execz .LBB168_158
; %bb.125:                              ;   in Loop: Header=BB168_6 Depth=1
	ds_read_b64 v[4:5], v15 offset:5120
	s_waitcnt lgkmcnt(0)
	s_barrier
	v_readfirstlane_b32 s12, v4
	v_readfirstlane_b32 s13, v5
	s_mov_b64 s[6:7], exec
	v_readlane_b32 s28, v52, 24
	v_readlane_b32 s29, v52, 25
	s_and_b64 s[28:29], s[6:7], s[28:29]
	s_mov_b64 exec, s[28:29]
	s_cbranch_execz .LBB168_127
; %bb.126:                              ;   in Loop: Header=BB168_6 Depth=1
	ds_write_b16 v36, v15
.LBB168_127:                            ;   in Loop: Header=BB168_6 Depth=1
	s_or_b64 exec, exec, s[6:7]
	v_and_b32_e32 v4, s90, v28
	v_lshl_or_b32 v28, 1, s91, v4
	v_or_b32_e32 v29, s82, v29
	s_cmp_eq_u64 s[12:13], 0
	s_waitcnt lgkmcnt(0)
	s_barrier
	s_cbranch_scc1 .LBB168_141
; %bb.128:                              ;   in Loop: Header=BB168_6 Depth=1
	v_readlane_b32 s6, v52, 28
	s_add_u32 s42, s6, s12
	v_readlane_b32 s6, v52, 30
	s_addc_u32 s7, s6, s13
	s_mov_b32 s6, s83
	s_cmp_lg_u64 s[6:7], 0
	s_cbranch_scc0 .LBB168_185
; %bb.129:                              ;   in Loop: Header=BB168_6 Depth=1
	v_cvt_f32_u32_e32 v4, s33
	s_sub_u32 s6, 0, s33
	s_subb_u32 s28, 0, 0
	v_mac_f32_e32 v4, 0, v39
	v_rcp_f32_e32 v4, v4
	v_mul_f32_e32 v4, 0x5f7ffffc, v4
	v_mul_f32_e32 v5, 0x2f800000, v4
	v_trunc_f32_e32 v5, v5
	v_mac_f32_e32 v4, 0xcf800000, v5
	v_cvt_u32_f32_e32 v5, v5
	v_cvt_u32_f32_e32 v4, v4
	v_readfirstlane_b32 s29, v5
	v_readfirstlane_b32 s43, v4
	s_mul_i32 s44, s6, s29
	s_mul_hi_u32 s46, s6, s43
	s_mul_i32 s45, s28, s43
	s_add_i32 s44, s46, s44
	s_mul_i32 s47, s6, s43
	s_add_i32 s44, s44, s45
	s_mul_hi_u32 s46, s43, s47
	s_mul_hi_u32 s45, s43, s44
	s_mul_i32 s43, s43, s44
	s_add_u32 s43, s46, s43
	s_addc_u32 s45, 0, s45
	s_mul_hi_u32 s50, s29, s47
	s_mul_i32 s47, s29, s47
	s_add_u32 s43, s43, s47
	s_mul_hi_u32 s46, s29, s44
	s_addc_u32 s43, s45, s50
	s_addc_u32 s45, s46, 0
	s_mul_i32 s44, s29, s44
	s_add_u32 s43, s43, s44
	s_addc_u32 s44, 0, s45
	v_add_co_u32_e32 v4, vcc, s43, v4
	s_cmp_lg_u64 vcc, 0
	s_addc_u32 s29, s29, s44
	v_readfirstlane_b32 s44, v4
	s_mul_i32 s43, s6, s29
	s_mul_hi_u32 s45, s6, s44
	s_add_i32 s43, s45, s43
	s_mul_i32 s28, s28, s44
	s_add_i32 s43, s43, s28
	s_mul_i32 s6, s6, s44
	s_mul_hi_u32 s45, s29, s6
	s_mul_i32 s46, s29, s6
	s_mul_i32 s50, s44, s43
	s_mul_hi_u32 s6, s44, s6
	s_mul_hi_u32 s47, s44, s43
	s_add_u32 s6, s6, s50
	s_addc_u32 s44, 0, s47
	s_add_u32 s6, s6, s46
	s_mul_hi_u32 s28, s29, s43
	s_addc_u32 s6, s44, s45
	s_addc_u32 s28, s28, 0
	s_mul_i32 s43, s29, s43
	s_add_u32 s6, s6, s43
	s_addc_u32 s28, 0, s28
	v_add_co_u32_e32 v4, vcc, s6, v4
	s_cmp_lg_u64 vcc, 0
	s_addc_u32 s6, s29, s28
	v_readfirstlane_b32 s43, v4
	s_mul_i32 s29, s42, s6
	s_mul_hi_u32 s44, s42, s43
	s_mul_hi_u32 s28, s42, s6
	s_add_u32 s29, s44, s29
	s_addc_u32 s28, 0, s28
	s_mul_hi_u32 s45, s7, s43
	s_mul_i32 s43, s7, s43
	s_add_u32 s29, s29, s43
	s_mul_hi_u32 s44, s7, s6
	s_addc_u32 s28, s28, s45
	s_addc_u32 s29, s44, 0
	s_mul_i32 s6, s7, s6
	s_add_u32 s6, s28, s6
	s_addc_u32 s28, 0, s29
	s_mul_hi_u32 s29, s33, s6
	s_mul_i32 s6, s33, s6
	s_mul_i32 s28, s33, s28
	v_mov_b32_e32 v4, s6
	s_add_i32 s29, s29, s28
	v_sub_co_u32_e32 v4, vcc, s42, v4
	s_cmp_lg_u64 vcc, 0
	s_subb_u32 s6, s7, s29
	v_subrev_co_u32_e32 v5, vcc, s33, v4
	s_cmp_lg_u64 vcc, 0
	s_subb_u32 s28, s6, 0
	v_subrev_co_u32_e32 v6, vcc, s33, v5
	s_cmp_lg_u64 vcc, 0
	s_subb_u32 s29, s28, 0
	v_cmp_le_u32_e32 vcc, s33, v5
	s_cmp_eq_u32 s28, 0
	v_cndmask_b32_e64 v7, 0, -1, vcc
	s_cselect_b64 vcc, -1, 0
	v_cndmask_b32_e32 v7, -1, v7, vcc
	v_mov_b32_e32 v8, s28
	v_mov_b32_e32 v9, s29
	v_cmp_ne_u32_e32 vcc, 0, v7
	v_cndmask_b32_e32 v7, v8, v9, vcc
	v_cndmask_b32_e32 v6, v5, v6, vcc
	v_cmp_le_u32_e32 vcc, s33, v4
	s_cmp_eq_u32 s6, 0
	v_cndmask_b32_e64 v5, 0, -1, vcc
	s_cselect_b64 vcc, -1, 0
	v_cndmask_b32_e32 v5, -1, v5, vcc
	v_mov_b32_e32 v8, s6
	v_cmp_ne_u32_e32 vcc, 0, v5
	v_cndmask_b32_e32 v5, v8, v7, vcc
	v_cndmask_b32_e32 v4, v4, v6, vcc
	s_cbranch_execnz .LBB168_131
.LBB168_130:                            ;   in Loop: Header=BB168_6 Depth=1
	v_cvt_f32_u32_e32 v4, s33
	s_sub_i32 s6, 0, s33
	v_rcp_iflag_f32_e32 v4, v4
	v_mul_f32_e32 v4, 0x4f7ffffe, v4
	v_cvt_u32_f32_e32 v4, v4
	v_mul_lo_u32 v5, s6, v4
	v_mul_hi_u32 v5, v4, v5
	v_add_u32_e32 v4, v4, v5
	v_mul_hi_u32 v4, s42, v4
	v_mul_lo_u32 v4, v4, s33
	v_sub_u32_e32 v4, s42, v4
	v_subrev_u32_e32 v5, s33, v4
	v_cmp_le_u32_e32 vcc, s33, v4
	v_cndmask_b32_e32 v4, v4, v5, vcc
	v_subrev_u32_e32 v5, s33, v4
	v_cmp_le_u32_e32 vcc, s33, v4
	v_cndmask_b32_e32 v14, v4, v5, vcc
	v_pk_mov_b32 v[4:5], v[14:15], v[14:15] op_sel:[0,1]
.LBB168_131:                            ;   in Loop: Header=BB168_6 Depth=1
	v_mov_b32_e32 v6, s7
	v_sub_co_u32_e32 v4, vcc, s42, v4
	v_subb_co_u32_e32 v5, vcc, v6, v5, vcc
	v_cmp_gt_u64_e32 vcc, v[4:5], v[0:1]
	s_mov_b64 s[6:7], 0
                                        ; implicit-def: $vgpr30
	s_and_saveexec_b64 s[28:29], vcc
	s_cbranch_execz .LBB168_143
; %bb.132:                              ;   in Loop: Header=BB168_6 Depth=1
	s_mov_b64 s[42:43], 0
	v_mov_b32_e32 v8, v35
	v_pk_mov_b32 v[6:7], v[0:1], v[0:1] op_sel:[0,1]
                                        ; implicit-def: $sgpr44_sgpr45
	s_branch .LBB168_134
.LBB168_133:                            ;   in Loop: Header=BB168_134 Depth=2
	s_or_b64 exec, exec, s[6:7]
	s_waitcnt lgkmcnt(0)
	s_barrier
	ds_read_b32 v9, v15 offset:3072
	v_mov_b32_e32 v14, s88
	v_add_co_u32_e64 v6, s[6:7], s33, v6
	v_addc_co_u32_e64 v7, s[6:7], v7, v14, s[6:7]
	s_waitcnt lgkmcnt(0)
	v_cmp_ne_u16_e32 vcc, 0, v9
	v_cmp_ge_u64_e64 s[6:7], v[6:7], v[4:5]
	s_or_b64 s[6:7], s[6:7], vcc
	s_and_b64 s[6:7], exec, s[6:7]
	s_or_b64 s[42:43], s[6:7], s[42:43]
	s_andn2_b64 s[6:7], s[44:45], exec
	s_and_b64 s[44:45], vcc, exec
	v_add_u32_e32 v8, s0, v8
	s_or_b64 s[44:45], s[6:7], s[44:45]
	s_barrier
	s_andn2_b64 exec, exec, s[42:43]
	s_cbranch_execz .LBB168_142
.LBB168_134:                            ;   Parent Loop BB168_6 Depth=1
                                        ; =>  This Inner Loop Header: Depth=2
	v_cmp_gt_u64_e32 vcc, s[12:13], v[6:7]
	v_mov_b32_e32 v9, 0
	s_and_saveexec_b64 s[6:7], vcc
	s_cbranch_execz .LBB168_136
; %bb.135:                              ;   in Loop: Header=BB168_134 Depth=2
	ds_read_u16 v9, v8
.LBB168_136:                            ;   in Loop: Header=BB168_134 Depth=2
	s_or_b64 exec, exec, s[6:7]
	s_and_saveexec_b64 s[6:7], vcc
	s_cbranch_execz .LBB168_133
; %bb.137:                              ;   in Loop: Header=BB168_134 Depth=2
	s_waitcnt lgkmcnt(0)
	v_add_u32_sdwa v14, sext(v9), s1 dst_sel:DWORD dst_unused:UNUSED_PAD src0_sel:WORD_0 src1_sel:DWORD
	v_and_b32_e32 v14, v14, v29
	v_cmp_eq_u32_e32 vcc, v14, v28
	s_and_b64 exec, exec, vcc
	s_cbranch_execz .LBB168_133
; %bb.138:                              ;   in Loop: Header=BB168_134 Depth=2
	v_perm_b32 v9, v9, 1, v40
	ds_write_b32 v15, v9 offset:3072
	s_branch .LBB168_133
.LBB168_139:                            ;   in Loop: Header=BB168_6 Depth=1
                                        ; implicit-def: $vgpr2_vgpr3
	s_branch .LBB168_81
.LBB168_140:                            ;   in Loop: Header=BB168_6 Depth=1
                                        ; implicit-def: $vgpr2_vgpr3
	s_branch .LBB168_100
.LBB168_141:                            ;   in Loop: Header=BB168_6 Depth=1
	s_mov_b64 s[28:29], -1
	s_mov_b64 s[6:7], 0
                                        ; implicit-def: $sgpr42_sgpr43
                                        ; implicit-def: $vgpr30
	s_mov_b64 s[44:45], s[28:29]
	s_cbranch_execnz .LBB168_144
	s_branch .LBB168_157
.LBB168_142:                            ;   in Loop: Header=BB168_6 Depth=1
	s_or_b64 exec, exec, s[42:43]
	v_lshrrev_b32_e32 v30, 16, v9
	s_and_b64 s[6:7], s[44:45], exec
.LBB168_143:                            ;   in Loop: Header=BB168_6 Depth=1
	s_or_b64 exec, exec, s[28:29]
	s_mov_b64 s[42:43], -1
	s_mov_b64 s[28:29], 0
	s_mov_b64 s[44:45], s[28:29]
	s_branch .LBB168_157
.LBB168_144:                            ;   in Loop: Header=BB168_6 Depth=1
	v_readlane_b32 s30, v52, 31
	v_readlane_b32 s31, v52, 32
	s_mov_b32 s30, s83
	s_cmp_lg_u64 s[30:31], 0
	v_writelane_b32 v52, s30, 31
	v_writelane_b32 v52, s31, 32
	s_cbranch_scc0 .LBB168_186
; %bb.145:                              ;   in Loop: Header=BB168_6 Depth=1
	v_cvt_f32_u32_e32 v4, s33
	s_sub_u32 s6, 0, s33
	s_subb_u32 s7, 0, 0
	v_readlane_b32 s30, v52, 29
	v_mac_f32_e32 v4, 0, v39
	v_rcp_f32_e32 v4, v4
	v_mul_f32_e32 v4, 0x5f7ffffc, v4
	v_mul_f32_e32 v5, 0x2f800000, v4
	v_trunc_f32_e32 v5, v5
	v_mac_f32_e32 v4, 0xcf800000, v5
	v_cvt_u32_f32_e32 v5, v5
	v_cvt_u32_f32_e32 v4, v4
	v_readfirstlane_b32 s12, v5
	v_readfirstlane_b32 s13, v4
	s_mul_i32 s28, s6, s12
	s_mul_hi_u32 s42, s6, s13
	s_mul_i32 s29, s7, s13
	s_add_i32 s28, s42, s28
	s_mul_i32 s43, s6, s13
	s_add_i32 s28, s28, s29
	s_mul_hi_u32 s42, s13, s43
	s_mul_hi_u32 s29, s13, s28
	s_mul_i32 s13, s13, s28
	s_add_u32 s13, s42, s13
	s_addc_u32 s29, 0, s29
	s_mul_hi_u32 s44, s12, s43
	s_mul_i32 s43, s12, s43
	s_add_u32 s13, s13, s43
	s_mul_hi_u32 s42, s12, s28
	s_addc_u32 s13, s29, s44
	s_addc_u32 s29, s42, 0
	s_mul_i32 s28, s12, s28
	s_add_u32 s13, s13, s28
	s_addc_u32 s28, 0, s29
	v_add_co_u32_e32 v4, vcc, s13, v4
	s_cmp_lg_u64 vcc, 0
	s_addc_u32 s12, s12, s28
	v_readfirstlane_b32 s28, v4
	s_mul_i32 s13, s6, s12
	s_mul_hi_u32 s29, s6, s28
	s_add_i32 s13, s29, s13
	s_mul_i32 s7, s7, s28
	s_add_i32 s13, s13, s7
	s_mul_i32 s6, s6, s28
	s_mul_hi_u32 s29, s12, s6
	s_mul_i32 s42, s12, s6
	s_mul_i32 s44, s28, s13
	s_mul_hi_u32 s6, s28, s6
	s_mul_hi_u32 s43, s28, s13
	s_add_u32 s6, s6, s44
	s_addc_u32 s28, 0, s43
	s_add_u32 s6, s6, s42
	s_mul_hi_u32 s7, s12, s13
	s_addc_u32 s6, s28, s29
	s_addc_u32 s7, s7, 0
	s_mul_i32 s13, s12, s13
	s_add_u32 s6, s6, s13
	s_addc_u32 s7, 0, s7
	v_add_co_u32_e32 v4, vcc, s6, v4
	s_cmp_lg_u64 vcc, 0
	s_addc_u32 s6, s12, s7
	v_readfirstlane_b32 s13, v4
	s_mul_i32 s12, s30, s6
	s_mul_hi_u32 s28, s30, s13
	s_mul_hi_u32 s7, s30, s6
	s_add_u32 s12, s28, s12
	s_addc_u32 s7, 0, s7
	s_mul_hi_u32 s29, s31, s13
	s_mul_i32 s13, s31, s13
	s_add_u32 s12, s12, s13
	s_mul_hi_u32 s28, s31, s6
	s_addc_u32 s7, s7, s29
	s_addc_u32 s12, s28, 0
	s_mul_i32 s6, s31, s6
	s_add_u32 s6, s7, s6
	s_addc_u32 s7, 0, s12
	s_mul_hi_u32 s12, s33, s6
	s_mul_i32 s6, s33, s6
	s_mul_i32 s7, s33, s7
	v_mov_b32_e32 v4, s6
	s_add_i32 s12, s12, s7
	v_sub_co_u32_e32 v4, vcc, s30, v4
	s_cmp_lg_u64 vcc, 0
	s_subb_u32 s6, s31, s12
	v_subrev_co_u32_e32 v5, vcc, s33, v4
	s_cmp_lg_u64 vcc, 0
	s_subb_u32 s7, s6, 0
	v_subrev_co_u32_e32 v6, vcc, s33, v5
	s_cmp_lg_u64 vcc, 0
	s_subb_u32 s12, s7, 0
	v_cmp_le_u32_e32 vcc, s33, v5
	s_cmp_eq_u32 s7, 0
	v_cndmask_b32_e64 v7, 0, -1, vcc
	s_cselect_b64 vcc, -1, 0
	v_cndmask_b32_e32 v7, -1, v7, vcc
	v_mov_b32_e32 v8, s7
	v_mov_b32_e32 v9, s12
	v_cmp_ne_u32_e32 vcc, 0, v7
	v_cndmask_b32_e32 v7, v8, v9, vcc
	v_cndmask_b32_e32 v6, v5, v6, vcc
	v_cmp_le_u32_e32 vcc, s33, v4
	s_cmp_eq_u32 s6, 0
	v_cndmask_b32_e64 v5, 0, -1, vcc
	s_cselect_b64 vcc, -1, 0
	v_cndmask_b32_e32 v5, -1, v5, vcc
	v_mov_b32_e32 v8, s6
	v_cmp_ne_u32_e32 vcc, 0, v5
	v_cndmask_b32_e32 v5, v8, v7, vcc
	v_cndmask_b32_e32 v4, v4, v6, vcc
	s_cbranch_execnz .LBB168_147
.LBB168_146:                            ;   in Loop: Header=BB168_6 Depth=1
	v_cvt_f32_u32_e32 v4, s33
	s_sub_i32 s6, 0, s33
	v_rcp_iflag_f32_e32 v4, v4
	v_mul_f32_e32 v4, 0x4f7ffffe, v4
	v_cvt_u32_f32_e32 v4, v4
	v_mul_lo_u32 v5, s6, v4
	v_mul_hi_u32 v5, v4, v5
	v_add_u32_e32 v4, v4, v5
	v_readlane_b32 s6, v52, 29
	v_mul_hi_u32 v4, s6, v4
	v_mul_lo_u32 v4, v4, s33
	v_sub_u32_e32 v4, s6, v4
	v_subrev_u32_e32 v5, s33, v4
	v_cmp_le_u32_e32 vcc, s33, v4
	v_cndmask_b32_e32 v4, v4, v5, vcc
	v_subrev_u32_e32 v5, s33, v4
	v_cmp_le_u32_e32 vcc, s33, v4
	v_cndmask_b32_e32 v14, v4, v5, vcc
	v_pk_mov_b32 v[4:5], v[14:15], v[14:15] op_sel:[0,1]
.LBB168_147:                            ;   in Loop: Header=BB168_6 Depth=1
	v_readlane_b32 s6, v52, 31
	v_readlane_b32 s7, v52, 32
	;; [unrolled: 1-line block ×3, first 2 shown]
	v_mov_b32_e32 v6, s7
	v_sub_co_u32_e32 v4, vcc, s6, v4
	v_subb_co_u32_e32 v5, vcc, v6, v5, vcc
	v_cmp_gt_u64_e32 vcc, v[4:5], v[0:1]
	s_mov_b64 s[6:7], 0
                                        ; implicit-def: $vgpr30
	s_and_saveexec_b64 s[12:13], vcc
	s_cbranch_execz .LBB168_156
; %bb.148:                              ;   in Loop: Header=BB168_6 Depth=1
	s_mov_b64 s[28:29], 0
	v_pk_mov_b32 v[6:7], v[12:13], v[12:13] op_sel:[0,1]
	v_pk_mov_b32 v[8:9], v[0:1], v[0:1] op_sel:[0,1]
                                        ; implicit-def: $sgpr42_sgpr43
	s_branch .LBB168_150
.LBB168_149:                            ;   in Loop: Header=BB168_150 Depth=2
	s_or_b64 exec, exec, s[6:7]
	s_waitcnt lgkmcnt(0)
	s_barrier
	s_waitcnt vmcnt(0)
	ds_read_b32 v14, v15 offset:3072
	v_mov_b32_e32 v30, s88
	v_add_co_u32_e64 v8, s[6:7], s33, v8
	v_addc_co_u32_e64 v9, s[6:7], v9, v30, s[6:7]
	s_waitcnt lgkmcnt(0)
	v_cmp_ne_u16_e32 vcc, 0, v14
	v_cmp_ge_u64_e64 s[6:7], v[8:9], v[4:5]
	s_or_b64 s[44:45], s[6:7], vcc
	v_mov_b32_e32 v30, s61
	v_add_co_u32_e64 v6, s[6:7], s60, v6
	v_addc_co_u32_e64 v7, s[6:7], v7, v30, s[6:7]
	s_and_b64 s[6:7], exec, s[44:45]
	s_or_b64 s[28:29], s[6:7], s[28:29]
	s_andn2_b64 s[6:7], s[42:43], exec
	s_and_b64 s[42:43], vcc, exec
	s_or_b64 s[42:43], s[6:7], s[42:43]
	s_barrier
	s_andn2_b64 exec, exec, s[28:29]
	s_cbranch_execz .LBB168_155
.LBB168_150:                            ;   Parent Loop BB168_6 Depth=1
                                        ; =>  This Inner Loop Header: Depth=2
	v_cmp_gt_u64_e32 vcc, s[56:57], v[8:9]
	v_mov_b32_e32 v14, 0
	s_and_saveexec_b64 s[6:7], vcc
	s_cbranch_execz .LBB168_152
; %bb.151:                              ;   in Loop: Header=BB168_150 Depth=2
	global_load_ushort v14, v[6:7], off
.LBB168_152:                            ;   in Loop: Header=BB168_150 Depth=2
	s_or_b64 exec, exec, s[6:7]
	s_and_saveexec_b64 s[6:7], vcc
	s_cbranch_execz .LBB168_149
; %bb.153:                              ;   in Loop: Header=BB168_150 Depth=2
	s_waitcnt vmcnt(0)
	v_add_u32_sdwa v30, sext(v14), s1 dst_sel:DWORD dst_unused:UNUSED_PAD src0_sel:WORD_0 src1_sel:DWORD
	v_and_b32_e32 v30, v30, v29
	v_cmp_eq_u32_e32 vcc, v30, v28
	s_and_b64 exec, exec, vcc
	s_cbranch_execz .LBB168_149
; %bb.154:                              ;   in Loop: Header=BB168_150 Depth=2
	v_perm_b32 v14, v14, 1, v40
	ds_write_b32 v15, v14 offset:3072
	s_branch .LBB168_149
.LBB168_155:                            ;   in Loop: Header=BB168_6 Depth=1
	s_or_b64 exec, exec, s[28:29]
	v_lshrrev_b32_e32 v30, 16, v14
	s_and_b64 s[6:7], s[42:43], exec
.LBB168_156:                            ;   in Loop: Header=BB168_6 Depth=1
	s_or_b64 exec, exec, s[12:13]
	s_mov_b64 s[44:45], -1
	s_mov_b64 s[28:29], 0
	s_mov_b64 s[42:43], 0
.LBB168_157:                            ;   in Loop: Header=BB168_6 Depth=1
	s_orn2_b64 s[12:13], s[6:7], exec
.LBB168_158:                            ;   in Loop: Header=BB168_6 Depth=1
	s_or_b64 exec, exec, s[4:5]
	s_mov_b64 s[6:7], 0
                                        ; implicit-def: $vgpr6
	s_and_saveexec_b64 s[46:47], s[12:13]
	s_cbranch_execz .LBB168_271
; %bb.159:                              ;   in Loop: Header=BB168_6 Depth=1
	v_mov_b32_e32 v4, 1
	s_xor_b64 s[6:7], s[48:49], -1
	s_mov_b64 s[12:13], 0
	v_mov_b32_e32 v5, 0
	v_mov_b32_e32 v6, 1
	s_and_saveexec_b64 s[4:5], s[6:7]
	s_cbranch_execz .LBB168_169
; %bb.160:                              ;   in Loop: Header=BB168_6 Depth=1
	v_cmp_ge_u64_e32 vcc, s[18:19], v[2:3]
                                        ; implicit-def: $sgpr48
                                        ; implicit-def: $sgpr6_sgpr7
	s_and_saveexec_b64 s[12:13], vcc
	s_xor_b64 s[12:13], exec, s[12:13]
	s_cbranch_execz .LBB168_166
; %bb.161:                              ;   in Loop: Header=BB168_6 Depth=1
	ds_read_b64 v[4:5], v15 offset:5120
	s_waitcnt lgkmcnt(0)
	v_cmp_ne_u64_e32 vcc, 0, v[4:5]
	s_cbranch_vccnz .LBB168_165
; %bb.162:                              ;   in Loop: Header=BB168_6 Depth=1
	v_readlane_b32 s30, v52, 8
	v_readlane_b32 s31, v52, 9
	s_and_saveexec_b64 s[6:7], s[30:31]
	s_cbranch_execz .LBB168_164
; %bb.163:                              ;   in Loop: Header=BB168_6 Depth=1
	v_pk_mov_b32 v[4:5], s[18:19], s[18:19] op_sel:[0,1]
	ds_write_b64 v15, v[4:5] offset:5128
.LBB168_164:                            ;   in Loop: Header=BB168_6 Depth=1
	s_or_b64 exec, exec, s[6:7]
	s_waitcnt lgkmcnt(0)
	s_barrier
.LBB168_165:                            ;   in Loop: Header=BB168_6 Depth=1
	v_and_b32_e32 v4, s90, v28
	v_lshl_or_b32 v28, 1, s91, v4
	v_or_b32_e32 v29, s82, v29
	s_mov_b64 s[6:7], 0
	s_mov_b32 s48, 8
.LBB168_166:                            ;   in Loop: Header=BB168_6 Depth=1
	s_or_saveexec_b64 s[12:13], s[12:13]
	v_mov_b32_e32 v6, s48
	s_xor_b64 exec, exec, s[12:13]
; %bb.167:                              ;   in Loop: Header=BB168_6 Depth=1
	v_mov_b32_e32 v4, s19
	v_subrev_co_u32_e32 v2, vcc, s18, v2
	v_subb_co_u32_e32 v3, vcc, v3, v4, vcc
	v_mov_b32_e32 v6, 0
	s_or_b64 s[6:7], s[6:7], exec
; %bb.168:                              ;   in Loop: Header=BB168_6 Depth=1
	s_or_b64 exec, exec, s[12:13]
	s_and_b64 s[12:13], s[6:7], exec
	v_pk_mov_b32 v[4:5], v[2:3], v[2:3] op_sel:[0,1]
.LBB168_169:                            ;   in Loop: Header=BB168_6 Depth=1
	s_or_b64 exec, exec, s[4:5]
	s_mov_b64 s[4:5], -1
                                        ; implicit-def: $sgpr6_sgpr7
                                        ; implicit-def: $sgpr50_sgpr51
                                        ; implicit-def: $sgpr52_sgpr53
	s_and_saveexec_b64 s[48:49], s[12:13]
	s_cbranch_execz .LBB168_270
; %bb.170:                              ;   in Loop: Header=BB168_6 Depth=1
	s_cmp_eq_u64 s[22:23], 1
	s_cselect_b64 s[4:5], -1, 0
	v_cmp_eq_u64_e32 vcc, 1, v[4:5]
	s_and_b64 s[52:53], s[4:5], vcc
	s_mov_b64 s[6:7], -1
                                        ; implicit-def: $sgpr50_sgpr51
                                        ; implicit-def: $sgpr54_sgpr55
                                        ; implicit-def: $sgpr4_sgpr5
	s_and_saveexec_b64 s[86:87], s[52:53]
	s_cbranch_execz .LBB168_204
; %bb.171:                              ;   in Loop: Header=BB168_6 Depth=1
	ds_read_b64 v[2:3], v15 offset:5120
	s_waitcnt lgkmcnt(0)
	s_barrier
	v_readfirstlane_b32 s4, v2
	v_readfirstlane_b32 s5, v3
	s_mov_b64 s[6:7], exec
	v_readlane_b32 s12, v52, 24
	v_readlane_b32 s13, v52, 25
	s_and_b64 s[12:13], s[6:7], s[12:13]
	s_mov_b64 exec, s[12:13]
	s_cbranch_execz .LBB168_173
; %bb.172:                              ;   in Loop: Header=BB168_6 Depth=1
	ds_write_b16 v36, v15
.LBB168_173:                            ;   in Loop: Header=BB168_6 Depth=1
	s_or_b64 exec, exec, s[6:7]
	v_and_b32_e32 v2, s90, v28
	v_lshl_or_b32 v28, 2, s91, v2
	v_or_b32_e32 v29, s82, v29
	s_cmp_eq_u64 s[4:5], 0
	s_waitcnt lgkmcnt(0)
	s_barrier
	s_cbranch_scc1 .LBB168_187
; %bb.174:                              ;   in Loop: Header=BB168_6 Depth=1
	v_readlane_b32 s6, v52, 28
	s_add_u32 s50, s6, s4
	v_readlane_b32 s6, v52, 30
	s_addc_u32 s7, s6, s5
	s_mov_b32 s6, s83
	s_cmp_lg_u64 s[6:7], 0
	s_cbranch_scc0 .LBB168_222
; %bb.175:                              ;   in Loop: Header=BB168_6 Depth=1
	v_cvt_f32_u32_e32 v2, s33
	s_sub_u32 s6, 0, s33
	s_subb_u32 s12, 0, 0
	v_mac_f32_e32 v2, 0, v39
	v_rcp_f32_e32 v2, v2
	v_mul_f32_e32 v2, 0x5f7ffffc, v2
	v_mul_f32_e32 v3, 0x2f800000, v2
	v_trunc_f32_e32 v3, v3
	v_mac_f32_e32 v2, 0xcf800000, v3
	v_cvt_u32_f32_e32 v3, v3
	v_cvt_u32_f32_e32 v2, v2
	v_readfirstlane_b32 s13, v3
	v_readfirstlane_b32 s51, v2
	s_mul_i32 s54, s6, s13
	s_mul_hi_u32 s68, s6, s51
	s_mul_i32 s55, s12, s51
	s_add_i32 s54, s68, s54
	s_mul_i32 s69, s6, s51
	s_add_i32 s54, s54, s55
	s_mul_hi_u32 s68, s51, s69
	s_mul_hi_u32 s55, s51, s54
	s_mul_i32 s51, s51, s54
	s_add_u32 s51, s68, s51
	s_addc_u32 s55, 0, s55
	s_mul_hi_u32 s70, s13, s69
	s_mul_i32 s69, s13, s69
	s_add_u32 s51, s51, s69
	s_mul_hi_u32 s68, s13, s54
	s_addc_u32 s51, s55, s70
	s_addc_u32 s55, s68, 0
	s_mul_i32 s54, s13, s54
	s_add_u32 s51, s51, s54
	s_addc_u32 s54, 0, s55
	v_add_co_u32_e32 v2, vcc, s51, v2
	s_cmp_lg_u64 vcc, 0
	s_addc_u32 s13, s13, s54
	v_readfirstlane_b32 s54, v2
	s_mul_i32 s51, s6, s13
	s_mul_hi_u32 s55, s6, s54
	s_add_i32 s51, s55, s51
	s_mul_i32 s12, s12, s54
	s_add_i32 s51, s51, s12
	s_mul_i32 s6, s6, s54
	s_mul_hi_u32 s55, s13, s6
	s_mul_i32 s68, s13, s6
	s_mul_i32 s70, s54, s51
	s_mul_hi_u32 s6, s54, s6
	s_mul_hi_u32 s69, s54, s51
	s_add_u32 s6, s6, s70
	s_addc_u32 s54, 0, s69
	s_add_u32 s6, s6, s68
	s_mul_hi_u32 s12, s13, s51
	s_addc_u32 s6, s54, s55
	s_addc_u32 s12, s12, 0
	s_mul_i32 s51, s13, s51
	s_add_u32 s6, s6, s51
	s_addc_u32 s12, 0, s12
	v_add_co_u32_e32 v2, vcc, s6, v2
	s_cmp_lg_u64 vcc, 0
	s_addc_u32 s6, s13, s12
	v_readfirstlane_b32 s51, v2
	s_mul_i32 s13, s50, s6
	s_mul_hi_u32 s54, s50, s51
	s_mul_hi_u32 s12, s50, s6
	s_add_u32 s13, s54, s13
	s_addc_u32 s12, 0, s12
	s_mul_hi_u32 s55, s7, s51
	s_mul_i32 s51, s7, s51
	s_add_u32 s13, s13, s51
	s_mul_hi_u32 s54, s7, s6
	s_addc_u32 s12, s12, s55
	s_addc_u32 s13, s54, 0
	s_mul_i32 s6, s7, s6
	s_add_u32 s6, s12, s6
	s_addc_u32 s12, 0, s13
	s_mul_hi_u32 s13, s33, s6
	s_mul_i32 s6, s33, s6
	s_mul_i32 s12, s33, s12
	v_mov_b32_e32 v2, s6
	s_add_i32 s13, s13, s12
	v_sub_co_u32_e32 v2, vcc, s50, v2
	s_cmp_lg_u64 vcc, 0
	s_subb_u32 s6, s7, s13
	v_subrev_co_u32_e32 v3, vcc, s33, v2
	s_cmp_lg_u64 vcc, 0
	s_subb_u32 s12, s6, 0
	v_subrev_co_u32_e32 v6, vcc, s33, v3
	s_cmp_lg_u64 vcc, 0
	s_subb_u32 s13, s12, 0
	v_cmp_le_u32_e32 vcc, s33, v3
	s_cmp_eq_u32 s12, 0
	v_cndmask_b32_e64 v7, 0, -1, vcc
	s_cselect_b64 vcc, -1, 0
	v_cndmask_b32_e32 v7, -1, v7, vcc
	v_mov_b32_e32 v8, s12
	v_mov_b32_e32 v9, s13
	v_cmp_ne_u32_e32 vcc, 0, v7
	v_cndmask_b32_e32 v7, v8, v9, vcc
	v_cndmask_b32_e32 v6, v3, v6, vcc
	v_cmp_le_u32_e32 vcc, s33, v2
	s_cmp_eq_u32 s6, 0
	v_cndmask_b32_e64 v3, 0, -1, vcc
	s_cselect_b64 vcc, -1, 0
	v_cndmask_b32_e32 v3, -1, v3, vcc
	v_mov_b32_e32 v8, s6
	v_cmp_ne_u32_e32 vcc, 0, v3
	v_cndmask_b32_e32 v3, v8, v7, vcc
	v_cndmask_b32_e32 v2, v2, v6, vcc
	s_cbranch_execnz .LBB168_177
.LBB168_176:                            ;   in Loop: Header=BB168_6 Depth=1
	v_cvt_f32_u32_e32 v2, s33
	s_sub_i32 s6, 0, s33
	v_rcp_iflag_f32_e32 v2, v2
	v_mul_f32_e32 v2, 0x4f7ffffe, v2
	v_cvt_u32_f32_e32 v2, v2
	v_mul_lo_u32 v3, s6, v2
	v_mul_hi_u32 v3, v2, v3
	v_add_u32_e32 v2, v2, v3
	v_mul_hi_u32 v2, s50, v2
	v_mul_lo_u32 v2, v2, s33
	v_sub_u32_e32 v2, s50, v2
	v_subrev_u32_e32 v3, s33, v2
	v_cmp_le_u32_e32 vcc, s33, v2
	v_cndmask_b32_e32 v2, v2, v3, vcc
	v_subrev_u32_e32 v3, s33, v2
	v_cmp_le_u32_e32 vcc, s33, v2
	v_cndmask_b32_e32 v14, v2, v3, vcc
	v_pk_mov_b32 v[2:3], v[14:15], v[14:15] op_sel:[0,1]
.LBB168_177:                            ;   in Loop: Header=BB168_6 Depth=1
	v_mov_b32_e32 v6, s7
	v_sub_co_u32_e32 v2, vcc, s50, v2
	v_subb_co_u32_e32 v3, vcc, v6, v3, vcc
	v_cmp_gt_u64_e32 vcc, v[2:3], v[0:1]
	s_mov_b64 s[6:7], 0
                                        ; implicit-def: $vgpr30
	s_and_saveexec_b64 s[12:13], vcc
	s_cbranch_execz .LBB168_189
; %bb.178:                              ;   in Loop: Header=BB168_6 Depth=1
	s_mov_b64 s[50:51], 0
	v_mov_b32_e32 v8, v35
	v_pk_mov_b32 v[6:7], v[0:1], v[0:1] op_sel:[0,1]
                                        ; implicit-def: $sgpr54_sgpr55
	s_branch .LBB168_180
.LBB168_179:                            ;   in Loop: Header=BB168_180 Depth=2
	s_or_b64 exec, exec, s[6:7]
	s_waitcnt lgkmcnt(0)
	s_barrier
	ds_read_b32 v9, v15 offset:3072
	v_mov_b32_e32 v14, s88
	v_add_co_u32_e64 v6, s[6:7], s33, v6
	v_addc_co_u32_e64 v7, s[6:7], v7, v14, s[6:7]
	s_waitcnt lgkmcnt(0)
	v_cmp_ne_u16_e32 vcc, 0, v9
	v_cmp_ge_u64_e64 s[6:7], v[6:7], v[2:3]
	s_or_b64 s[6:7], s[6:7], vcc
	s_and_b64 s[6:7], exec, s[6:7]
	s_or_b64 s[50:51], s[6:7], s[50:51]
	s_andn2_b64 s[6:7], s[54:55], exec
	s_and_b64 s[54:55], vcc, exec
	v_add_u32_e32 v8, s0, v8
	s_or_b64 s[54:55], s[6:7], s[54:55]
	s_barrier
	s_andn2_b64 exec, exec, s[50:51]
	s_cbranch_execz .LBB168_188
.LBB168_180:                            ;   Parent Loop BB168_6 Depth=1
                                        ; =>  This Inner Loop Header: Depth=2
	v_cmp_gt_u64_e32 vcc, s[4:5], v[6:7]
	v_mov_b32_e32 v9, 0
	s_and_saveexec_b64 s[6:7], vcc
	s_cbranch_execz .LBB168_182
; %bb.181:                              ;   in Loop: Header=BB168_180 Depth=2
	ds_read_u16 v9, v8
.LBB168_182:                            ;   in Loop: Header=BB168_180 Depth=2
	s_or_b64 exec, exec, s[6:7]
	s_and_saveexec_b64 s[6:7], vcc
	s_cbranch_execz .LBB168_179
; %bb.183:                              ;   in Loop: Header=BB168_180 Depth=2
	s_waitcnt lgkmcnt(0)
	v_add_u32_sdwa v14, sext(v9), s1 dst_sel:DWORD dst_unused:UNUSED_PAD src0_sel:WORD_0 src1_sel:DWORD
	v_and_b32_e32 v14, v14, v29
	v_cmp_eq_u32_e32 vcc, v14, v28
	s_and_b64 exec, exec, vcc
	s_cbranch_execz .LBB168_179
; %bb.184:                              ;   in Loop: Header=BB168_180 Depth=2
	v_perm_b32 v9, v9, 1, v40
	ds_write_b32 v15, v9 offset:3072
	s_branch .LBB168_179
.LBB168_185:                            ;   in Loop: Header=BB168_6 Depth=1
                                        ; implicit-def: $vgpr4_vgpr5
	s_branch .LBB168_130
.LBB168_186:                            ;   in Loop: Header=BB168_6 Depth=1
                                        ; implicit-def: $vgpr4_vgpr5
	s_branch .LBB168_146
.LBB168_187:                            ;   in Loop: Header=BB168_6 Depth=1
	s_mov_b64 s[50:51], -1
	s_mov_b64 s[6:7], 0
                                        ; implicit-def: $sgpr4_sgpr5
                                        ; implicit-def: $vgpr30
	s_mov_b64 s[54:55], s[50:51]
	s_cbranch_execnz .LBB168_190
	s_branch .LBB168_203
.LBB168_188:                            ;   in Loop: Header=BB168_6 Depth=1
	s_or_b64 exec, exec, s[50:51]
	v_lshrrev_b32_e32 v30, 16, v9
	s_and_b64 s[6:7], s[54:55], exec
.LBB168_189:                            ;   in Loop: Header=BB168_6 Depth=1
	s_or_b64 exec, exec, s[12:13]
	s_mov_b64 s[4:5], -1
	s_mov_b64 s[50:51], 0
	s_mov_b64 s[54:55], s[50:51]
	s_branch .LBB168_203
.LBB168_190:                            ;   in Loop: Header=BB168_6 Depth=1
	v_readlane_b32 s30, v52, 31
	v_readlane_b32 s31, v52, 32
	s_mov_b32 s30, s83
	s_cmp_lg_u64 s[30:31], 0
	v_writelane_b32 v52, s30, 31
	v_writelane_b32 v52, s31, 32
	s_cbranch_scc0 .LBB168_223
; %bb.191:                              ;   in Loop: Header=BB168_6 Depth=1
	v_cvt_f32_u32_e32 v2, s33
	s_sub_u32 s4, 0, s33
	s_subb_u32 s5, 0, 0
	v_readlane_b32 s30, v52, 29
	v_mac_f32_e32 v2, 0, v39
	v_rcp_f32_e32 v2, v2
	v_mul_f32_e32 v2, 0x5f7ffffc, v2
	v_mul_f32_e32 v3, 0x2f800000, v2
	v_trunc_f32_e32 v3, v3
	v_mac_f32_e32 v2, 0xcf800000, v3
	v_cvt_u32_f32_e32 v3, v3
	v_cvt_u32_f32_e32 v2, v2
	v_readfirstlane_b32 s6, v3
	v_readfirstlane_b32 s7, v2
	s_mul_i32 s12, s4, s6
	s_mul_hi_u32 s50, s4, s7
	s_mul_i32 s13, s5, s7
	s_add_i32 s12, s50, s12
	s_mul_i32 s51, s4, s7
	s_add_i32 s12, s12, s13
	s_mul_hi_u32 s50, s7, s51
	s_mul_hi_u32 s13, s7, s12
	s_mul_i32 s7, s7, s12
	s_add_u32 s7, s50, s7
	s_addc_u32 s13, 0, s13
	s_mul_hi_u32 s54, s6, s51
	s_mul_i32 s51, s6, s51
	s_add_u32 s7, s7, s51
	s_mul_hi_u32 s50, s6, s12
	s_addc_u32 s7, s13, s54
	s_addc_u32 s13, s50, 0
	s_mul_i32 s12, s6, s12
	s_add_u32 s7, s7, s12
	s_addc_u32 s12, 0, s13
	v_add_co_u32_e32 v2, vcc, s7, v2
	s_cmp_lg_u64 vcc, 0
	s_addc_u32 s6, s6, s12
	v_readfirstlane_b32 s12, v2
	s_mul_i32 s7, s4, s6
	s_mul_hi_u32 s13, s4, s12
	s_add_i32 s7, s13, s7
	s_mul_i32 s5, s5, s12
	s_add_i32 s7, s7, s5
	s_mul_i32 s4, s4, s12
	s_mul_hi_u32 s13, s6, s4
	s_mul_i32 s50, s6, s4
	s_mul_i32 s54, s12, s7
	s_mul_hi_u32 s4, s12, s4
	s_mul_hi_u32 s51, s12, s7
	s_add_u32 s4, s4, s54
	s_addc_u32 s12, 0, s51
	s_add_u32 s4, s4, s50
	s_mul_hi_u32 s5, s6, s7
	s_addc_u32 s4, s12, s13
	s_addc_u32 s5, s5, 0
	s_mul_i32 s7, s6, s7
	s_add_u32 s4, s4, s7
	s_addc_u32 s5, 0, s5
	v_add_co_u32_e32 v2, vcc, s4, v2
	s_cmp_lg_u64 vcc, 0
	s_addc_u32 s4, s6, s5
	v_readfirstlane_b32 s7, v2
	s_mul_i32 s6, s30, s4
	s_mul_hi_u32 s12, s30, s7
	s_mul_hi_u32 s5, s30, s4
	s_add_u32 s6, s12, s6
	s_addc_u32 s5, 0, s5
	s_mul_hi_u32 s13, s31, s7
	s_mul_i32 s7, s31, s7
	s_add_u32 s6, s6, s7
	s_mul_hi_u32 s12, s31, s4
	s_addc_u32 s5, s5, s13
	s_addc_u32 s6, s12, 0
	s_mul_i32 s4, s31, s4
	s_add_u32 s4, s5, s4
	s_addc_u32 s5, 0, s6
	s_mul_hi_u32 s6, s33, s4
	s_mul_i32 s4, s33, s4
	s_mul_i32 s5, s33, s5
	v_mov_b32_e32 v2, s4
	s_add_i32 s6, s6, s5
	v_sub_co_u32_e32 v2, vcc, s30, v2
	s_cmp_lg_u64 vcc, 0
	s_subb_u32 s4, s31, s6
	v_subrev_co_u32_e32 v3, vcc, s33, v2
	s_cmp_lg_u64 vcc, 0
	s_subb_u32 s5, s4, 0
	v_subrev_co_u32_e32 v6, vcc, s33, v3
	s_cmp_lg_u64 vcc, 0
	s_subb_u32 s6, s5, 0
	v_cmp_le_u32_e32 vcc, s33, v3
	s_cmp_eq_u32 s5, 0
	v_cndmask_b32_e64 v7, 0, -1, vcc
	s_cselect_b64 vcc, -1, 0
	v_cndmask_b32_e32 v7, -1, v7, vcc
	v_mov_b32_e32 v8, s5
	v_mov_b32_e32 v9, s6
	v_cmp_ne_u32_e32 vcc, 0, v7
	v_cndmask_b32_e32 v7, v8, v9, vcc
	v_cndmask_b32_e32 v6, v3, v6, vcc
	v_cmp_le_u32_e32 vcc, s33, v2
	s_cmp_eq_u32 s4, 0
	v_cndmask_b32_e64 v3, 0, -1, vcc
	s_cselect_b64 vcc, -1, 0
	v_cndmask_b32_e32 v3, -1, v3, vcc
	v_mov_b32_e32 v8, s4
	v_cmp_ne_u32_e32 vcc, 0, v3
	v_cndmask_b32_e32 v3, v8, v7, vcc
	v_cndmask_b32_e32 v2, v2, v6, vcc
	s_cbranch_execnz .LBB168_193
.LBB168_192:                            ;   in Loop: Header=BB168_6 Depth=1
	v_cvt_f32_u32_e32 v2, s33
	s_sub_i32 s4, 0, s33
	v_rcp_iflag_f32_e32 v2, v2
	v_mul_f32_e32 v2, 0x4f7ffffe, v2
	v_cvt_u32_f32_e32 v2, v2
	v_mul_lo_u32 v3, s4, v2
	v_mul_hi_u32 v3, v2, v3
	v_add_u32_e32 v2, v2, v3
	v_readlane_b32 s4, v52, 29
	v_mul_hi_u32 v2, s4, v2
	v_mul_lo_u32 v2, v2, s33
	v_sub_u32_e32 v2, s4, v2
	v_subrev_u32_e32 v3, s33, v2
	v_cmp_le_u32_e32 vcc, s33, v2
	v_cndmask_b32_e32 v2, v2, v3, vcc
	v_subrev_u32_e32 v3, s33, v2
	v_cmp_le_u32_e32 vcc, s33, v2
	v_cndmask_b32_e32 v14, v2, v3, vcc
	v_pk_mov_b32 v[2:3], v[14:15], v[14:15] op_sel:[0,1]
.LBB168_193:                            ;   in Loop: Header=BB168_6 Depth=1
	v_readlane_b32 s4, v52, 31
	v_readlane_b32 s5, v52, 32
	;; [unrolled: 1-line block ×3, first 2 shown]
	v_mov_b32_e32 v6, s5
	v_sub_co_u32_e32 v2, vcc, s4, v2
	v_subb_co_u32_e32 v3, vcc, v6, v3, vcc
	v_cmp_gt_u64_e32 vcc, v[2:3], v[0:1]
	s_mov_b64 s[6:7], 0
                                        ; implicit-def: $vgpr30
	s_and_saveexec_b64 s[4:5], vcc
	s_cbranch_execz .LBB168_202
; %bb.194:                              ;   in Loop: Header=BB168_6 Depth=1
	s_mov_b64 s[12:13], 0
	v_pk_mov_b32 v[6:7], v[12:13], v[12:13] op_sel:[0,1]
	v_pk_mov_b32 v[8:9], v[0:1], v[0:1] op_sel:[0,1]
                                        ; implicit-def: $sgpr50_sgpr51
	s_branch .LBB168_196
.LBB168_195:                            ;   in Loop: Header=BB168_196 Depth=2
	s_or_b64 exec, exec, s[6:7]
	s_waitcnt lgkmcnt(0)
	s_barrier
	s_waitcnt vmcnt(0)
	ds_read_b32 v14, v15 offset:3072
	v_mov_b32_e32 v30, s88
	v_add_co_u32_e64 v8, s[6:7], s33, v8
	v_addc_co_u32_e64 v9, s[6:7], v9, v30, s[6:7]
	s_waitcnt lgkmcnt(0)
	v_cmp_ne_u16_e32 vcc, 0, v14
	v_cmp_ge_u64_e64 s[6:7], v[8:9], v[2:3]
	s_or_b64 s[54:55], s[6:7], vcc
	v_mov_b32_e32 v30, s61
	v_add_co_u32_e64 v6, s[6:7], s60, v6
	v_addc_co_u32_e64 v7, s[6:7], v7, v30, s[6:7]
	s_and_b64 s[6:7], exec, s[54:55]
	s_or_b64 s[12:13], s[6:7], s[12:13]
	s_andn2_b64 s[6:7], s[50:51], exec
	s_and_b64 s[50:51], vcc, exec
	s_or_b64 s[50:51], s[6:7], s[50:51]
	s_barrier
	s_andn2_b64 exec, exec, s[12:13]
	s_cbranch_execz .LBB168_201
.LBB168_196:                            ;   Parent Loop BB168_6 Depth=1
                                        ; =>  This Inner Loop Header: Depth=2
	v_cmp_gt_u64_e32 vcc, s[56:57], v[8:9]
	v_mov_b32_e32 v14, 0
	s_and_saveexec_b64 s[6:7], vcc
	s_cbranch_execz .LBB168_198
; %bb.197:                              ;   in Loop: Header=BB168_196 Depth=2
	global_load_ushort v14, v[6:7], off
.LBB168_198:                            ;   in Loop: Header=BB168_196 Depth=2
	s_or_b64 exec, exec, s[6:7]
	s_and_saveexec_b64 s[6:7], vcc
	s_cbranch_execz .LBB168_195
; %bb.199:                              ;   in Loop: Header=BB168_196 Depth=2
	s_waitcnt vmcnt(0)
	v_add_u32_sdwa v30, sext(v14), s1 dst_sel:DWORD dst_unused:UNUSED_PAD src0_sel:WORD_0 src1_sel:DWORD
	v_and_b32_e32 v30, v30, v29
	v_cmp_eq_u32_e32 vcc, v30, v28
	s_and_b64 exec, exec, vcc
	s_cbranch_execz .LBB168_195
; %bb.200:                              ;   in Loop: Header=BB168_196 Depth=2
	v_perm_b32 v14, v14, 1, v40
	ds_write_b32 v15, v14 offset:3072
	s_branch .LBB168_195
.LBB168_201:                            ;   in Loop: Header=BB168_6 Depth=1
	s_or_b64 exec, exec, s[12:13]
	v_lshrrev_b32_e32 v30, 16, v14
	s_and_b64 s[6:7], s[50:51], exec
.LBB168_202:                            ;   in Loop: Header=BB168_6 Depth=1
	s_or_b64 exec, exec, s[4:5]
	s_mov_b64 s[54:55], -1
	s_mov_b64 s[50:51], 0
	s_mov_b64 s[4:5], 0
.LBB168_203:                            ;   in Loop: Header=BB168_6 Depth=1
	s_orn2_b64 s[6:7], s[6:7], exec
.LBB168_204:                            ;   in Loop: Header=BB168_6 Depth=1
	s_or_b64 exec, exec, s[86:87]
	s_mov_b64 s[12:13], 0
                                        ; implicit-def: $vgpr6
	s_and_saveexec_b64 s[86:87], s[6:7]
	s_cbranch_execz .LBB168_269
; %bb.205:                              ;   in Loop: Header=BB168_6 Depth=1
	v_mov_b32_e32 v2, 1
	s_xor_b64 s[12:13], s[52:53], -1
	s_mov_b64 s[78:79], 0
	v_mov_b32_e32 v3, 0
	v_mov_b32_e32 v6, 1
	s_and_saveexec_b64 s[6:7], s[12:13]
	s_cbranch_execz .LBB168_215
; %bb.206:                              ;   in Loop: Header=BB168_6 Depth=1
	v_cmp_ge_u64_e32 vcc, s[22:23], v[4:5]
                                        ; implicit-def: $sgpr68
                                        ; implicit-def: $sgpr12_sgpr13
	s_and_saveexec_b64 s[52:53], vcc
	s_xor_b64 s[52:53], exec, s[52:53]
	s_cbranch_execz .LBB168_212
; %bb.207:                              ;   in Loop: Header=BB168_6 Depth=1
	ds_read_b64 v[2:3], v15 offset:5120
	s_waitcnt lgkmcnt(0)
	v_cmp_ne_u64_e32 vcc, 0, v[2:3]
	s_cbranch_vccnz .LBB168_211
; %bb.208:                              ;   in Loop: Header=BB168_6 Depth=1
	v_readlane_b32 s30, v52, 8
	v_readlane_b32 s31, v52, 9
	s_and_saveexec_b64 s[12:13], s[30:31]
	s_cbranch_execz .LBB168_210
; %bb.209:                              ;   in Loop: Header=BB168_6 Depth=1
	v_pk_mov_b32 v[2:3], s[22:23], s[22:23] op_sel:[0,1]
	ds_write_b64 v15, v[2:3] offset:5128
.LBB168_210:                            ;   in Loop: Header=BB168_6 Depth=1
	s_or_b64 exec, exec, s[12:13]
	s_waitcnt lgkmcnt(0)
	s_barrier
.LBB168_211:                            ;   in Loop: Header=BB168_6 Depth=1
	v_and_b32_e32 v2, s90, v28
	v_lshl_or_b32 v28, 2, s91, v2
	v_or_b32_e32 v29, s82, v29
	s_mov_b64 s[12:13], 0
	s_mov_b32 s68, 8
.LBB168_212:                            ;   in Loop: Header=BB168_6 Depth=1
	s_or_saveexec_b64 s[52:53], s[52:53]
	v_mov_b32_e32 v6, s68
	s_xor_b64 exec, exec, s[52:53]
; %bb.213:                              ;   in Loop: Header=BB168_6 Depth=1
	v_mov_b32_e32 v2, s23
	v_subrev_co_u32_e32 v4, vcc, s22, v4
	v_subb_co_u32_e32 v5, vcc, v5, v2, vcc
	v_mov_b32_e32 v6, 0
	s_or_b64 s[12:13], s[12:13], exec
; %bb.214:                              ;   in Loop: Header=BB168_6 Depth=1
	s_or_b64 exec, exec, s[52:53]
	s_and_b64 s[78:79], s[12:13], exec
	v_pk_mov_b32 v[2:3], v[4:5], v[4:5] op_sel:[0,1]
.LBB168_215:                            ;   in Loop: Header=BB168_6 Depth=1
	s_or_b64 exec, exec, s[6:7]
	s_mov_b64 s[52:53], -1
                                        ; implicit-def: $sgpr6_sgpr7
                                        ; implicit-def: $sgpr70_sgpr71
                                        ; implicit-def: $sgpr12_sgpr13
	s_and_saveexec_b64 s[30:31], s[78:79]
	s_cbranch_execz .LBB168_268
; %bb.216:                              ;   in Loop: Header=BB168_6 Depth=1
	s_cmp_eq_u64 s[24:25], 1
	s_cselect_b64 s[6:7], -1, 0
	v_cmp_eq_u64_e32 vcc, 1, v[2:3]
	v_writelane_b32 v52, s30, 54
	s_and_b64 vcc, s[6:7], vcc
	s_mov_b64 s[78:79], -1
	v_writelane_b32 v52, s31, 55
                                        ; implicit-def: $sgpr6_sgpr7
                                        ; implicit-def: $sgpr70_sgpr71
                                        ; implicit-def: $sgpr12_sgpr13
	s_and_saveexec_b64 s[52:53], vcc
	s_cbranch_execz .LBB168_255
; %bb.217:                              ;   in Loop: Header=BB168_6 Depth=1
	ds_read_b64 v[4:5], v15 offset:5120
	v_readlane_b32 s30, v52, 24
	v_readlane_b32 s31, v52, 25
	s_waitcnt lgkmcnt(0)
	s_barrier
	v_readfirstlane_b32 s12, v4
	v_readfirstlane_b32 s13, v5
	s_and_saveexec_b64 s[6:7], s[30:31]
	s_cbranch_execz .LBB168_219
; %bb.218:                              ;   in Loop: Header=BB168_6 Depth=1
	ds_write_b16 v36, v15
.LBB168_219:                            ;   in Loop: Header=BB168_6 Depth=1
	s_or_b64 exec, exec, s[6:7]
	v_or_b32_e32 v28, s82, v28
	v_or_b32_e32 v29, s82, v29
	s_cmp_eq_u64 s[12:13], 0
	v_writelane_b32 v52, vcc_lo, 56
	s_waitcnt lgkmcnt(0)
	s_barrier
	v_writelane_b32 v52, vcc_hi, 57
	s_cbranch_scc1 .LBB168_224
; %bb.220:                              ;   in Loop: Header=BB168_6 Depth=1
	v_readlane_b32 s6, v52, 28
	s_add_u32 s68, s6, s12
	v_readlane_b32 s6, v52, 30
	s_addc_u32 s7, s6, s13
	s_mov_b32 s6, s83
	s_cmp_lg_u64 s[6:7], 0
	s_cbranch_scc0 .LBB168_225
; %bb.221:                              ;   in Loop: Header=BB168_6 Depth=1
	v_cvt_f32_u32_e32 v4, s33
	s_sub_u32 s6, 0, s33
	s_subb_u32 s69, 0, 0
	v_mac_f32_e32 v4, 0, v39
	v_rcp_f32_e32 v4, v4
	v_mul_f32_e32 v4, 0x5f7ffffc, v4
	v_mul_f32_e32 v5, 0x2f800000, v4
	v_trunc_f32_e32 v5, v5
	v_mac_f32_e32 v4, 0xcf800000, v5
	v_cvt_u32_f32_e32 v5, v5
	v_cvt_u32_f32_e32 v4, v4
	v_readfirstlane_b32 s70, v5
	v_readfirstlane_b32 s71, v4
	s_mul_i32 s78, s6, s70
	s_mul_hi_u32 s80, s6, s71
	s_mul_i32 s79, s69, s71
	s_add_i32 s78, s80, s78
	s_mul_i32 s81, s6, s71
	s_add_i32 s78, s78, s79
	s_mul_hi_u32 s80, s71, s81
	s_mul_hi_u32 s79, s71, s78
	s_mul_i32 s71, s71, s78
	s_add_u32 s71, s80, s71
	s_addc_u32 s79, 0, s79
	s_mul_hi_u32 s84, s70, s81
	s_mul_i32 s81, s70, s81
	s_add_u32 s71, s71, s81
	s_mul_hi_u32 s80, s70, s78
	s_addc_u32 s71, s79, s84
	s_addc_u32 s79, s80, 0
	s_mul_i32 s78, s70, s78
	s_add_u32 s71, s71, s78
	s_addc_u32 s78, 0, s79
	v_add_co_u32_e32 v4, vcc, s71, v4
	s_cmp_lg_u64 vcc, 0
	s_addc_u32 s70, s70, s78
	v_readfirstlane_b32 s78, v4
	s_mul_i32 s71, s6, s70
	s_mul_hi_u32 s79, s6, s78
	s_add_i32 s71, s79, s71
	s_mul_i32 s69, s69, s78
	s_add_i32 s71, s71, s69
	s_mul_i32 s6, s6, s78
	s_mul_hi_u32 s79, s70, s6
	s_mul_i32 s80, s70, s6
	s_mul_i32 s84, s78, s71
	s_mul_hi_u32 s6, s78, s6
	s_mul_hi_u32 s81, s78, s71
	s_add_u32 s6, s6, s84
	s_addc_u32 s78, 0, s81
	s_add_u32 s6, s6, s80
	s_mul_hi_u32 s69, s70, s71
	s_addc_u32 s6, s78, s79
	s_addc_u32 s69, s69, 0
	s_mul_i32 s71, s70, s71
	s_add_u32 s6, s6, s71
	s_addc_u32 s69, 0, s69
	v_add_co_u32_e32 v4, vcc, s6, v4
	s_cmp_lg_u64 vcc, 0
	s_addc_u32 s6, s70, s69
	v_readfirstlane_b32 s71, v4
	s_mul_i32 s70, s68, s6
	s_mul_hi_u32 s78, s68, s71
	s_mul_hi_u32 s69, s68, s6
	s_add_u32 s70, s78, s70
	s_addc_u32 s69, 0, s69
	s_mul_hi_u32 s79, s7, s71
	s_mul_i32 s71, s7, s71
	s_add_u32 s70, s70, s71
	s_mul_hi_u32 s78, s7, s6
	s_addc_u32 s69, s69, s79
	s_addc_u32 s70, s78, 0
	s_mul_i32 s6, s7, s6
	s_add_u32 s6, s69, s6
	s_addc_u32 s69, 0, s70
	s_mul_hi_u32 s70, s33, s6
	s_mul_i32 s6, s33, s6
	s_mul_i32 s69, s33, s69
	v_mov_b32_e32 v4, s6
	s_add_i32 s70, s70, s69
	v_sub_co_u32_e32 v4, vcc, s68, v4
	s_cmp_lg_u64 vcc, 0
	s_subb_u32 s6, s7, s70
	v_subrev_co_u32_e32 v5, vcc, s33, v4
	s_cmp_lg_u64 vcc, 0
	s_subb_u32 s69, s6, 0
	v_subrev_co_u32_e32 v6, vcc, s33, v5
	s_cmp_lg_u64 vcc, 0
	s_subb_u32 s70, s69, 0
	v_cmp_le_u32_e32 vcc, s33, v5
	s_cmp_eq_u32 s69, 0
	v_cndmask_b32_e64 v7, 0, -1, vcc
	s_cselect_b64 vcc, -1, 0
	v_cndmask_b32_e32 v7, -1, v7, vcc
	v_mov_b32_e32 v8, s69
	v_mov_b32_e32 v9, s70
	v_cmp_ne_u32_e32 vcc, 0, v7
	v_cndmask_b32_e32 v7, v8, v9, vcc
	v_cndmask_b32_e32 v6, v5, v6, vcc
	v_cmp_le_u32_e32 vcc, s33, v4
	s_cmp_eq_u32 s6, 0
	v_cndmask_b32_e64 v5, 0, -1, vcc
	s_cselect_b64 vcc, -1, 0
	v_cndmask_b32_e32 v5, -1, v5, vcc
	v_mov_b32_e32 v8, s6
	v_cmp_ne_u32_e32 vcc, 0, v5
	v_cndmask_b32_e32 v5, v8, v7, vcc
	v_cndmask_b32_e32 v4, v4, v6, vcc
	s_mov_b64 s[70:71], 0
	s_branch .LBB168_226
.LBB168_222:                            ;   in Loop: Header=BB168_6 Depth=1
                                        ; implicit-def: $vgpr2_vgpr3
	s_branch .LBB168_176
.LBB168_223:                            ;   in Loop: Header=BB168_6 Depth=1
                                        ; implicit-def: $vgpr2_vgpr3
	s_branch .LBB168_192
.LBB168_224:                            ;   in Loop: Header=BB168_6 Depth=1
	s_mov_b64 s[6:7], -1
	s_mov_b64 s[78:79], 0
                                        ; implicit-def: $sgpr12_sgpr13
                                        ; implicit-def: $vgpr30
	s_branch .LBB168_238
.LBB168_225:                            ;   in Loop: Header=BB168_6 Depth=1
	s_mov_b64 s[70:71], -1
                                        ; implicit-def: $vgpr4_vgpr5
.LBB168_226:                            ;   in Loop: Header=BB168_6 Depth=1
	s_andn2_b64 vcc, exec, s[70:71]
	s_cbranch_vccnz .LBB168_228
; %bb.227:                              ;   in Loop: Header=BB168_6 Depth=1
	v_cvt_f32_u32_e32 v4, s33
	s_sub_i32 s6, 0, s33
	v_rcp_iflag_f32_e32 v4, v4
	v_mul_f32_e32 v4, 0x4f7ffffe, v4
	v_cvt_u32_f32_e32 v4, v4
	v_mul_lo_u32 v5, s6, v4
	v_mul_hi_u32 v5, v4, v5
	v_add_u32_e32 v4, v4, v5
	v_mul_hi_u32 v4, s68, v4
	v_mul_lo_u32 v4, v4, s33
	v_sub_u32_e32 v4, s68, v4
	v_subrev_u32_e32 v5, s33, v4
	v_cmp_le_u32_e32 vcc, s33, v4
	v_cndmask_b32_e32 v4, v4, v5, vcc
	v_subrev_u32_e32 v5, s33, v4
	v_cmp_le_u32_e32 vcc, s33, v4
	v_cndmask_b32_e32 v14, v4, v5, vcc
	v_pk_mov_b32 v[4:5], v[14:15], v[14:15] op_sel:[0,1]
.LBB168_228:                            ;   in Loop: Header=BB168_6 Depth=1
	v_mov_b32_e32 v6, s7
	v_sub_co_u32_e32 v4, vcc, s68, v4
	v_subb_co_u32_e32 v5, vcc, v6, v5, vcc
	v_cmp_gt_u64_e32 vcc, v[4:5], v[0:1]
	s_mov_b64 s[78:79], 0
                                        ; implicit-def: $vgpr30
	s_and_saveexec_b64 s[70:71], vcc
	v_readlane_b32 s84, v52, 46
	v_readlane_b32 s85, v52, 47
	s_cbranch_execz .LBB168_237
; %bb.229:                              ;   in Loop: Header=BB168_6 Depth=1
	v_mov_b32_e32 v8, v35
	v_pk_mov_b32 v[6:7], v[0:1], v[0:1] op_sel:[0,1]
                                        ; implicit-def: $sgpr80_sgpr81
	s_branch .LBB168_231
.LBB168_230:                            ;   in Loop: Header=BB168_231 Depth=2
	s_or_b64 exec, exec, s[6:7]
	s_waitcnt lgkmcnt(0)
	s_barrier
	ds_read_b32 v9, v15 offset:3072
	v_mov_b32_e32 v14, s88
	v_add_co_u32_e64 v6, s[6:7], s33, v6
	v_addc_co_u32_e64 v7, s[6:7], v7, v14, s[6:7]
	s_waitcnt lgkmcnt(0)
	v_cmp_ne_u16_e32 vcc, 0, v9
	v_cmp_ge_u64_e64 s[6:7], v[6:7], v[4:5]
	s_or_b64 s[6:7], s[6:7], vcc
	s_and_b64 s[6:7], exec, s[6:7]
	s_or_b64 s[78:79], s[6:7], s[78:79]
	s_andn2_b64 s[6:7], s[80:81], exec
	s_and_b64 s[68:69], vcc, exec
	v_add_u32_e32 v8, s0, v8
	s_or_b64 s[80:81], s[6:7], s[68:69]
	s_barrier
	s_andn2_b64 exec, exec, s[78:79]
	s_cbranch_execz .LBB168_236
.LBB168_231:                            ;   Parent Loop BB168_6 Depth=1
                                        ; =>  This Inner Loop Header: Depth=2
	v_cmp_gt_u64_e32 vcc, s[12:13], v[6:7]
	v_mov_b32_e32 v9, 0
	s_and_saveexec_b64 s[6:7], vcc
	s_cbranch_execz .LBB168_233
; %bb.232:                              ;   in Loop: Header=BB168_231 Depth=2
	ds_read_u16 v9, v8
.LBB168_233:                            ;   in Loop: Header=BB168_231 Depth=2
	s_or_b64 exec, exec, s[6:7]
	s_and_saveexec_b64 s[6:7], vcc
	s_cbranch_execz .LBB168_230
; %bb.234:                              ;   in Loop: Header=BB168_231 Depth=2
	s_waitcnt lgkmcnt(0)
	v_add_u32_sdwa v14, sext(v9), s1 dst_sel:DWORD dst_unused:UNUSED_PAD src0_sel:WORD_0 src1_sel:DWORD
	v_and_b32_e32 v14, v14, v29
	v_cmp_eq_u32_e32 vcc, v14, v28
	s_and_b64 exec, exec, vcc
	s_cbranch_execz .LBB168_230
; %bb.235:                              ;   in Loop: Header=BB168_231 Depth=2
	v_perm_b32 v9, v9, 1, v40
	ds_write_b32 v15, v9 offset:3072
	s_branch .LBB168_230
.LBB168_236:                            ;   in Loop: Header=BB168_6 Depth=1
	s_or_b64 exec, exec, s[78:79]
	v_lshrrev_b32_e32 v30, 16, v9
	s_and_b64 s[78:79], s[80:81], exec
.LBB168_237:                            ;   in Loop: Header=BB168_6 Depth=1
	s_or_b64 exec, exec, s[70:71]
	s_mov_b64 s[12:13], -1
	s_mov_b64 s[6:7], 0
.LBB168_238:                            ;   in Loop: Header=BB168_6 Depth=1
	s_and_b64 vcc, exec, s[6:7]
	s_mov_b64 s[70:71], s[6:7]
	s_cbranch_vccz .LBB168_254
; %bb.239:                              ;   in Loop: Header=BB168_6 Depth=1
	v_readlane_b32 s30, v52, 31
	v_readlane_b32 s31, v52, 32
	s_mov_b32 s30, s83
	s_cmp_lg_u64 s[30:31], 0
	v_writelane_b32 v52, s30, 31
	v_writelane_b32 v52, s31, 32
	s_cbranch_scc0 .LBB168_241
; %bb.240:                              ;   in Loop: Header=BB168_6 Depth=1
	v_cvt_f32_u32_e32 v4, s33
	s_sub_u32 s6, 0, s33
	s_subb_u32 s7, 0, 0
	v_readlane_b32 s30, v52, 29
	v_mac_f32_e32 v4, 0, v39
	v_rcp_f32_e32 v4, v4
	v_mul_f32_e32 v4, 0x5f7ffffc, v4
	v_mul_f32_e32 v5, 0x2f800000, v4
	v_trunc_f32_e32 v5, v5
	v_mac_f32_e32 v4, 0xcf800000, v5
	v_cvt_u32_f32_e32 v5, v5
	v_cvt_u32_f32_e32 v4, v4
	v_readfirstlane_b32 s12, v5
	v_readfirstlane_b32 s13, v4
	s_mul_i32 s68, s6, s12
	s_mul_hi_u32 s70, s6, s13
	s_mul_i32 s69, s7, s13
	s_add_i32 s68, s70, s68
	s_mul_i32 s71, s6, s13
	s_add_i32 s68, s68, s69
	s_mul_hi_u32 s70, s13, s71
	s_mul_hi_u32 s69, s13, s68
	s_mul_i32 s13, s13, s68
	s_add_u32 s13, s70, s13
	s_addc_u32 s69, 0, s69
	s_mul_hi_u32 s78, s12, s71
	s_mul_i32 s71, s12, s71
	s_add_u32 s13, s13, s71
	s_mul_hi_u32 s70, s12, s68
	s_addc_u32 s13, s69, s78
	s_addc_u32 s69, s70, 0
	s_mul_i32 s68, s12, s68
	s_add_u32 s13, s13, s68
	s_addc_u32 s68, 0, s69
	v_add_co_u32_e32 v4, vcc, s13, v4
	s_cmp_lg_u64 vcc, 0
	s_addc_u32 s12, s12, s68
	v_readfirstlane_b32 s68, v4
	s_mul_i32 s13, s6, s12
	s_mul_hi_u32 s69, s6, s68
	s_add_i32 s13, s69, s13
	s_mul_i32 s7, s7, s68
	s_add_i32 s13, s13, s7
	s_mul_i32 s6, s6, s68
	s_mul_hi_u32 s69, s12, s6
	s_mul_i32 s70, s12, s6
	s_mul_i32 s78, s68, s13
	s_mul_hi_u32 s6, s68, s6
	s_mul_hi_u32 s71, s68, s13
	s_add_u32 s6, s6, s78
	s_addc_u32 s68, 0, s71
	s_add_u32 s6, s6, s70
	s_mul_hi_u32 s7, s12, s13
	s_addc_u32 s6, s68, s69
	s_addc_u32 s7, s7, 0
	s_mul_i32 s13, s12, s13
	s_add_u32 s6, s6, s13
	s_addc_u32 s7, 0, s7
	v_add_co_u32_e32 v4, vcc, s6, v4
	s_cmp_lg_u64 vcc, 0
	s_addc_u32 s6, s12, s7
	v_readfirstlane_b32 s13, v4
	s_mul_i32 s12, s30, s6
	s_mul_hi_u32 s68, s30, s13
	s_mul_hi_u32 s7, s30, s6
	s_add_u32 s12, s68, s12
	s_addc_u32 s7, 0, s7
	s_mul_hi_u32 s69, s31, s13
	s_mul_i32 s13, s31, s13
	s_add_u32 s12, s12, s13
	s_mul_hi_u32 s68, s31, s6
	s_addc_u32 s7, s7, s69
	s_addc_u32 s12, s68, 0
	s_mul_i32 s6, s31, s6
	s_add_u32 s6, s7, s6
	s_addc_u32 s7, 0, s12
	s_mul_hi_u32 s12, s33, s6
	s_mul_i32 s6, s33, s6
	s_mul_i32 s7, s33, s7
	v_mov_b32_e32 v4, s6
	s_add_i32 s12, s12, s7
	v_sub_co_u32_e32 v4, vcc, s30, v4
	s_cmp_lg_u64 vcc, 0
	s_subb_u32 s6, s31, s12
	v_subrev_co_u32_e32 v5, vcc, s33, v4
	s_cmp_lg_u64 vcc, 0
	s_subb_u32 s7, s6, 0
	v_subrev_co_u32_e32 v6, vcc, s33, v5
	s_cmp_lg_u64 vcc, 0
	s_subb_u32 s12, s7, 0
	v_cmp_le_u32_e32 vcc, s33, v5
	s_cmp_eq_u32 s7, 0
	v_cndmask_b32_e64 v7, 0, -1, vcc
	s_cselect_b64 vcc, -1, 0
	v_cndmask_b32_e32 v7, -1, v7, vcc
	v_mov_b32_e32 v8, s7
	v_mov_b32_e32 v9, s12
	v_cmp_ne_u32_e32 vcc, 0, v7
	v_cndmask_b32_e32 v7, v8, v9, vcc
	v_cndmask_b32_e32 v6, v5, v6, vcc
	v_cmp_le_u32_e32 vcc, s33, v4
	s_cmp_eq_u32 s6, 0
	v_cndmask_b32_e64 v5, 0, -1, vcc
	s_cselect_b64 vcc, -1, 0
	v_cndmask_b32_e32 v5, -1, v5, vcc
	v_mov_b32_e32 v8, s6
	v_cmp_ne_u32_e32 vcc, 0, v5
	v_cndmask_b32_e32 v5, v8, v7, vcc
	v_cndmask_b32_e32 v4, v4, v6, vcc
	s_mov_b64 s[6:7], 0
	s_branch .LBB168_242
.LBB168_241:                            ;   in Loop: Header=BB168_6 Depth=1
	s_mov_b64 s[6:7], -1
                                        ; implicit-def: $vgpr4_vgpr5
.LBB168_242:                            ;   in Loop: Header=BB168_6 Depth=1
	s_andn2_b64 vcc, exec, s[6:7]
	s_cbranch_vccnz .LBB168_244
; %bb.243:                              ;   in Loop: Header=BB168_6 Depth=1
	v_cvt_f32_u32_e32 v4, s33
	s_sub_i32 s6, 0, s33
	v_rcp_iflag_f32_e32 v4, v4
	v_mul_f32_e32 v4, 0x4f7ffffe, v4
	v_cvt_u32_f32_e32 v4, v4
	v_mul_lo_u32 v5, s6, v4
	v_mul_hi_u32 v5, v4, v5
	v_add_u32_e32 v4, v4, v5
	v_readlane_b32 s6, v52, 29
	v_mul_hi_u32 v4, s6, v4
	v_mul_lo_u32 v4, v4, s33
	v_sub_u32_e32 v4, s6, v4
	v_subrev_u32_e32 v5, s33, v4
	v_cmp_le_u32_e32 vcc, s33, v4
	v_cndmask_b32_e32 v4, v4, v5, vcc
	v_subrev_u32_e32 v5, s33, v4
	v_cmp_le_u32_e32 vcc, s33, v4
	v_cndmask_b32_e32 v14, v4, v5, vcc
	v_pk_mov_b32 v[4:5], v[14:15], v[14:15] op_sel:[0,1]
.LBB168_244:                            ;   in Loop: Header=BB168_6 Depth=1
	v_readlane_b32 s6, v52, 31
	v_readlane_b32 s7, v52, 32
	;; [unrolled: 1-line block ×3, first 2 shown]
	v_mov_b32_e32 v6, s7
	v_sub_co_u32_e32 v4, vcc, s6, v4
	v_subb_co_u32_e32 v5, vcc, v6, v5, vcc
	v_cmp_gt_u64_e32 vcc, v[4:5], v[0:1]
	s_mov_b64 s[78:79], 0
                                        ; implicit-def: $vgpr30
	s_and_saveexec_b64 s[12:13], vcc
	s_cbranch_execz .LBB168_253
; %bb.245:                              ;   in Loop: Header=BB168_6 Depth=1
	s_mov_b64 s[70:71], 0
	v_pk_mov_b32 v[6:7], v[12:13], v[12:13] op_sel:[0,1]
	v_pk_mov_b32 v[8:9], v[0:1], v[0:1] op_sel:[0,1]
                                        ; implicit-def: $sgpr78_sgpr79
	s_branch .LBB168_247
.LBB168_246:                            ;   in Loop: Header=BB168_247 Depth=2
	s_or_b64 exec, exec, s[6:7]
	s_waitcnt lgkmcnt(0)
	s_barrier
	s_waitcnt vmcnt(0)
	ds_read_b32 v14, v15 offset:3072
	v_mov_b32_e32 v30, s88
	v_add_co_u32_e64 v8, s[6:7], s33, v8
	v_addc_co_u32_e64 v9, s[6:7], v9, v30, s[6:7]
	s_waitcnt lgkmcnt(0)
	v_cmp_ne_u16_e32 vcc, 0, v14
	v_cmp_ge_u64_e64 s[6:7], v[8:9], v[4:5]
	s_or_b64 s[68:69], s[6:7], vcc
	v_mov_b32_e32 v30, s61
	v_add_co_u32_e64 v6, s[6:7], s60, v6
	v_addc_co_u32_e64 v7, s[6:7], v7, v30, s[6:7]
	s_and_b64 s[6:7], exec, s[68:69]
	s_or_b64 s[70:71], s[6:7], s[70:71]
	s_andn2_b64 s[6:7], s[78:79], exec
	s_and_b64 s[68:69], vcc, exec
	s_or_b64 s[78:79], s[6:7], s[68:69]
	s_barrier
	s_andn2_b64 exec, exec, s[70:71]
	s_cbranch_execz .LBB168_252
.LBB168_247:                            ;   Parent Loop BB168_6 Depth=1
                                        ; =>  This Inner Loop Header: Depth=2
	v_cmp_gt_u64_e32 vcc, s[56:57], v[8:9]
	v_mov_b32_e32 v14, 0
	s_and_saveexec_b64 s[6:7], vcc
	s_cbranch_execz .LBB168_249
; %bb.248:                              ;   in Loop: Header=BB168_247 Depth=2
	global_load_ushort v14, v[6:7], off
.LBB168_249:                            ;   in Loop: Header=BB168_247 Depth=2
	s_or_b64 exec, exec, s[6:7]
	s_and_saveexec_b64 s[6:7], vcc
	s_cbranch_execz .LBB168_246
; %bb.250:                              ;   in Loop: Header=BB168_247 Depth=2
	s_waitcnt vmcnt(0)
	v_add_u32_sdwa v30, sext(v14), s1 dst_sel:DWORD dst_unused:UNUSED_PAD src0_sel:WORD_0 src1_sel:DWORD
	v_and_b32_e32 v30, v30, v29
	v_cmp_eq_u32_e32 vcc, v30, v28
	s_and_b64 exec, exec, vcc
	s_cbranch_execz .LBB168_246
; %bb.251:                              ;   in Loop: Header=BB168_247 Depth=2
	v_perm_b32 v14, v14, 1, v40
	ds_write_b32 v15, v14 offset:3072
	s_branch .LBB168_246
.LBB168_252:                            ;   in Loop: Header=BB168_6 Depth=1
	s_or_b64 exec, exec, s[70:71]
	v_lshrrev_b32_e32 v30, 16, v14
	s_and_b64 s[78:79], s[78:79], exec
.LBB168_253:                            ;   in Loop: Header=BB168_6 Depth=1
	s_or_b64 exec, exec, s[12:13]
	s_mov_b64 s[70:71], -1
	s_mov_b64 s[6:7], 0
	s_mov_b64 s[12:13], 0
.LBB168_254:                            ;   in Loop: Header=BB168_6 Depth=1
	v_readlane_b32 vcc_lo, v52, 56
	s_orn2_b64 s[78:79], s[78:79], exec
	v_readlane_b32 vcc_hi, v52, 57
.LBB168_255:                            ;   in Loop: Header=BB168_6 Depth=1
	s_or_b64 exec, exec, s[52:53]
	s_mov_b64 s[80:81], 0
                                        ; implicit-def: $vgpr6
                                        ; implicit-def: $vgpr4_vgpr5
	s_and_saveexec_b64 s[52:53], s[78:79]
	v_readlane_b32 s30, v52, 54
	v_readlane_b32 s31, v52, 55
	s_cbranch_execz .LBB168_267
; %bb.256:                              ;   in Loop: Header=BB168_6 Depth=1
	v_mov_b32_e32 v4, 1
	s_xor_b64 s[68:69], vcc, -1
	v_mov_b32_e32 v6, 1
	v_mov_b32_e32 v5, 0
	s_and_saveexec_b64 s[78:79], s[68:69]
	s_cbranch_execz .LBB168_266
; %bb.257:                              ;   in Loop: Header=BB168_6 Depth=1
	v_cmp_ge_u64_e32 vcc, s[24:25], v[2:3]
                                        ; implicit-def: $sgpr68
	s_and_saveexec_b64 s[80:81], vcc
	s_xor_b64 s[80:81], exec, s[80:81]
	s_cbranch_execz .LBB168_263
; %bb.258:                              ;   in Loop: Header=BB168_6 Depth=1
	ds_read_b64 v[4:5], v15 offset:5120
	s_waitcnt lgkmcnt(0)
	v_cmp_ne_u64_e32 vcc, 0, v[4:5]
	s_cbranch_vccnz .LBB168_262
; %bb.259:                              ;   in Loop: Header=BB168_6 Depth=1
	v_readlane_b32 s30, v52, 8
	v_readlane_b32 s31, v52, 9
	s_and_saveexec_b64 s[84:85], s[30:31]
	s_cbranch_execz .LBB168_261
; %bb.260:                              ;   in Loop: Header=BB168_6 Depth=1
	v_pk_mov_b32 v[4:5], s[24:25], s[24:25] op_sel:[0,1]
	ds_write_b64 v15, v[4:5] offset:5128
.LBB168_261:                            ;   in Loop: Header=BB168_6 Depth=1
	s_or_b64 exec, exec, s[84:85]
	s_waitcnt lgkmcnt(0)
	s_barrier
.LBB168_262:                            ;   in Loop: Header=BB168_6 Depth=1
	v_or_b32_e32 v28, s82, v28
	v_or_b32_e32 v29, s82, v29
	s_mov_b32 s68, 8
.LBB168_263:                            ;   in Loop: Header=BB168_6 Depth=1
	s_or_saveexec_b64 s[80:81], s[80:81]
	v_mov_b32_e32 v6, s68
	s_xor_b64 exec, exec, s[80:81]
; %bb.264:                              ;   in Loop: Header=BB168_6 Depth=1
	v_mov_b32_e32 v4, s25
	v_subrev_co_u32_e32 v2, vcc, s24, v2
	v_subb_co_u32_e32 v3, vcc, v3, v4, vcc
	v_mov_b32_e32 v6, 8
; %bb.265:                              ;   in Loop: Header=BB168_6 Depth=1
	s_or_b64 exec, exec, s[80:81]
	v_readlane_b32 s84, v52, 46
	v_readlane_b32 s30, v52, 54
	v_pk_mov_b32 v[4:5], v[2:3], v[2:3] op_sel:[0,1]
	v_readlane_b32 s85, v52, 47
	v_readlane_b32 s31, v52, 55
.LBB168_266:                            ;   in Loop: Header=BB168_6 Depth=1
	s_or_b64 exec, exec, s[78:79]
	s_mov_b64 s[80:81], exec
.LBB168_267:                            ;   in Loop: Header=BB168_6 Depth=1
	s_or_b64 exec, exec, s[52:53]
	s_orn2_b64 s[52:53], s[80:81], exec
	v_pk_mov_b32 v[2:3], v[4:5], v[4:5] op_sel:[0,1]
.LBB168_268:                            ;   in Loop: Header=BB168_6 Depth=1
	s_or_b64 exec, exec, s[30:31]
	s_andn2_b64 s[50:51], s[50:51], exec
	s_and_b64 s[6:7], s[6:7], exec
	s_or_b64 s[50:51], s[50:51], s[6:7]
	s_andn2_b64 s[6:7], s[54:55], exec
	s_and_b64 s[54:55], s[70:71], exec
	s_or_b64 s[54:55], s[6:7], s[54:55]
	;; [unrolled: 3-line block ×3, first 2 shown]
	s_and_b64 s[12:13], s[52:53], exec
	v_pk_mov_b32 v[4:5], v[2:3], v[2:3] op_sel:[0,1]
.LBB168_269:                            ;   in Loop: Header=BB168_6 Depth=1
	s_or_b64 exec, exec, s[86:87]
	s_and_b64 s[52:53], s[50:51], exec
	s_and_b64 s[50:51], s[54:55], exec
	;; [unrolled: 1-line block ×3, first 2 shown]
	s_orn2_b64 s[4:5], s[12:13], exec
.LBB168_270:                            ;   in Loop: Header=BB168_6 Depth=1
	s_or_b64 exec, exec, s[48:49]
	s_andn2_b64 s[12:13], s[28:29], exec
	s_and_b64 s[28:29], s[52:53], exec
	s_or_b64 s[28:29], s[12:13], s[28:29]
	s_andn2_b64 s[12:13], s[44:45], exec
	s_and_b64 s[44:45], s[50:51], exec
	s_or_b64 s[44:45], s[12:13], s[44:45]
	;; [unrolled: 3-line block ×3, first 2 shown]
	s_and_b64 s[6:7], s[4:5], exec
	v_pk_mov_b32 v[2:3], v[4:5], v[4:5] op_sel:[0,1]
.LBB168_271:                            ;   in Loop: Header=BB168_6 Depth=1
	s_or_b64 exec, exec, s[46:47]
	s_and_b64 s[28:29], s[28:29], exec
	s_and_b64 s[12:13], s[44:45], exec
	;; [unrolled: 1-line block ×3, first 2 shown]
	s_orn2_b64 s[42:43], s[6:7], exec
.LBB168_272:                            ;   in Loop: Header=BB168_6 Depth=1
	s_or_b64 exec, exec, s[26:27]
	s_mov_b64 s[6:7], 0
	s_mov_b64 s[26:27], 0
	s_and_saveexec_b64 s[44:45], s[42:43]
	s_xor_b64 s[42:43], exec, s[44:45]
; %bb.273:                              ;   in Loop: Header=BB168_6 Depth=1
	v_cmp_eq_u32_e32 vcc, 8, v6
	v_cmp_ne_u32_e64 s[6:7], 8, v6
	s_andn2_b64 s[28:29], s[28:29], exec
	s_andn2_b64 s[12:13], s[12:13], exec
	;; [unrolled: 1-line block ×3, first 2 shown]
	s_and_b64 s[26:27], s[6:7], exec
	s_and_b64 s[6:7], vcc, exec
; %bb.274:                              ;   in Loop: Header=BB168_6 Depth=1
	s_or_b64 exec, exec, s[42:43]
	s_andn2_b64 s[20:21], s[20:21], exec
	s_and_b64 s[28:29], s[28:29], exec
	s_or_b64 s[20:21], s[20:21], s[28:29]
	s_andn2_b64 s[28:29], s[36:37], exec
	s_and_b64 s[12:13], s[12:13], exec
	s_or_b64 s[36:37], s[28:29], s[12:13]
	;; [unrolled: 3-line block ×3, first 2 shown]
	s_and_b64 s[26:27], s[26:27], exec
	s_and_b64 s[28:29], s[6:7], exec
.LBB168_275:                            ;   in Loop: Header=BB168_6 Depth=1
	s_or_b64 exec, exec, s[40:41]
	s_and_b64 vcc, exec, s[38:39]
	s_cbranch_vccz .LBB168_91
.LBB168_276:                            ;   in Loop: Header=BB168_6 Depth=1
	s_cmp_eq_u64 s[24:25], 1
	s_cselect_b64 s[4:5], -1, 0
	s_and_b64 s[36:37], s[4:5], s[14:15]
	s_mov_b64 s[6:7], -1
                                        ; implicit-def: $sgpr14_sgpr15
                                        ; implicit-def: $sgpr38_sgpr39
                                        ; implicit-def: $sgpr20_sgpr21
	s_and_saveexec_b64 s[4:5], s[36:37]
	s_cbranch_execz .LBB168_308
; %bb.277:                              ;   in Loop: Header=BB168_6 Depth=1
	ds_read_b64 v[2:3], v15 offset:5120
	s_waitcnt lgkmcnt(0)
	s_barrier
	v_readfirstlane_b32 s12, v2
	v_readfirstlane_b32 s13, v3
	s_mov_b64 s[6:7], exec
	v_readlane_b32 s14, v52, 24
	v_readlane_b32 s15, v52, 25
	s_and_b64 s[14:15], s[6:7], s[14:15]
	s_mov_b64 exec, s[14:15]
	s_cbranch_execz .LBB168_279
; %bb.278:                              ;   in Loop: Header=BB168_6 Depth=1
	ds_write_b16 v36, v15
.LBB168_279:                            ;   in Loop: Header=BB168_6 Depth=1
	s_or_b64 exec, exec, s[6:7]
	v_or_b32_e32 v42, s82, v42
	v_or_b32_e32 v41, s82, v41
	s_cmp_eq_u64 s[12:13], 0
	s_waitcnt lgkmcnt(0)
	s_barrier
	s_cbranch_scc1 .LBB168_291
; %bb.280:                              ;   in Loop: Header=BB168_6 Depth=1
	v_readlane_b32 s6, v52, 28
	s_add_u32 s20, s6, s12
	v_readlane_b32 s6, v52, 30
	s_addc_u32 s7, s6, s13
	s_mov_b32 s6, s83
	s_cmp_lg_u64 s[6:7], 0
	s_cbranch_scc0 .LBB168_335
; %bb.281:                              ;   in Loop: Header=BB168_6 Depth=1
	v_cvt_f32_u32_e32 v2, s33
	s_sub_u32 s6, 0, s33
	s_subb_u32 s14, 0, 0
	v_mac_f32_e32 v2, 0, v39
	v_rcp_f32_e32 v2, v2
	v_mul_f32_e32 v2, 0x5f7ffffc, v2
	v_mul_f32_e32 v3, 0x2f800000, v2
	v_trunc_f32_e32 v3, v3
	v_mac_f32_e32 v2, 0xcf800000, v3
	v_cvt_u32_f32_e32 v3, v3
	v_cvt_u32_f32_e32 v2, v2
	v_readfirstlane_b32 s15, v3
	v_readfirstlane_b32 s21, v2
	s_mul_i32 s34, s6, s15
	s_mul_hi_u32 s38, s6, s21
	s_mul_i32 s35, s14, s21
	s_add_i32 s34, s38, s34
	s_mul_i32 s39, s6, s21
	s_add_i32 s34, s34, s35
	s_mul_hi_u32 s38, s21, s39
	s_mul_hi_u32 s35, s21, s34
	s_mul_i32 s21, s21, s34
	s_add_u32 s21, s38, s21
	s_addc_u32 s35, 0, s35
	s_mul_hi_u32 s40, s15, s39
	s_mul_i32 s39, s15, s39
	s_add_u32 s21, s21, s39
	s_mul_hi_u32 s38, s15, s34
	s_addc_u32 s21, s35, s40
	s_addc_u32 s35, s38, 0
	s_mul_i32 s34, s15, s34
	s_add_u32 s21, s21, s34
	s_addc_u32 s34, 0, s35
	v_add_co_u32_e32 v2, vcc, s21, v2
	s_cmp_lg_u64 vcc, 0
	s_addc_u32 s15, s15, s34
	v_readfirstlane_b32 s34, v2
	s_mul_i32 s21, s6, s15
	s_mul_hi_u32 s35, s6, s34
	s_add_i32 s21, s35, s21
	s_mul_i32 s14, s14, s34
	s_add_i32 s21, s21, s14
	s_mul_i32 s6, s6, s34
	s_mul_hi_u32 s35, s15, s6
	s_mul_i32 s38, s15, s6
	s_mul_i32 s40, s34, s21
	s_mul_hi_u32 s6, s34, s6
	s_mul_hi_u32 s39, s34, s21
	s_add_u32 s6, s6, s40
	s_addc_u32 s34, 0, s39
	s_add_u32 s6, s6, s38
	s_mul_hi_u32 s14, s15, s21
	s_addc_u32 s6, s34, s35
	s_addc_u32 s14, s14, 0
	s_mul_i32 s21, s15, s21
	s_add_u32 s6, s6, s21
	s_addc_u32 s14, 0, s14
	v_add_co_u32_e32 v2, vcc, s6, v2
	s_cmp_lg_u64 vcc, 0
	s_addc_u32 s6, s15, s14
	v_readfirstlane_b32 s21, v2
	s_mul_i32 s15, s20, s6
	s_mul_hi_u32 s34, s20, s21
	s_mul_hi_u32 s14, s20, s6
	s_add_u32 s15, s34, s15
	s_addc_u32 s14, 0, s14
	s_mul_hi_u32 s35, s7, s21
	s_mul_i32 s21, s7, s21
	s_add_u32 s15, s15, s21
	s_mul_hi_u32 s34, s7, s6
	s_addc_u32 s14, s14, s35
	s_addc_u32 s15, s34, 0
	s_mul_i32 s6, s7, s6
	s_add_u32 s6, s14, s6
	s_addc_u32 s14, 0, s15
	s_mul_hi_u32 s15, s33, s6
	s_mul_i32 s6, s33, s6
	s_mul_i32 s14, s33, s14
	v_mov_b32_e32 v2, s6
	s_add_i32 s15, s15, s14
	v_sub_co_u32_e32 v2, vcc, s20, v2
	s_cmp_lg_u64 vcc, 0
	s_subb_u32 s6, s7, s15
	v_subrev_co_u32_e32 v3, vcc, s33, v2
	s_cmp_lg_u64 vcc, 0
	s_subb_u32 s14, s6, 0
	v_subrev_co_u32_e32 v4, vcc, s33, v3
	s_cmp_lg_u64 vcc, 0
	s_subb_u32 s15, s14, 0
	v_cmp_le_u32_e32 vcc, s33, v3
	s_cmp_eq_u32 s14, 0
	v_cndmask_b32_e64 v5, 0, -1, vcc
	s_cselect_b64 vcc, -1, 0
	v_cndmask_b32_e32 v5, -1, v5, vcc
	v_mov_b32_e32 v6, s14
	v_mov_b32_e32 v7, s15
	v_cmp_ne_u32_e32 vcc, 0, v5
	v_cndmask_b32_e32 v5, v6, v7, vcc
	v_cndmask_b32_e32 v4, v3, v4, vcc
	v_cmp_le_u32_e32 vcc, s33, v2
	s_cmp_eq_u32 s6, 0
	v_cndmask_b32_e64 v3, 0, -1, vcc
	s_cselect_b64 vcc, -1, 0
	v_cndmask_b32_e32 v3, -1, v3, vcc
	v_mov_b32_e32 v6, s6
	v_cmp_ne_u32_e32 vcc, 0, v3
	v_cndmask_b32_e32 v3, v6, v5, vcc
	v_cndmask_b32_e32 v2, v2, v4, vcc
	s_cbranch_execnz .LBB168_283
.LBB168_282:                            ;   in Loop: Header=BB168_6 Depth=1
	v_cvt_f32_u32_e32 v2, s33
	s_sub_i32 s6, 0, s33
	v_rcp_iflag_f32_e32 v2, v2
	v_mul_f32_e32 v2, 0x4f7ffffe, v2
	v_cvt_u32_f32_e32 v2, v2
	v_mul_lo_u32 v3, s6, v2
	v_mul_hi_u32 v3, v2, v3
	v_add_u32_e32 v2, v2, v3
	v_mul_hi_u32 v2, s20, v2
	v_mul_lo_u32 v2, v2, s33
	v_sub_u32_e32 v2, s20, v2
	v_subrev_u32_e32 v3, s33, v2
	v_cmp_le_u32_e32 vcc, s33, v2
	v_cndmask_b32_e32 v2, v2, v3, vcc
	v_subrev_u32_e32 v3, s33, v2
	v_cmp_le_u32_e32 vcc, s33, v2
	v_cndmask_b32_e32 v14, v2, v3, vcc
	v_pk_mov_b32 v[2:3], v[14:15], v[14:15] op_sel:[0,1]
.LBB168_283:                            ;   in Loop: Header=BB168_6 Depth=1
	v_mov_b32_e32 v4, s7
	v_sub_co_u32_e32 v2, vcc, s20, v2
	v_subb_co_u32_e32 v3, vcc, v4, v3, vcc
	v_cmp_gt_u64_e32 vcc, v[2:3], v[0:1]
	s_mov_b64 s[6:7], 0
                                        ; implicit-def: $vgpr43
	s_and_saveexec_b64 s[14:15], vcc
	s_cbranch_execz .LBB168_293
; %bb.284:                              ;   in Loop: Header=BB168_6 Depth=1
	s_mov_b64 s[20:21], 0
	v_mov_b32_e32 v6, v35
	v_pk_mov_b32 v[4:5], v[0:1], v[0:1] op_sel:[0,1]
                                        ; implicit-def: $sgpr34_sgpr35
	s_branch .LBB168_286
.LBB168_285:                            ;   in Loop: Header=BB168_286 Depth=2
	s_or_b64 exec, exec, s[6:7]
	s_waitcnt lgkmcnt(0)
	s_barrier
	ds_read_b32 v7, v15 offset:3072
	v_mov_b32_e32 v8, s88
	v_add_co_u32_e64 v4, s[6:7], s33, v4
	v_addc_co_u32_e64 v5, s[6:7], v5, v8, s[6:7]
	s_waitcnt lgkmcnt(0)
	v_cmp_ne_u16_e32 vcc, 0, v7
	v_cmp_ge_u64_e64 s[6:7], v[4:5], v[2:3]
	s_or_b64 s[6:7], s[6:7], vcc
	s_and_b64 s[6:7], exec, s[6:7]
	s_or_b64 s[20:21], s[6:7], s[20:21]
	s_andn2_b64 s[6:7], s[34:35], exec
	s_and_b64 s[34:35], vcc, exec
	v_add_u32_e32 v6, s0, v6
	s_or_b64 s[34:35], s[6:7], s[34:35]
	s_barrier
	s_andn2_b64 exec, exec, s[20:21]
	s_cbranch_execz .LBB168_292
.LBB168_286:                            ;   Parent Loop BB168_6 Depth=1
                                        ; =>  This Inner Loop Header: Depth=2
	v_cmp_gt_u64_e32 vcc, s[12:13], v[4:5]
	v_mov_b32_e32 v7, 0
	s_and_saveexec_b64 s[6:7], vcc
	s_cbranch_execz .LBB168_288
; %bb.287:                              ;   in Loop: Header=BB168_286 Depth=2
	ds_read_u16 v7, v6
.LBB168_288:                            ;   in Loop: Header=BB168_286 Depth=2
	s_or_b64 exec, exec, s[6:7]
	s_and_saveexec_b64 s[6:7], vcc
	s_cbranch_execz .LBB168_285
; %bb.289:                              ;   in Loop: Header=BB168_286 Depth=2
	s_waitcnt lgkmcnt(0)
	v_add_u32_sdwa v8, sext(v7), s1 dst_sel:DWORD dst_unused:UNUSED_PAD src0_sel:WORD_0 src1_sel:DWORD
	v_and_b32_e32 v8, v8, v41
	v_cmp_eq_u32_e32 vcc, v8, v42
	s_and_b64 exec, exec, vcc
	s_cbranch_execz .LBB168_285
; %bb.290:                              ;   in Loop: Header=BB168_286 Depth=2
	v_perm_b32 v7, v7, 1, v40
	ds_write_b32 v15, v7 offset:3072
	s_branch .LBB168_285
.LBB168_291:                            ;   in Loop: Header=BB168_6 Depth=1
	s_mov_b64 s[14:15], -1
	s_mov_b64 s[6:7], 0
                                        ; implicit-def: $sgpr38_sgpr39
                                        ; implicit-def: $vgpr43
	s_mov_b64 s[20:21], s[14:15]
	s_cbranch_execnz .LBB168_294
	s_branch .LBB168_307
.LBB168_292:                            ;   in Loop: Header=BB168_6 Depth=1
	s_or_b64 exec, exec, s[20:21]
	v_lshrrev_b32_e32 v43, 16, v7
	s_and_b64 s[6:7], s[34:35], exec
.LBB168_293:                            ;   in Loop: Header=BB168_6 Depth=1
	s_or_b64 exec, exec, s[14:15]
	s_mov_b64 s[14:15], 0
	s_mov_b64 s[38:39], -1
	s_mov_b64 s[20:21], s[14:15]
	s_branch .LBB168_307
.LBB168_294:                            ;   in Loop: Header=BB168_6 Depth=1
	v_readlane_b32 s12, v52, 31
	v_readlane_b32 s13, v52, 32
	s_mov_b32 s12, s83
	s_mov_b32 s7, s13
	s_cmp_lg_u64 s[12:13], 0
	v_writelane_b32 v52, s6, 31
	v_writelane_b32 v52, s7, 32
	s_cbranch_scc0 .LBB168_336
; %bb.295:                              ;   in Loop: Header=BB168_6 Depth=1
	v_cvt_f32_u32_e32 v2, s33
	s_sub_u32 s6, 0, s33
	s_subb_u32 s7, 0, 0
	v_readlane_b32 s30, v52, 31
	v_mac_f32_e32 v2, 0, v39
	v_rcp_f32_e32 v2, v2
	v_readlane_b32 s31, v52, 32
	v_mul_f32_e32 v2, 0x5f7ffffc, v2
	v_mul_f32_e32 v3, 0x2f800000, v2
	v_trunc_f32_e32 v3, v3
	v_mac_f32_e32 v2, 0xcf800000, v3
	v_cvt_u32_f32_e32 v3, v3
	v_cvt_u32_f32_e32 v2, v2
	v_readfirstlane_b32 s12, v3
	v_readfirstlane_b32 s13, v2
	s_mul_i32 s14, s6, s12
	s_mul_hi_u32 s20, s6, s13
	s_mul_i32 s15, s7, s13
	s_add_i32 s14, s20, s14
	s_mul_i32 s21, s6, s13
	s_add_i32 s14, s14, s15
	s_mul_hi_u32 s20, s13, s21
	s_mul_hi_u32 s15, s13, s14
	s_mul_i32 s13, s13, s14
	s_add_u32 s13, s20, s13
	s_addc_u32 s15, 0, s15
	s_mul_hi_u32 s34, s12, s21
	s_mul_i32 s21, s12, s21
	s_add_u32 s13, s13, s21
	s_mul_hi_u32 s20, s12, s14
	s_addc_u32 s13, s15, s34
	s_addc_u32 s15, s20, 0
	s_mul_i32 s14, s12, s14
	s_add_u32 s13, s13, s14
	s_addc_u32 s14, 0, s15
	v_add_co_u32_e32 v2, vcc, s13, v2
	s_cmp_lg_u64 vcc, 0
	s_addc_u32 s12, s12, s14
	v_readfirstlane_b32 s14, v2
	s_mul_i32 s13, s6, s12
	s_mul_hi_u32 s15, s6, s14
	s_add_i32 s13, s15, s13
	s_mul_i32 s7, s7, s14
	s_add_i32 s13, s13, s7
	s_mul_i32 s6, s6, s14
	s_mul_hi_u32 s15, s12, s6
	s_mul_i32 s20, s12, s6
	s_mul_i32 s34, s14, s13
	s_mul_hi_u32 s6, s14, s6
	s_mul_hi_u32 s21, s14, s13
	s_add_u32 s6, s6, s34
	s_addc_u32 s14, 0, s21
	s_add_u32 s6, s6, s20
	s_mul_hi_u32 s7, s12, s13
	s_addc_u32 s6, s14, s15
	s_addc_u32 s7, s7, 0
	s_mul_i32 s13, s12, s13
	s_add_u32 s6, s6, s13
	s_addc_u32 s7, 0, s7
	v_add_co_u32_e32 v2, vcc, s6, v2
	s_cmp_lg_u64 vcc, 0
	s_addc_u32 s6, s12, s7
	v_readlane_b32 s20, v52, 29
	v_readfirstlane_b32 s13, v2
	s_mul_i32 s12, s20, s6
	s_mul_hi_u32 s14, s20, s13
	s_add_u32 s12, s14, s12
	v_readlane_b32 s14, v52, 31
	v_readlane_b32 s15, v52, 32
	s_mul_hi_u32 s14, s15, s6
	s_mul_hi_u32 s15, s31, s13
	v_readlane_b32 s30, v52, 31
	s_mul_hi_u32 s7, s20, s6
	v_readlane_b32 s31, v52, 32
	s_addc_u32 s7, 0, s7
	s_mul_i32 s13, s31, s13
	s_add_u32 s12, s12, s13
	s_addc_u32 s7, s7, s15
	s_addc_u32 s12, s14, 0
	v_readlane_b32 s14, v52, 31
	v_readlane_b32 s15, v52, 32
	s_mul_i32 s6, s15, s6
	s_add_u32 s6, s7, s6
	s_addc_u32 s7, 0, s12
	s_mul_hi_u32 s12, s33, s6
	s_mul_i32 s6, s33, s6
	s_mul_i32 s7, s33, s7
	v_mov_b32_e32 v2, s6
	s_add_i32 s12, s12, s7
	v_sub_co_u32_e32 v2, vcc, s20, v2
	s_cmp_lg_u64 vcc, 0
	s_subb_u32 s6, s15, s12
	v_subrev_co_u32_e32 v3, vcc, s33, v2
	s_cmp_lg_u64 vcc, 0
	s_subb_u32 s7, s6, 0
	v_subrev_co_u32_e32 v4, vcc, s33, v3
	s_cmp_lg_u64 vcc, 0
	s_subb_u32 s12, s7, 0
	v_cmp_le_u32_e32 vcc, s33, v3
	s_cmp_eq_u32 s7, 0
	v_cndmask_b32_e64 v5, 0, -1, vcc
	s_cselect_b64 vcc, -1, 0
	v_cndmask_b32_e32 v5, -1, v5, vcc
	v_mov_b32_e32 v6, s7
	v_mov_b32_e32 v7, s12
	v_cmp_ne_u32_e32 vcc, 0, v5
	v_cndmask_b32_e32 v5, v6, v7, vcc
	v_cndmask_b32_e32 v4, v3, v4, vcc
	v_cmp_le_u32_e32 vcc, s33, v2
	s_cmp_eq_u32 s6, 0
	v_cndmask_b32_e64 v3, 0, -1, vcc
	s_cselect_b64 vcc, -1, 0
	v_cndmask_b32_e32 v3, -1, v3, vcc
	v_mov_b32_e32 v6, s6
	v_cmp_ne_u32_e32 vcc, 0, v3
	s_mov_b32 s13, s15
	v_cndmask_b32_e32 v3, v6, v5, vcc
	v_cndmask_b32_e32 v2, v2, v4, vcc
	s_cbranch_execnz .LBB168_297
.LBB168_296:                            ;   in Loop: Header=BB168_6 Depth=1
	v_cvt_f32_u32_e32 v2, s33
	s_sub_i32 s6, 0, s33
	v_rcp_iflag_f32_e32 v2, v2
	v_mul_f32_e32 v2, 0x4f7ffffe, v2
	v_cvt_u32_f32_e32 v2, v2
	v_mul_lo_u32 v3, s6, v2
	v_mul_hi_u32 v3, v2, v3
	v_add_u32_e32 v2, v2, v3
	v_readlane_b32 s6, v52, 29
	v_mul_hi_u32 v2, s6, v2
	v_mul_lo_u32 v2, v2, s33
	v_sub_u32_e32 v2, s6, v2
	v_subrev_u32_e32 v3, s33, v2
	v_cmp_le_u32_e32 vcc, s33, v2
	v_cndmask_b32_e32 v2, v2, v3, vcc
	v_subrev_u32_e32 v3, s33, v2
	v_cmp_le_u32_e32 vcc, s33, v2
	v_cndmask_b32_e32 v14, v2, v3, vcc
	v_pk_mov_b32 v[2:3], v[14:15], v[14:15] op_sel:[0,1]
.LBB168_297:                            ;   in Loop: Header=BB168_6 Depth=1
	v_readlane_b32 s6, v52, 29
	v_mov_b32_e32 v4, s13
	v_sub_co_u32_e32 v2, vcc, s6, v2
	v_subb_co_u32_e32 v3, vcc, v4, v3, vcc
	v_cmp_gt_u64_e32 vcc, v[2:3], v[0:1]
	s_mov_b64 s[6:7], 0
                                        ; implicit-def: $vgpr43
	s_and_saveexec_b64 s[12:13], vcc
	s_cbranch_execz .LBB168_306
; %bb.298:                              ;   in Loop: Header=BB168_6 Depth=1
	s_mov_b64 s[14:15], 0
	v_pk_mov_b32 v[4:5], v[12:13], v[12:13] op_sel:[0,1]
	v_pk_mov_b32 v[6:7], v[0:1], v[0:1] op_sel:[0,1]
                                        ; implicit-def: $sgpr20_sgpr21
	s_branch .LBB168_300
.LBB168_299:                            ;   in Loop: Header=BB168_300 Depth=2
	s_or_b64 exec, exec, s[6:7]
	s_waitcnt lgkmcnt(0)
	s_barrier
	s_waitcnt vmcnt(0)
	ds_read_b32 v8, v15 offset:3072
	v_mov_b32_e32 v9, s88
	v_add_co_u32_e64 v6, s[6:7], s33, v6
	v_addc_co_u32_e64 v7, s[6:7], v7, v9, s[6:7]
	s_waitcnt lgkmcnt(0)
	v_cmp_ne_u16_e32 vcc, 0, v8
	v_cmp_ge_u64_e64 s[6:7], v[6:7], v[2:3]
	s_or_b64 s[34:35], s[6:7], vcc
	v_mov_b32_e32 v9, s61
	v_add_co_u32_e64 v4, s[6:7], s60, v4
	v_addc_co_u32_e64 v5, s[6:7], v5, v9, s[6:7]
	s_and_b64 s[6:7], exec, s[34:35]
	s_or_b64 s[14:15], s[6:7], s[14:15]
	s_andn2_b64 s[6:7], s[20:21], exec
	s_and_b64 s[20:21], vcc, exec
	s_or_b64 s[20:21], s[6:7], s[20:21]
	s_barrier
	s_andn2_b64 exec, exec, s[14:15]
	s_cbranch_execz .LBB168_305
.LBB168_300:                            ;   Parent Loop BB168_6 Depth=1
                                        ; =>  This Inner Loop Header: Depth=2
	v_cmp_gt_u64_e32 vcc, s[56:57], v[6:7]
	v_mov_b32_e32 v8, 0
	s_and_saveexec_b64 s[6:7], vcc
	s_cbranch_execz .LBB168_302
; %bb.301:                              ;   in Loop: Header=BB168_300 Depth=2
	global_load_ushort v8, v[4:5], off
.LBB168_302:                            ;   in Loop: Header=BB168_300 Depth=2
	s_or_b64 exec, exec, s[6:7]
	s_and_saveexec_b64 s[6:7], vcc
	s_cbranch_execz .LBB168_299
; %bb.303:                              ;   in Loop: Header=BB168_300 Depth=2
	s_waitcnt vmcnt(0)
	v_add_u32_sdwa v9, sext(v8), s1 dst_sel:DWORD dst_unused:UNUSED_PAD src0_sel:WORD_0 src1_sel:DWORD
	v_and_b32_e32 v9, v9, v41
	v_cmp_eq_u32_e32 vcc, v9, v42
	s_and_b64 exec, exec, vcc
	s_cbranch_execz .LBB168_299
; %bb.304:                              ;   in Loop: Header=BB168_300 Depth=2
	v_perm_b32 v8, v8, 1, v40
	ds_write_b32 v15, v8 offset:3072
	s_branch .LBB168_299
.LBB168_305:                            ;   in Loop: Header=BB168_6 Depth=1
	s_or_b64 exec, exec, s[14:15]
	v_lshrrev_b32_e32 v43, 16, v8
	s_and_b64 s[6:7], s[20:21], exec
.LBB168_306:                            ;   in Loop: Header=BB168_6 Depth=1
	s_or_b64 exec, exec, s[12:13]
	s_mov_b64 s[38:39], 0
	s_mov_b64 s[14:15], -1
	s_mov_b64 s[20:21], 0
.LBB168_307:                            ;   in Loop: Header=BB168_6 Depth=1
	s_orn2_b64 s[6:7], s[6:7], exec
.LBB168_308:                            ;   in Loop: Header=BB168_6 Depth=1
	s_or_b64 exec, exec, s[4:5]
                                        ; implicit-def: $vgpr6
                                        ; implicit-def: $vgpr2_vgpr3
                                        ; implicit-def: $vgpr28
                                        ; implicit-def: $vgpr29
                                        ; implicit-def: $vgpr30
	s_and_saveexec_b64 s[34:35], s[6:7]
	s_cbranch_execz .LBB168_471
; %bb.309:                              ;   in Loop: Header=BB168_6 Depth=1
	v_mov_b32_e32 v2, 1
	s_xor_b64 s[12:13], s[36:37], -1
	s_mov_b64 s[6:7], 0
	v_mov_b32_e32 v3, 0
	v_mov_b32_e32 v6, 1
	s_and_saveexec_b64 s[4:5], s[12:13]
	s_cbranch_execz .LBB168_319
; %bb.310:                              ;   in Loop: Header=BB168_6 Depth=1
	v_cmp_ge_u64_e32 vcc, s[24:25], v[26:27]
                                        ; implicit-def: $sgpr36
                                        ; implicit-def: $sgpr6_sgpr7
	s_and_saveexec_b64 s[12:13], vcc
	s_xor_b64 s[12:13], exec, s[12:13]
	s_cbranch_execz .LBB168_316
; %bb.311:                              ;   in Loop: Header=BB168_6 Depth=1
	ds_read_b64 v[2:3], v15 offset:5120
	s_waitcnt lgkmcnt(0)
	v_cmp_ne_u64_e32 vcc, 0, v[2:3]
	s_cbranch_vccnz .LBB168_315
; %bb.312:                              ;   in Loop: Header=BB168_6 Depth=1
	v_readlane_b32 s30, v52, 8
	v_readlane_b32 s31, v52, 9
	s_and_saveexec_b64 s[6:7], s[30:31]
	s_cbranch_execz .LBB168_314
; %bb.313:                              ;   in Loop: Header=BB168_6 Depth=1
	v_pk_mov_b32 v[2:3], s[24:25], s[24:25] op_sel:[0,1]
	ds_write_b64 v15, v[2:3] offset:5128
.LBB168_314:                            ;   in Loop: Header=BB168_6 Depth=1
	s_or_b64 exec, exec, s[6:7]
	s_waitcnt lgkmcnt(0)
	s_barrier
.LBB168_315:                            ;   in Loop: Header=BB168_6 Depth=1
	v_or_b32_e32 v42, s82, v42
	v_or_b32_e32 v41, s82, v41
	s_mov_b64 s[6:7], 0
	s_mov_b32 s36, 5
.LBB168_316:                            ;   in Loop: Header=BB168_6 Depth=1
	s_or_saveexec_b64 s[12:13], s[12:13]
	v_mov_b32_e32 v6, s36
	s_xor_b64 exec, exec, s[12:13]
; %bb.317:                              ;   in Loop: Header=BB168_6 Depth=1
	v_mov_b32_e32 v2, s25
	v_subrev_co_u32_e32 v26, vcc, s24, v26
	v_subb_co_u32_e32 v27, vcc, v27, v2, vcc
	v_mov_b32_e32 v6, 0
	s_or_b64 s[6:7], s[6:7], exec
; %bb.318:                              ;   in Loop: Header=BB168_6 Depth=1
	s_or_b64 exec, exec, s[12:13]
	s_and_b64 s[6:7], s[6:7], exec
	v_pk_mov_b32 v[2:3], v[26:27], v[26:27] op_sel:[0,1]
.LBB168_319:                            ;   in Loop: Header=BB168_6 Depth=1
	s_or_b64 exec, exec, s[4:5]
	s_mov_b64 s[40:41], -1
                                        ; implicit-def: $sgpr4_sgpr5
                                        ; implicit-def: $sgpr12_sgpr13
                                        ; implicit-def: $sgpr36_sgpr37
	s_and_saveexec_b64 s[24:25], s[6:7]
	s_xor_b64 s[24:25], exec, s[24:25]
	s_cbranch_execz .LBB168_468
; %bb.320:                              ;   in Loop: Header=BB168_6 Depth=1
	s_cmp_eq_u64 s[22:23], 1
	s_cselect_b64 s[4:5], -1, 0
	v_cmp_eq_u64_e32 vcc, 1, v[2:3]
	s_and_b64 s[4:5], s[4:5], vcc
	s_mov_b64 s[12:13], -1
                                        ; implicit-def: $sgpr36_sgpr37
                                        ; implicit-def: $sgpr40_sgpr41
                                        ; implicit-def: $sgpr42_sgpr43
	s_and_saveexec_b64 s[44:45], s[4:5]
	s_cbranch_execz .LBB168_354
; %bb.321:                              ;   in Loop: Header=BB168_6 Depth=1
	ds_read_b64 v[4:5], v15 offset:5120
	v_readlane_b32 s30, v52, 24
	v_readlane_b32 s31, v52, 25
	s_waitcnt lgkmcnt(0)
	s_barrier
	v_readfirstlane_b32 s12, v4
	v_readfirstlane_b32 s13, v5
	s_and_saveexec_b64 s[6:7], s[30:31]
	s_cbranch_execz .LBB168_323
; %bb.322:                              ;   in Loop: Header=BB168_6 Depth=1
	ds_write_b16 v36, v15
.LBB168_323:                            ;   in Loop: Header=BB168_6 Depth=1
	s_or_b64 exec, exec, s[6:7]
	v_and_b32_e32 v4, s90, v42
	v_lshl_or_b32 v42, 2, s91, v4
	v_or_b32_e32 v41, s82, v41
	s_cmp_eq_u64 s[12:13], 0
	s_waitcnt lgkmcnt(0)
	s_barrier
	s_cbranch_scc1 .LBB168_337
; %bb.324:                              ;   in Loop: Header=BB168_6 Depth=1
	v_readlane_b32 s6, v52, 28
	s_add_u32 s40, s6, s12
	v_readlane_b32 s6, v52, 30
	s_addc_u32 s7, s6, s13
	s_mov_b32 s6, s83
	s_cmp_lg_u64 s[6:7], 0
	s_cbranch_scc0 .LBB168_381
; %bb.325:                              ;   in Loop: Header=BB168_6 Depth=1
	v_cvt_f32_u32_e32 v4, s33
	s_sub_u32 s6, 0, s33
	s_subb_u32 s36, 0, 0
	v_mac_f32_e32 v4, 0, v39
	v_rcp_f32_e32 v4, v4
	v_mul_f32_e32 v4, 0x5f7ffffc, v4
	v_mul_f32_e32 v5, 0x2f800000, v4
	v_trunc_f32_e32 v5, v5
	v_mac_f32_e32 v4, 0xcf800000, v5
	v_cvt_u32_f32_e32 v5, v5
	v_cvt_u32_f32_e32 v4, v4
	v_readfirstlane_b32 s37, v5
	v_readfirstlane_b32 s41, v4
	s_mul_i32 s42, s6, s37
	s_mul_hi_u32 s46, s6, s41
	s_mul_i32 s43, s36, s41
	s_add_i32 s42, s46, s42
	s_mul_i32 s47, s6, s41
	s_add_i32 s42, s42, s43
	s_mul_hi_u32 s46, s41, s47
	s_mul_hi_u32 s43, s41, s42
	s_mul_i32 s41, s41, s42
	s_add_u32 s41, s46, s41
	s_addc_u32 s43, 0, s43
	s_mul_hi_u32 s48, s37, s47
	s_mul_i32 s47, s37, s47
	s_add_u32 s41, s41, s47
	s_mul_hi_u32 s46, s37, s42
	s_addc_u32 s41, s43, s48
	s_addc_u32 s43, s46, 0
	s_mul_i32 s42, s37, s42
	s_add_u32 s41, s41, s42
	s_addc_u32 s42, 0, s43
	v_add_co_u32_e32 v4, vcc, s41, v4
	s_cmp_lg_u64 vcc, 0
	s_addc_u32 s37, s37, s42
	v_readfirstlane_b32 s42, v4
	s_mul_i32 s41, s6, s37
	s_mul_hi_u32 s43, s6, s42
	s_add_i32 s41, s43, s41
	s_mul_i32 s36, s36, s42
	s_add_i32 s41, s41, s36
	s_mul_i32 s6, s6, s42
	s_mul_hi_u32 s43, s37, s6
	s_mul_i32 s46, s37, s6
	s_mul_i32 s48, s42, s41
	s_mul_hi_u32 s6, s42, s6
	s_mul_hi_u32 s47, s42, s41
	s_add_u32 s6, s6, s48
	s_addc_u32 s42, 0, s47
	s_add_u32 s6, s6, s46
	s_mul_hi_u32 s36, s37, s41
	s_addc_u32 s6, s42, s43
	s_addc_u32 s36, s36, 0
	s_mul_i32 s41, s37, s41
	s_add_u32 s6, s6, s41
	s_addc_u32 s36, 0, s36
	v_add_co_u32_e32 v4, vcc, s6, v4
	s_cmp_lg_u64 vcc, 0
	s_addc_u32 s6, s37, s36
	v_readfirstlane_b32 s41, v4
	s_mul_i32 s37, s40, s6
	s_mul_hi_u32 s42, s40, s41
	s_mul_hi_u32 s36, s40, s6
	s_add_u32 s37, s42, s37
	s_addc_u32 s36, 0, s36
	s_mul_hi_u32 s43, s7, s41
	s_mul_i32 s41, s7, s41
	s_add_u32 s37, s37, s41
	s_mul_hi_u32 s42, s7, s6
	s_addc_u32 s36, s36, s43
	s_addc_u32 s37, s42, 0
	s_mul_i32 s6, s7, s6
	s_add_u32 s6, s36, s6
	s_addc_u32 s36, 0, s37
	s_mul_hi_u32 s37, s33, s6
	s_mul_i32 s6, s33, s6
	s_mul_i32 s36, s33, s36
	v_mov_b32_e32 v4, s6
	s_add_i32 s37, s37, s36
	v_sub_co_u32_e32 v4, vcc, s40, v4
	s_cmp_lg_u64 vcc, 0
	s_subb_u32 s6, s7, s37
	v_subrev_co_u32_e32 v5, vcc, s33, v4
	s_cmp_lg_u64 vcc, 0
	s_subb_u32 s36, s6, 0
	v_subrev_co_u32_e32 v6, vcc, s33, v5
	s_cmp_lg_u64 vcc, 0
	s_subb_u32 s37, s36, 0
	v_cmp_le_u32_e32 vcc, s33, v5
	s_cmp_eq_u32 s36, 0
	v_cndmask_b32_e64 v7, 0, -1, vcc
	s_cselect_b64 vcc, -1, 0
	v_cndmask_b32_e32 v7, -1, v7, vcc
	v_mov_b32_e32 v8, s36
	v_mov_b32_e32 v9, s37
	v_cmp_ne_u32_e32 vcc, 0, v7
	v_cndmask_b32_e32 v7, v8, v9, vcc
	v_cndmask_b32_e32 v6, v5, v6, vcc
	v_cmp_le_u32_e32 vcc, s33, v4
	s_cmp_eq_u32 s6, 0
	v_cndmask_b32_e64 v5, 0, -1, vcc
	s_cselect_b64 vcc, -1, 0
	v_cndmask_b32_e32 v5, -1, v5, vcc
	v_mov_b32_e32 v8, s6
	v_cmp_ne_u32_e32 vcc, 0, v5
	v_cndmask_b32_e32 v5, v8, v7, vcc
	v_cndmask_b32_e32 v4, v4, v6, vcc
	s_cbranch_execnz .LBB168_327
.LBB168_326:                            ;   in Loop: Header=BB168_6 Depth=1
	v_cvt_f32_u32_e32 v4, s33
	s_sub_i32 s6, 0, s33
	v_rcp_iflag_f32_e32 v4, v4
	v_mul_f32_e32 v4, 0x4f7ffffe, v4
	v_cvt_u32_f32_e32 v4, v4
	v_mul_lo_u32 v5, s6, v4
	v_mul_hi_u32 v5, v4, v5
	v_add_u32_e32 v4, v4, v5
	v_mul_hi_u32 v4, s40, v4
	v_mul_lo_u32 v4, v4, s33
	v_sub_u32_e32 v4, s40, v4
	v_subrev_u32_e32 v5, s33, v4
	v_cmp_le_u32_e32 vcc, s33, v4
	v_cndmask_b32_e32 v4, v4, v5, vcc
	v_subrev_u32_e32 v5, s33, v4
	v_cmp_le_u32_e32 vcc, s33, v4
	v_cndmask_b32_e32 v14, v4, v5, vcc
	v_pk_mov_b32 v[4:5], v[14:15], v[14:15] op_sel:[0,1]
.LBB168_327:                            ;   in Loop: Header=BB168_6 Depth=1
	v_mov_b32_e32 v6, s7
	v_sub_co_u32_e32 v4, vcc, s40, v4
	v_subb_co_u32_e32 v5, vcc, v6, v5, vcc
	v_cmp_gt_u64_e32 vcc, v[4:5], v[0:1]
	s_mov_b64 s[6:7], 0
                                        ; implicit-def: $vgpr43
	s_and_saveexec_b64 s[36:37], vcc
	s_cbranch_execz .LBB168_339
; %bb.328:                              ;   in Loop: Header=BB168_6 Depth=1
	s_mov_b64 s[40:41], 0
	v_mov_b32_e32 v8, v35
	v_pk_mov_b32 v[6:7], v[0:1], v[0:1] op_sel:[0,1]
                                        ; implicit-def: $sgpr42_sgpr43
	s_branch .LBB168_330
.LBB168_329:                            ;   in Loop: Header=BB168_330 Depth=2
	s_or_b64 exec, exec, s[6:7]
	s_waitcnt lgkmcnt(0)
	s_barrier
	ds_read_b32 v9, v15 offset:3072
	v_mov_b32_e32 v14, s88
	v_add_co_u32_e64 v6, s[6:7], s33, v6
	v_addc_co_u32_e64 v7, s[6:7], v7, v14, s[6:7]
	s_waitcnt lgkmcnt(0)
	v_cmp_ne_u16_e32 vcc, 0, v9
	v_cmp_ge_u64_e64 s[6:7], v[6:7], v[4:5]
	s_or_b64 s[6:7], s[6:7], vcc
	s_and_b64 s[6:7], exec, s[6:7]
	s_or_b64 s[40:41], s[6:7], s[40:41]
	s_andn2_b64 s[6:7], s[42:43], exec
	s_and_b64 s[42:43], vcc, exec
	v_add_u32_e32 v8, s0, v8
	s_or_b64 s[42:43], s[6:7], s[42:43]
	s_barrier
	s_andn2_b64 exec, exec, s[40:41]
	s_cbranch_execz .LBB168_338
.LBB168_330:                            ;   Parent Loop BB168_6 Depth=1
                                        ; =>  This Inner Loop Header: Depth=2
	v_cmp_gt_u64_e32 vcc, s[12:13], v[6:7]
	v_mov_b32_e32 v9, 0
	s_and_saveexec_b64 s[6:7], vcc
	s_cbranch_execz .LBB168_332
; %bb.331:                              ;   in Loop: Header=BB168_330 Depth=2
	ds_read_u16 v9, v8
.LBB168_332:                            ;   in Loop: Header=BB168_330 Depth=2
	s_or_b64 exec, exec, s[6:7]
	s_and_saveexec_b64 s[6:7], vcc
	s_cbranch_execz .LBB168_329
; %bb.333:                              ;   in Loop: Header=BB168_330 Depth=2
	s_waitcnt lgkmcnt(0)
	v_add_u32_sdwa v14, sext(v9), s1 dst_sel:DWORD dst_unused:UNUSED_PAD src0_sel:WORD_0 src1_sel:DWORD
	v_and_b32_e32 v14, v14, v41
	v_cmp_eq_u32_e32 vcc, v14, v42
	s_and_b64 exec, exec, vcc
	s_cbranch_execz .LBB168_329
; %bb.334:                              ;   in Loop: Header=BB168_330 Depth=2
	v_perm_b32 v9, v9, 1, v40
	ds_write_b32 v15, v9 offset:3072
	s_branch .LBB168_329
.LBB168_335:                            ;   in Loop: Header=BB168_6 Depth=1
                                        ; implicit-def: $vgpr2_vgpr3
	s_branch .LBB168_282
.LBB168_336:                            ;   in Loop: Header=BB168_6 Depth=1
                                        ; implicit-def: $vgpr2_vgpr3
	s_branch .LBB168_296
.LBB168_337:                            ;   in Loop: Header=BB168_6 Depth=1
	s_mov_b64 s[36:37], -1
	s_mov_b64 s[6:7], 0
                                        ; implicit-def: $sgpr40_sgpr41
                                        ; implicit-def: $vgpr43
	s_mov_b64 s[42:43], s[36:37]
	s_cbranch_execnz .LBB168_340
	s_branch .LBB168_353
.LBB168_338:                            ;   in Loop: Header=BB168_6 Depth=1
	s_or_b64 exec, exec, s[40:41]
	v_lshrrev_b32_e32 v43, 16, v9
	s_and_b64 s[6:7], s[42:43], exec
.LBB168_339:                            ;   in Loop: Header=BB168_6 Depth=1
	s_or_b64 exec, exec, s[36:37]
	s_mov_b64 s[36:37], 0
	s_mov_b64 s[40:41], -1
	s_mov_b64 s[42:43], s[36:37]
	s_branch .LBB168_353
.LBB168_340:                            ;   in Loop: Header=BB168_6 Depth=1
	v_readlane_b32 s30, v52, 31
	v_readlane_b32 s31, v52, 32
	s_mov_b32 s30, s83
	s_cmp_lg_u64 s[30:31], 0
	v_writelane_b32 v52, s30, 31
	v_writelane_b32 v52, s31, 32
	s_cbranch_scc0 .LBB168_382
; %bb.341:                              ;   in Loop: Header=BB168_6 Depth=1
	v_cvt_f32_u32_e32 v4, s33
	s_sub_u32 s6, 0, s33
	s_subb_u32 s7, 0, 0
	v_readlane_b32 s30, v52, 29
	v_mac_f32_e32 v4, 0, v39
	v_rcp_f32_e32 v4, v4
	v_mul_f32_e32 v4, 0x5f7ffffc, v4
	v_mul_f32_e32 v5, 0x2f800000, v4
	v_trunc_f32_e32 v5, v5
	v_mac_f32_e32 v4, 0xcf800000, v5
	v_cvt_u32_f32_e32 v5, v5
	v_cvt_u32_f32_e32 v4, v4
	v_readfirstlane_b32 s12, v5
	v_readfirstlane_b32 s13, v4
	s_mul_i32 s36, s6, s12
	s_mul_hi_u32 s40, s6, s13
	s_mul_i32 s37, s7, s13
	s_add_i32 s36, s40, s36
	s_mul_i32 s41, s6, s13
	s_add_i32 s36, s36, s37
	s_mul_hi_u32 s40, s13, s41
	s_mul_hi_u32 s37, s13, s36
	s_mul_i32 s13, s13, s36
	s_add_u32 s13, s40, s13
	s_addc_u32 s37, 0, s37
	s_mul_hi_u32 s42, s12, s41
	s_mul_i32 s41, s12, s41
	s_add_u32 s13, s13, s41
	s_mul_hi_u32 s40, s12, s36
	s_addc_u32 s13, s37, s42
	s_addc_u32 s37, s40, 0
	s_mul_i32 s36, s12, s36
	s_add_u32 s13, s13, s36
	s_addc_u32 s36, 0, s37
	v_add_co_u32_e32 v4, vcc, s13, v4
	s_cmp_lg_u64 vcc, 0
	s_addc_u32 s12, s12, s36
	v_readfirstlane_b32 s36, v4
	s_mul_i32 s13, s6, s12
	s_mul_hi_u32 s37, s6, s36
	s_add_i32 s13, s37, s13
	s_mul_i32 s7, s7, s36
	s_add_i32 s13, s13, s7
	s_mul_i32 s6, s6, s36
	s_mul_hi_u32 s37, s12, s6
	s_mul_i32 s40, s12, s6
	s_mul_i32 s42, s36, s13
	s_mul_hi_u32 s6, s36, s6
	s_mul_hi_u32 s41, s36, s13
	s_add_u32 s6, s6, s42
	s_addc_u32 s36, 0, s41
	s_add_u32 s6, s6, s40
	s_mul_hi_u32 s7, s12, s13
	s_addc_u32 s6, s36, s37
	s_addc_u32 s7, s7, 0
	s_mul_i32 s13, s12, s13
	s_add_u32 s6, s6, s13
	s_addc_u32 s7, 0, s7
	v_add_co_u32_e32 v4, vcc, s6, v4
	s_cmp_lg_u64 vcc, 0
	s_addc_u32 s6, s12, s7
	v_readfirstlane_b32 s13, v4
	s_mul_i32 s12, s30, s6
	s_mul_hi_u32 s36, s30, s13
	s_mul_hi_u32 s7, s30, s6
	s_add_u32 s12, s36, s12
	s_addc_u32 s7, 0, s7
	s_mul_hi_u32 s37, s31, s13
	s_mul_i32 s13, s31, s13
	s_add_u32 s12, s12, s13
	s_mul_hi_u32 s36, s31, s6
	s_addc_u32 s7, s7, s37
	s_addc_u32 s12, s36, 0
	s_mul_i32 s6, s31, s6
	s_add_u32 s6, s7, s6
	s_addc_u32 s7, 0, s12
	s_mul_hi_u32 s12, s33, s6
	s_mul_i32 s6, s33, s6
	s_mul_i32 s7, s33, s7
	v_mov_b32_e32 v4, s6
	s_add_i32 s12, s12, s7
	v_sub_co_u32_e32 v4, vcc, s30, v4
	s_cmp_lg_u64 vcc, 0
	s_subb_u32 s6, s31, s12
	v_subrev_co_u32_e32 v5, vcc, s33, v4
	s_cmp_lg_u64 vcc, 0
	s_subb_u32 s7, s6, 0
	v_subrev_co_u32_e32 v6, vcc, s33, v5
	s_cmp_lg_u64 vcc, 0
	s_subb_u32 s12, s7, 0
	v_cmp_le_u32_e32 vcc, s33, v5
	s_cmp_eq_u32 s7, 0
	v_cndmask_b32_e64 v7, 0, -1, vcc
	s_cselect_b64 vcc, -1, 0
	v_cndmask_b32_e32 v7, -1, v7, vcc
	v_mov_b32_e32 v8, s7
	v_mov_b32_e32 v9, s12
	v_cmp_ne_u32_e32 vcc, 0, v7
	v_cndmask_b32_e32 v7, v8, v9, vcc
	v_cndmask_b32_e32 v6, v5, v6, vcc
	v_cmp_le_u32_e32 vcc, s33, v4
	s_cmp_eq_u32 s6, 0
	v_cndmask_b32_e64 v5, 0, -1, vcc
	s_cselect_b64 vcc, -1, 0
	v_cndmask_b32_e32 v5, -1, v5, vcc
	v_mov_b32_e32 v8, s6
	v_cmp_ne_u32_e32 vcc, 0, v5
	v_cndmask_b32_e32 v5, v8, v7, vcc
	v_cndmask_b32_e32 v4, v4, v6, vcc
	s_cbranch_execnz .LBB168_343
.LBB168_342:                            ;   in Loop: Header=BB168_6 Depth=1
	v_cvt_f32_u32_e32 v4, s33
	s_sub_i32 s6, 0, s33
	v_rcp_iflag_f32_e32 v4, v4
	v_mul_f32_e32 v4, 0x4f7ffffe, v4
	v_cvt_u32_f32_e32 v4, v4
	v_mul_lo_u32 v5, s6, v4
	v_mul_hi_u32 v5, v4, v5
	v_add_u32_e32 v4, v4, v5
	v_readlane_b32 s6, v52, 29
	v_mul_hi_u32 v4, s6, v4
	v_mul_lo_u32 v4, v4, s33
	v_sub_u32_e32 v4, s6, v4
	v_subrev_u32_e32 v5, s33, v4
	v_cmp_le_u32_e32 vcc, s33, v4
	v_cndmask_b32_e32 v4, v4, v5, vcc
	v_subrev_u32_e32 v5, s33, v4
	v_cmp_le_u32_e32 vcc, s33, v4
	v_cndmask_b32_e32 v14, v4, v5, vcc
	v_pk_mov_b32 v[4:5], v[14:15], v[14:15] op_sel:[0,1]
.LBB168_343:                            ;   in Loop: Header=BB168_6 Depth=1
	v_readlane_b32 s6, v52, 31
	v_readlane_b32 s7, v52, 32
	;; [unrolled: 1-line block ×3, first 2 shown]
	v_mov_b32_e32 v6, s7
	v_sub_co_u32_e32 v4, vcc, s6, v4
	v_subb_co_u32_e32 v5, vcc, v6, v5, vcc
	v_cmp_gt_u64_e32 vcc, v[4:5], v[0:1]
	s_mov_b64 s[6:7], 0
                                        ; implicit-def: $vgpr43
	s_and_saveexec_b64 s[12:13], vcc
	s_cbranch_execz .LBB168_352
; %bb.344:                              ;   in Loop: Header=BB168_6 Depth=1
	s_mov_b64 s[36:37], 0
	v_pk_mov_b32 v[6:7], v[12:13], v[12:13] op_sel:[0,1]
	v_pk_mov_b32 v[8:9], v[0:1], v[0:1] op_sel:[0,1]
                                        ; implicit-def: $sgpr40_sgpr41
	s_branch .LBB168_346
.LBB168_345:                            ;   in Loop: Header=BB168_346 Depth=2
	s_or_b64 exec, exec, s[6:7]
	s_waitcnt lgkmcnt(0)
	s_barrier
	s_waitcnt vmcnt(0)
	ds_read_b32 v14, v15 offset:3072
	v_mov_b32_e32 v26, s88
	v_add_co_u32_e64 v8, s[6:7], s33, v8
	v_addc_co_u32_e64 v9, s[6:7], v9, v26, s[6:7]
	s_waitcnt lgkmcnt(0)
	v_cmp_ne_u16_e32 vcc, 0, v14
	v_cmp_ge_u64_e64 s[6:7], v[8:9], v[4:5]
	s_or_b64 s[42:43], s[6:7], vcc
	v_mov_b32_e32 v26, s61
	v_add_co_u32_e64 v6, s[6:7], s60, v6
	v_addc_co_u32_e64 v7, s[6:7], v7, v26, s[6:7]
	s_and_b64 s[6:7], exec, s[42:43]
	s_or_b64 s[36:37], s[6:7], s[36:37]
	s_andn2_b64 s[6:7], s[40:41], exec
	s_and_b64 s[40:41], vcc, exec
	s_or_b64 s[40:41], s[6:7], s[40:41]
	s_barrier
	s_andn2_b64 exec, exec, s[36:37]
	s_cbranch_execz .LBB168_351
.LBB168_346:                            ;   Parent Loop BB168_6 Depth=1
                                        ; =>  This Inner Loop Header: Depth=2
	v_cmp_gt_u64_e32 vcc, s[56:57], v[8:9]
	v_mov_b32_e32 v14, 0
	s_and_saveexec_b64 s[6:7], vcc
	s_cbranch_execz .LBB168_348
; %bb.347:                              ;   in Loop: Header=BB168_346 Depth=2
	global_load_ushort v14, v[6:7], off
.LBB168_348:                            ;   in Loop: Header=BB168_346 Depth=2
	s_or_b64 exec, exec, s[6:7]
	s_and_saveexec_b64 s[6:7], vcc
	s_cbranch_execz .LBB168_345
; %bb.349:                              ;   in Loop: Header=BB168_346 Depth=2
	s_waitcnt vmcnt(0)
	v_add_u32_sdwa v26, sext(v14), s1 dst_sel:DWORD dst_unused:UNUSED_PAD src0_sel:WORD_0 src1_sel:DWORD
	v_and_b32_e32 v26, v26, v41
	v_cmp_eq_u32_e32 vcc, v26, v42
	s_and_b64 exec, exec, vcc
	s_cbranch_execz .LBB168_345
; %bb.350:                              ;   in Loop: Header=BB168_346 Depth=2
	v_perm_b32 v14, v14, 1, v40
	ds_write_b32 v15, v14 offset:3072
	s_branch .LBB168_345
.LBB168_351:                            ;   in Loop: Header=BB168_6 Depth=1
	s_or_b64 exec, exec, s[36:37]
	v_lshrrev_b32_e32 v43, 16, v14
	s_and_b64 s[6:7], s[40:41], exec
.LBB168_352:                            ;   in Loop: Header=BB168_6 Depth=1
	s_or_b64 exec, exec, s[12:13]
	s_mov_b64 s[40:41], 0
	s_mov_b64 s[36:37], -1
	s_mov_b64 s[42:43], 0
.LBB168_353:                            ;   in Loop: Header=BB168_6 Depth=1
	s_orn2_b64 s[12:13], s[6:7], exec
.LBB168_354:                            ;   in Loop: Header=BB168_6 Depth=1
	s_or_b64 exec, exec, s[44:45]
	s_mov_b64 s[6:7], 0
                                        ; implicit-def: $vgpr6
	s_and_saveexec_b64 s[44:45], s[12:13]
	s_cbranch_execz .LBB168_467
; %bb.355:                              ;   in Loop: Header=BB168_6 Depth=1
	v_mov_b32_e32 v4, 1
	s_xor_b64 s[6:7], s[4:5], -1
	s_mov_b64 s[12:13], 0
	v_mov_b32_e32 v5, 0
	v_mov_b32_e32 v6, 1
	s_and_saveexec_b64 s[4:5], s[6:7]
	s_cbranch_execz .LBB168_365
; %bb.356:                              ;   in Loop: Header=BB168_6 Depth=1
	v_cmp_ge_u64_e32 vcc, s[22:23], v[2:3]
                                        ; implicit-def: $sgpr46
                                        ; implicit-def: $sgpr6_sgpr7
	s_and_saveexec_b64 s[12:13], vcc
	s_xor_b64 s[12:13], exec, s[12:13]
	s_cbranch_execz .LBB168_362
; %bb.357:                              ;   in Loop: Header=BB168_6 Depth=1
	ds_read_b64 v[4:5], v15 offset:5120
	s_waitcnt lgkmcnt(0)
	v_cmp_ne_u64_e32 vcc, 0, v[4:5]
	s_cbranch_vccnz .LBB168_361
; %bb.358:                              ;   in Loop: Header=BB168_6 Depth=1
	v_readlane_b32 s30, v52, 8
	v_readlane_b32 s31, v52, 9
	s_and_saveexec_b64 s[6:7], s[30:31]
	s_cbranch_execz .LBB168_360
; %bb.359:                              ;   in Loop: Header=BB168_6 Depth=1
	v_pk_mov_b32 v[4:5], s[22:23], s[22:23] op_sel:[0,1]
	ds_write_b64 v15, v[4:5] offset:5128
.LBB168_360:                            ;   in Loop: Header=BB168_6 Depth=1
	s_or_b64 exec, exec, s[6:7]
	s_waitcnt lgkmcnt(0)
	s_barrier
.LBB168_361:                            ;   in Loop: Header=BB168_6 Depth=1
	v_and_b32_e32 v4, s90, v42
	v_lshl_or_b32 v42, 2, s91, v4
	v_or_b32_e32 v41, s82, v41
	s_mov_b64 s[6:7], 0
	s_mov_b32 s46, 5
.LBB168_362:                            ;   in Loop: Header=BB168_6 Depth=1
	s_or_saveexec_b64 s[12:13], s[12:13]
	v_mov_b32_e32 v6, s46
	s_xor_b64 exec, exec, s[12:13]
; %bb.363:                              ;   in Loop: Header=BB168_6 Depth=1
	v_mov_b32_e32 v4, s23
	v_subrev_co_u32_e32 v2, vcc, s22, v2
	v_subb_co_u32_e32 v3, vcc, v3, v4, vcc
	v_mov_b32_e32 v6, 0
	s_or_b64 s[6:7], s[6:7], exec
; %bb.364:                              ;   in Loop: Header=BB168_6 Depth=1
	s_or_b64 exec, exec, s[12:13]
	s_and_b64 s[12:13], s[6:7], exec
	v_pk_mov_b32 v[4:5], v[2:3], v[2:3] op_sel:[0,1]
.LBB168_365:                            ;   in Loop: Header=BB168_6 Depth=1
	s_or_b64 exec, exec, s[4:5]
	s_mov_b64 s[4:5], -1
                                        ; implicit-def: $sgpr6_sgpr7
                                        ; implicit-def: $sgpr46_sgpr47
                                        ; implicit-def: $sgpr52_sgpr53
	s_and_saveexec_b64 s[22:23], s[12:13]
	s_cbranch_execz .LBB168_466
; %bb.366:                              ;   in Loop: Header=BB168_6 Depth=1
	s_cmp_eq_u64 s[18:19], 1
	s_cselect_b64 s[4:5], -1, 0
	v_cmp_eq_u64_e32 vcc, 1, v[4:5]
	s_and_b64 s[4:5], s[4:5], vcc
	s_mov_b64 s[6:7], -1
                                        ; implicit-def: $sgpr46_sgpr47
                                        ; implicit-def: $sgpr48_sgpr49
                                        ; implicit-def: $sgpr50_sgpr51
	s_and_saveexec_b64 s[52:53], s[4:5]
	s_cbranch_execz .LBB168_400
; %bb.367:                              ;   in Loop: Header=BB168_6 Depth=1
	ds_read_b64 v[2:3], v15 offset:5120
	v_readlane_b32 s30, v52, 24
	v_readlane_b32 s31, v52, 25
	s_waitcnt lgkmcnt(0)
	s_barrier
	v_readfirstlane_b32 s12, v2
	v_readfirstlane_b32 s13, v3
	s_and_saveexec_b64 s[6:7], s[30:31]
	s_cbranch_execz .LBB168_369
; %bb.368:                              ;   in Loop: Header=BB168_6 Depth=1
	ds_write_b16 v36, v15
.LBB168_369:                            ;   in Loop: Header=BB168_6 Depth=1
	s_or_b64 exec, exec, s[6:7]
	v_and_b32_e32 v2, s90, v42
	v_lshl_or_b32 v42, 1, s91, v2
	v_or_b32_e32 v41, s82, v41
	s_cmp_eq_u64 s[12:13], 0
	s_waitcnt lgkmcnt(0)
	s_barrier
	s_cbranch_scc1 .LBB168_383
; %bb.370:                              ;   in Loop: Header=BB168_6 Depth=1
	v_readlane_b32 s6, v52, 28
	s_add_u32 s48, s6, s12
	v_readlane_b32 s6, v52, 30
	s_addc_u32 s7, s6, s13
	s_mov_b32 s6, s83
	s_cmp_lg_u64 s[6:7], 0
	s_cbranch_scc0 .LBB168_418
; %bb.371:                              ;   in Loop: Header=BB168_6 Depth=1
	v_cvt_f32_u32_e32 v2, s33
	s_sub_u32 s6, 0, s33
	s_subb_u32 s46, 0, 0
	v_mac_f32_e32 v2, 0, v39
	v_rcp_f32_e32 v2, v2
	v_mul_f32_e32 v2, 0x5f7ffffc, v2
	v_mul_f32_e32 v3, 0x2f800000, v2
	v_trunc_f32_e32 v3, v3
	v_mac_f32_e32 v2, 0xcf800000, v3
	v_cvt_u32_f32_e32 v3, v3
	v_cvt_u32_f32_e32 v2, v2
	v_readfirstlane_b32 s47, v3
	v_readfirstlane_b32 s49, v2
	s_mul_i32 s50, s6, s47
	s_mul_hi_u32 s54, s6, s49
	s_mul_i32 s51, s46, s49
	s_add_i32 s50, s54, s50
	s_mul_i32 s55, s6, s49
	s_add_i32 s50, s50, s51
	s_mul_hi_u32 s54, s49, s55
	s_mul_hi_u32 s51, s49, s50
	s_mul_i32 s49, s49, s50
	s_add_u32 s49, s54, s49
	s_addc_u32 s51, 0, s51
	s_mul_hi_u32 s68, s47, s55
	s_mul_i32 s55, s47, s55
	s_add_u32 s49, s49, s55
	s_mul_hi_u32 s54, s47, s50
	s_addc_u32 s49, s51, s68
	s_addc_u32 s51, s54, 0
	s_mul_i32 s50, s47, s50
	s_add_u32 s49, s49, s50
	s_addc_u32 s50, 0, s51
	v_add_co_u32_e32 v2, vcc, s49, v2
	s_cmp_lg_u64 vcc, 0
	s_addc_u32 s47, s47, s50
	v_readfirstlane_b32 s50, v2
	s_mul_i32 s49, s6, s47
	s_mul_hi_u32 s51, s6, s50
	s_add_i32 s49, s51, s49
	s_mul_i32 s46, s46, s50
	s_add_i32 s49, s49, s46
	s_mul_i32 s6, s6, s50
	s_mul_hi_u32 s51, s47, s6
	s_mul_i32 s54, s47, s6
	s_mul_i32 s68, s50, s49
	s_mul_hi_u32 s6, s50, s6
	s_mul_hi_u32 s55, s50, s49
	s_add_u32 s6, s6, s68
	s_addc_u32 s50, 0, s55
	s_add_u32 s6, s6, s54
	s_mul_hi_u32 s46, s47, s49
	s_addc_u32 s6, s50, s51
	s_addc_u32 s46, s46, 0
	s_mul_i32 s49, s47, s49
	s_add_u32 s6, s6, s49
	s_addc_u32 s46, 0, s46
	v_add_co_u32_e32 v2, vcc, s6, v2
	s_cmp_lg_u64 vcc, 0
	s_addc_u32 s6, s47, s46
	v_readfirstlane_b32 s49, v2
	s_mul_i32 s47, s48, s6
	s_mul_hi_u32 s50, s48, s49
	s_mul_hi_u32 s46, s48, s6
	s_add_u32 s47, s50, s47
	s_addc_u32 s46, 0, s46
	s_mul_hi_u32 s51, s7, s49
	s_mul_i32 s49, s7, s49
	s_add_u32 s47, s47, s49
	s_mul_hi_u32 s50, s7, s6
	s_addc_u32 s46, s46, s51
	s_addc_u32 s47, s50, 0
	s_mul_i32 s6, s7, s6
	s_add_u32 s6, s46, s6
	s_addc_u32 s46, 0, s47
	s_mul_hi_u32 s47, s33, s6
	s_mul_i32 s6, s33, s6
	s_mul_i32 s46, s33, s46
	v_mov_b32_e32 v2, s6
	s_add_i32 s47, s47, s46
	v_sub_co_u32_e32 v2, vcc, s48, v2
	s_cmp_lg_u64 vcc, 0
	s_subb_u32 s6, s7, s47
	v_subrev_co_u32_e32 v3, vcc, s33, v2
	s_cmp_lg_u64 vcc, 0
	s_subb_u32 s46, s6, 0
	v_subrev_co_u32_e32 v6, vcc, s33, v3
	s_cmp_lg_u64 vcc, 0
	s_subb_u32 s47, s46, 0
	v_cmp_le_u32_e32 vcc, s33, v3
	s_cmp_eq_u32 s46, 0
	v_cndmask_b32_e64 v7, 0, -1, vcc
	s_cselect_b64 vcc, -1, 0
	v_cndmask_b32_e32 v7, -1, v7, vcc
	v_mov_b32_e32 v8, s46
	v_mov_b32_e32 v9, s47
	v_cmp_ne_u32_e32 vcc, 0, v7
	v_cndmask_b32_e32 v7, v8, v9, vcc
	v_cndmask_b32_e32 v6, v3, v6, vcc
	v_cmp_le_u32_e32 vcc, s33, v2
	s_cmp_eq_u32 s6, 0
	v_cndmask_b32_e64 v3, 0, -1, vcc
	s_cselect_b64 vcc, -1, 0
	v_cndmask_b32_e32 v3, -1, v3, vcc
	v_mov_b32_e32 v8, s6
	v_cmp_ne_u32_e32 vcc, 0, v3
	v_cndmask_b32_e32 v3, v8, v7, vcc
	v_cndmask_b32_e32 v2, v2, v6, vcc
	s_cbranch_execnz .LBB168_373
.LBB168_372:                            ;   in Loop: Header=BB168_6 Depth=1
	v_cvt_f32_u32_e32 v2, s33
	s_sub_i32 s6, 0, s33
	v_rcp_iflag_f32_e32 v2, v2
	v_mul_f32_e32 v2, 0x4f7ffffe, v2
	v_cvt_u32_f32_e32 v2, v2
	v_mul_lo_u32 v3, s6, v2
	v_mul_hi_u32 v3, v2, v3
	v_add_u32_e32 v2, v2, v3
	v_mul_hi_u32 v2, s48, v2
	v_mul_lo_u32 v2, v2, s33
	v_sub_u32_e32 v2, s48, v2
	v_subrev_u32_e32 v3, s33, v2
	v_cmp_le_u32_e32 vcc, s33, v2
	v_cndmask_b32_e32 v2, v2, v3, vcc
	v_subrev_u32_e32 v3, s33, v2
	v_cmp_le_u32_e32 vcc, s33, v2
	v_cndmask_b32_e32 v14, v2, v3, vcc
	v_pk_mov_b32 v[2:3], v[14:15], v[14:15] op_sel:[0,1]
.LBB168_373:                            ;   in Loop: Header=BB168_6 Depth=1
	v_mov_b32_e32 v6, s7
	v_sub_co_u32_e32 v2, vcc, s48, v2
	v_subb_co_u32_e32 v3, vcc, v6, v3, vcc
	v_cmp_gt_u64_e32 vcc, v[2:3], v[0:1]
	s_mov_b64 s[6:7], 0
                                        ; implicit-def: $vgpr43
	s_and_saveexec_b64 s[46:47], vcc
	s_cbranch_execz .LBB168_385
; %bb.374:                              ;   in Loop: Header=BB168_6 Depth=1
	s_mov_b64 s[48:49], 0
	v_mov_b32_e32 v8, v35
	v_pk_mov_b32 v[6:7], v[0:1], v[0:1] op_sel:[0,1]
                                        ; implicit-def: $sgpr50_sgpr51
	s_branch .LBB168_376
.LBB168_375:                            ;   in Loop: Header=BB168_376 Depth=2
	s_or_b64 exec, exec, s[6:7]
	s_waitcnt lgkmcnt(0)
	s_barrier
	ds_read_b32 v9, v15 offset:3072
	v_mov_b32_e32 v14, s88
	v_add_co_u32_e64 v6, s[6:7], s33, v6
	v_addc_co_u32_e64 v7, s[6:7], v7, v14, s[6:7]
	s_waitcnt lgkmcnt(0)
	v_cmp_ne_u16_e32 vcc, 0, v9
	v_cmp_ge_u64_e64 s[6:7], v[6:7], v[2:3]
	s_or_b64 s[6:7], s[6:7], vcc
	s_and_b64 s[6:7], exec, s[6:7]
	s_or_b64 s[48:49], s[6:7], s[48:49]
	s_andn2_b64 s[6:7], s[50:51], exec
	s_and_b64 s[50:51], vcc, exec
	v_add_u32_e32 v8, s0, v8
	s_or_b64 s[50:51], s[6:7], s[50:51]
	s_barrier
	s_andn2_b64 exec, exec, s[48:49]
	s_cbranch_execz .LBB168_384
.LBB168_376:                            ;   Parent Loop BB168_6 Depth=1
                                        ; =>  This Inner Loop Header: Depth=2
	v_cmp_gt_u64_e32 vcc, s[12:13], v[6:7]
	v_mov_b32_e32 v9, 0
	s_and_saveexec_b64 s[6:7], vcc
	s_cbranch_execz .LBB168_378
; %bb.377:                              ;   in Loop: Header=BB168_376 Depth=2
	ds_read_u16 v9, v8
.LBB168_378:                            ;   in Loop: Header=BB168_376 Depth=2
	s_or_b64 exec, exec, s[6:7]
	s_and_saveexec_b64 s[6:7], vcc
	s_cbranch_execz .LBB168_375
; %bb.379:                              ;   in Loop: Header=BB168_376 Depth=2
	s_waitcnt lgkmcnt(0)
	v_add_u32_sdwa v14, sext(v9), s1 dst_sel:DWORD dst_unused:UNUSED_PAD src0_sel:WORD_0 src1_sel:DWORD
	v_and_b32_e32 v14, v14, v41
	v_cmp_eq_u32_e32 vcc, v14, v42
	s_and_b64 exec, exec, vcc
	s_cbranch_execz .LBB168_375
; %bb.380:                              ;   in Loop: Header=BB168_376 Depth=2
	v_perm_b32 v9, v9, 1, v40
	ds_write_b32 v15, v9 offset:3072
	s_branch .LBB168_375
.LBB168_381:                            ;   in Loop: Header=BB168_6 Depth=1
                                        ; implicit-def: $vgpr4_vgpr5
	s_branch .LBB168_326
.LBB168_382:                            ;   in Loop: Header=BB168_6 Depth=1
                                        ; implicit-def: $vgpr4_vgpr5
	s_branch .LBB168_342
.LBB168_383:                            ;   in Loop: Header=BB168_6 Depth=1
	s_mov_b64 s[46:47], -1
	s_mov_b64 s[6:7], 0
                                        ; implicit-def: $sgpr48_sgpr49
                                        ; implicit-def: $vgpr43
	s_mov_b64 s[50:51], s[46:47]
	s_cbranch_execnz .LBB168_386
	s_branch .LBB168_399
.LBB168_384:                            ;   in Loop: Header=BB168_6 Depth=1
	s_or_b64 exec, exec, s[48:49]
	v_lshrrev_b32_e32 v43, 16, v9
	s_and_b64 s[6:7], s[50:51], exec
.LBB168_385:                            ;   in Loop: Header=BB168_6 Depth=1
	s_or_b64 exec, exec, s[46:47]
	s_mov_b64 s[46:47], 0
	s_mov_b64 s[48:49], -1
	s_mov_b64 s[50:51], s[46:47]
	s_branch .LBB168_399
.LBB168_386:                            ;   in Loop: Header=BB168_6 Depth=1
	v_readlane_b32 s30, v52, 31
	v_readlane_b32 s31, v52, 32
	s_mov_b32 s30, s83
	s_cmp_lg_u64 s[30:31], 0
	v_writelane_b32 v52, s30, 31
	v_writelane_b32 v52, s31, 32
	s_cbranch_scc0 .LBB168_419
; %bb.387:                              ;   in Loop: Header=BB168_6 Depth=1
	v_cvt_f32_u32_e32 v2, s33
	s_sub_u32 s6, 0, s33
	s_subb_u32 s7, 0, 0
	v_readlane_b32 s30, v52, 29
	v_mac_f32_e32 v2, 0, v39
	v_rcp_f32_e32 v2, v2
	v_mul_f32_e32 v2, 0x5f7ffffc, v2
	v_mul_f32_e32 v3, 0x2f800000, v2
	v_trunc_f32_e32 v3, v3
	v_mac_f32_e32 v2, 0xcf800000, v3
	v_cvt_u32_f32_e32 v3, v3
	v_cvt_u32_f32_e32 v2, v2
	v_readfirstlane_b32 s12, v3
	v_readfirstlane_b32 s13, v2
	s_mul_i32 s46, s6, s12
	s_mul_hi_u32 s48, s6, s13
	s_mul_i32 s47, s7, s13
	s_add_i32 s46, s48, s46
	s_mul_i32 s49, s6, s13
	s_add_i32 s46, s46, s47
	s_mul_hi_u32 s48, s13, s49
	s_mul_hi_u32 s47, s13, s46
	s_mul_i32 s13, s13, s46
	s_add_u32 s13, s48, s13
	s_addc_u32 s47, 0, s47
	s_mul_hi_u32 s50, s12, s49
	s_mul_i32 s49, s12, s49
	s_add_u32 s13, s13, s49
	s_mul_hi_u32 s48, s12, s46
	s_addc_u32 s13, s47, s50
	s_addc_u32 s47, s48, 0
	s_mul_i32 s46, s12, s46
	s_add_u32 s13, s13, s46
	s_addc_u32 s46, 0, s47
	v_add_co_u32_e32 v2, vcc, s13, v2
	s_cmp_lg_u64 vcc, 0
	s_addc_u32 s12, s12, s46
	v_readfirstlane_b32 s46, v2
	s_mul_i32 s13, s6, s12
	s_mul_hi_u32 s47, s6, s46
	s_add_i32 s13, s47, s13
	s_mul_i32 s7, s7, s46
	s_add_i32 s13, s13, s7
	s_mul_i32 s6, s6, s46
	s_mul_hi_u32 s47, s12, s6
	s_mul_i32 s48, s12, s6
	s_mul_i32 s50, s46, s13
	s_mul_hi_u32 s6, s46, s6
	s_mul_hi_u32 s49, s46, s13
	s_add_u32 s6, s6, s50
	s_addc_u32 s46, 0, s49
	s_add_u32 s6, s6, s48
	s_mul_hi_u32 s7, s12, s13
	s_addc_u32 s6, s46, s47
	s_addc_u32 s7, s7, 0
	s_mul_i32 s13, s12, s13
	s_add_u32 s6, s6, s13
	s_addc_u32 s7, 0, s7
	v_add_co_u32_e32 v2, vcc, s6, v2
	s_cmp_lg_u64 vcc, 0
	s_addc_u32 s6, s12, s7
	v_readfirstlane_b32 s13, v2
	s_mul_i32 s12, s30, s6
	s_mul_hi_u32 s46, s30, s13
	s_mul_hi_u32 s7, s30, s6
	s_add_u32 s12, s46, s12
	s_addc_u32 s7, 0, s7
	s_mul_hi_u32 s47, s31, s13
	s_mul_i32 s13, s31, s13
	s_add_u32 s12, s12, s13
	s_mul_hi_u32 s46, s31, s6
	s_addc_u32 s7, s7, s47
	s_addc_u32 s12, s46, 0
	s_mul_i32 s6, s31, s6
	s_add_u32 s6, s7, s6
	s_addc_u32 s7, 0, s12
	s_mul_hi_u32 s12, s33, s6
	s_mul_i32 s6, s33, s6
	s_mul_i32 s7, s33, s7
	v_mov_b32_e32 v2, s6
	s_add_i32 s12, s12, s7
	v_sub_co_u32_e32 v2, vcc, s30, v2
	s_cmp_lg_u64 vcc, 0
	s_subb_u32 s6, s31, s12
	v_subrev_co_u32_e32 v3, vcc, s33, v2
	s_cmp_lg_u64 vcc, 0
	s_subb_u32 s7, s6, 0
	v_subrev_co_u32_e32 v6, vcc, s33, v3
	s_cmp_lg_u64 vcc, 0
	s_subb_u32 s12, s7, 0
	v_cmp_le_u32_e32 vcc, s33, v3
	s_cmp_eq_u32 s7, 0
	v_cndmask_b32_e64 v7, 0, -1, vcc
	s_cselect_b64 vcc, -1, 0
	v_cndmask_b32_e32 v7, -1, v7, vcc
	v_mov_b32_e32 v8, s7
	v_mov_b32_e32 v9, s12
	v_cmp_ne_u32_e32 vcc, 0, v7
	v_cndmask_b32_e32 v7, v8, v9, vcc
	v_cndmask_b32_e32 v6, v3, v6, vcc
	v_cmp_le_u32_e32 vcc, s33, v2
	s_cmp_eq_u32 s6, 0
	v_cndmask_b32_e64 v3, 0, -1, vcc
	s_cselect_b64 vcc, -1, 0
	v_cndmask_b32_e32 v3, -1, v3, vcc
	v_mov_b32_e32 v8, s6
	v_cmp_ne_u32_e32 vcc, 0, v3
	v_cndmask_b32_e32 v3, v8, v7, vcc
	v_cndmask_b32_e32 v2, v2, v6, vcc
	s_cbranch_execnz .LBB168_389
.LBB168_388:                            ;   in Loop: Header=BB168_6 Depth=1
	v_cvt_f32_u32_e32 v2, s33
	s_sub_i32 s6, 0, s33
	v_rcp_iflag_f32_e32 v2, v2
	v_mul_f32_e32 v2, 0x4f7ffffe, v2
	v_cvt_u32_f32_e32 v2, v2
	v_mul_lo_u32 v3, s6, v2
	v_mul_hi_u32 v3, v2, v3
	v_add_u32_e32 v2, v2, v3
	v_readlane_b32 s6, v52, 29
	v_mul_hi_u32 v2, s6, v2
	v_mul_lo_u32 v2, v2, s33
	v_sub_u32_e32 v2, s6, v2
	v_subrev_u32_e32 v3, s33, v2
	v_cmp_le_u32_e32 vcc, s33, v2
	v_cndmask_b32_e32 v2, v2, v3, vcc
	v_subrev_u32_e32 v3, s33, v2
	v_cmp_le_u32_e32 vcc, s33, v2
	v_cndmask_b32_e32 v14, v2, v3, vcc
	v_pk_mov_b32 v[2:3], v[14:15], v[14:15] op_sel:[0,1]
.LBB168_389:                            ;   in Loop: Header=BB168_6 Depth=1
	v_readlane_b32 s6, v52, 31
	v_readlane_b32 s7, v52, 32
	;; [unrolled: 1-line block ×3, first 2 shown]
	v_mov_b32_e32 v6, s7
	v_sub_co_u32_e32 v2, vcc, s6, v2
	v_subb_co_u32_e32 v3, vcc, v6, v3, vcc
	v_cmp_gt_u64_e32 vcc, v[2:3], v[0:1]
	s_mov_b64 s[6:7], 0
                                        ; implicit-def: $vgpr43
	s_and_saveexec_b64 s[12:13], vcc
	s_cbranch_execz .LBB168_398
; %bb.390:                              ;   in Loop: Header=BB168_6 Depth=1
	s_mov_b64 s[46:47], 0
	v_pk_mov_b32 v[6:7], v[12:13], v[12:13] op_sel:[0,1]
	v_pk_mov_b32 v[8:9], v[0:1], v[0:1] op_sel:[0,1]
                                        ; implicit-def: $sgpr48_sgpr49
	s_branch .LBB168_392
.LBB168_391:                            ;   in Loop: Header=BB168_392 Depth=2
	s_or_b64 exec, exec, s[6:7]
	s_waitcnt lgkmcnt(0)
	s_barrier
	s_waitcnt vmcnt(0)
	ds_read_b32 v14, v15 offset:3072
	v_mov_b32_e32 v26, s88
	v_add_co_u32_e64 v8, s[6:7], s33, v8
	v_addc_co_u32_e64 v9, s[6:7], v9, v26, s[6:7]
	s_waitcnt lgkmcnt(0)
	v_cmp_ne_u16_e32 vcc, 0, v14
	v_cmp_ge_u64_e64 s[6:7], v[8:9], v[2:3]
	s_or_b64 s[50:51], s[6:7], vcc
	v_mov_b32_e32 v26, s61
	v_add_co_u32_e64 v6, s[6:7], s60, v6
	v_addc_co_u32_e64 v7, s[6:7], v7, v26, s[6:7]
	s_and_b64 s[6:7], exec, s[50:51]
	s_or_b64 s[46:47], s[6:7], s[46:47]
	s_andn2_b64 s[6:7], s[48:49], exec
	s_and_b64 s[48:49], vcc, exec
	s_or_b64 s[48:49], s[6:7], s[48:49]
	s_barrier
	s_andn2_b64 exec, exec, s[46:47]
	s_cbranch_execz .LBB168_397
.LBB168_392:                            ;   Parent Loop BB168_6 Depth=1
                                        ; =>  This Inner Loop Header: Depth=2
	v_cmp_gt_u64_e32 vcc, s[56:57], v[8:9]
	v_mov_b32_e32 v14, 0
	s_and_saveexec_b64 s[6:7], vcc
	s_cbranch_execz .LBB168_394
; %bb.393:                              ;   in Loop: Header=BB168_392 Depth=2
	global_load_ushort v14, v[6:7], off
.LBB168_394:                            ;   in Loop: Header=BB168_392 Depth=2
	s_or_b64 exec, exec, s[6:7]
	s_and_saveexec_b64 s[6:7], vcc
	s_cbranch_execz .LBB168_391
; %bb.395:                              ;   in Loop: Header=BB168_392 Depth=2
	s_waitcnt vmcnt(0)
	v_add_u32_sdwa v26, sext(v14), s1 dst_sel:DWORD dst_unused:UNUSED_PAD src0_sel:WORD_0 src1_sel:DWORD
	v_and_b32_e32 v26, v26, v41
	v_cmp_eq_u32_e32 vcc, v26, v42
	s_and_b64 exec, exec, vcc
	s_cbranch_execz .LBB168_391
; %bb.396:                              ;   in Loop: Header=BB168_392 Depth=2
	v_perm_b32 v14, v14, 1, v40
	ds_write_b32 v15, v14 offset:3072
	s_branch .LBB168_391
.LBB168_397:                            ;   in Loop: Header=BB168_6 Depth=1
	s_or_b64 exec, exec, s[46:47]
	v_lshrrev_b32_e32 v43, 16, v14
	s_and_b64 s[6:7], s[48:49], exec
.LBB168_398:                            ;   in Loop: Header=BB168_6 Depth=1
	s_or_b64 exec, exec, s[12:13]
	s_mov_b64 s[48:49], 0
	s_mov_b64 s[46:47], -1
	s_mov_b64 s[50:51], 0
.LBB168_399:                            ;   in Loop: Header=BB168_6 Depth=1
	s_orn2_b64 s[6:7], s[6:7], exec
.LBB168_400:                            ;   in Loop: Header=BB168_6 Depth=1
	s_or_b64 exec, exec, s[52:53]
	s_mov_b64 s[12:13], 0
                                        ; implicit-def: $vgpr6
	s_and_saveexec_b64 s[52:53], s[6:7]
	s_cbranch_execz .LBB168_465
; %bb.401:                              ;   in Loop: Header=BB168_6 Depth=1
	v_mov_b32_e32 v2, 1
	s_xor_b64 s[6:7], s[4:5], -1
	s_mov_b64 s[54:55], 0
	v_mov_b32_e32 v3, 0
	v_mov_b32_e32 v6, 1
	s_and_saveexec_b64 s[4:5], s[6:7]
	s_cbranch_execz .LBB168_411
; %bb.402:                              ;   in Loop: Header=BB168_6 Depth=1
	v_cmp_ge_u64_e32 vcc, s[18:19], v[4:5]
                                        ; implicit-def: $sgpr54
                                        ; implicit-def: $sgpr6_sgpr7
	s_and_saveexec_b64 s[12:13], vcc
	s_xor_b64 s[12:13], exec, s[12:13]
	s_cbranch_execz .LBB168_408
; %bb.403:                              ;   in Loop: Header=BB168_6 Depth=1
	ds_read_b64 v[2:3], v15 offset:5120
	s_waitcnt lgkmcnt(0)
	v_cmp_ne_u64_e32 vcc, 0, v[2:3]
	s_cbranch_vccnz .LBB168_407
; %bb.404:                              ;   in Loop: Header=BB168_6 Depth=1
	v_readlane_b32 s30, v52, 8
	v_readlane_b32 s31, v52, 9
	s_and_saveexec_b64 s[6:7], s[30:31]
	s_cbranch_execz .LBB168_406
; %bb.405:                              ;   in Loop: Header=BB168_6 Depth=1
	v_pk_mov_b32 v[2:3], s[18:19], s[18:19] op_sel:[0,1]
	ds_write_b64 v15, v[2:3] offset:5128
.LBB168_406:                            ;   in Loop: Header=BB168_6 Depth=1
	s_or_b64 exec, exec, s[6:7]
	s_waitcnt lgkmcnt(0)
	s_barrier
.LBB168_407:                            ;   in Loop: Header=BB168_6 Depth=1
	v_and_b32_e32 v2, s90, v42
	v_lshl_or_b32 v42, 1, s91, v2
	v_or_b32_e32 v41, s82, v41
	s_mov_b64 s[6:7], 0
	s_mov_b32 s54, 5
.LBB168_408:                            ;   in Loop: Header=BB168_6 Depth=1
	s_or_saveexec_b64 s[12:13], s[12:13]
	v_mov_b32_e32 v6, s54
	s_xor_b64 exec, exec, s[12:13]
; %bb.409:                              ;   in Loop: Header=BB168_6 Depth=1
	v_mov_b32_e32 v2, s19
	v_subrev_co_u32_e32 v4, vcc, s18, v4
	v_subb_co_u32_e32 v5, vcc, v5, v2, vcc
	v_mov_b32_e32 v6, 0
	s_or_b64 s[6:7], s[6:7], exec
; %bb.410:                              ;   in Loop: Header=BB168_6 Depth=1
	s_or_b64 exec, exec, s[12:13]
	s_and_b64 s[54:55], s[6:7], exec
	v_pk_mov_b32 v[2:3], v[4:5], v[4:5] op_sel:[0,1]
.LBB168_411:                            ;   in Loop: Header=BB168_6 Depth=1
	s_or_b64 exec, exec, s[4:5]
	s_mov_b64 s[4:5], -1
                                        ; implicit-def: $sgpr6_sgpr7
                                        ; implicit-def: $sgpr12_sgpr13
                                        ; implicit-def: $sgpr70_sgpr71
	s_and_saveexec_b64 s[18:19], s[54:55]
	s_cbranch_execz .LBB168_464
; %bb.412:                              ;   in Loop: Header=BB168_6 Depth=1
	s_cmp_eq_u64 s[16:17], 1
	s_cselect_b64 s[4:5], -1, 0
	v_cmp_eq_u64_e32 vcc, 1, v[2:3]
	s_and_b64 s[4:5], s[4:5], vcc
	s_mov_b64 s[78:79], -1
                                        ; implicit-def: $sgpr6_sgpr7
                                        ; implicit-def: $sgpr12_sgpr13
                                        ; implicit-def: $sgpr70_sgpr71
	s_and_saveexec_b64 s[54:55], s[4:5]
	s_cbranch_execz .LBB168_451
; %bb.413:                              ;   in Loop: Header=BB168_6 Depth=1
	ds_read_b64 v[4:5], v15 offset:5120
	v_readlane_b32 s30, v52, 24
	v_readlane_b32 s31, v52, 25
	s_waitcnt lgkmcnt(0)
	s_barrier
	v_readfirstlane_b32 s12, v4
	v_readfirstlane_b32 s13, v5
	s_and_saveexec_b64 s[6:7], s[30:31]
	s_cbranch_execz .LBB168_415
; %bb.414:                              ;   in Loop: Header=BB168_6 Depth=1
	ds_write_b16 v36, v15
.LBB168_415:                            ;   in Loop: Header=BB168_6 Depth=1
	s_or_b64 exec, exec, s[6:7]
	v_and_b32_e32 v42, s90, v42
	v_or_b32_e32 v41, s82, v41
	s_cmp_eq_u64 s[12:13], 0
	s_waitcnt lgkmcnt(0)
	s_barrier
	s_cbranch_scc1 .LBB168_420
; %bb.416:                              ;   in Loop: Header=BB168_6 Depth=1
	v_readlane_b32 s6, v52, 28
	s_add_u32 s68, s6, s12
	v_readlane_b32 s6, v52, 30
	s_addc_u32 s7, s6, s13
	s_mov_b32 s6, s83
	s_cmp_lg_u64 s[6:7], 0
	s_cbranch_scc0 .LBB168_421
; %bb.417:                              ;   in Loop: Header=BB168_6 Depth=1
	v_cvt_f32_u32_e32 v4, s33
	s_sub_u32 s6, 0, s33
	s_subb_u32 s69, 0, 0
	v_mac_f32_e32 v4, 0, v39
	v_rcp_f32_e32 v4, v4
	v_mul_f32_e32 v4, 0x5f7ffffc, v4
	v_mul_f32_e32 v5, 0x2f800000, v4
	v_trunc_f32_e32 v5, v5
	v_mac_f32_e32 v4, 0xcf800000, v5
	v_cvt_u32_f32_e32 v5, v5
	v_cvt_u32_f32_e32 v4, v4
	v_readfirstlane_b32 s70, v5
	v_readfirstlane_b32 s71, v4
	s_mul_i32 s78, s6, s70
	s_mul_hi_u32 s80, s6, s71
	s_mul_i32 s79, s69, s71
	s_add_i32 s78, s80, s78
	s_mul_i32 s81, s6, s71
	s_add_i32 s78, s78, s79
	s_mul_hi_u32 s80, s71, s81
	s_mul_hi_u32 s79, s71, s78
	s_mul_i32 s71, s71, s78
	s_add_u32 s71, s80, s71
	s_addc_u32 s79, 0, s79
	s_mul_hi_u32 s84, s70, s81
	s_mul_i32 s81, s70, s81
	s_add_u32 s71, s71, s81
	s_mul_hi_u32 s80, s70, s78
	s_addc_u32 s71, s79, s84
	s_addc_u32 s79, s80, 0
	s_mul_i32 s78, s70, s78
	s_add_u32 s71, s71, s78
	s_addc_u32 s78, 0, s79
	v_add_co_u32_e32 v4, vcc, s71, v4
	s_cmp_lg_u64 vcc, 0
	s_addc_u32 s70, s70, s78
	v_readfirstlane_b32 s78, v4
	s_mul_i32 s71, s6, s70
	s_mul_hi_u32 s79, s6, s78
	s_add_i32 s71, s79, s71
	s_mul_i32 s69, s69, s78
	s_add_i32 s71, s71, s69
	s_mul_i32 s6, s6, s78
	s_mul_hi_u32 s79, s70, s6
	s_mul_i32 s80, s70, s6
	s_mul_i32 s84, s78, s71
	s_mul_hi_u32 s6, s78, s6
	s_mul_hi_u32 s81, s78, s71
	s_add_u32 s6, s6, s84
	s_addc_u32 s78, 0, s81
	s_add_u32 s6, s6, s80
	s_mul_hi_u32 s69, s70, s71
	s_addc_u32 s6, s78, s79
	s_addc_u32 s69, s69, 0
	s_mul_i32 s71, s70, s71
	s_add_u32 s6, s6, s71
	s_addc_u32 s69, 0, s69
	v_add_co_u32_e32 v4, vcc, s6, v4
	s_cmp_lg_u64 vcc, 0
	s_addc_u32 s6, s70, s69
	v_readfirstlane_b32 s71, v4
	s_mul_i32 s70, s68, s6
	s_mul_hi_u32 s78, s68, s71
	s_mul_hi_u32 s69, s68, s6
	s_add_u32 s70, s78, s70
	s_addc_u32 s69, 0, s69
	s_mul_hi_u32 s79, s7, s71
	s_mul_i32 s71, s7, s71
	s_add_u32 s70, s70, s71
	s_mul_hi_u32 s78, s7, s6
	s_addc_u32 s69, s69, s79
	s_addc_u32 s70, s78, 0
	s_mul_i32 s6, s7, s6
	s_add_u32 s6, s69, s6
	s_addc_u32 s69, 0, s70
	s_mul_hi_u32 s70, s33, s6
	s_mul_i32 s6, s33, s6
	s_mul_i32 s69, s33, s69
	v_mov_b32_e32 v4, s6
	s_add_i32 s70, s70, s69
	v_sub_co_u32_e32 v4, vcc, s68, v4
	s_cmp_lg_u64 vcc, 0
	s_subb_u32 s6, s7, s70
	v_subrev_co_u32_e32 v5, vcc, s33, v4
	s_cmp_lg_u64 vcc, 0
	s_subb_u32 s69, s6, 0
	v_subrev_co_u32_e32 v6, vcc, s33, v5
	s_cmp_lg_u64 vcc, 0
	s_subb_u32 s70, s69, 0
	v_cmp_le_u32_e32 vcc, s33, v5
	s_cmp_eq_u32 s69, 0
	v_cndmask_b32_e64 v7, 0, -1, vcc
	s_cselect_b64 vcc, -1, 0
	v_cndmask_b32_e32 v7, -1, v7, vcc
	v_mov_b32_e32 v8, s69
	v_mov_b32_e32 v9, s70
	v_cmp_ne_u32_e32 vcc, 0, v7
	v_cndmask_b32_e32 v7, v8, v9, vcc
	v_cndmask_b32_e32 v6, v5, v6, vcc
	v_cmp_le_u32_e32 vcc, s33, v4
	s_cmp_eq_u32 s6, 0
	v_cndmask_b32_e64 v5, 0, -1, vcc
	s_cselect_b64 vcc, -1, 0
	v_cndmask_b32_e32 v5, -1, v5, vcc
	v_mov_b32_e32 v8, s6
	v_cmp_ne_u32_e32 vcc, 0, v5
	v_cndmask_b32_e32 v5, v8, v7, vcc
	v_cndmask_b32_e32 v4, v4, v6, vcc
	s_mov_b64 s[70:71], 0
	s_branch .LBB168_422
.LBB168_418:                            ;   in Loop: Header=BB168_6 Depth=1
                                        ; implicit-def: $vgpr2_vgpr3
	s_branch .LBB168_372
.LBB168_419:                            ;   in Loop: Header=BB168_6 Depth=1
                                        ; implicit-def: $vgpr2_vgpr3
	s_branch .LBB168_388
.LBB168_420:                            ;   in Loop: Header=BB168_6 Depth=1
	s_mov_b64 s[6:7], -1
	s_mov_b64 s[78:79], 0
                                        ; implicit-def: $sgpr12_sgpr13
                                        ; implicit-def: $vgpr43
	s_branch .LBB168_434
.LBB168_421:                            ;   in Loop: Header=BB168_6 Depth=1
	s_mov_b64 s[70:71], -1
                                        ; implicit-def: $vgpr4_vgpr5
.LBB168_422:                            ;   in Loop: Header=BB168_6 Depth=1
	s_andn2_b64 vcc, exec, s[70:71]
	s_cbranch_vccnz .LBB168_424
; %bb.423:                              ;   in Loop: Header=BB168_6 Depth=1
	v_cvt_f32_u32_e32 v4, s33
	s_sub_i32 s6, 0, s33
	v_rcp_iflag_f32_e32 v4, v4
	v_mul_f32_e32 v4, 0x4f7ffffe, v4
	v_cvt_u32_f32_e32 v4, v4
	v_mul_lo_u32 v5, s6, v4
	v_mul_hi_u32 v5, v4, v5
	v_add_u32_e32 v4, v4, v5
	v_mul_hi_u32 v4, s68, v4
	v_mul_lo_u32 v4, v4, s33
	v_sub_u32_e32 v4, s68, v4
	v_subrev_u32_e32 v5, s33, v4
	v_cmp_le_u32_e32 vcc, s33, v4
	v_cndmask_b32_e32 v4, v4, v5, vcc
	v_subrev_u32_e32 v5, s33, v4
	v_cmp_le_u32_e32 vcc, s33, v4
	v_cndmask_b32_e32 v14, v4, v5, vcc
	v_pk_mov_b32 v[4:5], v[14:15], v[14:15] op_sel:[0,1]
.LBB168_424:                            ;   in Loop: Header=BB168_6 Depth=1
	v_mov_b32_e32 v6, s7
	v_sub_co_u32_e32 v4, vcc, s68, v4
	v_subb_co_u32_e32 v5, vcc, v6, v5, vcc
	v_cmp_gt_u64_e32 vcc, v[4:5], v[0:1]
	s_mov_b64 s[78:79], 0
                                        ; implicit-def: $vgpr43
	s_and_saveexec_b64 s[70:71], vcc
	v_readlane_b32 s84, v52, 46
	v_readlane_b32 s85, v52, 47
	s_cbranch_execz .LBB168_433
; %bb.425:                              ;   in Loop: Header=BB168_6 Depth=1
	v_mov_b32_e32 v8, v35
	v_pk_mov_b32 v[6:7], v[0:1], v[0:1] op_sel:[0,1]
                                        ; implicit-def: $sgpr80_sgpr81
	s_branch .LBB168_427
.LBB168_426:                            ;   in Loop: Header=BB168_427 Depth=2
	s_or_b64 exec, exec, s[6:7]
	s_waitcnt lgkmcnt(0)
	s_barrier
	ds_read_b32 v9, v15 offset:3072
	v_mov_b32_e32 v14, s88
	v_add_co_u32_e64 v6, s[6:7], s33, v6
	v_addc_co_u32_e64 v7, s[6:7], v7, v14, s[6:7]
	s_waitcnt lgkmcnt(0)
	v_cmp_ne_u16_e32 vcc, 0, v9
	v_cmp_ge_u64_e64 s[6:7], v[6:7], v[4:5]
	s_or_b64 s[6:7], s[6:7], vcc
	s_and_b64 s[6:7], exec, s[6:7]
	s_or_b64 s[78:79], s[6:7], s[78:79]
	s_andn2_b64 s[6:7], s[80:81], exec
	s_and_b64 s[68:69], vcc, exec
	v_add_u32_e32 v8, s0, v8
	s_or_b64 s[80:81], s[6:7], s[68:69]
	s_barrier
	s_andn2_b64 exec, exec, s[78:79]
	s_cbranch_execz .LBB168_432
.LBB168_427:                            ;   Parent Loop BB168_6 Depth=1
                                        ; =>  This Inner Loop Header: Depth=2
	v_cmp_gt_u64_e32 vcc, s[12:13], v[6:7]
	v_mov_b32_e32 v9, 0
	s_and_saveexec_b64 s[6:7], vcc
	s_cbranch_execz .LBB168_429
; %bb.428:                              ;   in Loop: Header=BB168_427 Depth=2
	ds_read_u16 v9, v8
.LBB168_429:                            ;   in Loop: Header=BB168_427 Depth=2
	s_or_b64 exec, exec, s[6:7]
	s_and_saveexec_b64 s[6:7], vcc
	s_cbranch_execz .LBB168_426
; %bb.430:                              ;   in Loop: Header=BB168_427 Depth=2
	s_waitcnt lgkmcnt(0)
	v_add_u32_sdwa v14, sext(v9), s1 dst_sel:DWORD dst_unused:UNUSED_PAD src0_sel:WORD_0 src1_sel:DWORD
	v_and_b32_e32 v14, v14, v41
	v_cmp_eq_u32_e32 vcc, v14, v42
	s_and_b64 exec, exec, vcc
	s_cbranch_execz .LBB168_426
; %bb.431:                              ;   in Loop: Header=BB168_427 Depth=2
	v_perm_b32 v9, v9, 1, v40
	ds_write_b32 v15, v9 offset:3072
	s_branch .LBB168_426
.LBB168_432:                            ;   in Loop: Header=BB168_6 Depth=1
	s_or_b64 exec, exec, s[78:79]
	v_lshrrev_b32_e32 v43, 16, v9
	s_and_b64 s[78:79], s[80:81], exec
.LBB168_433:                            ;   in Loop: Header=BB168_6 Depth=1
	s_or_b64 exec, exec, s[70:71]
	s_mov_b64 s[6:7], 0
	s_mov_b64 s[12:13], -1
.LBB168_434:                            ;   in Loop: Header=BB168_6 Depth=1
	s_and_b64 vcc, exec, s[6:7]
	s_mov_b64 s[70:71], s[6:7]
	s_cbranch_vccz .LBB168_450
; %bb.435:                              ;   in Loop: Header=BB168_6 Depth=1
	v_readlane_b32 s30, v52, 31
	v_readlane_b32 s31, v52, 32
	s_mov_b32 s30, s83
	s_cmp_lg_u64 s[30:31], 0
	v_writelane_b32 v52, s30, 31
	v_writelane_b32 v52, s31, 32
	s_cbranch_scc0 .LBB168_437
; %bb.436:                              ;   in Loop: Header=BB168_6 Depth=1
	v_cvt_f32_u32_e32 v4, s33
	s_sub_u32 s6, 0, s33
	s_subb_u32 s7, 0, 0
	v_readlane_b32 s30, v52, 29
	v_mac_f32_e32 v4, 0, v39
	v_rcp_f32_e32 v4, v4
	v_mul_f32_e32 v4, 0x5f7ffffc, v4
	v_mul_f32_e32 v5, 0x2f800000, v4
	v_trunc_f32_e32 v5, v5
	v_mac_f32_e32 v4, 0xcf800000, v5
	v_cvt_u32_f32_e32 v5, v5
	v_cvt_u32_f32_e32 v4, v4
	v_readfirstlane_b32 s12, v5
	v_readfirstlane_b32 s13, v4
	s_mul_i32 s68, s6, s12
	s_mul_hi_u32 s70, s6, s13
	s_mul_i32 s69, s7, s13
	s_add_i32 s68, s70, s68
	s_mul_i32 s71, s6, s13
	s_add_i32 s68, s68, s69
	s_mul_hi_u32 s70, s13, s71
	s_mul_hi_u32 s69, s13, s68
	s_mul_i32 s13, s13, s68
	s_add_u32 s13, s70, s13
	s_addc_u32 s69, 0, s69
	s_mul_hi_u32 s78, s12, s71
	s_mul_i32 s71, s12, s71
	s_add_u32 s13, s13, s71
	s_mul_hi_u32 s70, s12, s68
	s_addc_u32 s13, s69, s78
	s_addc_u32 s69, s70, 0
	s_mul_i32 s68, s12, s68
	s_add_u32 s13, s13, s68
	s_addc_u32 s68, 0, s69
	v_add_co_u32_e32 v4, vcc, s13, v4
	s_cmp_lg_u64 vcc, 0
	s_addc_u32 s12, s12, s68
	v_readfirstlane_b32 s68, v4
	s_mul_i32 s13, s6, s12
	s_mul_hi_u32 s69, s6, s68
	s_add_i32 s13, s69, s13
	s_mul_i32 s7, s7, s68
	s_add_i32 s13, s13, s7
	s_mul_i32 s6, s6, s68
	s_mul_hi_u32 s69, s12, s6
	s_mul_i32 s70, s12, s6
	s_mul_i32 s78, s68, s13
	s_mul_hi_u32 s6, s68, s6
	s_mul_hi_u32 s71, s68, s13
	s_add_u32 s6, s6, s78
	s_addc_u32 s68, 0, s71
	s_add_u32 s6, s6, s70
	s_mul_hi_u32 s7, s12, s13
	s_addc_u32 s6, s68, s69
	s_addc_u32 s7, s7, 0
	s_mul_i32 s13, s12, s13
	s_add_u32 s6, s6, s13
	s_addc_u32 s7, 0, s7
	v_add_co_u32_e32 v4, vcc, s6, v4
	s_cmp_lg_u64 vcc, 0
	s_addc_u32 s6, s12, s7
	v_readfirstlane_b32 s13, v4
	s_mul_i32 s12, s30, s6
	s_mul_hi_u32 s68, s30, s13
	s_mul_hi_u32 s7, s30, s6
	s_add_u32 s12, s68, s12
	s_addc_u32 s7, 0, s7
	s_mul_hi_u32 s69, s31, s13
	s_mul_i32 s13, s31, s13
	s_add_u32 s12, s12, s13
	s_mul_hi_u32 s68, s31, s6
	s_addc_u32 s7, s7, s69
	s_addc_u32 s12, s68, 0
	s_mul_i32 s6, s31, s6
	s_add_u32 s6, s7, s6
	s_addc_u32 s7, 0, s12
	s_mul_hi_u32 s12, s33, s6
	s_mul_i32 s6, s33, s6
	s_mul_i32 s7, s33, s7
	v_mov_b32_e32 v4, s6
	s_add_i32 s12, s12, s7
	v_sub_co_u32_e32 v4, vcc, s30, v4
	s_cmp_lg_u64 vcc, 0
	s_subb_u32 s6, s31, s12
	v_subrev_co_u32_e32 v5, vcc, s33, v4
	s_cmp_lg_u64 vcc, 0
	s_subb_u32 s7, s6, 0
	v_subrev_co_u32_e32 v6, vcc, s33, v5
	s_cmp_lg_u64 vcc, 0
	s_subb_u32 s12, s7, 0
	v_cmp_le_u32_e32 vcc, s33, v5
	s_cmp_eq_u32 s7, 0
	v_cndmask_b32_e64 v7, 0, -1, vcc
	s_cselect_b64 vcc, -1, 0
	v_cndmask_b32_e32 v7, -1, v7, vcc
	v_mov_b32_e32 v8, s7
	v_mov_b32_e32 v9, s12
	v_cmp_ne_u32_e32 vcc, 0, v7
	v_cndmask_b32_e32 v7, v8, v9, vcc
	v_cndmask_b32_e32 v6, v5, v6, vcc
	v_cmp_le_u32_e32 vcc, s33, v4
	s_cmp_eq_u32 s6, 0
	v_cndmask_b32_e64 v5, 0, -1, vcc
	s_cselect_b64 vcc, -1, 0
	v_cndmask_b32_e32 v5, -1, v5, vcc
	v_mov_b32_e32 v8, s6
	v_cmp_ne_u32_e32 vcc, 0, v5
	v_cndmask_b32_e32 v5, v8, v7, vcc
	v_cndmask_b32_e32 v4, v4, v6, vcc
	s_mov_b64 s[6:7], 0
	s_branch .LBB168_438
.LBB168_437:                            ;   in Loop: Header=BB168_6 Depth=1
	s_mov_b64 s[6:7], -1
                                        ; implicit-def: $vgpr4_vgpr5
.LBB168_438:                            ;   in Loop: Header=BB168_6 Depth=1
	s_andn2_b64 vcc, exec, s[6:7]
	s_cbranch_vccnz .LBB168_440
; %bb.439:                              ;   in Loop: Header=BB168_6 Depth=1
	v_cvt_f32_u32_e32 v4, s33
	s_sub_i32 s6, 0, s33
	v_rcp_iflag_f32_e32 v4, v4
	v_mul_f32_e32 v4, 0x4f7ffffe, v4
	v_cvt_u32_f32_e32 v4, v4
	v_mul_lo_u32 v5, s6, v4
	v_mul_hi_u32 v5, v4, v5
	v_add_u32_e32 v4, v4, v5
	v_readlane_b32 s6, v52, 29
	v_mul_hi_u32 v4, s6, v4
	v_mul_lo_u32 v4, v4, s33
	v_sub_u32_e32 v4, s6, v4
	v_subrev_u32_e32 v5, s33, v4
	v_cmp_le_u32_e32 vcc, s33, v4
	v_cndmask_b32_e32 v4, v4, v5, vcc
	v_subrev_u32_e32 v5, s33, v4
	v_cmp_le_u32_e32 vcc, s33, v4
	v_cndmask_b32_e32 v14, v4, v5, vcc
	v_pk_mov_b32 v[4:5], v[14:15], v[14:15] op_sel:[0,1]
.LBB168_440:                            ;   in Loop: Header=BB168_6 Depth=1
	v_readlane_b32 s6, v52, 31
	v_readlane_b32 s7, v52, 32
	;; [unrolled: 1-line block ×3, first 2 shown]
	v_mov_b32_e32 v6, s7
	v_sub_co_u32_e32 v4, vcc, s6, v4
	v_subb_co_u32_e32 v5, vcc, v6, v5, vcc
	v_cmp_gt_u64_e32 vcc, v[4:5], v[0:1]
	s_mov_b64 s[78:79], 0
                                        ; implicit-def: $vgpr43
	s_and_saveexec_b64 s[12:13], vcc
	s_cbranch_execz .LBB168_449
; %bb.441:                              ;   in Loop: Header=BB168_6 Depth=1
	s_mov_b64 s[70:71], 0
	v_pk_mov_b32 v[6:7], v[12:13], v[12:13] op_sel:[0,1]
	v_pk_mov_b32 v[8:9], v[0:1], v[0:1] op_sel:[0,1]
                                        ; implicit-def: $sgpr78_sgpr79
	s_branch .LBB168_443
.LBB168_442:                            ;   in Loop: Header=BB168_443 Depth=2
	s_or_b64 exec, exec, s[6:7]
	s_waitcnt lgkmcnt(0)
	s_barrier
	s_waitcnt vmcnt(0)
	ds_read_b32 v14, v15 offset:3072
	v_mov_b32_e32 v26, s88
	v_add_co_u32_e64 v8, s[6:7], s33, v8
	v_addc_co_u32_e64 v9, s[6:7], v9, v26, s[6:7]
	s_waitcnt lgkmcnt(0)
	v_cmp_ne_u16_e32 vcc, 0, v14
	v_cmp_ge_u64_e64 s[6:7], v[8:9], v[4:5]
	s_or_b64 s[68:69], s[6:7], vcc
	v_mov_b32_e32 v26, s61
	v_add_co_u32_e64 v6, s[6:7], s60, v6
	v_addc_co_u32_e64 v7, s[6:7], v7, v26, s[6:7]
	s_and_b64 s[6:7], exec, s[68:69]
	s_or_b64 s[70:71], s[6:7], s[70:71]
	s_andn2_b64 s[6:7], s[78:79], exec
	s_and_b64 s[68:69], vcc, exec
	s_or_b64 s[78:79], s[6:7], s[68:69]
	s_barrier
	s_andn2_b64 exec, exec, s[70:71]
	s_cbranch_execz .LBB168_448
.LBB168_443:                            ;   Parent Loop BB168_6 Depth=1
                                        ; =>  This Inner Loop Header: Depth=2
	v_cmp_gt_u64_e32 vcc, s[56:57], v[8:9]
	v_mov_b32_e32 v14, 0
	s_and_saveexec_b64 s[6:7], vcc
	s_cbranch_execz .LBB168_445
; %bb.444:                              ;   in Loop: Header=BB168_443 Depth=2
	global_load_ushort v14, v[6:7], off
.LBB168_445:                            ;   in Loop: Header=BB168_443 Depth=2
	s_or_b64 exec, exec, s[6:7]
	s_and_saveexec_b64 s[6:7], vcc
	s_cbranch_execz .LBB168_442
; %bb.446:                              ;   in Loop: Header=BB168_443 Depth=2
	s_waitcnt vmcnt(0)
	v_add_u32_sdwa v26, sext(v14), s1 dst_sel:DWORD dst_unused:UNUSED_PAD src0_sel:WORD_0 src1_sel:DWORD
	v_and_b32_e32 v26, v26, v41
	v_cmp_eq_u32_e32 vcc, v26, v42
	s_and_b64 exec, exec, vcc
	s_cbranch_execz .LBB168_442
; %bb.447:                              ;   in Loop: Header=BB168_443 Depth=2
	v_perm_b32 v14, v14, 1, v40
	ds_write_b32 v15, v14 offset:3072
	s_branch .LBB168_442
.LBB168_448:                            ;   in Loop: Header=BB168_6 Depth=1
	s_or_b64 exec, exec, s[70:71]
	v_lshrrev_b32_e32 v43, 16, v14
	s_and_b64 s[78:79], s[78:79], exec
.LBB168_449:                            ;   in Loop: Header=BB168_6 Depth=1
	s_or_b64 exec, exec, s[12:13]
	s_mov_b64 s[12:13], 0
	s_mov_b64 s[6:7], -1
	s_mov_b64 s[70:71], 0
.LBB168_450:                            ;   in Loop: Header=BB168_6 Depth=1
	s_orn2_b64 s[78:79], s[78:79], exec
.LBB168_451:                            ;   in Loop: Header=BB168_6 Depth=1
	s_or_b64 exec, exec, s[54:55]
	s_mov_b64 s[80:81], 0
                                        ; implicit-def: $vgpr6
                                        ; implicit-def: $vgpr4_vgpr5
	s_and_saveexec_b64 s[54:55], s[78:79]
	s_cbranch_execz .LBB168_463
; %bb.452:                              ;   in Loop: Header=BB168_6 Depth=1
	v_mov_b32_e32 v4, 1
	s_xor_b64 s[68:69], s[4:5], -1
	v_mov_b32_e32 v6, 1
	v_mov_b32_e32 v5, 0
	s_and_saveexec_b64 s[4:5], s[68:69]
	s_cbranch_execz .LBB168_462
; %bb.453:                              ;   in Loop: Header=BB168_6 Depth=1
	v_cmp_ge_u64_e32 vcc, s[16:17], v[2:3]
                                        ; implicit-def: $sgpr68
	s_and_saveexec_b64 s[78:79], vcc
	s_xor_b64 s[78:79], exec, s[78:79]
	s_cbranch_execz .LBB168_459
; %bb.454:                              ;   in Loop: Header=BB168_6 Depth=1
	ds_read_b64 v[4:5], v15 offset:5120
	s_waitcnt lgkmcnt(0)
	v_cmp_ne_u64_e32 vcc, 0, v[4:5]
	s_cbranch_vccnz .LBB168_458
; %bb.455:                              ;   in Loop: Header=BB168_6 Depth=1
	v_readlane_b32 s30, v52, 8
	v_readlane_b32 s31, v52, 9
	s_and_saveexec_b64 s[80:81], s[30:31]
	s_cbranch_execz .LBB168_457
; %bb.456:                              ;   in Loop: Header=BB168_6 Depth=1
	v_pk_mov_b32 v[4:5], s[16:17], s[16:17] op_sel:[0,1]
	ds_write_b64 v15, v[4:5] offset:5128
.LBB168_457:                            ;   in Loop: Header=BB168_6 Depth=1
	s_or_b64 exec, exec, s[80:81]
	s_waitcnt lgkmcnt(0)
	s_barrier
.LBB168_458:                            ;   in Loop: Header=BB168_6 Depth=1
	v_and_b32_e32 v42, s90, v42
	v_or_b32_e32 v41, s82, v41
	s_mov_b32 s68, 5
.LBB168_459:                            ;   in Loop: Header=BB168_6 Depth=1
	s_or_saveexec_b64 s[78:79], s[78:79]
	v_mov_b32_e32 v6, s68
	s_xor_b64 exec, exec, s[78:79]
; %bb.460:                              ;   in Loop: Header=BB168_6 Depth=1
	v_mov_b32_e32 v4, s17
	v_subrev_co_u32_e32 v2, vcc, s16, v2
	v_subb_co_u32_e32 v3, vcc, v3, v4, vcc
	v_mov_b32_e32 v6, 5
; %bb.461:                              ;   in Loop: Header=BB168_6 Depth=1
	s_or_b64 exec, exec, s[78:79]
	v_pk_mov_b32 v[4:5], v[2:3], v[2:3] op_sel:[0,1]
.LBB168_462:                            ;   in Loop: Header=BB168_6 Depth=1
	s_or_b64 exec, exec, s[4:5]
	s_mov_b64 s[80:81], exec
.LBB168_463:                            ;   in Loop: Header=BB168_6 Depth=1
	s_or_b64 exec, exec, s[54:55]
	s_orn2_b64 s[4:5], s[80:81], exec
	v_pk_mov_b32 v[2:3], v[4:5], v[4:5] op_sel:[0,1]
.LBB168_464:                            ;   in Loop: Header=BB168_6 Depth=1
	s_or_b64 exec, exec, s[18:19]
	s_andn2_b64 s[16:17], s[46:47], exec
	s_and_b64 s[6:7], s[6:7], exec
	s_or_b64 s[46:47], s[16:17], s[6:7]
	s_andn2_b64 s[6:7], s[48:49], exec
	s_and_b64 s[12:13], s[12:13], exec
	s_or_b64 s[48:49], s[6:7], s[12:13]
	;; [unrolled: 3-line block ×3, first 2 shown]
	s_and_b64 s[12:13], s[4:5], exec
	v_pk_mov_b32 v[4:5], v[2:3], v[2:3] op_sel:[0,1]
.LBB168_465:                            ;   in Loop: Header=BB168_6 Depth=1
	s_or_b64 exec, exec, s[52:53]
	s_and_b64 s[52:53], s[46:47], exec
	s_and_b64 s[46:47], s[48:49], exec
	;; [unrolled: 1-line block ×3, first 2 shown]
	s_orn2_b64 s[4:5], s[12:13], exec
.LBB168_466:                            ;   in Loop: Header=BB168_6 Depth=1
	s_or_b64 exec, exec, s[22:23]
	s_andn2_b64 s[12:13], s[36:37], exec
	s_and_b64 s[16:17], s[52:53], exec
	s_or_b64 s[36:37], s[12:13], s[16:17]
	s_andn2_b64 s[12:13], s[40:41], exec
	s_and_b64 s[16:17], s[46:47], exec
	s_or_b64 s[40:41], s[12:13], s[16:17]
	s_andn2_b64 s[12:13], s[42:43], exec
	s_and_b64 s[6:7], s[6:7], exec
	s_or_b64 s[42:43], s[12:13], s[6:7]
	s_and_b64 s[6:7], s[4:5], exec
	v_pk_mov_b32 v[2:3], v[4:5], v[4:5] op_sel:[0,1]
.LBB168_467:                            ;   in Loop: Header=BB168_6 Depth=1
	s_or_b64 exec, exec, s[44:45]
	s_and_b64 s[36:37], s[36:37], exec
	s_and_b64 s[12:13], s[40:41], exec
	;; [unrolled: 1-line block ×3, first 2 shown]
	s_orn2_b64 s[40:41], s[6:7], exec
.LBB168_468:                            ;   in Loop: Header=BB168_6 Depth=1
	s_or_b64 exec, exec, s[24:25]
	s_mov_b64 s[6:7], s[28:29]
	s_mov_b64 s[16:17], s[26:27]
	s_and_saveexec_b64 s[18:19], s[40:41]
; %bb.469:                              ;   in Loop: Header=BB168_6 Depth=1
	v_cmp_ne_u32_e64 s[6:7], 5, v6
	v_cmp_eq_u32_e32 vcc, 5, v6
	s_andn2_b64 s[16:17], s[26:27], exec
	s_and_b64 s[6:7], s[6:7], exec
	s_or_b64 s[16:17], s[16:17], s[6:7]
	s_andn2_b64 s[6:7], s[28:29], exec
	s_and_b64 s[22:23], vcc, exec
	s_andn2_b64 s[36:37], s[36:37], exec
	s_andn2_b64 s[12:13], s[12:13], exec
	;; [unrolled: 1-line block ×3, first 2 shown]
	s_or_b64 s[6:7], s[6:7], s[22:23]
; %bb.470:                              ;   in Loop: Header=BB168_6 Depth=1
	s_or_b64 exec, exec, s[18:19]
	s_andn2_b64 s[14:15], s[14:15], exec
	s_and_b64 s[18:19], s[36:37], exec
	s_or_b64 s[14:15], s[14:15], s[18:19]
	s_andn2_b64 s[18:19], s[38:39], exec
	s_and_b64 s[12:13], s[12:13], exec
	s_or_b64 s[38:39], s[18:19], s[12:13]
	;; [unrolled: 3-line block ×5, first 2 shown]
	v_mov_b32_e32 v28, v42
	v_mov_b32_e32 v29, v41
	;; [unrolled: 1-line block ×3, first 2 shown]
.LBB168_471:                            ;   in Loop: Header=BB168_6 Depth=1
	s_or_b64 exec, exec, s[34:35]
	s_mov_b64 s[36:37], s[20:21]
	s_mov_b64 s[34:35], s[20:21]
	s_and_saveexec_b64 s[4:5], s[28:29]
.LBB168_472:                            ;   in Loop: Header=BB168_6 Depth=1
	v_mov_b32_e32 v6, 0
	s_andn2_b64 s[20:21], s[20:21], exec
	s_andn2_b64 s[14:15], s[14:15], exec
	;; [unrolled: 1-line block ×5, first 2 shown]
	s_or_b64 s[26:27], s[26:27], exec
.LBB168_473:                            ;   in Loop: Header=BB168_6 Depth=1
	s_or_b64 exec, exec, s[4:5]
	s_andn2_b64 s[4:5], s[10:11], exec
	s_and_b64 s[10:11], s[20:21], exec
	s_or_b64 s[10:11], s[4:5], s[10:11]
	s_andn2_b64 s[4:5], s[8:9], exec
	s_and_b64 s[8:9], s[14:15], exec
	s_or_b64 s[8:9], s[4:5], s[8:9]
	v_readlane_b32 s4, v52, 52
	v_readlane_b32 s5, v52, 53
	s_andn2_b64 s[4:5], s[4:5], exec
	s_and_b64 s[12:13], s[38:39], exec
	s_or_b64 s[30:31], s[4:5], s[12:13]
	v_readlane_b32 s4, v52, 50
	v_readlane_b32 s5, v52, 51
	;; [unrolled: 5-line block ×3, first 2 shown]
	s_andn2_b64 s[4:5], s[4:5], exec
	s_and_b64 s[12:13], s[34:35], exec
	s_mov_b64 s[6:7], -1
	s_or_b64 s[24:25], s[4:5], s[12:13]
                                        ; implicit-def: $vgpr41
                                        ; implicit-def: $vgpr42
                                        ; implicit-def: $vgpr26_vgpr27
                                        ; implicit-def: $vgpr43
	s_and_saveexec_b64 s[4:5], s[26:27]
	s_xor_b64 s[4:5], exec, s[4:5]
	s_cbranch_execz .LBB168_5
; %bb.474:                              ;   in Loop: Header=BB168_6 Depth=1
	v_cmp_eq_u32_e32 vcc, 0, v6
	s_mov_b64 s[12:13], -1
	s_and_saveexec_b64 s[14:15], vcc
	s_cbranch_execz .LBB168_4
; %bb.475:                              ;   in Loop: Header=BB168_6 Depth=1
	v_readlane_b32 s6, v52, 45
	s_xor_b32 s6, s6, 1
	v_writelane_b32 v52, s6, 45
	v_readlane_b32 s6, v52, 44
	s_add_i32 s16, s6, -2
	s_cmp_eq_u32 s6, 0
	s_cselect_b64 s[6:7], -1, 0
	s_xor_b64 s[12:13], exec, -1
	s_orn2_b64 s[6:7], s[6:7], exec
	v_writelane_b32 v52, s16, 44
	s_branch .LBB168_4
.LBB168_476:
	s_or_b64 exec, exec, s[74:75]
	s_xor_b64 s[4:5], s[92:93], -1
	s_xor_b64 s[14:15], s[76:77], -1
	;; [unrolled: 1-line block ×5, first 2 shown]
	s_mov_b64 s[8:9], 0
	s_and_saveexec_b64 s[6:7], s[0:1]
	s_xor_b64 s[6:7], exec, s[6:7]
	s_cbranch_execnz .LBB168_481
; %bb.477:
	s_andn2_saveexec_b64 s[0:1], s[6:7]
	s_cbranch_execnz .LBB168_500
.LBB168_478:
	s_or_b64 exec, exec, s[0:1]
	s_and_saveexec_b64 s[0:1], s[8:9]
.LBB168_479:
	; divergent unreachable
.LBB168_480:
	s_endpgm
.LBB168_481:
	s_mov_b64 s[10:11], 0
	s_and_saveexec_b64 s[0:1], s[12:13]
	s_xor_b64 s[8:9], exec, s[0:1]
	s_cbranch_execz .LBB168_498
; %bb.482:
	s_mov_b64 s[12:13], 0
	s_and_saveexec_b64 s[0:1], s[14:15]
	s_xor_b64 s[10:11], exec, s[0:1]
	s_cbranch_execz .LBB168_496
; %bb.483:
	;; [unrolled: 5-line block ×3, first 2 shown]
	s_and_saveexec_b64 s[0:1], s[2:3]
	s_xor_b64 s[2:3], exec, s[0:1]
; %bb.485:
	v_xor_b32_e32 v30, 0xffff8000, v28
; %bb.486:
	s_or_b64 exec, exec, s[2:3]
	s_mov_b64 s[2:3], exec
	v_readlane_b32 s4, v52, 10
	v_readlane_b32 s5, v52, 11
	s_load_dwordx2 s[38:39], s[4:5], 0x0
	v_readlane_b32 s0, v52, 8
	v_readlane_b32 s1, v52, 9
	;; [unrolled: 1-line block ×3, first 2 shown]
	s_and_b64 s[0:1], s[2:3], s[0:1]
	v_readlane_b32 s41, v52, 17
	s_mov_b64 exec, s[0:1]
	s_cbranch_execz .LBB168_488
; %bb.487:
	v_mov_b32_e32 v2, 0
	v_mov_b32_e32 v3, v2
	ds_write_b64 v2, v[2:3] offset:5136
.LBB168_488:
	s_or_b64 exec, exec, s[2:3]
	v_mov_b32_e32 v20, 0
	s_waitcnt lgkmcnt(0)
	s_barrier
	s_mov_b64 s[2:3], exec
	v_readlane_b32 s0, v52, 22
	v_readlane_b32 s1, v52, 23
	s_and_b64 s[0:1], s[2:3], s[0:1]
	s_mov_b64 exec, s[0:1]
	s_cbranch_execz .LBB168_490
; %bb.489:
	global_load_ushort v20, v[12:13], off
.LBB168_490:
	s_or_b64 exec, exec, s[2:3]
	s_add_u32 s0, s56, 63
	s_addc_u32 s15, s57, 0
	s_and_b32 s14, s0, 0xffffffc0
	v_readlane_b32 s0, v52, 12
	v_readlane_b32 s2, v52, 4
	;; [unrolled: 1-line block ×3, first 2 shown]
	s_mov_b32 s16, s0
	v_readlane_b32 s3, v52, 5
	v_readlane_b32 s18, v52, 0
	s_mul_i32 s0, s3, s0
	s_mul_hi_u32 s1, s2, s16
	v_readlane_b32 s19, v52, 1
	s_add_i32 s1, s1, s0
	s_mul_i32 s0, s2, s16
	s_mul_i32 s2, s19, s16
	s_mul_hi_u32 s3, s18, s16
	s_add_i32 s3, s3, s2
	s_mul_i32 s2, s18, s16
	s_lshl_b64 s[0:1], s[0:1], 1
	v_readlane_b32 s16, v52, 6
	v_readlane_b32 s17, v52, 7
	s_add_u32 s0, s16, s0
	s_addc_u32 s1, s17, s1
	s_lshl_b64 s[2:3], s[2:3], 3
	v_readlane_b32 s16, v52, 2
	v_readlane_b32 s17, v52, 3
	s_add_u32 s46, s16, s2
	s_addc_u32 s47, s17, s3
	s_load_dwordx2 s[16:17], s[4:5], 0x368
	s_load_dwordx2 s[18:19], s[4:5], 0x510
	v_cmp_gt_u64_e32 vcc, s[14:15], v[0:1]
	s_mov_b64 s[22:23], -1
	s_mov_b64 s[2:3], 0
	v_add_u32_e32 v18, s33, v0
	s_mov_b64 s[4:5], 0
	s_and_saveexec_b64 s[20:21], vcc
	s_cbranch_execnz .LBB168_501
; %bb.491:
	s_or_b64 exec, exec, s[20:21]
	s_and_saveexec_b64 s[20:21], s[22:23]
	s_cbranch_execnz .LBB168_516
.LBB168_492:
	s_or_b64 exec, exec, s[20:21]
	s_and_saveexec_b64 s[0:1], s[4:5]
	s_xor_b64 s[0:1], exec, s[0:1]
	s_cbranch_execnz .LBB168_538
.LBB168_493:
	s_or_b64 exec, exec, s[0:1]
	s_and_b64 s[14:15], s[2:3], exec
.LBB168_494:
	s_andn2_saveexec_b64 s[0:1], s[12:13]
	s_cbranch_execnz .LBB168_541
.LBB168_495:
	s_or_b64 exec, exec, s[0:1]
	s_and_b64 s[12:13], s[14:15], exec
.LBB168_496:
	s_andn2_saveexec_b64 s[0:1], s[10:11]
	s_cbranch_execnz .LBB168_540
.LBB168_497:
	s_or_b64 exec, exec, s[0:1]
	s_and_b64 s[10:11], s[12:13], exec
.LBB168_498:
	s_andn2_saveexec_b64 s[0:1], s[8:9]
	s_cbranch_execnz .LBB168_539
.LBB168_499:
	s_or_b64 exec, exec, s[0:1]
	s_and_b64 s[8:9], s[10:11], exec
	s_andn2_saveexec_b64 s[0:1], s[6:7]
	s_cbranch_execz .LBB168_478
.LBB168_500:
	s_or_b64 s[8:9], s[8:9], exec
	s_trap 2
	s_or_b64 exec, exec, s[0:1]
	s_and_saveexec_b64 s[0:1], s[8:9]
	s_cbranch_execnz .LBB168_479
	s_branch .LBB168_480
.LBB168_501:
	v_mad_u64_u32 v[2:3], s[4:5], s62, v18, 0
	v_mov_b32_e32 v4, v3
	v_mad_u64_u32 v[4:5], s[4:5], s63, v18, v[4:5]
	v_readlane_b32 s4, v52, 14
	v_mov_b32_e32 v3, v4
	v_readlane_b32 s5, v52, 15
	s_add_u32 s4, s38, s4
	v_lshlrev_b64 v[2:3], 1, v[2:3]
	s_addc_u32 s5, s39, s5
	s_mov_b32 s36, 0x8000
	v_mov_b32_e32 v4, s5
	v_add_co_u32_e32 v2, vcc, s4, v2
	v_add_u32_sdwa v19, sext(v30), s36 dst_sel:DWORD dst_unused:UNUSED_PAD src0_sel:WORD_0 src1_sel:DWORD
	v_addc_co_u32_e32 v3, vcc, v4, v3, vcc
	s_mov_b64 s[22:23], 0
	v_mov_b32_e32 v21, s88
	v_mov_b32_e32 v5, 0
	v_pk_mov_b32 v[14:15], v[0:1], v[0:1] op_sel:[0,1]
                                        ; implicit-def: $sgpr24_sgpr25
                                        ; implicit-def: $vgpr8_vgpr9
	s_branch .LBB168_503
.LBB168_502:                            ;   in Loop: Header=BB168_503 Depth=1
	s_or_b64 exec, exec, s[26:27]
	s_xor_b64 s[26:27], s[30:31], -1
	s_and_b64 s[4:5], exec, s[4:5]
	s_or_b64 s[22:23], s[4:5], s[22:23]
	s_andn2_b64 s[4:5], s[24:25], exec
	s_and_b64 s[24:25], s[26:27], exec
	s_or_b64 s[24:25], s[4:5], s[24:25]
	v_mov_b32_e32 v20, v22
	v_pk_mov_b32 v[14:15], v[6:7], v[6:7] op_sel:[0,1]
	s_andn2_b64 exec, exec, s[22:23]
	s_cbranch_execz .LBB168_515
.LBB168_503:                            ; =>This Inner Loop Header: Depth=1
	v_add_co_u32_e32 v6, vcc, s33, v14
	v_addc_co_u32_e32 v7, vcc, v15, v21, vcc
	v_cmp_gt_u64_e32 vcc, s[56:57], v[6:7]
	v_mov_b32_e32 v22, 0
	s_and_saveexec_b64 s[4:5], vcc
	s_cbranch_execz .LBB168_505
; %bb.504:                              ;   in Loop: Header=BB168_503 Depth=1
	global_load_ushort v22, v[2:3], off
.LBB168_505:                            ;   in Loop: Header=BB168_503 Depth=1
	s_or_b64 exec, exec, s[4:5]
	s_waitcnt vmcnt(0)
	v_add_u32_sdwa v4, sext(v20), s36 dst_sel:DWORD dst_unused:UNUSED_PAD src0_sel:WORD_0 src1_sel:DWORD
	v_cmp_gt_u32_e64 s[4:5], v4, v19
	v_cndmask_b32_e64 v16, 0, 1, s[4:5]
	v_cmp_lt_u32_e64 s[4:5], v4, v19
	v_cndmask_b32_e64 v4, 0, 1, s[4:5]
	v_cndmask_b32_e64 v4, v4, v16, s[40:41]
	v_and_b32_e32 v4, 1, v4
	v_cmp_gt_u64_e32 vcc, s[56:57], v[14:15]
	v_cmp_eq_u32_e64 s[4:5], 1, v4
	s_and_b64 s[28:29], vcc, s[4:5]
	v_cndmask_b32_e64 v4, 0, 1, s[28:29]
	v_cmp_ne_u32_e32 vcc, 0, v4
	s_cmp_lg_u64 vcc, 0
	s_cselect_b64 s[4:5], -1, 0
	s_and_b64 s[4:5], s[94:95], s[4:5]
	s_and_saveexec_b64 s[26:27], s[4:5]
	s_cbranch_execz .LBB168_509
; %bb.506:                              ;   in Loop: Header=BB168_503 Depth=1
	s_mov_b64 s[34:35], exec
	v_mbcnt_lo_u32_b32 v4, s34, 0
	v_mbcnt_hi_u32_b32 v16, s35, v4
	s_bcnt1_i32_b64 s37, vcc
	v_cmp_eq_u32_e64 s[4:5], 0, v16
                                        ; implicit-def: $vgpr8_vgpr9
	s_and_saveexec_b64 s[30:31], s[4:5]
	s_cbranch_execz .LBB168_508
; %bb.507:                              ;   in Loop: Header=BB168_503 Depth=1
	s_bcnt1_i32_b64 s4, s[34:35]
	s_mul_i32 s4, s37, s4
	v_mov_b32_e32 v4, s4
	s_waitcnt lgkmcnt(0)
	ds_add_rtn_u64 v[8:9], v5, v[4:5] offset:5136
.LBB168_508:                            ;   in Loop: Header=BB168_503 Depth=1
	s_or_b64 exec, exec, s[30:31]
	s_waitcnt lgkmcnt(0)
	v_readfirstlane_b32 s4, v9
	v_readfirstlane_b32 s5, v8
	v_mov_b32_e32 v8, s5
	v_mov_b32_e32 v9, s4
	v_mad_u64_u32 v[8:9], s[4:5], s37, v16, v[8:9]
.LBB168_509:                            ;   in Loop: Header=BB168_503 Depth=1
	s_or_b64 exec, exec, s[26:27]
	s_waitcnt lgkmcnt(0)
	ds_bpermute_b32 v8, v32, v8
	ds_bpermute_b32 v9, v32, v9
	s_mov_b64 s[4:5], -1
	s_mov_b64 s[34:35], -1
                                        ; implicit-def: $sgpr30_sgpr31
	s_and_saveexec_b64 s[26:27], s[28:29]
	s_cbranch_execz .LBB168_513
; %bb.510:                              ;   in Loop: Header=BB168_503 Depth=1
	v_and_b32_e32 v16, vcc_lo, v10
	v_and_b32_e32 v4, vcc_hi, v11
	v_bcnt_u32_b32 v16, v16, 0
	v_bcnt_u32_b32 v4, v4, v16
	s_waitcnt lgkmcnt(0)
	v_add_co_u32_e32 v16, vcc, v8, v4
	v_addc_co_u32_e32 v17, vcc, 0, v9, vcc
	v_cmp_gt_u64_e32 vcc, s[58:59], v[16:17]
	s_mov_b64 s[28:29], 0
	s_and_saveexec_b64 s[30:31], vcc
	s_cbranch_execz .LBB168_512
; %bb.511:                              ;   in Loop: Header=BB168_503 Depth=1
	v_mul_lo_u32 v4, v17, s16
	v_mul_lo_u32 v23, v16, s17
	v_mad_u64_u32 v[24:25], s[34:35], v16, s16, 0
	v_add3_u32 v25, v25, v23, v4
	v_mul_lo_u32 v4, v17, s18
	v_mul_lo_u32 v23, v16, s19
	v_mad_u64_u32 v[16:17], s[34:35], v16, s18, 0
	v_lshlrev_b64 v[24:25], 1, v[24:25]
	v_add3_u32 v17, v17, v23, v4
	v_mov_b32_e32 v4, s1
	v_add_co_u32_e32 v24, vcc, s0, v24
	v_addc_co_u32_e32 v25, vcc, v4, v25, vcc
	v_lshlrev_b64 v[16:17], 3, v[16:17]
	v_mov_b32_e32 v4, s47
	v_add_co_u32_e32 v16, vcc, s46, v16
	s_mov_b64 s[28:29], exec
	v_addc_co_u32_e32 v17, vcc, v4, v17, vcc
	global_store_short v[24:25], v20, off
	global_store_dwordx2 v[16:17], v[14:15], off
.LBB168_512:                            ;   in Loop: Header=BB168_503 Depth=1
	s_or_b64 exec, exec, s[30:31]
	s_mov_b64 s[30:31], -1
	s_orn2_b64 s[34:35], s[28:29], exec
.LBB168_513:                            ;   in Loop: Header=BB168_503 Depth=1
	s_or_b64 exec, exec, s[26:27]
	s_and_saveexec_b64 s[26:27], s[34:35]
	s_cbranch_execz .LBB168_502
; %bb.514:                              ;   in Loop: Header=BB168_503 Depth=1
	v_mov_b32_e32 v4, s61
	v_add_co_u32_e32 v2, vcc, s60, v2
	v_addc_co_u32_e32 v3, vcc, v3, v4, vcc
	v_cmp_le_u64_e32 vcc, s[14:15], v[6:7]
	s_andn2_b64 s[30:31], s[30:31], exec
	s_orn2_b64 s[4:5], vcc, exec
	s_branch .LBB168_502
.LBB168_515:
	s_or_b64 exec, exec, s[22:23]
	s_mov_b64 s[4:5], exec
	s_orn2_b64 s[22:23], s[24:25], exec
	s_or_b64 exec, exec, s[20:21]
	s_and_saveexec_b64 s[20:21], s[22:23]
	s_cbranch_execz .LBB168_492
.LBB168_516:
	v_mov_b32_e32 v3, 0
	v_mov_b32_e32 v14, 0
	s_waitcnt lgkmcnt(0)
	s_barrier
	s_mov_b64 s[2:3], exec
	v_readlane_b32 s22, v52, 22
	v_readlane_b32 s23, v52, 23
	s_and_b64 s[22:23], s[2:3], s[22:23]
	s_mov_b64 exec, s[22:23]
	s_cbranch_execz .LBB168_518
; %bb.517:
	global_load_ushort v14, v[12:13], off
.LBB168_518:
	s_or_b64 exec, exec, s[2:3]
	v_mad_u64_u32 v[4:5], s[2:3], s62, v18, 0
	v_mov_b32_e32 v2, v5
	v_mad_u64_u32 v[6:7], s[2:3], s63, v18, v[2:3]
	v_readlane_b32 s2, v52, 14
	v_mov_b32_e32 v5, v6
	v_readlane_b32 s3, v52, 15
	s_add_u32 s2, s38, s2
	v_lshlrev_b64 v[4:5], 1, v[4:5]
	s_addc_u32 s3, s39, s3
	v_mov_b32_e32 v2, s3
	v_add_co_u32_e32 v4, vcc, s2, v4
	v_addc_co_u32_e32 v5, vcc, v2, v5, vcc
	s_mov_b64 s[24:25], 0
                                        ; implicit-def: $sgpr22_sgpr23
                                        ; implicit-def: $sgpr26_sgpr27
                                        ; implicit-def: $sgpr28_sgpr29
                                        ; implicit-def: $vgpr6_vgpr7
	s_branch .LBB168_521
.LBB168_519:                            ;   in Loop: Header=BB168_521 Depth=1
	s_or_b64 exec, exec, s[36:37]
	s_andn2_b64 s[28:29], s[28:29], exec
	s_and_b64 s[34:35], s[40:41], exec
	s_andn2_b64 s[26:27], s[26:27], exec
	s_and_b64 s[2:3], s[2:3], exec
	s_or_b64 s[28:29], s[28:29], s[34:35]
	s_or_b64 s[26:27], s[26:27], s[2:3]
	v_pk_mov_b32 v[0:1], v[8:9], v[8:9] op_sel:[0,1]
.LBB168_520:                            ;   in Loop: Header=BB168_521 Depth=1
	s_or_b64 exec, exec, s[30:31]
	s_xor_b64 s[2:3], s[28:29], -1
	s_and_b64 s[30:31], exec, s[26:27]
	s_or_b64 s[24:25], s[30:31], s[24:25]
	s_andn2_b64 s[22:23], s[22:23], exec
	s_and_b64 s[2:3], s[2:3], exec
	s_or_b64 s[22:23], s[22:23], s[2:3]
	s_andn2_b64 exec, exec, s[24:25]
	s_cbranch_execz .LBB168_536
.LBB168_521:                            ; =>This Inner Loop Header: Depth=1
	v_cmp_gt_u64_e32 vcc, s[14:15], v[0:1]
	s_or_b64 s[28:29], s[28:29], exec
	s_or_b64 s[26:27], s[26:27], exec
	s_and_saveexec_b64 s[30:31], vcc
	s_cbranch_execz .LBB168_520
; %bb.522:                              ;   in Loop: Header=BB168_521 Depth=1
	v_mov_b32_e32 v2, s88
	v_add_co_u32_e32 v8, vcc, s33, v0
	v_addc_co_u32_e32 v9, vcc, v1, v2, vcc
	v_cmp_gt_u64_e32 vcc, s[56:57], v[8:9]
	v_mov_b32_e32 v15, 0
	s_and_saveexec_b64 s[2:3], vcc
	s_cbranch_execz .LBB168_524
; %bb.523:                              ;   in Loop: Header=BB168_521 Depth=1
	global_load_ushort v15, v[4:5], off
.LBB168_524:                            ;   in Loop: Header=BB168_521 Depth=1
	s_or_b64 exec, exec, s[2:3]
	v_cmp_gt_u64_e32 vcc, s[56:57], v[0:1]
	s_waitcnt vmcnt(0)
	v_cmp_eq_u16_e64 s[2:3], v14, v30
	s_and_b64 s[36:37], vcc, s[2:3]
	v_cndmask_b32_e64 v2, 0, 1, s[36:37]
	v_cmp_ne_u32_e32 vcc, 0, v2
	s_cmp_lg_u64 vcc, 0
	s_cselect_b64 s[2:3], -1, 0
	s_and_b64 s[2:3], s[94:95], s[2:3]
	s_and_saveexec_b64 s[34:35], s[2:3]
	s_cbranch_execz .LBB168_528
; %bb.525:                              ;   in Loop: Header=BB168_521 Depth=1
	s_mov_b64 s[40:41], exec
	v_mbcnt_lo_u32_b32 v2, s40, 0
	v_mbcnt_hi_u32_b32 v12, s41, v2
	s_bcnt1_i32_b64 s42, vcc
	v_cmp_eq_u32_e64 s[2:3], 0, v12
                                        ; implicit-def: $vgpr6_vgpr7
	s_and_saveexec_b64 s[38:39], s[2:3]
	s_cbranch_execz .LBB168_527
; %bb.526:                              ;   in Loop: Header=BB168_521 Depth=1
	s_bcnt1_i32_b64 s2, s[40:41]
	s_mul_i32 s2, s42, s2
	v_mov_b32_e32 v2, s2
	ds_add_rtn_u64 v[6:7], v3, v[2:3] offset:5136
.LBB168_527:                            ;   in Loop: Header=BB168_521 Depth=1
	s_or_b64 exec, exec, s[38:39]
	s_waitcnt lgkmcnt(0)
	v_readfirstlane_b32 s2, v7
	v_readfirstlane_b32 s3, v6
	v_mov_b32_e32 v6, s3
	v_mov_b32_e32 v7, s2
	v_mad_u64_u32 v[6:7], s[2:3], s42, v12, v[6:7]
.LBB168_528:                            ;   in Loop: Header=BB168_521 Depth=1
	s_or_b64 exec, exec, s[34:35]
	ds_bpermute_b32 v6, v32, v6
	ds_bpermute_b32 v7, v32, v7
	s_cmp_eq_u64 vcc, 0
	s_cselect_b64 s[34:35], -1, 0
	s_mov_b64 s[38:39], -1
	s_mov_b64 s[40:41], -1
	s_waitcnt lgkmcnt(0)
	v_cmp_gt_u64_e64 s[2:3], s[58:59], v[6:7]
	s_or_b64 s[34:35], s[34:35], s[2:3]
	v_cndmask_b32_e64 v14, v14, v15, s[34:35]
	s_and_b64 s[42:43], s[36:37], s[34:35]
	s_mov_b64 s[2:3], -1
	s_and_saveexec_b64 s[36:37], s[42:43]
	s_cbranch_execz .LBB168_534
; %bb.529:                              ;   in Loop: Header=BB168_521 Depth=1
	v_and_b32_e32 v12, vcc_lo, v10
	v_and_b32_e32 v2, vcc_hi, v11
	v_bcnt_u32_b32 v12, v12, 0
	v_bcnt_u32_b32 v2, v2, v12
	v_mov_b32_e32 v13, s59
	v_sub_co_u32_e32 v12, vcc, s58, v6
	v_subb_co_u32_e32 v13, vcc, v13, v7, vcc
	v_cmp_le_u64_e64 s[38:39], v[12:13], v[2:3]
	v_cmp_gt_u64_e32 vcc, v[12:13], v[2:3]
	s_mov_b64 s[42:43], -1
	s_and_saveexec_b64 s[40:41], vcc
	s_cbranch_execz .LBB168_533
; %bb.530:                              ;   in Loop: Header=BB168_521 Depth=1
	v_add_co_u32_e32 v12, vcc, v6, v2
	v_addc_co_u32_e32 v13, vcc, 0, v7, vcc
	v_cmp_gt_u64_e32 vcc, s[58:59], v[12:13]
	s_mov_b64 s[44:45], s[38:39]
	s_and_saveexec_b64 s[42:43], vcc
	s_cbranch_execz .LBB168_532
; %bb.531:                              ;   in Loop: Header=BB168_521 Depth=1
	v_mul_lo_u32 v2, v13, s16
	v_mul_lo_u32 v14, v12, s17
	v_mad_u64_u32 v[16:17], s[44:45], v12, s16, 0
	v_add3_u32 v17, v17, v14, v2
	v_mul_lo_u32 v2, v13, s18
	v_mul_lo_u32 v14, v12, s19
	v_mad_u64_u32 v[12:13], s[44:45], v12, s18, 0
	v_lshlrev_b64 v[16:17], 1, v[16:17]
	v_add3_u32 v13, v13, v14, v2
	v_mov_b32_e32 v2, s1
	v_add_co_u32_e32 v16, vcc, s0, v16
	v_addc_co_u32_e32 v17, vcc, v2, v17, vcc
	v_lshlrev_b64 v[12:13], 3, v[12:13]
	v_mov_b32_e32 v2, s47
	v_add_co_u32_e32 v12, vcc, s46, v12
	v_addc_co_u32_e32 v13, vcc, v2, v13, vcc
	s_or_b64 s[44:45], s[38:39], exec
	global_store_short v[16:17], v30, off
	global_store_dwordx2 v[12:13], v[0:1], off
.LBB168_532:                            ;   in Loop: Header=BB168_521 Depth=1
	s_or_b64 exec, exec, s[42:43]
	s_andn2_b64 s[38:39], s[38:39], exec
	s_and_b64 s[44:45], s[44:45], exec
	s_xor_b64 s[42:43], exec, -1
	s_or_b64 s[38:39], s[38:39], s[44:45]
.LBB168_533:                            ;   in Loop: Header=BB168_521 Depth=1
	s_or_b64 exec, exec, s[40:41]
	s_orn2_b64 s[40:41], s[42:43], exec
	s_or_b64 s[34:35], s[34:35], exec
	s_orn2_b64 s[38:39], s[38:39], exec
	v_mov_b32_e32 v14, v15
.LBB168_534:                            ;   in Loop: Header=BB168_521 Depth=1
	s_or_b64 exec, exec, s[36:37]
	s_and_saveexec_b64 s[36:37], s[38:39]
	s_cbranch_execz .LBB168_519
; %bb.535:                              ;   in Loop: Header=BB168_521 Depth=1
	s_xor_b64 s[2:3], s[34:35], -1
	v_mov_b32_e32 v0, s61
	v_add_co_u32_e32 v4, vcc, s60, v4
	v_addc_co_u32_e32 v5, vcc, v5, v0, vcc
	s_or_b64 s[40:41], s[40:41], exec
	s_orn2_b64 s[2:3], s[2:3], exec
	s_branch .LBB168_519
.LBB168_536:
	s_or_b64 exec, exec, s[24:25]
	s_mov_b64 s[0:1], 0
	s_and_saveexec_b64 s[2:3], s[22:23]
	s_xor_b64 s[2:3], exec, s[2:3]
	s_cbranch_execnz .LBB168_542
.LBB168_537:
	s_or_b64 exec, exec, s[2:3]
	s_and_b64 s[2:3], s[0:1], exec
	s_andn2_b64 s[4:5], s[4:5], exec
	s_or_b64 exec, exec, s[20:21]
	s_and_saveexec_b64 s[0:1], s[4:5]
	s_xor_b64 s[0:1], exec, s[0:1]
	s_cbranch_execz .LBB168_493
.LBB168_538:
	s_or_b64 s[2:3], s[2:3], exec
	s_trap 2
	s_branch .LBB168_493
.LBB168_539:
	s_or_b64 s[10:11], s[10:11], exec
	s_trap 2
	s_branch .LBB168_499
.LBB168_540:
	s_or_b64 s[12:13], s[12:13], exec
	s_trap 2
	s_branch .LBB168_497
.LBB168_541:
	s_trap 2
	s_or_b64 s[14:15], s[14:15], exec
	s_branch .LBB168_495
.LBB168_542:
	s_mov_b64 s[0:1], exec
	s_trap 2
	s_branch .LBB168_537
	.section	.rodata,"a",@progbits
	.p2align	6, 0x0
	.amdhsa_kernel _ZN2at6native6sbtopk10gatherTopKIsmLi1ELb0EEEvNS_4cuda6detail10TensorInfoIKT_T0_EES8_S8_bS8_S8_NS5_IS6_S8_EES8_NS5_IlS8_EES8_PS6_
		.amdhsa_group_segment_fixed_size 5152
		.amdhsa_private_segment_fixed_size 0
		.amdhsa_kernarg_size 1568
		.amdhsa_user_sgpr_count 6
		.amdhsa_user_sgpr_private_segment_buffer 1
		.amdhsa_user_sgpr_dispatch_ptr 0
		.amdhsa_user_sgpr_queue_ptr 0
		.amdhsa_user_sgpr_kernarg_segment_ptr 1
		.amdhsa_user_sgpr_dispatch_id 0
		.amdhsa_user_sgpr_flat_scratch_init 0
		.amdhsa_user_sgpr_kernarg_preload_length 0
		.amdhsa_user_sgpr_kernarg_preload_offset 0
		.amdhsa_user_sgpr_private_segment_size 0
		.amdhsa_uses_dynamic_stack 0
		.amdhsa_system_sgpr_private_segment_wavefront_offset 0
		.amdhsa_system_sgpr_workgroup_id_x 1
		.amdhsa_system_sgpr_workgroup_id_y 1
		.amdhsa_system_sgpr_workgroup_id_z 1
		.amdhsa_system_sgpr_workgroup_info 0
		.amdhsa_system_vgpr_workitem_id 0
		.amdhsa_next_free_vgpr 53
		.amdhsa_next_free_sgpr 96
		.amdhsa_accum_offset 56
		.amdhsa_reserve_vcc 1
		.amdhsa_reserve_flat_scratch 0
		.amdhsa_float_round_mode_32 0
		.amdhsa_float_round_mode_16_64 0
		.amdhsa_float_denorm_mode_32 3
		.amdhsa_float_denorm_mode_16_64 3
		.amdhsa_dx10_clamp 1
		.amdhsa_ieee_mode 1
		.amdhsa_fp16_overflow 0
		.amdhsa_tg_split 0
		.amdhsa_exception_fp_ieee_invalid_op 0
		.amdhsa_exception_fp_denorm_src 0
		.amdhsa_exception_fp_ieee_div_zero 0
		.amdhsa_exception_fp_ieee_overflow 0
		.amdhsa_exception_fp_ieee_underflow 0
		.amdhsa_exception_fp_ieee_inexact 0
		.amdhsa_exception_int_div_zero 0
	.end_amdhsa_kernel
	.section	.text._ZN2at6native6sbtopk10gatherTopKIsmLi1ELb0EEEvNS_4cuda6detail10TensorInfoIKT_T0_EES8_S8_bS8_S8_NS5_IS6_S8_EES8_NS5_IlS8_EES8_PS6_,"axG",@progbits,_ZN2at6native6sbtopk10gatherTopKIsmLi1ELb0EEEvNS_4cuda6detail10TensorInfoIKT_T0_EES8_S8_bS8_S8_NS5_IS6_S8_EES8_NS5_IlS8_EES8_PS6_,comdat
.Lfunc_end168:
	.size	_ZN2at6native6sbtopk10gatherTopKIsmLi1ELb0EEEvNS_4cuda6detail10TensorInfoIKT_T0_EES8_S8_bS8_S8_NS5_IS6_S8_EES8_NS5_IlS8_EES8_PS6_, .Lfunc_end168-_ZN2at6native6sbtopk10gatherTopKIsmLi1ELb0EEEvNS_4cuda6detail10TensorInfoIKT_T0_EES8_S8_bS8_S8_NS5_IS6_S8_EES8_NS5_IlS8_EES8_PS6_
                                        ; -- End function
	.section	.AMDGPU.csdata,"",@progbits
; Kernel info:
; codeLenInByte = 26788
; NumSgprs: 100
; NumVgprs: 53
; NumAgprs: 0
; TotalNumVgprs: 53
; ScratchSize: 0
; MemoryBound: 0
; FloatMode: 240
; IeeeMode: 1
; LDSByteSize: 5152 bytes/workgroup (compile time only)
; SGPRBlocks: 12
; VGPRBlocks: 6
; NumSGPRsForWavesPerEU: 100
; NumVGPRsForWavesPerEU: 53
; AccumOffset: 56
; Occupancy: 8
; WaveLimiterHint : 1
; COMPUTE_PGM_RSRC2:SCRATCH_EN: 0
; COMPUTE_PGM_RSRC2:USER_SGPR: 6
; COMPUTE_PGM_RSRC2:TRAP_HANDLER: 0
; COMPUTE_PGM_RSRC2:TGID_X_EN: 1
; COMPUTE_PGM_RSRC2:TGID_Y_EN: 1
; COMPUTE_PGM_RSRC2:TGID_Z_EN: 1
; COMPUTE_PGM_RSRC2:TIDIG_COMP_CNT: 0
; COMPUTE_PGM_RSRC3_GFX90A:ACCUM_OFFSET: 13
; COMPUTE_PGM_RSRC3_GFX90A:TG_SPLIT: 0
	.section	.text._ZN2at6native6mbtopk23computeBlockDigitCountsIsmjLi2EEEvNS_4cuda6detail10TensorInfoIKT_T0_EEjPjjS8_iijT1_PSB_Ps,"axG",@progbits,_ZN2at6native6mbtopk23computeBlockDigitCountsIsmjLi2EEEvNS_4cuda6detail10TensorInfoIKT_T0_EEjPjjS8_iijT1_PSB_Ps,comdat
	.protected	_ZN2at6native6mbtopk23computeBlockDigitCountsIsmjLi2EEEvNS_4cuda6detail10TensorInfoIKT_T0_EEjPjjS8_iijT1_PSB_Ps ; -- Begin function _ZN2at6native6mbtopk23computeBlockDigitCountsIsmjLi2EEEvNS_4cuda6detail10TensorInfoIKT_T0_EEjPjjS8_iijT1_PSB_Ps
	.globl	_ZN2at6native6mbtopk23computeBlockDigitCountsIsmjLi2EEEvNS_4cuda6detail10TensorInfoIKT_T0_EEjPjjS8_iijT1_PSB_Ps
	.p2align	8
	.type	_ZN2at6native6mbtopk23computeBlockDigitCountsIsmjLi2EEEvNS_4cuda6detail10TensorInfoIKT_T0_EEjPjjS8_iijT1_PSB_Ps,@function
_ZN2at6native6mbtopk23computeBlockDigitCountsIsmjLi2EEEvNS_4cuda6detail10TensorInfoIKT_T0_EEjPjjS8_iijT1_PSB_Ps: ; @_ZN2at6native6mbtopk23computeBlockDigitCountsIsmjLi2EEEvNS_4cuda6detail10TensorInfoIKT_T0_EEjPjjS8_iijT1_PSB_Ps
; %bb.0:
	s_load_dwordx4 s[12:15], s[4:5], 0x1c0
	s_load_dword s2, s[4:5], 0x1b0
	s_load_dwordx2 s[0:1], s[4:5], 0x1e0
	s_waitcnt lgkmcnt(0)
	v_cvt_f32_u32_e32 v1, s14
	s_sub_i32 s3, 0, s14
	s_mul_i32 s1, s1, s8
	s_add_i32 s1, s1, s7
	v_rcp_iflag_f32_e32 v1, v1
	s_mul_i32 s18, s1, s0
	s_add_i32 s18, s18, s6
	s_mov_b32 s7, 0
	v_mul_f32_e32 v1, 0x4f7ffffe, v1
	v_cvt_u32_f32_e32 v1, v1
	v_readfirstlane_b32 s0, v1
	s_mul_i32 s3, s3, s0
	s_mul_hi_u32 s1, s0, s3
	s_add_i32 s0, s0, s1
	s_mul_hi_u32 s0, s18, s0
	s_mul_i32 s1, s0, s14
	s_sub_i32 s1, s18, s1
	s_add_i32 s3, s0, 1
	s_sub_i32 s6, s1, s14
	s_cmp_ge_u32 s1, s14
	s_cselect_b32 s0, s3, s0
	s_cselect_b32 s1, s6, s1
	s_add_i32 s3, s0, 1
	s_cmp_ge_u32 s1, s14
	s_cselect_b32 s6, s3, s0
	s_cmp_ge_u32 s6, s2
	s_cbranch_scc1 .LBB169_25
; %bb.1:
	s_load_dwordx4 s[0:3], s[4:5], 0x1d0
	s_load_dwordx2 s[8:9], s[4:5], 0x10
	s_lshl_b64 s[10:11], s[6:7], 2
	s_waitcnt lgkmcnt(0)
	s_add_u32 s0, s0, s10
	v_pk_mov_b32 v[2:3], s[8:9], s[8:9] op_sel:[0,1]
	v_cmp_lt_u64_e32 vcc, s[6:7], v[2:3]
	s_addc_u32 s1, s1, s11
	s_mov_b64 s[10:11], 0
	s_cbranch_vccnz .LBB169_3
; %bb.2:
	v_cvt_f32_u32_e32 v1, s8
	s_sub_i32 s7, 0, s8
	v_rcp_iflag_f32_e32 v1, v1
	v_mul_f32_e32 v1, 0x4f7ffffe, v1
	v_cvt_u32_f32_e32 v1, v1
	v_readfirstlane_b32 s10, v1
	s_mul_i32 s7, s7, s10
	s_mul_hi_u32 s7, s10, s7
	s_add_i32 s10, s10, s7
	s_mul_hi_u32 s7, s6, s10
	s_mul_i32 s11, s7, s8
	s_sub_i32 s11, s6, s11
	s_add_i32 s10, s7, 1
	s_sub_i32 s16, s11, s8
	s_cmp_ge_u32 s11, s8
	s_cselect_b32 s7, s10, s7
	s_cselect_b32 s11, s16, s11
	s_add_i32 s10, s7, 1
	s_cmp_ge_u32 s11, s8
	s_cselect_b32 s10, s10, s7
.LBB169_3:
	s_movk_i32 s7, 0x100
	v_cmp_gt_u32_e32 vcc, s7, v0
	v_lshlrev_b32_e32 v1, 2, v0
	s_and_saveexec_b64 s[16:17], vcc
	s_cbranch_execz .LBB169_5
; %bb.4:
	v_mov_b32_e32 v2, 0
	ds_write_b32 v1, v2
.LBB169_5:
	s_or_b64 exec, exec, s[16:17]
	s_load_dword s11, s[4:5], 0x1a0
	s_mul_i32 s7, s6, s14
	s_sub_i32 s7, s18, s7
	s_add_i32 s17, s7, 1
	s_mul_i32 s7, s13, s7
	s_lshl_b32 s16, s7, 8
	s_waitcnt lgkmcnt(0)
	s_sub_i32 s7, s11, s16
	s_add_u32 s7, s7, 0xff
	s_addc_u32 s19, 0, 0
	v_mov_b32_e32 v2, s7
	v_alignbit_b32 v2, s19, v2, 8
	s_cmp_lt_u32 s17, s14
	v_readfirstlane_b32 s7, v2
	s_cselect_b32 s14, s13, s7
	s_cmp_lt_i32 s14, 1
	s_mov_b32 s7, 0
	s_barrier
	s_cbranch_scc1 .LBB169_21
; %bb.6:
	s_load_dwordx2 s[24:25], s[4:5], 0x0
	s_load_dwordx4 s[20:23], s[4:5], 0xd0
	s_load_dword s13, s[0:1], 0x0
	s_mul_i32 s0, s10, s9
	s_mul_hi_u32 s1, s10, s8
	s_add_i32 s1, s1, s0
	s_mul_i32 s0, s10, s8
	s_sub_u32 s0, s6, s0
	s_subb_u32 s1, 0, s1
	s_waitcnt lgkmcnt(0)
	s_mul_i32 s6, s0, s23
	s_mul_hi_u32 s8, s0, s22
	s_add_i32 s6, s8, s6
	s_mul_i32 s1, s1, s22
	s_add_i32 s1, s6, s1
	s_mul_i32 s6, s10, s21
	s_mul_hi_u32 s8, s10, s20
	s_add_i32 s9, s8, s6
	s_mul_i32 s8, s10, s20
	s_lshl_b64 s[8:9], s[8:9], 1
	s_mul_i32 s0, s0, s22
	s_add_u32 s6, s24, s8
	s_load_dwordx2 s[4:5], s[4:5], 0x1b8
	s_addc_u32 s8, s25, s9
	s_lshl_b64 s[0:1], s[0:1], 1
	s_add_u32 s9, s6, s0
	s_addc_u32 s10, s8, s1
	s_and_b32 s8, s12, 0xff
	s_cmp_eq_u32 s14, 1
	v_add_u32_e32 v2, s16, v0
	s_cbranch_scc1 .LBB169_16
; %bb.7:
	s_and_b32 s12, s14, 0x7ffffffe
	s_mov_b32 s16, 0
	v_mov_b32_e32 v3, 1
	v_mov_b32_e32 v4, v2
	s_branch .LBB169_9
.LBB169_8:                              ;   in Loop: Header=BB169_9 Depth=1
	s_or_b64 exec, exec, s[6:7]
	s_add_i32 s16, s16, 2
	s_cmp_eq_u32 s12, s16
	v_add_u32_e32 v4, 0x200, v4
	s_cbranch_scc1 .LBB169_15
.LBB169_9:                              ; =>This Inner Loop Header: Depth=1
	v_cmp_gt_u32_e64 s[0:1], s11, v4
	s_and_saveexec_b64 s[6:7], s[0:1]
	s_cbranch_execz .LBB169_12
; %bb.10:                               ;   in Loop: Header=BB169_9 Depth=1
	s_waitcnt lgkmcnt(0)
	v_mad_u64_u32 v[6:7], s[0:1], v4, s4, 0
	v_mov_b32_e32 v8, v7
	v_mad_u64_u32 v[8:9], s[0:1], v4, s5, v[8:9]
	v_mov_b32_e32 v7, v8
	v_lshlrev_b64 v[6:7], 1, v[6:7]
	v_mov_b32_e32 v5, s10
	v_add_co_u32_e64 v6, s[0:1], s9, v6
	v_addc_co_u32_e64 v7, s[0:1], v5, v7, s[0:1]
	global_load_sshort v5, v[6:7], off
	s_waitcnt vmcnt(0)
	v_add_u32_e32 v5, 0x8000, v5
	v_xor_b32_e32 v6, s13, v5
	v_and_b32_e32 v6, s15, v6
	v_cmp_eq_u32_e64 s[0:1], 0, v6
	s_and_b64 exec, exec, s[0:1]
	s_cbranch_execz .LBB169_12
; %bb.11:                               ;   in Loop: Header=BB169_9 Depth=1
	v_bfe_u32 v5, v5, s8, 8
	v_lshlrev_b32_e32 v5, 2, v5
	ds_add_u32 v5, v3
.LBB169_12:                             ;   in Loop: Header=BB169_9 Depth=1
	s_or_b64 exec, exec, s[6:7]
	v_add_u32_e32 v5, 0x100, v4
	v_cmp_gt_u32_e64 s[0:1], s11, v5
	s_and_saveexec_b64 s[6:7], s[0:1]
	s_cbranch_execz .LBB169_8
; %bb.13:                               ;   in Loop: Header=BB169_9 Depth=1
	s_waitcnt lgkmcnt(0)
	v_mad_u64_u32 v[6:7], s[0:1], v5, s4, 0
	v_mov_b32_e32 v8, v7
	v_mad_u64_u32 v[8:9], s[0:1], v5, s5, v[8:9]
	v_mov_b32_e32 v7, v8
	v_lshlrev_b64 v[6:7], 1, v[6:7]
	v_mov_b32_e32 v5, s10
	v_add_co_u32_e64 v6, s[0:1], s9, v6
	v_addc_co_u32_e64 v7, s[0:1], v5, v7, s[0:1]
	global_load_sshort v5, v[6:7], off
	s_waitcnt vmcnt(0)
	v_add_u32_e32 v5, 0x8000, v5
	v_xor_b32_e32 v6, s13, v5
	v_and_b32_e32 v6, s15, v6
	v_cmp_eq_u32_e64 s[0:1], 0, v6
	s_and_b64 exec, exec, s[0:1]
	s_cbranch_execz .LBB169_8
; %bb.14:                               ;   in Loop: Header=BB169_9 Depth=1
	v_bfe_u32 v5, v5, s8, 8
	v_lshlrev_b32_e32 v5, 2, v5
	ds_add_u32 v5, v3
	s_branch .LBB169_8
.LBB169_15:
	s_lshl_b32 s7, s12, 8
.LBB169_16:
	s_bitcmp0_b32 s14, 0
	s_cbranch_scc1 .LBB169_21
; %bb.17:
	v_add_u32_e32 v2, s7, v2
	v_cmp_gt_u32_e64 s[0:1], s11, v2
	s_and_saveexec_b64 s[6:7], s[0:1]
	s_cbranch_execz .LBB169_20
; %bb.18:
	s_waitcnt lgkmcnt(0)
	v_mad_u64_u32 v[4:5], s[0:1], v2, s4, 0
	v_mov_b32_e32 v6, v5
	v_mad_u64_u32 v[2:3], s[0:1], v2, s5, v[6:7]
	v_mov_b32_e32 v5, v2
	v_lshlrev_b64 v[2:3], 1, v[4:5]
	v_mov_b32_e32 v4, s10
	v_add_co_u32_e64 v2, s[0:1], s9, v2
	v_addc_co_u32_e64 v3, s[0:1], v4, v3, s[0:1]
	global_load_sshort v2, v[2:3], off
	s_waitcnt vmcnt(0)
	v_add_u32_e32 v2, 0x8000, v2
	v_xor_b32_e32 v3, s13, v2
	v_and_b32_e32 v3, s15, v3
	v_cmp_eq_u32_e64 s[0:1], 0, v3
	s_and_b64 exec, exec, s[0:1]
	s_cbranch_execz .LBB169_20
; %bb.19:
	v_bfe_u32 v2, v2, s8, 8
	v_lshlrev_b32_e32 v2, 2, v2
	v_mov_b32_e32 v3, 1
	ds_add_u32 v2, v3
.LBB169_20:
	s_or_b64 exec, exec, s[6:7]
.LBB169_21:
	v_mov_b32_e32 v2, 0
	s_waitcnt lgkmcnt(0)
	s_barrier
	s_and_saveexec_b64 s[0:1], vcc
	s_cbranch_execz .LBB169_23
; %bb.22:
	ds_read_b32 v2, v1
.LBB169_23:
	s_or_b64 exec, exec, s[0:1]
	s_and_saveexec_b64 s[0:1], vcc
	s_cbranch_execz .LBB169_25
; %bb.24:
	v_lshl_or_b32 v0, s18, 8, v0
	v_mov_b32_e32 v1, 0
	v_lshlrev_b64 v[0:1], 1, v[0:1]
	v_mov_b32_e32 v3, s3
	v_add_co_u32_e32 v0, vcc, s2, v0
	v_addc_co_u32_e32 v1, vcc, v3, v1, vcc
	s_waitcnt lgkmcnt(0)
	global_store_short v[0:1], v2, off
.LBB169_25:
	s_endpgm
	.section	.rodata,"a",@progbits
	.p2align	6, 0x0
	.amdhsa_kernel _ZN2at6native6mbtopk23computeBlockDigitCountsIsmjLi2EEEvNS_4cuda6detail10TensorInfoIKT_T0_EEjPjjS8_iijT1_PSB_Ps
		.amdhsa_group_segment_fixed_size 1024
		.amdhsa_private_segment_fixed_size 0
		.amdhsa_kernarg_size 736
		.amdhsa_user_sgpr_count 6
		.amdhsa_user_sgpr_private_segment_buffer 1
		.amdhsa_user_sgpr_dispatch_ptr 0
		.amdhsa_user_sgpr_queue_ptr 0
		.amdhsa_user_sgpr_kernarg_segment_ptr 1
		.amdhsa_user_sgpr_dispatch_id 0
		.amdhsa_user_sgpr_flat_scratch_init 0
		.amdhsa_user_sgpr_kernarg_preload_length 0
		.amdhsa_user_sgpr_kernarg_preload_offset 0
		.amdhsa_user_sgpr_private_segment_size 0
		.amdhsa_uses_dynamic_stack 0
		.amdhsa_system_sgpr_private_segment_wavefront_offset 0
		.amdhsa_system_sgpr_workgroup_id_x 1
		.amdhsa_system_sgpr_workgroup_id_y 1
		.amdhsa_system_sgpr_workgroup_id_z 1
		.amdhsa_system_sgpr_workgroup_info 0
		.amdhsa_system_vgpr_workitem_id 0
		.amdhsa_next_free_vgpr 10
		.amdhsa_next_free_sgpr 26
		.amdhsa_accum_offset 12
		.amdhsa_reserve_vcc 1
		.amdhsa_reserve_flat_scratch 0
		.amdhsa_float_round_mode_32 0
		.amdhsa_float_round_mode_16_64 0
		.amdhsa_float_denorm_mode_32 3
		.amdhsa_float_denorm_mode_16_64 3
		.amdhsa_dx10_clamp 1
		.amdhsa_ieee_mode 1
		.amdhsa_fp16_overflow 0
		.amdhsa_tg_split 0
		.amdhsa_exception_fp_ieee_invalid_op 0
		.amdhsa_exception_fp_denorm_src 0
		.amdhsa_exception_fp_ieee_div_zero 0
		.amdhsa_exception_fp_ieee_overflow 0
		.amdhsa_exception_fp_ieee_underflow 0
		.amdhsa_exception_fp_ieee_inexact 0
		.amdhsa_exception_int_div_zero 0
	.end_amdhsa_kernel
	.section	.text._ZN2at6native6mbtopk23computeBlockDigitCountsIsmjLi2EEEvNS_4cuda6detail10TensorInfoIKT_T0_EEjPjjS8_iijT1_PSB_Ps,"axG",@progbits,_ZN2at6native6mbtopk23computeBlockDigitCountsIsmjLi2EEEvNS_4cuda6detail10TensorInfoIKT_T0_EEjPjjS8_iijT1_PSB_Ps,comdat
.Lfunc_end169:
	.size	_ZN2at6native6mbtopk23computeBlockDigitCountsIsmjLi2EEEvNS_4cuda6detail10TensorInfoIKT_T0_EEjPjjS8_iijT1_PSB_Ps, .Lfunc_end169-_ZN2at6native6mbtopk23computeBlockDigitCountsIsmjLi2EEEvNS_4cuda6detail10TensorInfoIKT_T0_EEjPjjS8_iijT1_PSB_Ps
                                        ; -- End function
	.section	.AMDGPU.csdata,"",@progbits
; Kernel info:
; codeLenInByte = 1128
; NumSgprs: 30
; NumVgprs: 10
; NumAgprs: 0
; TotalNumVgprs: 10
; ScratchSize: 0
; MemoryBound: 0
; FloatMode: 240
; IeeeMode: 1
; LDSByteSize: 1024 bytes/workgroup (compile time only)
; SGPRBlocks: 3
; VGPRBlocks: 1
; NumSGPRsForWavesPerEU: 30
; NumVGPRsForWavesPerEU: 10
; AccumOffset: 12
; Occupancy: 8
; WaveLimiterHint : 1
; COMPUTE_PGM_RSRC2:SCRATCH_EN: 0
; COMPUTE_PGM_RSRC2:USER_SGPR: 6
; COMPUTE_PGM_RSRC2:TRAP_HANDLER: 0
; COMPUTE_PGM_RSRC2:TGID_X_EN: 1
; COMPUTE_PGM_RSRC2:TGID_Y_EN: 1
; COMPUTE_PGM_RSRC2:TGID_Z_EN: 1
; COMPUTE_PGM_RSRC2:TIDIG_COMP_CNT: 0
; COMPUTE_PGM_RSRC3_GFX90A:ACCUM_OFFSET: 2
; COMPUTE_PGM_RSRC3_GFX90A:TG_SPLIT: 0
	.section	.text._ZN2at6native6mbtopk10gatherTopKIsmLi2EEEvNS_4cuda6detail10TensorInfoIKT_T0_EES8_S8_bjS8_NS5_IS6_S8_EES8_NS5_IlS8_EES8_jjPS6_PjSD_j,"axG",@progbits,_ZN2at6native6mbtopk10gatherTopKIsmLi2EEEvNS_4cuda6detail10TensorInfoIKT_T0_EES8_S8_bjS8_NS5_IS6_S8_EES8_NS5_IlS8_EES8_jjPS6_PjSD_j,comdat
	.protected	_ZN2at6native6mbtopk10gatherTopKIsmLi2EEEvNS_4cuda6detail10TensorInfoIKT_T0_EES8_S8_bjS8_NS5_IS6_S8_EES8_NS5_IlS8_EES8_jjPS6_PjSD_j ; -- Begin function _ZN2at6native6mbtopk10gatherTopKIsmLi2EEEvNS_4cuda6detail10TensorInfoIKT_T0_EES8_S8_bjS8_NS5_IS6_S8_EES8_NS5_IlS8_EES8_jjPS6_PjSD_j
	.globl	_ZN2at6native6mbtopk10gatherTopKIsmLi2EEEvNS_4cuda6detail10TensorInfoIKT_T0_EES8_S8_bjS8_NS5_IS6_S8_EES8_NS5_IlS8_EES8_jjPS6_PjSD_j
	.p2align	8
	.type	_ZN2at6native6mbtopk10gatherTopKIsmLi2EEEvNS_4cuda6detail10TensorInfoIKT_T0_EES8_S8_bjS8_NS5_IS6_S8_EES8_NS5_IlS8_EES8_jjPS6_PjSD_j,@function
_ZN2at6native6mbtopk10gatherTopKIsmLi2EEEvNS_4cuda6detail10TensorInfoIKT_T0_EES8_S8_bjS8_NS5_IS6_S8_EES8_NS5_IlS8_EES8_jjPS6_PjSD_j: ; @_ZN2at6native6mbtopk10gatherTopKIsmLi2EEEvNS_4cuda6detail10TensorInfoIKT_T0_EES8_S8_bjS8_NS5_IS6_S8_EES8_NS5_IlS8_EES8_jjPS6_PjSD_j
; %bb.0:
	s_load_dwordx2 s[0:1], s[4:5], 0x538
	s_load_dword s2, s[4:5], 0x530
	s_waitcnt lgkmcnt(0)
	s_mul_i32 s1, s1, s8
	s_add_i32 s1, s1, s7
	s_mul_i32 s0, s1, s0
	s_add_i32 s0, s0, s6
	s_cmp_ge_u32 s0, s2
	s_cbranch_scc1 .LBB170_48
; %bb.1:
	s_load_dwordx2 s[34:35], s[4:5], 0x510
	s_load_dwordx2 s[38:39], s[4:5], 0x1d0
	s_load_dwordx4 s[8:11], s[4:5], 0x1a0
	s_load_dwordx2 s[36:37], s[4:5], 0x10
	s_mov_b32 s7, 0
	s_waitcnt lgkmcnt(0)
	v_cvt_f32_u32_e32 v1, s35
	s_sub_i32 s2, 0, s35
	s_lshl_b32 s1, s34, 8
	v_rcp_iflag_f32_e32 v1, v1
	v_mul_f32_e32 v1, 0x4f7ffffe, v1
	v_cvt_u32_f32_e32 v1, v1
	v_readfirstlane_b32 s3, v1
	s_mul_i32 s2, s2, s3
	s_mul_hi_u32 s2, s3, s2
	s_add_i32 s3, s3, s2
	s_mul_hi_u32 s2, s0, s3
	s_mul_i32 s3, s2, s35
	s_sub_i32 s3, s0, s3
	s_add_i32 s6, s2, 1
	s_sub_i32 s12, s3, s35
	s_cmp_ge_u32 s3, s35
	s_cselect_b32 s2, s6, s2
	s_cselect_b32 s3, s12, s3
	s_add_i32 s6, s2, 1
	s_cmp_ge_u32 s3, s35
	s_cselect_b32 s6, s6, s2
	s_mul_i32 s20, s6, s35
	s_sub_i32 s28, s0, s20
	s_add_i32 s0, s28, 1
	s_cmp_lt_u32 s0, s35
	s_mul_i32 s33, s28, s1
	s_cbranch_scc1 .LBB170_3
; %bb.2:
	s_sub_u32 s0, s8, s33
	s_subb_u32 s1, s9, 0
	s_add_u32 s0, s0, 0xff
	s_addc_u32 s1, s1, 0
	s_ashr_i32 s2, s1, 31
	s_lshr_b32 s2, s2, 24
	s_add_u32 s0, s0, s2
	s_addc_u32 s1, s1, 0
	v_mov_b32_e32 v1, s0
	v_alignbit_b32 v1, s1, v1, 8
	v_readfirstlane_b32 s34, v1
.LBB170_3:
	s_load_dwordx2 s[40:41], s[4:5], 0x378
	v_pk_mov_b32 v[2:3], s[36:37], s[36:37] op_sel:[0,1]
	v_cmp_lt_u64_e32 vcc, s[6:7], v[2:3]
	s_mov_b64 s[44:45], 0
	s_mov_b64 s[42:43], 0
	s_cbranch_vccnz .LBB170_5
; %bb.4:
	v_cvt_f32_u32_e32 v1, s36
	s_sub_i32 s0, 0, s36
	v_rcp_iflag_f32_e32 v1, v1
	v_mul_f32_e32 v1, 0x4f7ffffe, v1
	v_cvt_u32_f32_e32 v1, v1
	v_readfirstlane_b32 s1, v1
	s_mul_i32 s0, s0, s1
	s_mul_hi_u32 s0, s1, s0
	s_add_i32 s1, s1, s0
	s_mul_hi_u32 s0, s6, s1
	s_mul_i32 s2, s0, s36
	s_sub_i32 s2, s6, s2
	s_add_i32 s1, s0, 1
	s_sub_i32 s3, s2, s36
	s_cmp_ge_u32 s2, s36
	s_cselect_b32 s0, s1, s0
	s_cselect_b32 s2, s3, s2
	s_add_i32 s1, s0, 1
	s_cmp_ge_u32 s2, s36
	s_cselect_b32 s42, s1, s0
.LBB170_5:
	v_pk_mov_b32 v[2:3], s[38:39], s[38:39] op_sel:[0,1]
	v_cmp_lt_u64_e32 vcc, s[6:7], v[2:3]
	s_cbranch_vccnz .LBB170_7
; %bb.6:
	v_cvt_f32_u32_e32 v1, s38
	s_sub_i32 s0, 0, s38
	v_rcp_iflag_f32_e32 v1, v1
	v_mul_f32_e32 v1, 0x4f7ffffe, v1
	v_cvt_u32_f32_e32 v1, v1
	v_readfirstlane_b32 s1, v1
	s_mul_i32 s0, s0, s1
	s_mul_hi_u32 s0, s1, s0
	s_add_i32 s1, s1, s0
	s_mul_hi_u32 s0, s6, s1
	s_mul_i32 s2, s0, s38
	s_sub_i32 s2, s6, s2
	s_add_i32 s1, s0, 1
	s_sub_i32 s3, s2, s38
	s_cmp_ge_u32 s2, s38
	s_cselect_b32 s0, s1, s0
	s_cselect_b32 s2, s3, s2
	s_add_i32 s1, s0, 1
	s_cmp_ge_u32 s2, s38
	s_cselect_b32 s44, s1, s0
.LBB170_7:
	s_waitcnt lgkmcnt(0)
	v_pk_mov_b32 v[2:3], s[40:41], s[40:41] op_sel:[0,1]
	v_cmp_lt_u64_e32 vcc, s[6:7], v[2:3]
	s_mov_b64 s[46:47], 0
	s_cbranch_vccnz .LBB170_9
; %bb.8:
	v_cvt_f32_u32_e32 v1, s40
	s_sub_i32 s0, 0, s40
	v_rcp_iflag_f32_e32 v1, v1
	v_mul_f32_e32 v1, 0x4f7ffffe, v1
	v_cvt_u32_f32_e32 v1, v1
	v_readfirstlane_b32 s1, v1
	s_mul_i32 s0, s0, s1
	s_mul_hi_u32 s0, s1, s0
	s_add_i32 s1, s1, s0
	s_mul_hi_u32 s0, s6, s1
	s_mul_i32 s2, s0, s40
	s_sub_i32 s2, s6, s2
	s_add_i32 s1, s0, 1
	s_sub_i32 s3, s2, s40
	s_cmp_ge_u32 s2, s40
	s_cselect_b32 s0, s1, s0
	s_cselect_b32 s2, s3, s2
	s_add_i32 s1, s0, 1
	s_cmp_ge_u32 s2, s40
	s_cselect_b32 s46, s1, s0
.LBB170_9:
	s_load_dwordx4 s[12:15], s[4:5], 0x518
	s_load_dwordx2 s[48:49], s[4:5], 0x0
	s_lshl_b64 s[0:1], s[6:7], 1
	v_mov_b32_e32 v1, 0
	s_mov_b32 s21, 0
	s_waitcnt lgkmcnt(0)
	s_add_u32 s0, s12, s0
	s_addc_u32 s1, s13, s1
	global_load_ushort v5, v1, s[0:1]
	v_cmp_ne_u32_e64 s[0:1], 0, v0
	v_cmp_eq_u32_e64 s[2:3], 0, v0
	s_and_saveexec_b64 s[12:13], s[2:3]
	s_cbranch_execz .LBB170_25
; %bb.10:
	s_load_dwordx2 s[22:23], s[4:5], 0x528
	s_lshl_b64 s[24:25], s[20:21], 2
	s_add_u32 s16, s14, s24
	s_addc_u32 s17, s15, s25
	s_mov_b32 s20, 0
	s_waitcnt lgkmcnt(0)
	s_add_u32 s18, s22, s24
	s_addc_u32 s19, s23, s25
	s_cmp_lt_u32 s35, 4
	s_cbranch_scc1 .LBB170_22
; %bb.11:
	s_mov_b32 s29, 0
.LBB170_12:                             ; =>This Inner Loop Header: Depth=1
	s_add_u32 s16, s14, s24
	s_addc_u32 s17, s15, s25
	s_load_dwordx4 s[16:19], s[16:17], 0x0
	s_add_u32 s26, s22, s24
	s_addc_u32 s27, s23, s25
	s_cmp_ge_u32 s29, s28
	s_cbranch_scc0 .LBB170_19
; %bb.13:                               ;   in Loop: Header=BB170_12 Depth=1
	s_add_i32 s30, s29, 1
	s_cmp_ge_u32 s30, s28
	s_cbranch_scc0 .LBB170_20
.LBB170_14:                             ;   in Loop: Header=BB170_12 Depth=1
	s_add_i32 s30, s30, 1
	s_cmp_ge_u32 s30, s28
	s_cbranch_scc0 .LBB170_21
.LBB170_15:                             ;   in Loop: Header=BB170_12 Depth=1
	s_add_i32 s30, s30, 1
	s_cmp_ge_u32 s30, s28
	s_cbranch_scc1 .LBB170_17
.LBB170_16:                             ;   in Loop: Header=BB170_12 Depth=1
	s_load_dword s26, s[26:27], 0xc
	s_waitcnt lgkmcnt(0)
	s_add_i32 s21, s21, s19
	s_add_i32 s7, s26, s7
.LBB170_17:                             ;   in Loop: Header=BB170_12 Depth=1
	s_waitcnt lgkmcnt(0)
	s_add_i32 s16, s16, s20
	s_add_i32 s16, s16, s17
	;; [unrolled: 1-line block ×4, first 2 shown]
	s_add_u32 s14, s14, 16
	s_addc_u32 s15, s15, 0
	s_add_u32 s22, s22, 16
	s_addc_u32 s23, s23, 0
	s_add_i32 s27, s30, 4
	s_add_u32 s18, s22, s24
	s_addc_u32 s19, s23, s25
	s_add_u32 s16, s14, s24
	s_addc_u32 s17, s15, s25
	s_add_i32 s26, s30, 1
	s_cmp_ge_u32 s27, s35
	s_cbranch_scc1 .LBB170_23
; %bb.18:                               ;   in Loop: Header=BB170_12 Depth=1
	s_mov_b32 s29, s26
	s_branch .LBB170_12
.LBB170_19:                             ;   in Loop: Header=BB170_12 Depth=1
	s_load_dword s30, s[26:27], 0x0
	s_waitcnt lgkmcnt(0)
	s_add_i32 s21, s16, s21
	s_add_i32 s7, s30, s7
	;; [unrolled: 1-line block ×3, first 2 shown]
	s_cmp_ge_u32 s30, s28
	s_cbranch_scc1 .LBB170_14
.LBB170_20:                             ;   in Loop: Header=BB170_12 Depth=1
	s_load_dword s31, s[26:27], 0x4
	s_waitcnt lgkmcnt(0)
	s_add_i32 s21, s21, s17
	s_add_i32 s7, s31, s7
	;; [unrolled: 1-line block ×3, first 2 shown]
	s_cmp_ge_u32 s30, s28
	s_cbranch_scc1 .LBB170_15
.LBB170_21:                             ;   in Loop: Header=BB170_12 Depth=1
	s_load_dword s31, s[26:27], 0x8
	s_waitcnt lgkmcnt(0)
	s_add_i32 s21, s21, s18
	s_add_i32 s7, s31, s7
	;; [unrolled: 1-line block ×3, first 2 shown]
	s_cmp_ge_u32 s30, s28
	s_cbranch_scc0 .LBB170_16
	s_branch .LBB170_17
.LBB170_22:
	s_mov_b32 s14, 0
	s_cmp_ge_u32 s14, s35
	s_cbranch_scc0 .LBB170_46
	s_branch .LBB170_24
.LBB170_23:
	s_add_i32 s14, s29, 4
	s_cmp_ge_u32 s14, s35
	s_cbranch_scc0 .LBB170_46
.LBB170_24:
	v_mov_b32_e32 v2, s7
	v_mov_b32_e32 v3, s20
	;; [unrolled: 1-line block ×4, first 2 shown]
	ds_write_b96 v1, v[2:4] offset:1056
.LBB170_25:
	s_or_b64 exec, exec, s[12:13]
	s_load_dwordx4 s[12:15], s[4:5], 0x1b8
	s_load_dwordx4 s[24:27], s[4:5], 0xd0
	;; [unrolled: 1-line block ×5, first 2 shown]
	s_cmp_eq_u32 s34, 0
	s_waitcnt lgkmcnt(0)
	s_barrier
	s_cbranch_scc1 .LBB170_48
; %bb.26:
	s_mul_i32 s7, s44, s39
	s_mul_hi_u32 s35, s44, s38
	s_add_i32 s35, s35, s7
	s_mul_i32 s7, s44, s38
	s_sub_u32 s7, s6, s7
	s_subb_u32 s35, 0, s35
	s_mul_i32 s31, s7, s31
	s_mul_hi_u32 s38, s7, s30
	s_add_i32 s31, s38, s31
	s_mul_i32 s35, s35, s30
	s_mul_i32 s30, s7, s30
	;; [unrolled: 1-line block ×3, first 2 shown]
	s_mul_hi_u32 s29, s44, s28
	s_add_i32 s31, s31, s35
	s_add_i32 s29, s29, s7
	s_mul_i32 s7, s42, s37
	s_mul_hi_u32 s35, s42, s36
	s_add_i32 s35, s35, s7
	s_mul_i32 s7, s42, s36
	s_sub_u32 s7, s6, s7
	s_subb_u32 s35, 0, s35
	s_mul_i32 s27, s7, s27
	s_mul_hi_u32 s36, s7, s26
	s_add_i32 s27, s36, s27
	s_mul_i32 s35, s35, s26
	s_mul_i32 s26, s7, s26
	;; [unrolled: 1-line block ×3, first 2 shown]
	s_mul_hi_u32 s25, s42, s24
	s_add_i32 s27, s27, s35
	s_add_i32 s25, s25, s7
	s_mul_i32 s7, s46, s41
	s_mul_hi_u32 s35, s46, s40
	s_add_i32 s35, s35, s7
	s_mul_i32 s7, s46, s40
	s_sub_u32 s6, s6, s7
	s_subb_u32 s7, 0, s35
	s_mul_i32 s23, s6, s23
	s_mul_hi_u32 s35, s6, s22
	s_mul_i32 s24, s42, s24
	s_add_i32 s23, s35, s23
	s_mul_i32 s7, s7, s22
	s_mul_i32 s6, s6, s22
	;; [unrolled: 1-line block ×3, first 2 shown]
	s_mul_hi_u32 s22, s46, s20
	s_add_i32 s7, s23, s7
	s_add_i32 s37, s22, s21
	s_mul_i32 s36, s46, s20
	s_lshl_b64 s[20:21], s[24:25], 1
	s_add_u32 s22, s48, s20
	s_addc_u32 s23, s49, s21
	s_lshl_b64 s[20:21], s[26:27], 1
	s_mul_i32 s28, s44, s28
	s_add_u32 s20, s22, s20
	s_addc_u32 s21, s23, s21
	s_lshl_b64 s[22:23], s[28:29], 1
	s_add_u32 s22, s14, s22
	v_mov_b32_e32 v1, 0
	s_addc_u32 s23, s15, s23
	s_lshl_b64 s[14:15], s[30:31], 1
	ds_read_b96 v[2:4], v1 offset:1056
	s_add_u32 s22, s22, s14
	s_addc_u32 s23, s23, s15
	s_lshl_b64 s[14:15], s[36:37], 3
	s_add_u32 s14, s18, s14
	s_addc_u32 s15, s19, s15
	s_lshl_b64 s[6:7], s[6:7], 3
	s_add_u32 s24, s14, s6
	s_load_dword s6, s[4:5], 0x1b0
	s_waitcnt lgkmcnt(0)
	v_add_u32_e32 v2, v2, v3
	v_lshrrev_b32_e32 v3, 5, v0
	v_add_lshl_u32 v9, v3, v0, 2
	v_lshlrev_b32_e32 v3, 2, v0
	v_lshrrev_b32_e32 v6, 3, v0
	s_addc_u32 s25, s15, s7
	s_load_dwordx2 s[14:15], s[4:5], 0x508
	v_add_lshl_u32 v10, v6, v3, 2
	v_add_u32_e32 v3, -1, v0
	v_lshrrev_b32_e32 v6, 5, v3
	v_add_lshl_u32 v11, v6, v3, 2
	v_mbcnt_lo_u32_b32 v3, -1, 0
	s_mov_b32 s26, 0x8000
	s_bitcmp1_b32 s6, 0
	v_mbcnt_hi_u32_b32 v12, -1, v3
	s_waitcnt vmcnt(0)
	v_add_u32_sdwa v8, sext(v5), s26 dst_sel:DWORD dst_unused:UNUSED_PAD src0_sel:WORD_0 src1_sel:DWORD
	s_cselect_b64 s[4:5], -1, 0
	v_cmp_gt_u32_e64 s[6:7], 64, v0
	v_add_u32_e32 v0, s33, v0
	v_and_b32_e32 v13, 15, v12
	v_bfe_i32 v14, v12, 4, 1
	v_add_u32_e32 v15, -1, v12
	v_and_b32_e32 v16, 64, v12
                                        ; implicit-def: $vgpr17
	s_branch .LBB170_29
.LBB170_27:                             ;   in Loop: Header=BB170_29 Depth=1
	s_or_b64 exec, exec, s[18:19]
	v_add_u32_e32 v2, v3, v2
.LBB170_28:                             ;   in Loop: Header=BB170_29 Depth=1
	s_add_i32 s34, s34, -1
	v_add_u32_e32 v4, v18, v4
	s_cmp_lg_u32 s34, 0
	v_add_u32_e32 v0, 0x100, v0
	s_cbranch_scc0 .LBB170_48
.LBB170_29:                             ; =>This Inner Loop Header: Depth=1
	v_cmp_gt_u64_e32 vcc, s[8:9], v[0:1]
	v_mov_b32_e32 v3, v1
	v_mov_b32_e32 v6, v1
	s_and_saveexec_b64 s[18:19], vcc
	s_cbranch_execz .LBB170_31
; %bb.30:                               ;   in Loop: Header=BB170_29 Depth=1
	v_mad_u64_u32 v[6:7], s[28:29], v0, s12, 0
	v_mov_b32_e32 v18, v7
	v_mad_u64_u32 v[18:19], s[28:29], v0, s13, v[18:19]
	v_mov_b32_e32 v7, v18
	v_lshlrev_b64 v[6:7], 1, v[6:7]
	v_mov_b32_e32 v3, s21
	v_add_co_u32_e32 v6, vcc, s20, v6
	v_addc_co_u32_e32 v7, vcc, v3, v7, vcc
	global_load_ushort v17, v[6:7], off
	s_waitcnt vmcnt(0)
	v_add_u32_sdwa v3, sext(v17), s26 dst_sel:DWORD dst_unused:UNUSED_PAD src0_sel:WORD_0 src1_sel:DWORD
	v_cmp_gt_u32_e32 vcc, v3, v8
	v_cndmask_b32_e64 v6, 0, 1, vcc
	v_cmp_lt_u32_e32 vcc, v3, v8
	v_cndmask_b32_e64 v3, 0, 1, vcc
	v_cndmask_b32_e64 v3, v3, v6, s[4:5]
	v_cmp_eq_u16_e32 vcc, v17, v5
	v_and_b32_e32 v3, 1, v3
	v_cndmask_b32_e64 v6, 0, 1, vcc
.LBB170_31:                             ;   in Loop: Header=BB170_29 Depth=1
	s_or_b64 exec, exec, s[18:19]
	ds_write_b32 v9, v3
	s_waitcnt lgkmcnt(0)
	s_barrier
	s_and_saveexec_b64 s[18:19], s[6:7]
	s_cbranch_execz .LBB170_33
; %bb.32:                               ;   in Loop: Header=BB170_29 Depth=1
	ds_read2_b32 v[18:19], v10 offset1:1
	ds_read2_b32 v[20:21], v10 offset0:2 offset1:3
	v_cmp_ne_u32_e32 vcc, 0, v13
	; wave barrier
	s_waitcnt lgkmcnt(1)
	v_add_u32_e32 v7, v19, v18
	s_waitcnt lgkmcnt(0)
	v_add3_u32 v7, v7, v20, v21
	s_nop 1
	v_mov_b32_dpp v19, v7 row_shr:1 row_mask:0xf bank_mask:0xf
	v_cndmask_b32_e32 v19, 0, v19, vcc
	v_add_u32_e32 v7, v19, v7
	v_cmp_lt_u32_e32 vcc, 1, v13
	s_nop 0
	v_mov_b32_dpp v19, v7 row_shr:2 row_mask:0xf bank_mask:0xf
	v_cndmask_b32_e32 v19, 0, v19, vcc
	v_add_u32_e32 v7, v7, v19
	v_cmp_lt_u32_e32 vcc, 3, v13
	;; [unrolled: 5-line block ×4, first 2 shown]
	s_nop 0
	v_mov_b32_dpp v19, v7 row_bcast:15 row_mask:0xf bank_mask:0xf
	v_and_b32_e32 v19, v14, v19
	v_add_u32_e32 v7, v7, v19
	s_nop 1
	v_mov_b32_dpp v19, v7 row_bcast:31 row_mask:0xf bank_mask:0xf
	v_cndmask_b32_e32 v19, 0, v19, vcc
	v_cmp_lt_i32_e32 vcc, v15, v16
	v_add_u32_e32 v7, v7, v19
	v_cndmask_b32_e32 v19, v15, v12, vcc
	v_lshlrev_b32_e32 v19, 2, v19
	ds_bpermute_b32 v7, v19, v7
	s_waitcnt lgkmcnt(0)
	v_add_u32_e32 v7, v7, v18
	v_cndmask_b32_e64 v7, v7, v3, s[2:3]
	ds_write_b32 v10, v7
	; wave barrier
	ds_read2_b32 v[18:19], v10 offset0:1 offset1:2
	ds_read_b32 v20, v10 offset:12
	s_waitcnt lgkmcnt(1)
	v_add_u32_e32 v7, v18, v7
	v_add_u32_e32 v18, v19, v7
	ds_write2_b32 v10, v7, v18 offset0:1 offset1:2
	s_waitcnt lgkmcnt(1)
	v_add_u32_e32 v7, v20, v18
	ds_write_b32 v10, v7 offset:12
.LBB170_33:                             ;   in Loop: Header=BB170_29 Depth=1
	s_or_b64 exec, exec, s[18:19]
	v_mov_b32_e32 v7, 0
	s_waitcnt lgkmcnt(0)
	s_barrier
	s_and_saveexec_b64 s[18:19], s[0:1]
	s_cbranch_execz .LBB170_35
; %bb.34:                               ;   in Loop: Header=BB170_29 Depth=1
	ds_read_b32 v7, v11
.LBB170_35:                             ;   in Loop: Header=BB170_29 Depth=1
	s_or_b64 exec, exec, s[18:19]
	ds_read_b32 v18, v1 offset:1048
	v_cmp_ne_u32_e32 vcc, 0, v3
	s_waitcnt lgkmcnt(0)
	s_barrier
	s_and_saveexec_b64 s[18:19], vcc
	s_cbranch_execz .LBB170_37
; %bb.36:                               ;   in Loop: Header=BB170_29 Depth=1
	v_add_u32_e32 v3, v7, v4
	v_mad_u64_u32 v[20:21], s[28:29], v3, s16, 0
	v_mov_b32_e32 v22, v21
	v_mad_u64_u32 v[22:23], s[28:29], v3, s17, v[22:23]
	v_mov_b32_e32 v21, v22
	v_lshlrev_b64 v[20:21], 1, v[20:21]
	v_mov_b32_e32 v7, s23
	v_add_co_u32_e32 v20, vcc, s22, v20
	v_addc_co_u32_e32 v21, vcc, v7, v21, vcc
	global_store_short v[20:21], v17, off
	v_mad_u64_u32 v[20:21], s[28:29], v3, s14, 0
	v_mov_b32_e32 v22, v21
	v_mad_u64_u32 v[22:23], s[28:29], v3, s15, v[22:23]
	v_mov_b32_e32 v21, v22
	v_lshlrev_b64 v[20:21], 3, v[20:21]
	v_mov_b32_e32 v3, s25
	v_add_co_u32_e32 v20, vcc, s24, v20
	v_addc_co_u32_e32 v21, vcc, v3, v21, vcc
	global_store_dwordx2 v[20:21], v[0:1], off
.LBB170_37:                             ;   in Loop: Header=BB170_29 Depth=1
	s_or_b64 exec, exec, s[18:19]
	v_mov_b32_e32 v3, v1
	v_cmp_le_u64_e32 vcc, s[10:11], v[2:3]
	s_cbranch_vccnz .LBB170_28
; %bb.38:                               ;   in Loop: Header=BB170_29 Depth=1
	ds_write_b32 v9, v6
	s_waitcnt lgkmcnt(0)
	s_barrier
	s_and_saveexec_b64 s[18:19], s[6:7]
	s_cbranch_execz .LBB170_40
; %bb.39:                               ;   in Loop: Header=BB170_29 Depth=1
	ds_read2_b32 v[20:21], v10 offset1:1
	ds_read2_b32 v[22:23], v10 offset0:2 offset1:3
	v_cmp_ne_u32_e32 vcc, 0, v13
	; wave barrier
	s_waitcnt lgkmcnt(1)
	v_add_u32_e32 v3, v21, v20
	s_waitcnt lgkmcnt(0)
	v_add3_u32 v3, v3, v22, v23
	s_nop 1
	v_mov_b32_dpp v7, v3 row_shr:1 row_mask:0xf bank_mask:0xf
	v_cndmask_b32_e32 v7, 0, v7, vcc
	v_add_u32_e32 v3, v7, v3
	v_cmp_lt_u32_e32 vcc, 1, v13
	s_nop 0
	v_mov_b32_dpp v7, v3 row_shr:2 row_mask:0xf bank_mask:0xf
	v_cndmask_b32_e32 v7, 0, v7, vcc
	v_add_u32_e32 v3, v3, v7
	v_cmp_lt_u32_e32 vcc, 3, v13
	;; [unrolled: 5-line block ×4, first 2 shown]
	s_nop 0
	v_mov_b32_dpp v7, v3 row_bcast:15 row_mask:0xf bank_mask:0xf
	v_and_b32_e32 v7, v14, v7
	v_add_u32_e32 v3, v3, v7
	s_nop 1
	v_mov_b32_dpp v7, v3 row_bcast:31 row_mask:0xf bank_mask:0xf
	v_cndmask_b32_e32 v7, 0, v7, vcc
	v_cmp_lt_i32_e32 vcc, v15, v16
	v_add_u32_e32 v3, v3, v7
	v_cndmask_b32_e32 v7, v15, v12, vcc
	v_lshlrev_b32_e32 v7, 2, v7
	ds_bpermute_b32 v3, v7, v3
	s_waitcnt lgkmcnt(0)
	v_add_u32_e32 v3, v3, v20
	v_cndmask_b32_e64 v3, v3, v6, s[2:3]
	ds_write_b32 v10, v3
	; wave barrier
	ds_read2_b32 v[20:21], v10 offset0:1 offset1:2
	ds_read_b32 v7, v10 offset:12
	s_waitcnt lgkmcnt(1)
	v_add_u32_e32 v3, v20, v3
	v_add_u32_e32 v19, v21, v3
	ds_write2_b32 v10, v3, v19 offset0:1 offset1:2
	s_waitcnt lgkmcnt(1)
	v_add_u32_e32 v3, v7, v19
	ds_write_b32 v10, v3 offset:12
.LBB170_40:                             ;   in Loop: Header=BB170_29 Depth=1
	s_or_b64 exec, exec, s[18:19]
	v_mov_b32_e32 v7, 0
	s_waitcnt lgkmcnt(0)
	s_barrier
	s_and_saveexec_b64 s[18:19], s[0:1]
	s_cbranch_execz .LBB170_42
; %bb.41:                               ;   in Loop: Header=BB170_29 Depth=1
	ds_read_b32 v7, v11
.LBB170_42:                             ;   in Loop: Header=BB170_29 Depth=1
	s_or_b64 exec, exec, s[18:19]
	ds_read_b32 v3, v1 offset:1048
	v_cmp_ne_u32_e32 vcc, 0, v6
	s_waitcnt lgkmcnt(0)
	s_barrier
	s_and_saveexec_b64 s[18:19], vcc
	s_cbranch_execz .LBB170_27
; %bb.43:                               ;   in Loop: Header=BB170_29 Depth=1
	v_add_u32_e32 v6, v7, v2
	v_mov_b32_e32 v7, v1
	v_cmp_gt_u64_e32 vcc, s[10:11], v[6:7]
	s_and_b64 exec, exec, vcc
	s_cbranch_execz .LBB170_27
; %bb.44:                               ;   in Loop: Header=BB170_29 Depth=1
	v_mad_u64_u32 v[20:21], s[28:29], v6, s16, 0
	v_mov_b32_e32 v22, v21
	v_mad_u64_u32 v[22:23], s[28:29], v6, s17, v[22:23]
	v_mov_b32_e32 v21, v22
	v_lshlrev_b64 v[20:21], 1, v[20:21]
	v_mov_b32_e32 v7, s23
	v_add_co_u32_e32 v20, vcc, s22, v20
	v_addc_co_u32_e32 v21, vcc, v7, v21, vcc
	global_store_short v[20:21], v17, off
	v_mad_u64_u32 v[20:21], s[28:29], v6, s14, 0
	v_mov_b32_e32 v22, v21
	v_mad_u64_u32 v[6:7], s[28:29], v6, s15, v[22:23]
	v_mov_b32_e32 v21, v6
	v_lshlrev_b64 v[6:7], 3, v[20:21]
	v_mov_b32_e32 v19, s25
	v_add_co_u32_e32 v6, vcc, s24, v6
	v_addc_co_u32_e32 v7, vcc, v19, v7, vcc
	global_store_dwordx2 v[6:7], v[0:1], off
	s_branch .LBB170_27
.LBB170_45:                             ;   in Loop: Header=BB170_46 Depth=1
	s_add_u32 s16, s16, 4
	s_addc_u32 s17, s17, 0
	s_waitcnt lgkmcnt(0)
	s_add_i32 s20, s15, s20
	s_add_u32 s18, s18, 4
	s_addc_u32 s19, s19, 0
	s_add_i32 s14, s14, 1
	s_cmp_lt_u32 s14, s35
	s_cbranch_scc0 .LBB170_24
.LBB170_46:                             ; =>This Inner Loop Header: Depth=1
	s_load_dword s15, s[16:17], 0x0
	s_cmp_ge_u32 s14, s28
	s_cbranch_scc1 .LBB170_45
; %bb.47:                               ;   in Loop: Header=BB170_46 Depth=1
	s_load_dword s22, s[18:19], 0x0
	s_waitcnt lgkmcnt(0)
	s_add_i32 s21, s15, s21
	s_add_i32 s7, s22, s7
	s_branch .LBB170_45
.LBB170_48:
	s_endpgm
	.section	.rodata,"a",@progbits
	.p2align	6, 0x0
	.amdhsa_kernel _ZN2at6native6mbtopk10gatherTopKIsmLi2EEEvNS_4cuda6detail10TensorInfoIKT_T0_EES8_S8_bjS8_NS5_IS6_S8_EES8_NS5_IlS8_EES8_jjPS6_PjSD_j
		.amdhsa_group_segment_fixed_size 1068
		.amdhsa_private_segment_fixed_size 0
		.amdhsa_kernarg_size 1592
		.amdhsa_user_sgpr_count 6
		.amdhsa_user_sgpr_private_segment_buffer 1
		.amdhsa_user_sgpr_dispatch_ptr 0
		.amdhsa_user_sgpr_queue_ptr 0
		.amdhsa_user_sgpr_kernarg_segment_ptr 1
		.amdhsa_user_sgpr_dispatch_id 0
		.amdhsa_user_sgpr_flat_scratch_init 0
		.amdhsa_user_sgpr_kernarg_preload_length 0
		.amdhsa_user_sgpr_kernarg_preload_offset 0
		.amdhsa_user_sgpr_private_segment_size 0
		.amdhsa_uses_dynamic_stack 0
		.amdhsa_system_sgpr_private_segment_wavefront_offset 0
		.amdhsa_system_sgpr_workgroup_id_x 1
		.amdhsa_system_sgpr_workgroup_id_y 1
		.amdhsa_system_sgpr_workgroup_id_z 1
		.amdhsa_system_sgpr_workgroup_info 0
		.amdhsa_system_vgpr_workitem_id 0
		.amdhsa_next_free_vgpr 24
		.amdhsa_next_free_sgpr 50
		.amdhsa_accum_offset 24
		.amdhsa_reserve_vcc 1
		.amdhsa_reserve_flat_scratch 0
		.amdhsa_float_round_mode_32 0
		.amdhsa_float_round_mode_16_64 0
		.amdhsa_float_denorm_mode_32 3
		.amdhsa_float_denorm_mode_16_64 3
		.amdhsa_dx10_clamp 1
		.amdhsa_ieee_mode 1
		.amdhsa_fp16_overflow 0
		.amdhsa_tg_split 0
		.amdhsa_exception_fp_ieee_invalid_op 0
		.amdhsa_exception_fp_denorm_src 0
		.amdhsa_exception_fp_ieee_div_zero 0
		.amdhsa_exception_fp_ieee_overflow 0
		.amdhsa_exception_fp_ieee_underflow 0
		.amdhsa_exception_fp_ieee_inexact 0
		.amdhsa_exception_int_div_zero 0
	.end_amdhsa_kernel
	.section	.text._ZN2at6native6mbtopk10gatherTopKIsmLi2EEEvNS_4cuda6detail10TensorInfoIKT_T0_EES8_S8_bjS8_NS5_IS6_S8_EES8_NS5_IlS8_EES8_jjPS6_PjSD_j,"axG",@progbits,_ZN2at6native6mbtopk10gatherTopKIsmLi2EEEvNS_4cuda6detail10TensorInfoIKT_T0_EES8_S8_bjS8_NS5_IS6_S8_EES8_NS5_IlS8_EES8_jjPS6_PjSD_j,comdat
.Lfunc_end170:
	.size	_ZN2at6native6mbtopk10gatherTopKIsmLi2EEEvNS_4cuda6detail10TensorInfoIKT_T0_EES8_S8_bjS8_NS5_IS6_S8_EES8_NS5_IlS8_EES8_jjPS6_PjSD_j, .Lfunc_end170-_ZN2at6native6mbtopk10gatherTopKIsmLi2EEEvNS_4cuda6detail10TensorInfoIKT_T0_EES8_S8_bjS8_NS5_IS6_S8_EES8_NS5_IlS8_EES8_jjPS6_PjSD_j
                                        ; -- End function
	.section	.AMDGPU.csdata,"",@progbits
; Kernel info:
; codeLenInByte = 2712
; NumSgprs: 54
; NumVgprs: 24
; NumAgprs: 0
; TotalNumVgprs: 24
; ScratchSize: 0
; MemoryBound: 0
; FloatMode: 240
; IeeeMode: 1
; LDSByteSize: 1068 bytes/workgroup (compile time only)
; SGPRBlocks: 6
; VGPRBlocks: 2
; NumSGPRsForWavesPerEU: 54
; NumVGPRsForWavesPerEU: 24
; AccumOffset: 24
; Occupancy: 8
; WaveLimiterHint : 1
; COMPUTE_PGM_RSRC2:SCRATCH_EN: 0
; COMPUTE_PGM_RSRC2:USER_SGPR: 6
; COMPUTE_PGM_RSRC2:TRAP_HANDLER: 0
; COMPUTE_PGM_RSRC2:TGID_X_EN: 1
; COMPUTE_PGM_RSRC2:TGID_Y_EN: 1
; COMPUTE_PGM_RSRC2:TGID_Z_EN: 1
; COMPUTE_PGM_RSRC2:TIDIG_COMP_CNT: 0
; COMPUTE_PGM_RSRC3_GFX90A:ACCUM_OFFSET: 5
; COMPUTE_PGM_RSRC3_GFX90A:TG_SPLIT: 0
	.section	.text._ZN2at6native6sbtopk10gatherTopKIsmLi2ELb0EEEvNS_4cuda6detail10TensorInfoIKT_T0_EES8_S8_bS8_S8_NS5_IS6_S8_EES8_NS5_IlS8_EES8_PS6_,"axG",@progbits,_ZN2at6native6sbtopk10gatherTopKIsmLi2ELb0EEEvNS_4cuda6detail10TensorInfoIKT_T0_EES8_S8_bS8_S8_NS5_IS6_S8_EES8_NS5_IlS8_EES8_PS6_,comdat
	.protected	_ZN2at6native6sbtopk10gatherTopKIsmLi2ELb0EEEvNS_4cuda6detail10TensorInfoIKT_T0_EES8_S8_bS8_S8_NS5_IS6_S8_EES8_NS5_IlS8_EES8_PS6_ ; -- Begin function _ZN2at6native6sbtopk10gatherTopKIsmLi2ELb0EEEvNS_4cuda6detail10TensorInfoIKT_T0_EES8_S8_bS8_S8_NS5_IS6_S8_EES8_NS5_IlS8_EES8_PS6_
	.globl	_ZN2at6native6sbtopk10gatherTopKIsmLi2ELb0EEEvNS_4cuda6detail10TensorInfoIKT_T0_EES8_S8_bS8_S8_NS5_IS6_S8_EES8_NS5_IlS8_EES8_PS6_
	.p2align	8
	.type	_ZN2at6native6sbtopk10gatherTopKIsmLi2ELb0EEEvNS_4cuda6detail10TensorInfoIKT_T0_EES8_S8_bS8_S8_NS5_IS6_S8_EES8_NS5_IlS8_EES8_PS6_,@function
_ZN2at6native6sbtopk10gatherTopKIsmLi2ELb0EEEvNS_4cuda6detail10TensorInfoIKT_T0_EES8_S8_bS8_S8_NS5_IS6_S8_EES8_NS5_IlS8_EES8_PS6_: ; @_ZN2at6native6sbtopk10gatherTopKIsmLi2ELb0EEEvNS_4cuda6detail10TensorInfoIKT_T0_EES8_S8_bS8_S8_NS5_IS6_S8_EES8_NS5_IlS8_EES8_PS6_
; %bb.0:
	s_load_dwordx4 s[56:59], s[4:5], 0x1b8
	s_load_dwordx2 s[12:13], s[4:5], 0x520
	s_mov_b64 s[20:21], s[4:5]
	s_add_u32 s10, s20, 0x520
	s_addc_u32 s11, s21, 0
	s_waitcnt lgkmcnt(0)
	v_mov_b32_e32 v2, s56
	s_mul_i32 s0, s13, s8
	s_add_i32 s0, s0, s7
	s_mul_i32 s0, s0, s12
	v_mov_b32_e32 v3, s57
	s_add_i32 s22, s0, s6
	s_mov_b32 s23, 0
	v_cmp_ge_u64_e32 vcc, s[22:23], v[2:3]
	s_cbranch_vccnz .LBB171_486
; %bb.1:
	s_load_dwordx2 s[4:5], s[20:21], 0x10
	s_load_dwordx2 s[16:17], s[20:21], 0x380
	;; [unrolled: 1-line block ×3, first 2 shown]
	s_mov_b64 s[0:1], 0
                                        ; implicit-def: $vgpr46 : SGPR spill to VGPR lane
	s_mov_b64 s[8:9], 0
	s_waitcnt lgkmcnt(0)
	v_pk_mov_b32 v[2:3], s[4:5], s[4:5] op_sel:[0,1]
	v_cmp_lt_u64_e32 vcc, s[22:23], v[2:3]
	v_writelane_b32 v46, s0, 0
	v_writelane_b32 v46, s1, 1
	s_cbranch_vccnz .LBB171_3
; %bb.2:
	v_cvt_f32_u32_e32 v1, s4
	s_sub_i32 s0, 0, s4
	v_rcp_iflag_f32_e32 v1, v1
	v_mul_f32_e32 v1, 0x4f7ffffe, v1
	v_cvt_u32_f32_e32 v1, v1
	v_readfirstlane_b32 s1, v1
	s_mul_i32 s0, s0, s1
	s_mul_hi_u32 s0, s1, s0
	s_add_i32 s1, s1, s0
	s_mul_hi_u32 s0, s22, s1
	s_mul_i32 s2, s0, s4
	s_sub_i32 s2, s22, s2
	s_add_i32 s1, s0, 1
	s_sub_i32 s3, s2, s4
	s_cmp_ge_u32 s2, s4
	s_cselect_b32 s0, s1, s0
	s_cselect_b32 s2, s3, s2
	s_add_i32 s1, s0, 1
	s_cmp_ge_u32 s2, s4
	s_cselect_b32 s8, s1, s0
.LBB171_3:
	v_pk_mov_b32 v[2:3], s[14:15], s[14:15] op_sel:[0,1]
	v_cmp_lt_u64_e32 vcc, s[22:23], v[2:3]
	s_cbranch_vccnz .LBB171_5
; %bb.4:
	v_cvt_f32_u32_e32 v1, s14
	s_sub_i32 s0, 0, s14
	v_rcp_iflag_f32_e32 v1, v1
	v_mul_f32_e32 v1, 0x4f7ffffe, v1
	v_cvt_u32_f32_e32 v1, v1
	v_readfirstlane_b32 s1, v1
	s_mul_i32 s0, s0, s1
	s_mul_hi_u32 s0, s1, s0
	s_add_i32 s1, s1, s0
	s_mul_hi_u32 s0, s22, s1
	s_mul_i32 s2, s0, s14
	s_sub_i32 s2, s22, s2
	s_add_i32 s1, s0, 1
	s_sub_i32 s3, s2, s14
	s_cmp_ge_u32 s2, s14
	s_cselect_b32 s0, s1, s0
	s_cselect_b32 s2, s3, s2
	s_add_i32 s1, s0, 1
	s_cmp_ge_u32 s2, s14
	s_cselect_b32 s0, s1, s0
	v_writelane_b32 v46, s0, 0
	v_writelane_b32 v46, s1, 1
.LBB171_5:
	v_writelane_b32 v46, s14, 2
	v_writelane_b32 v46, s15, 3
	s_load_dwordx2 s[14:15], s[20:21], 0x0
	v_pk_mov_b32 v[2:3], s[16:17], s[16:17] op_sel:[0,1]
	v_cmp_lt_u64_e32 vcc, s[22:23], v[2:3]
	s_mov_b64 s[0:1], 0
	v_writelane_b32 v46, s0, 4
	v_writelane_b32 v46, s1, 5
	s_cbranch_vccnz .LBB171_7
; %bb.6:
	v_cvt_f32_u32_e32 v1, s16
	s_sub_i32 s0, 0, s16
	v_rcp_iflag_f32_e32 v1, v1
	v_mul_f32_e32 v1, 0x4f7ffffe, v1
	v_cvt_u32_f32_e32 v1, v1
	v_readfirstlane_b32 s1, v1
	s_mul_i32 s0, s0, s1
	s_mul_hi_u32 s0, s1, s0
	s_add_i32 s1, s1, s0
	s_mul_hi_u32 s0, s22, s1
	s_mul_i32 s2, s0, s16
	s_sub_i32 s2, s22, s2
	s_add_i32 s1, s0, 1
	s_sub_i32 s3, s2, s16
	s_cmp_ge_u32 s2, s16
	s_cselect_b32 s0, s1, s0
	s_cselect_b32 s2, s3, s2
	s_add_i32 s1, s0, 1
	s_cmp_ge_u32 s2, s16
	s_cselect_b32 s0, s1, s0
	v_writelane_b32 v46, s0, 4
	v_writelane_b32 v46, s1, 5
.LBB171_7:
	s_load_dwordx2 s[0:1], s[20:21], 0x370
	v_writelane_b32 v46, s16, 6
	v_writelane_b32 v46, s17, 7
	s_mov_b32 s85, 0
	v_cmp_eq_u32_e64 s[18:19], 0, v0
	s_waitcnt lgkmcnt(0)
	v_writelane_b32 v46, s0, 8
	v_writelane_b32 v46, s1, 9
	s_load_dwordx2 s[0:1], s[20:21], 0x1c8
	s_waitcnt lgkmcnt(0)
	v_writelane_b32 v46, s0, 10
	v_writelane_b32 v46, s1, 11
	s_load_dwordx4 s[0:3], s[20:21], 0xd0
	s_load_dwordx4 s[60:63], s[20:21], 0x1a0
	s_mov_b64 s[16:17], exec
	v_writelane_b32 v46, s18, 12
	v_writelane_b32 v46, s19, 13
	s_and_b64 s[18:19], s[16:17], s[18:19]
	s_mov_b64 exec, s[18:19]
	s_cbranch_execz .LBB171_9
; %bb.8:
	v_mov_b32_e32 v2, 0
	s_waitcnt lgkmcnt(0)
	v_mov_b32_e32 v4, s60
	v_mov_b32_e32 v5, s61
	;; [unrolled: 1-line block ×3, first 2 shown]
	ds_write_b32 v2, v2 offset:5144
	ds_write_b128 v2, v[2:5] offset:5120
.LBB171_9:
	s_or_b64 exec, exec, s[16:17]
	s_mul_i32 s5, s8, s5
	s_mul_hi_u32 s7, s8, s4
	s_add_i32 s7, s7, s5
	s_mul_i32 s4, s8, s4
	s_sub_u32 s4, s22, s4
	s_subb_u32 s5, 0, s7
	s_waitcnt lgkmcnt(0)
	s_mul_i32 s3, s4, s3
	s_mul_hi_u32 s7, s4, s2
	s_mul_i32 s5, s5, s2
	s_mul_i32 s2, s4, s2
	;; [unrolled: 1-line block ×3, first 2 shown]
	s_mul_hi_u32 s4, s8, s0
	s_add_i32 s3, s7, s3
	s_add_i32 s1, s4, s1
	s_mul_i32 s0, s8, s0
	s_add_i32 s3, s3, s5
	s_lshl_b64 s[0:1], s[0:1], 1
	s_add_u32 s4, s14, s0
	s_addc_u32 s5, s15, s1
	s_lshl_b64 s[0:1], s[2:3], 1
	s_add_u32 s33, s4, s0
	s_load_dword s7, s[20:21], 0x1b0
	s_addc_u32 s86, s5, s1
	s_load_dwordx4 s[0:3], s[20:21], 0x298
	s_mov_b32 s16, s22
	v_writelane_b32 v46, s16, 14
	v_writelane_b32 v46, s17, 15
	s_waitcnt lgkmcnt(0)
	s_bitcmp1_b32 s7, 0
	v_writelane_b32 v46, s0, 16
	v_writelane_b32 v46, s1, 17
	v_writelane_b32 v46, s2, 18
	v_writelane_b32 v46, s3, 19
	s_cselect_b64 s[0:1], -1, 0
	v_writelane_b32 v46, s0, 20
	v_mbcnt_lo_u32_b32 v1, -1, 0
	v_writelane_b32 v46, s1, 21
	s_xor_b64 s[0:1], s[0:1], -1
	v_mbcnt_hi_u32_b32 v25, -1, v1
	v_writelane_b32 v46, s0, 22
	v_cmp_gt_u32_e32 vcc, 64, v0
	v_cmp_gt_i32_e64 s[2:3], 4, v25
	v_writelane_b32 v46, s1, 23
	s_and_b64 s[2:3], vcc, s[2:3]
	v_mov_b32_e32 v2, 0x600
	v_writelane_b32 v46, s2, 24
	v_mov_b32_e32 v3, 0
	v_writelane_b32 v46, s3, 25
	v_cmp_gt_u64_e64 s[2:3], s[60:61], v[2:3]
	v_writelane_b32 v46, s2, 26
	v_writelane_b32 v46, s3, 27
	v_mad_u64_u32 v[2:3], s[2:3], v0, s58, 0
	v_mov_b32_e32 v15, 0
	v_mov_b32_e32 v4, v3
	;; [unrolled: 1-line block ×3, first 2 shown]
	v_mad_u64_u32 v[4:5], s[2:3], v0, s59, v[4:5]
	v_cmp_gt_u64_e64 s[2:3], s[60:61], v[0:1]
	v_writelane_b32 v46, s2, 28
	v_writelane_b32 v46, s3, 29
	v_cmp_gt_u32_e64 s[2:3], 2, v0
	v_writelane_b32 v46, s2, 30
	s_barrier
	v_writelane_b32 v46, s3, 31
	s_load_dword s2, s[10:11], 0xc
	v_mov_b32_e32 v3, v4
	v_lshlrev_b64 v[2:3], 1, v[2:3]
	v_add_co_u32_e32 v12, vcc, s33, v2
	s_waitcnt lgkmcnt(0)
	s_and_b32 s87, s2, 0xffff
	s_bfe_u32 s3, s2, 0xa0006
	v_cmp_gt_u16_e64 s[4:5], s2, 63
	v_writelane_b32 v46, s4, 32
	s_add_u32 s2, s87, -1
	v_writelane_b32 v46, s5, 33
	s_addc_u32 s4, 0, -1
	v_writelane_b32 v46, s2, 34
	s_add_u32 s2, s2, s60
	v_writelane_b32 v46, s2, 35
	s_addc_u32 s5, s4, s61
	v_writelane_b32 v46, s4, 36
	s_cmp_lt_u32 s6, s12
	v_writelane_b32 v46, s4, 37
	s_cselect_b32 s2, 12, 18
	v_writelane_b32 v46, s5, 38
	s_add_u32 s4, s10, s2
	s_addc_u32 s5, s11, 0
	v_writelane_b32 v46, s4, 39
	v_writelane_b32 v46, s5, 40
	s_add_i32 s2, s3, -1
	s_bfe_u32 s4, s87, 0x30006
	s_cmp_gt_u32 s2, 6
	s_cselect_b64 s[6:7], -1, 0
	v_writelane_b32 v46, s6, 41
	s_and_b32 s94, s3, 0x3f8
	v_writelane_b32 v46, s7, 42
	s_cmp_lg_u32 s4, 0
	v_writelane_b32 v46, s4, 43
	s_cselect_b64 s[2:3], -1, 0
	v_writelane_b32 v46, s2, 44
	v_writelane_b32 v46, s3, 45
	;; [unrolled: 1-line block ×3, first 2 shown]
	s_load_dwordx4 s[4:7], s[20:21], 0x440
	v_lshrrev_b32_e32 v2, 4, v0
	v_writelane_b32 v46, s21, 47
	v_mov_b32_e32 v26, s86
	v_and_b32_e32 v27, 60, v2
	v_lshlrev_b32_e32 v2, 2, v25
	s_waitcnt lgkmcnt(0)
	v_writelane_b32 v46, s4, 48
	v_addc_co_u32_e32 v13, vcc, v26, v3, vcc
	v_and_b32_e32 v24, 0x100, v2
	v_lshlrev_b64 v[2:3], v25, -1
	v_writelane_b32 v46, s5, 49
	v_lshlrev_b32_e32 v28, 1, v0
	v_not_b32_e32 v10, v2
	v_mov_b32_e32 v2, 0xc00
	v_writelane_b32 v46, s6, 50
	v_cmp_eq_u32_e64 s[0:1], 0, v25
	v_lshlrev_b32_e32 v16, 2, v0
	v_mov_b32_e32 v17, v15
	v_add_u32_e32 v29, 0xc00, v28
	v_not_b32_e32 v11, v3
	s_mov_b32 s88, s85
	v_lshlrev_b32_e32 v30, 3, v0
	v_lshl_or_b32 v31, v25, 3, v2
	s_lshl_b32 s95, s87, 1
	s_mov_b32 s92, 14
	s_mov_b64 s[64:65], 0
	v_pk_mov_b32 v[18:19], s[62:63], s[62:63] op_sel:[0,1]
	s_mov_b32 s89, 0x8000
	v_mov_b32_e32 v32, 0x4f800000
	v_mov_b32_e32 v33, 0x5040100
	v_writelane_b32 v46, s7, 51
	v_mov_b32_e32 v36, 0
	s_mov_b32 s2, 0
	v_mov_b32_e32 v35, 0
	v_mov_b32_e32 v34, 0
                                        ; implicit-def: $sgpr68_sgpr69
                                        ; implicit-def: $sgpr70_sgpr71
                                        ; implicit-def: $sgpr78_sgpr79
                                        ; implicit-def: $sgpr72_sgpr73
                                        ; implicit-def: $sgpr76_sgpr77
                                        ; implicit-def: $sgpr74_sgpr75
                                        ; implicit-def: $sgpr30_sgpr31
                                        ; implicit-def: $sgpr66_sgpr67
                                        ; implicit-def: $sgpr80_sgpr81
                                        ; implicit-def: $sgpr82_sgpr83
	v_writelane_b32 v46, s2, 52
	s_branch .LBB171_12
.LBB171_10:                             ;   in Loop: Header=BB171_12 Depth=1
	s_or_b64 exec, exec, s[8:9]
	s_andn2_b64 s[8:9], s[82:83], exec
	s_and_b64 s[6:7], s[6:7], exec
	s_or_b64 s[82:83], s[8:9], s[6:7]
	s_andn2_b64 s[80:81], s[80:81], exec
	s_andn2_b64 s[66:67], s[66:67], exec
	;; [unrolled: 1-line block ×4, first 2 shown]
	s_orn2_b64 s[4:5], s[4:5], exec
	v_mov_b32_e32 v34, v9
	v_mov_b32_e32 v35, v8
	v_pk_mov_b32 v[18:19], v[2:3], v[2:3] op_sel:[0,1]
	v_mov_b32_e32 v36, v20
.LBB171_11:                             ;   in Loop: Header=BB171_12 Depth=1
	s_or_b64 exec, exec, s[2:3]
	s_and_b64 s[2:3], exec, s[4:5]
	s_or_b64 s[64:65], s[2:3], s[64:65]
	s_andn2_b64 s[2:3], s[76:77], exec
	s_and_b64 s[4:5], s[82:83], exec
	s_or_b64 s[76:77], s[2:3], s[4:5]
	s_andn2_b64 s[2:3], s[72:73], exec
	s_and_b64 s[4:5], s[80:81], exec
	;; [unrolled: 3-line block ×5, first 2 shown]
	s_or_b64 s[68:69], s[2:3], s[4:5]
	s_andn2_b64 exec, exec, s[64:65]
	s_cbranch_execz .LBB171_482
.LBB171_12:                             ; =>This Loop Header: Depth=1
                                        ;     Child Loop BB171_17 Depth 2
                                        ;     Child Loop BB171_32 Depth 2
	;; [unrolled: 1-line block ×24, first 2 shown]
	ds_read_b128 v[2:5], v15 offset:5120
	s_waitcnt lgkmcnt(0)
	v_readfirstlane_b32 s3, v3
	v_readfirstlane_b32 s2, v2
	s_cmp_lg_u64 s[2:3], 0
	s_cbranch_scc1 .LBB171_39
; %bb.13:                               ;   in Loop: Header=BB171_12 Depth=1
	v_readlane_b32 s2, v46, 26
	v_readlane_b32 s3, v46, 27
	s_and_b64 vcc, exec, s[2:3]
	s_cbranch_vccz .LBB171_25
; %bb.14:                               ;   in Loop: Header=BB171_12 Depth=1
	s_mov_b64 s[2:3], 0x601
	v_cmp_gt_u64_e32 vcc, s[2:3], v[4:5]
	s_mov_b64 s[2:3], 0
	s_mov_b64 s[4:5], 0
	s_cbranch_vccz .LBB171_26
; %bb.15:                               ;   in Loop: Header=BB171_12 Depth=1
	v_readlane_b32 s4, v46, 39
	v_readlane_b32 s5, v46, 40
	global_load_ushort v5, v[12:13], off
	v_pk_mov_b32 v[2:3], v[0:1], v[0:1] op_sel:[0,1]
	s_nop 2
	global_load_ushort v4, v15, s[4:5]
	s_mov_b64 s[4:5], 0
	s_branch .LBB171_17
.LBB171_16:                             ;   in Loop: Header=BB171_17 Depth=2
	s_or_b64 exec, exec, s[6:7]
	s_waitcnt vmcnt(0)
	v_mov_b32_e32 v5, v6
	s_andn2_b64 exec, exec, s[4:5]
	s_cbranch_execz .LBB171_98
.LBB171_17:                             ;   Parent Loop BB171_12 Depth=1
                                        ; =>  This Inner Loop Header: Depth=2
	s_waitcnt vmcnt(0)
	v_add_co_u32_sdwa v2, vcc, v2, v4 dst_sel:DWORD dst_unused:UNUSED_PAD src0_sel:DWORD src1_sel:WORD_0
	v_addc_co_u32_e32 v3, vcc, 0, v3, vcc
	v_cmp_gt_u64_e64 s[6:7], s[60:61], v[2:3]
	v_cmp_le_u64_e32 vcc, s[60:61], v[2:3]
	s_waitcnt lgkmcnt(0)
	v_mov_b32_e32 v7, 0
	v_mov_b32_e32 v6, 0
	s_and_saveexec_b64 s[8:9], s[6:7]
	s_cbranch_execz .LBB171_19
; %bb.18:                               ;   in Loop: Header=BB171_17 Depth=2
	v_mul_lo_u32 v6, v3, s58
	v_mul_lo_u32 v14, v2, s59
	v_mad_u64_u32 v[8:9], s[6:7], v2, s58, 0
	v_add3_u32 v9, v9, v14, v6
	v_lshlrev_b64 v[8:9], 1, v[8:9]
	v_add_co_u32_e64 v8, s[6:7], s33, v8
	v_addc_co_u32_e64 v9, s[6:7], v26, v9, s[6:7]
	global_load_ushort v6, v[8:9], off
.LBB171_19:                             ;   in Loop: Header=BB171_17 Depth=2
	s_or_b64 exec, exec, s[8:9]
	v_add_u32_sdwa v8, sext(v5), s89 dst_sel:DWORD dst_unused:UNUSED_PAD src0_sel:WORD_0 src1_sel:DWORD
	v_and_b32_e32 v8, v8, v34
	v_cmp_eq_u32_e64 s[14:15], v8, v35
	s_cmp_lg_u64 s[14:15], 0
	s_cselect_b64 s[6:7], -1, 0
	s_and_b64 s[6:7], s[0:1], s[6:7]
	s_and_saveexec_b64 s[8:9], s[6:7]
	s_cbranch_execz .LBB171_23
; %bb.20:                               ;   in Loop: Header=BB171_17 Depth=2
	s_mov_b64 s[12:13], exec
	v_mbcnt_lo_u32_b32 v7, s12, 0
	v_mbcnt_hi_u32_b32 v7, s13, v7
	s_bcnt1_i32_b64 s16, s[14:15]
	v_cmp_eq_u32_e64 s[6:7], 0, v7
                                        ; implicit-def: $vgpr8
	s_and_saveexec_b64 s[10:11], s[6:7]
	s_cbranch_execz .LBB171_22
; %bb.21:                               ;   in Loop: Header=BB171_17 Depth=2
	s_bcnt1_i32_b64 s6, s[12:13]
	s_mul_i32 s6, s16, s6
	v_mov_b32_e32 v8, s6
	ds_add_rtn_u32 v8, v15, v8 offset:5144
.LBB171_22:                             ;   in Loop: Header=BB171_17 Depth=2
	s_or_b64 exec, exec, s[10:11]
	s_waitcnt lgkmcnt(0)
	v_readfirstlane_b32 s6, v8
	v_mov_b32_e32 v8, s6
	v_mad_u32_u24 v7, s16, v7, v8
.LBB171_23:                             ;   in Loop: Header=BB171_17 Depth=2
	s_or_b64 exec, exec, s[8:9]
	ds_bpermute_b32 v7, v24, v7
	s_and_b64 s[6:7], exec, vcc
	s_or_b64 s[4:5], s[6:7], s[4:5]
	s_and_saveexec_b64 s[6:7], s[14:15]
	s_cbranch_execz .LBB171_16
; %bb.24:                               ;   in Loop: Header=BB171_17 Depth=2
	v_and_b32_e32 v9, s14, v10
	v_and_b32_e32 v8, s15, v11
	v_bcnt_u32_b32 v9, v9, 0
	v_bcnt_u32_b32 v8, v8, v9
	v_lshlrev_b32_e32 v8, 1, v8
	s_waitcnt lgkmcnt(0)
	v_lshl_add_u32 v7, v7, 1, v8
	ds_write_b16 v7, v5
	s_branch .LBB171_16
.LBB171_25:                             ;   in Loop: Header=BB171_12 Depth=1
	s_mov_b64 s[2:3], -1
	s_mov_b64 s[4:5], 0
.LBB171_26:                             ;   in Loop: Header=BB171_12 Depth=1
	s_and_b64 vcc, exec, s[2:3]
	s_cbranch_vccz .LBB171_37
.LBB171_27:                             ;   in Loop: Header=BB171_12 Depth=1
	v_mov_b32_e32 v4, 0
	s_mov_b64 s[2:3], exec
	v_readlane_b32 s4, v46, 28
	v_readlane_b32 s5, v46, 29
	s_and_b64 s[4:5], s[2:3], s[4:5]
	s_mov_b64 exec, s[4:5]
	s_cbranch_execz .LBB171_29
; %bb.28:                               ;   in Loop: Header=BB171_12 Depth=1
	global_load_ushort v4, v[12:13], off
.LBB171_29:                             ;   in Loop: Header=BB171_12 Depth=1
	s_or_b64 exec, exec, s[2:3]
	s_mov_b64 s[2:3], exec
	v_readlane_b32 s4, v46, 28
	v_readlane_b32 s5, v46, 29
	s_and_b64 s[4:5], s[2:3], s[4:5]
	s_mov_b64 exec, s[4:5]
	s_cbranch_execz .LBB171_34
; %bb.30:                               ;   in Loop: Header=BB171_12 Depth=1
	v_readlane_b32 s4, v46, 39
	v_readlane_b32 s5, v46, 40
	v_mov_b32_e32 v5, v28
	s_nop 3
	global_load_ushort v2, v15, s[4:5]
	s_mov_b64 s[4:5], 0
	s_waitcnt vmcnt(0)
	v_and_b32_e32 v6, 0xffff, v2
	v_lshlrev_b32_e32 v7, 1, v6
	v_pk_mov_b32 v[2:3], v[0:1], v[0:1] op_sel:[0,1]
	s_branch .LBB171_32
.LBB171_31:                             ;   in Loop: Header=BB171_32 Depth=2
	s_or_b64 exec, exec, s[8:9]
	s_and_b64 s[6:7], exec, vcc
	s_or_b64 s[4:5], s[6:7], s[4:5]
	ds_write_b16 v5, v4
	v_add_u32_e32 v5, v5, v7
	s_waitcnt vmcnt(0)
	v_mov_b32_e32 v4, v8
	s_andn2_b64 exec, exec, s[4:5]
	s_cbranch_execz .LBB171_34
.LBB171_32:                             ;   Parent Loop BB171_12 Depth=1
                                        ; =>  This Inner Loop Header: Depth=2
	v_add_co_u32_e32 v2, vcc, v2, v6
	v_addc_co_u32_e32 v3, vcc, 0, v3, vcc
	v_cmp_gt_u64_e64 s[6:7], s[60:61], v[2:3]
	v_cmp_le_u64_e32 vcc, s[60:61], v[2:3]
	v_mov_b32_e32 v8, 0
	s_and_saveexec_b64 s[8:9], s[6:7]
	s_cbranch_execz .LBB171_31
; %bb.33:                               ;   in Loop: Header=BB171_32 Depth=2
	v_mul_lo_u32 v14, v3, s58
	v_mul_lo_u32 v20, v2, s59
	v_mad_u64_u32 v[8:9], s[6:7], v2, s58, 0
	v_add3_u32 v9, v9, v20, v14
	v_lshlrev_b64 v[8:9], 1, v[8:9]
	v_mov_b32_e32 v14, s86
	v_add_co_u32_e64 v8, s[6:7], s33, v8
	v_addc_co_u32_e64 v9, s[6:7], v14, v9, s[6:7]
	global_load_ushort v8, v[8:9], off
	s_branch .LBB171_31
.LBB171_34:                             ;   in Loop: Header=BB171_12 Depth=1
	s_or_b64 exec, exec, s[2:3]
	s_waitcnt lgkmcnt(0)
	s_barrier
	s_mov_b64 s[2:3], exec
	v_readlane_b32 s4, v46, 12
	v_readlane_b32 s5, v46, 13
	s_and_b64 s[4:5], s[2:3], s[4:5]
	s_mov_b64 exec, s[4:5]
	s_cbranch_execz .LBB171_36
; %bb.35:                               ;   in Loop: Header=BB171_12 Depth=1
	v_pk_mov_b32 v[2:3], s[60:61], s[60:61] op_sel:[0,1]
	ds_write_b64 v15, v[2:3] offset:5120
.LBB171_36:                             ;   in Loop: Header=BB171_12 Depth=1
	s_or_b64 exec, exec, s[2:3]
	s_mov_b64 s[4:5], -1
	s_waitcnt lgkmcnt(0)
	s_barrier
                                        ; implicit-def: $sgpr2_sgpr3
.LBB171_37:                             ;   in Loop: Header=BB171_12 Depth=1
	s_and_b64 vcc, exec, s[4:5]
	s_cbranch_vccz .LBB171_39
; %bb.38:                               ;   in Loop: Header=BB171_12 Depth=1
	ds_read_b64 v[2:3], v15 offset:5120
	s_waitcnt lgkmcnt(0)
	v_readfirstlane_b32 s2, v2
.LBB171_39:                             ;   in Loop: Header=BB171_12 Depth=1
	s_cmp_lt_i32 s2, 1
	s_cbranch_scc0 .LBB171_54
; %bb.40:                               ;   in Loop: Header=BB171_12 Depth=1
	v_readlane_b32 s4, v46, 39
	v_readlane_b32 s5, v46, 40
	s_nop 4
	global_load_ushort v37, v15, s[4:5]
	s_mov_b32 s4, s85
	s_mov_b32 s5, s61
	s_waitcnt vmcnt(0)
	v_readfirstlane_b32 s3, v37
	s_and_b32 s3, 0xffff, s3
	s_lshl_b32 s3, s3, 2
	s_cmp_lg_u64 s[4:5], 0
	s_cbranch_scc0 .LBB171_74
; %bb.41:                               ;   in Loop: Header=BB171_12 Depth=1
	v_cvt_f32_u32_e32 v2, s3
	s_sub_u32 s4, 0, s3
	s_subb_u32 s5, 0, 0
	v_mac_f32_e32 v2, 0, v32
	v_rcp_f32_e32 v2, v2
	v_mul_f32_e32 v2, 0x5f7ffffc, v2
	v_mul_f32_e32 v3, 0x2f800000, v2
	v_trunc_f32_e32 v3, v3
	v_mac_f32_e32 v2, 0xcf800000, v3
	v_cvt_u32_f32_e32 v3, v3
	v_cvt_u32_f32_e32 v2, v2
	v_readfirstlane_b32 s6, v3
	v_readfirstlane_b32 s7, v2
	s_mul_i32 s8, s4, s6
	s_mul_hi_u32 s10, s4, s7
	s_mul_i32 s9, s5, s7
	s_add_i32 s8, s10, s8
	s_mul_i32 s11, s4, s7
	s_add_i32 s8, s8, s9
	s_mul_hi_u32 s10, s7, s11
	s_mul_hi_u32 s9, s7, s8
	s_mul_i32 s7, s7, s8
	s_add_u32 s7, s10, s7
	s_addc_u32 s9, 0, s9
	s_mul_hi_u32 s12, s6, s11
	s_mul_i32 s11, s6, s11
	s_add_u32 s7, s7, s11
	s_mul_hi_u32 s10, s6, s8
	s_addc_u32 s7, s9, s12
	s_addc_u32 s9, s10, 0
	s_mul_i32 s8, s6, s8
	s_add_u32 s7, s7, s8
	s_addc_u32 s8, 0, s9
	v_add_co_u32_e32 v2, vcc, s7, v2
	s_cmp_lg_u64 vcc, 0
	s_addc_u32 s6, s6, s8
	v_readfirstlane_b32 s8, v2
	s_mul_i32 s7, s4, s6
	s_mul_hi_u32 s9, s4, s8
	s_add_i32 s7, s9, s7
	s_mul_i32 s5, s5, s8
	s_add_i32 s7, s7, s5
	s_mul_i32 s4, s4, s8
	s_mul_hi_u32 s9, s6, s4
	s_mul_i32 s10, s6, s4
	s_mul_i32 s12, s8, s7
	s_mul_hi_u32 s4, s8, s4
	s_mul_hi_u32 s11, s8, s7
	s_add_u32 s4, s4, s12
	s_addc_u32 s8, 0, s11
	s_add_u32 s4, s4, s10
	s_mul_hi_u32 s5, s6, s7
	s_addc_u32 s4, s8, s9
	s_addc_u32 s5, s5, 0
	s_mul_i32 s7, s6, s7
	s_add_u32 s4, s4, s7
	s_addc_u32 s5, 0, s5
	v_add_co_u32_e32 v2, vcc, s4, v2
	s_cmp_lg_u64 vcc, 0
	s_addc_u32 s4, s6, s5
	v_readfirstlane_b32 s7, v2
	s_mul_i32 s6, s60, s4
	s_mul_hi_u32 s8, s60, s7
	s_mul_hi_u32 s5, s60, s4
	s_add_u32 s6, s8, s6
	s_addc_u32 s5, 0, s5
	s_mul_hi_u32 s9, s61, s7
	s_mul_i32 s7, s61, s7
	s_add_u32 s6, s6, s7
	s_mul_hi_u32 s8, s61, s4
	s_addc_u32 s5, s5, s9
	s_addc_u32 s6, s8, 0
	s_mul_i32 s4, s61, s4
	s_add_u32 s4, s5, s4
	s_addc_u32 s5, 0, s6
	s_mul_hi_u32 s6, s3, s4
	s_mul_i32 s4, s3, s4
	s_mul_i32 s5, s3, s5
	v_mov_b32_e32 v2, s4
	s_add_i32 s6, s6, s5
	v_sub_co_u32_e32 v2, vcc, s60, v2
	s_cmp_lg_u64 vcc, 0
	s_subb_u32 s4, s61, s6
	v_subrev_co_u32_e32 v3, vcc, s3, v2
	s_cmp_lg_u64 vcc, 0
	s_subb_u32 s5, s4, 0
	v_subrev_co_u32_e32 v4, vcc, s3, v3
	s_cmp_lg_u64 vcc, 0
	s_subb_u32 s6, s5, 0
	v_cmp_le_u32_e32 vcc, s3, v3
	s_cmp_eq_u32 s5, 0
	v_cndmask_b32_e64 v5, 0, -1, vcc
	s_cselect_b64 vcc, -1, 0
	v_cndmask_b32_e32 v5, -1, v5, vcc
	v_mov_b32_e32 v6, s5
	v_mov_b32_e32 v7, s6
	v_cmp_ne_u32_e32 vcc, 0, v5
	v_cndmask_b32_e32 v5, v6, v7, vcc
	v_cndmask_b32_e32 v4, v3, v4, vcc
	v_cmp_le_u32_e32 vcc, s3, v2
	s_cmp_eq_u32 s4, 0
	v_cndmask_b32_e64 v3, 0, -1, vcc
	s_cselect_b64 vcc, -1, 0
	v_cndmask_b32_e32 v3, -1, v3, vcc
	v_mov_b32_e32 v6, s4
	v_cmp_ne_u32_e32 vcc, 0, v3
	v_cndmask_b32_e32 v3, v6, v5, vcc
	v_cndmask_b32_e32 v2, v2, v4, vcc
	s_cbranch_execnz .LBB171_43
.LBB171_42:                             ;   in Loop: Header=BB171_12 Depth=1
	v_cvt_f32_u32_e32 v2, s3
	s_sub_i32 s4, 0, s3
	v_rcp_iflag_f32_e32 v2, v2
	v_mul_f32_e32 v2, 0x4f7ffffe, v2
	v_cvt_u32_f32_e32 v2, v2
	v_mul_lo_u32 v3, s4, v2
	v_mul_hi_u32 v3, v2, v3
	v_add_u32_e32 v2, v2, v3
	v_mul_hi_u32 v2, s60, v2
	v_mul_lo_u32 v2, v2, s3
	v_sub_u32_e32 v2, s60, v2
	v_subrev_u32_e32 v3, s3, v2
	v_cmp_le_u32_e32 vcc, s3, v2
	v_cndmask_b32_e32 v2, v2, v3, vcc
	v_subrev_u32_e32 v3, s3, v2
	v_cmp_le_u32_e32 vcc, s3, v2
	v_cndmask_b32_e32 v14, v2, v3, vcc
	v_pk_mov_b32 v[2:3], v[14:15], v[14:15] op_sel:[0,1]
.LBB171_43:                             ;   in Loop: Header=BB171_12 Depth=1
	v_mov_b32_e32 v4, s61
	v_sub_co_u32_e32 v20, vcc, s60, v2
	v_subb_co_u32_e32 v21, vcc, v4, v3, vcc
	v_pk_mov_b32 v[2:3], 0, 0
	v_cmp_gt_u64_e32 vcc, v[20:21], v[16:17]
	s_mov_b64 s[54:55], 0
	v_pk_mov_b32 v[4:5], v[2:3], v[2:3] op_sel:[0,1]
	v_pk_mov_b32 v[6:7], v[2:3], v[2:3] op_sel:[0,1]
	;; [unrolled: 1-line block ×3, first 2 shown]
	s_and_saveexec_b64 s[8:9], vcc
	s_cbranch_execz .LBB171_47
; %bb.44:                               ;   in Loop: Header=BB171_12 Depth=1
	s_and_b32 s84, s92, 0xfe
	s_mov_b64 s[10:11], 0
	s_mov_b64 s[56:57], 0
	;; [unrolled: 1-line block ×4, first 2 shown]
	v_pk_mov_b32 v[22:23], v[16:17], v[16:17] op_sel:[0,1]
.LBB171_45:                             ;   Parent Loop BB171_12 Depth=1
                                        ; =>  This Inner Loop Header: Depth=2
	v_mul_lo_u32 v4, v23, s58
	v_mul_lo_u32 v5, v22, s59
	v_mad_u64_u32 v[2:3], s[4:5], v22, s58, 0
	v_add3_u32 v3, v3, v5, v4
	v_lshlrev_b64 v[2:3], 1, v[2:3]
	v_mov_b32_e32 v6, s86
	v_add_co_u32_e64 v2, s[6:7], s33, v2
	s_lshl_b64 s[4:5], s[58:59], 1
	v_addc_co_u32_e64 v3, s[6:7], v6, v3, s[6:7]
	v_mov_b32_e32 v7, s5
	v_add_co_u32_e64 v4, s[6:7], s4, v2
	v_addc_co_u32_e64 v5, s[6:7], v3, v7, s[6:7]
	global_load_sshort v6, v[2:3], off
	global_load_sshort v8, v[4:5], off
	v_add_co_u32_e64 v2, s[6:7], s4, v4
	v_addc_co_u32_e64 v3, s[6:7], v5, v7, s[6:7]
	global_load_sshort v4, v[2:3], off
	v_add_co_u32_e64 v2, s[6:7], s4, v2
	v_addc_co_u32_e64 v3, s[6:7], v3, v7, s[6:7]
	global_load_sshort v2, v[2:3], off
	v_add_co_u32_e32 v22, vcc, s3, v22
	v_addc_co_u32_e32 v23, vcc, 0, v23, vcc
	v_cmp_ge_u64_e32 vcc, v[22:23], v[20:21]
	s_waitcnt vmcnt(3)
	v_add_u32_e32 v3, 0x8000, v6
	s_waitcnt vmcnt(2)
	v_add_u32_e32 v5, 0x8000, v8
	v_and_b32_e32 v6, v3, v34
	v_bfe_u32 v3, v3, s84, 2
	v_cmp_eq_u32_e64 s[14:15], v6, v35
	v_and_b32_e32 v6, v5, v34
	s_waitcnt vmcnt(1)
	v_add_u32_e32 v4, 0x8000, v4
	v_bfe_u32 v5, v5, s84, 2
	v_cmp_eq_u32_e64 s[6:7], 0, v3
	v_cmp_eq_u32_e64 s[34:35], 1, v3
	;; [unrolled: 1-line block ×4, first 2 shown]
	s_waitcnt vmcnt(0)
	v_add_u32_e32 v2, 0x8000, v2
	v_cmp_eq_u32_e64 s[16:17], v6, v35
	v_and_b32_e32 v3, v4, v34
	v_bfe_u32 v4, v4, s84, 2
	v_cmp_eq_u32_e64 s[26:27], 0, v5
	s_and_b64 s[4:5], s[14:15], s[6:7]
	v_cmp_eq_u32_e64 s[38:39], 1, v5
	v_cmp_eq_u32_e64 s[40:41], 2, v5
	;; [unrolled: 1-line block ×3, first 2 shown]
	v_cndmask_b32_e64 v5, 0, 1, s[4:5]
	v_cmp_eq_u32_e64 s[22:23], v3, v35
	v_and_b32_e32 v3, v2, v34
	v_bfe_u32 v2, v2, s84, 2
	v_cmp_eq_u32_e64 s[6:7], 0, v4
	s_and_b64 s[4:5], s[16:17], s[26:27]
	v_cmp_eq_u32_e64 s[42:43], 1, v4
	v_cmp_eq_u32_e64 s[44:45], 2, v4
	;; [unrolled: 1-line block ×3, first 2 shown]
	v_cndmask_b32_e64 v4, 0, 1, s[4:5]
	v_cmp_eq_u32_e64 s[26:27], v3, v35
	v_cmp_eq_u32_e64 s[48:49], 0, v2
	s_and_b64 s[4:5], s[22:23], s[6:7]
	v_cmp_eq_u32_e64 s[50:51], 1, v2
	v_cmp_eq_u32_e64 s[52:53], 2, v2
	;; [unrolled: 1-line block ×3, first 2 shown]
	v_cndmask_b32_e64 v2, 0, 1, s[4:5]
	s_and_b64 s[4:5], s[26:27], s[48:49]
	v_cmp_ne_u32_e64 s[46:47], 0, v5
	v_cmp_ne_u32_e64 s[6:7], 0, v2
	v_cndmask_b32_e64 v2, 0, 1, s[4:5]
	s_bcnt1_i32_b64 s93, s[46:47]
	v_cmp_ne_u32_e64 s[46:47], 0, v4
	s_bcnt1_i32_b64 s4, s[6:7]
	v_cmp_ne_u32_e64 s[6:7], 0, v2
	s_bcnt1_i32_b64 s46, s[46:47]
	s_bcnt1_i32_b64 s5, s[6:7]
	s_add_u32 s6, s93, s12
	s_addc_u32 s7, 0, s13
	s_add_u32 s6, s6, s46
	s_addc_u32 s7, s7, 0
	s_add_u32 s4, s6, s4
	s_addc_u32 s6, s7, 0
	s_add_u32 s12, s4, s5
	s_addc_u32 s13, s6, 0
	s_and_b64 s[4:5], s[14:15], s[34:35]
	v_cndmask_b32_e64 v4, 0, 1, s[4:5]
	s_and_b64 s[4:5], s[16:17], s[38:39]
	v_cndmask_b32_e64 v5, 0, 1, s[4:5]
	s_and_b64 s[4:5], s[22:23], s[42:43]
	v_cndmask_b32_e64 v6, 0, 1, s[4:5]
	s_and_b64 s[4:5], s[26:27], s[50:51]
	v_cndmask_b32_e64 v7, 0, 1, s[4:5]
	v_cmp_ne_u32_e64 s[6:7], 0, v4
	v_cmp_ne_u32_e64 s[34:35], 0, v5
	v_cmp_ne_u32_e64 s[38:39], 0, v6
	v_cmp_ne_u32_e64 s[42:43], 0, v7
	s_bcnt1_i32_b64 s4, s[6:7]
	s_bcnt1_i32_b64 s5, s[34:35]
	s_bcnt1_i32_b64 s6, s[38:39]
	s_bcnt1_i32_b64 s7, s[42:43]
	s_add_u32 s4, s4, s90
	s_addc_u32 s34, 0, s91
	s_add_u32 s4, s4, s5
	s_addc_u32 s5, s34, 0
	s_add_u32 s4, s4, s6
	s_addc_u32 s5, s5, 0
	s_add_u32 s90, s4, s7
	s_addc_u32 s91, s5, 0
	s_and_b64 s[4:5], s[14:15], s[36:37]
	v_cndmask_b32_e64 v6, 0, 1, s[4:5]
	s_and_b64 s[4:5], s[16:17], s[40:41]
	v_cndmask_b32_e64 v7, 0, 1, s[4:5]
	s_and_b64 s[4:5], s[22:23], s[44:45]
	v_cndmask_b32_e64 v8, 0, 1, s[4:5]
	s_and_b64 s[4:5], s[26:27], s[52:53]
	v_cndmask_b32_e64 v9, 0, 1, s[4:5]
	v_cmp_ne_u32_e64 s[6:7], 0, v6
	v_cmp_ne_u32_e64 s[34:35], 0, v7
	v_cmp_ne_u32_e64 s[36:37], 0, v8
	v_cmp_ne_u32_e64 s[38:39], 0, v9
	s_bcnt1_i32_b64 s4, s[6:7]
	s_bcnt1_i32_b64 s5, s[34:35]
	;; [unrolled: 24-line block ×3, first 2 shown]
	s_bcnt1_i32_b64 s6, s[16:17]
	s_bcnt1_i32_b64 s7, s[18:19]
	s_add_u32 s4, s4, s10
	s_addc_u32 s10, 0, s11
	s_add_u32 s4, s4, s5
	s_addc_u32 s5, s10, 0
	;; [unrolled: 2-line block ×4, first 2 shown]
	v_pk_mov_b32 v[2:3], s[12:13], s[12:13] op_sel:[0,1]
	v_pk_mov_b32 v[4:5], s[90:91], s[90:91] op_sel:[0,1]
	;; [unrolled: 1-line block ×3, first 2 shown]
	s_or_b64 s[54:55], vcc, s[54:55]
	v_pk_mov_b32 v[8:9], s[10:11], s[10:11] op_sel:[0,1]
	s_andn2_b64 exec, exec, s[54:55]
	s_cbranch_execnz .LBB171_45
; %bb.46:                               ;   in Loop: Header=BB171_12 Depth=1
	s_or_b64 exec, exec, s[54:55]
.LBB171_47:                             ;   in Loop: Header=BB171_12 Depth=1
	s_or_b64 exec, exec, s[8:9]
	v_add_co_u32_e32 v20, vcc, v20, v0
	v_addc_co_u32_e32 v21, vcc, 0, v21, vcc
	v_cmp_gt_u64_e32 vcc, s[60:61], v[20:21]
	v_mov_b32_e32 v14, 0
	s_and_saveexec_b64 s[4:5], vcc
	s_cbranch_execz .LBB171_49
; %bb.48:                               ;   in Loop: Header=BB171_12 Depth=1
	v_mul_lo_u32 v14, v21, s58
	v_mul_lo_u32 v38, v20, s59
	v_mad_u64_u32 v[22:23], s[6:7], v20, s58, 0
	v_add3_u32 v23, v23, v38, v14
	v_lshlrev_b64 v[22:23], 1, v[22:23]
	v_mov_b32_e32 v14, s86
	v_add_co_u32_e64 v22, s[6:7], s33, v22
	v_addc_co_u32_e64 v23, s[6:7], v14, v23, s[6:7]
	global_load_ushort v14, v[22:23], off
.LBB171_49:                             ;   in Loop: Header=BB171_12 Depth=1
	s_or_b64 exec, exec, s[4:5]
	s_and_saveexec_b64 s[4:5], vcc
	s_cbranch_execz .LBB171_56
; %bb.50:                               ;   in Loop: Header=BB171_12 Depth=1
	s_and_b32 s3, s92, 0xfe
	s_mov_b64 s[8:9], 0
	s_branch .LBB171_52
.LBB171_51:                             ;   in Loop: Header=BB171_52 Depth=2
	s_or_b64 exec, exec, s[10:11]
	s_waitcnt vmcnt(0)
	v_add_u32_sdwa v14, sext(v14), s89 dst_sel:DWORD dst_unused:UNUSED_PAD src0_sel:WORD_0 src1_sel:DWORD
	s_and_b64 s[6:7], exec, vcc
	v_and_b32_e32 v23, v14, v34
	v_bfe_u32 v14, v14, s3, 2
	s_or_b64 s[8:9], s[6:7], s[8:9]
	v_cmp_eq_u32_e32 vcc, v23, v35
	v_cmp_eq_u32_e64 s[6:7], 0, v14
	s_and_b64 s[6:7], vcc, s[6:7]
	v_cndmask_b32_e64 v23, 0, 1, s[6:7]
	v_cmp_ne_u32_e64 s[6:7], 0, v23
	s_bcnt1_i32_b64 s6, s[6:7]
	v_add_co_u32_e64 v2, s[6:7], s6, v2
	v_addc_co_u32_e64 v3, s[6:7], 0, v3, s[6:7]
	v_cmp_eq_u32_e64 s[6:7], 1, v14
	s_and_b64 s[6:7], vcc, s[6:7]
	v_cndmask_b32_e64 v23, 0, 1, s[6:7]
	v_cmp_ne_u32_e64 s[6:7], 0, v23
	s_bcnt1_i32_b64 s6, s[6:7]
	v_add_co_u32_e64 v4, s[6:7], s6, v4
	v_addc_co_u32_e64 v5, s[6:7], 0, v5, s[6:7]
	v_cmp_eq_u32_e64 s[6:7], 2, v14
	s_and_b64 s[6:7], vcc, s[6:7]
	v_cndmask_b32_e64 v23, 0, 1, s[6:7]
	v_cmp_ne_u32_e64 s[6:7], 0, v23
	s_bcnt1_i32_b64 s6, s[6:7]
	v_add_co_u32_e64 v6, s[6:7], s6, v6
	v_addc_co_u32_e64 v7, s[6:7], 0, v7, s[6:7]
	v_cmp_eq_u32_e64 s[6:7], 3, v14
	s_and_b64 s[6:7], vcc, s[6:7]
	v_cndmask_b32_e64 v14, 0, 1, s[6:7]
	v_cmp_ne_u32_e32 vcc, 0, v14
	s_bcnt1_i32_b64 s6, vcc
	v_add_co_u32_e32 v8, vcc, s6, v8
	v_addc_co_u32_e32 v9, vcc, 0, v9, vcc
	v_mov_b32_e32 v14, v22
	s_andn2_b64 exec, exec, s[8:9]
	s_cbranch_execz .LBB171_55
.LBB171_52:                             ;   Parent Loop BB171_12 Depth=1
                                        ; =>  This Inner Loop Header: Depth=2
	v_add_co_u32_sdwa v20, vcc, v20, v37 dst_sel:DWORD dst_unused:UNUSED_PAD src0_sel:DWORD src1_sel:WORD_0
	v_addc_co_u32_e32 v21, vcc, 0, v21, vcc
	v_cmp_gt_u64_e64 s[6:7], s[60:61], v[20:21]
	v_cmp_le_u64_e32 vcc, s[60:61], v[20:21]
	v_mov_b32_e32 v22, 0
	s_and_saveexec_b64 s[10:11], s[6:7]
	s_cbranch_execz .LBB171_51
; %bb.53:                               ;   in Loop: Header=BB171_52 Depth=2
	v_mul_lo_u32 v38, v21, s58
	v_mul_lo_u32 v39, v20, s59
	v_mad_u64_u32 v[22:23], s[6:7], v20, s58, 0
	v_add3_u32 v23, v23, v39, v38
	v_lshlrev_b64 v[22:23], 1, v[22:23]
	v_mov_b32_e32 v38, s86
	v_add_co_u32_e64 v22, s[6:7], s33, v22
	v_addc_co_u32_e64 v23, s[6:7], v38, v23, s[6:7]
	global_load_ushort v22, v[22:23], off
	s_branch .LBB171_51
.LBB171_54:                             ;   in Loop: Header=BB171_12 Depth=1
                                        ; implicit-def: $vgpr8_vgpr9
                                        ; implicit-def: $vgpr4_vgpr5
	s_cbranch_execnz .LBB171_57
	s_branch .LBB171_66
.LBB171_55:                             ;   in Loop: Header=BB171_12 Depth=1
	s_or_b64 exec, exec, s[8:9]
.LBB171_56:                             ;   in Loop: Header=BB171_12 Depth=1
	s_or_b64 exec, exec, s[4:5]
	s_branch .LBB171_66
.LBB171_57:                             ;   in Loop: Header=BB171_12 Depth=1
	v_readlane_b32 s4, v46, 39
	v_readlane_b32 s5, v46, 40
	s_mov_b64 s[8:9], 0
	s_nop 3
	global_load_ushort v8, v15, s[4:5]
	s_waitcnt vmcnt(0)
	v_readfirstlane_b32 s3, v8
	s_and_b32 s3, 0xffff, s3
	s_lshl_b32 s3, s3, 2
	v_cvt_f32_u32_e32 v2, s3
	s_sub_i32 s4, 0, s3
	v_and_b32_e32 v22, 0xffff, v8
	v_rcp_iflag_f32_e32 v6, v2
	v_pk_mov_b32 v[2:3], 0, 0
	v_pk_mov_b32 v[4:5], v[2:3], v[2:3] op_sel:[0,1]
	v_mul_f32_e32 v6, 0x4f7ffffe, v6
	v_cvt_u32_f32_e32 v9, v6
	v_pk_mov_b32 v[6:7], v[2:3], v[2:3] op_sel:[0,1]
	v_readfirstlane_b32 s5, v9
	s_mul_i32 s4, s4, s5
	s_mul_hi_u32 s4, s5, s4
	s_add_i32 s5, s5, s4
	s_mul_hi_u32 s4, s2, s5
	s_mul_i32 s4, s4, s3
	s_sub_i32 s4, s2, s4
	s_sub_i32 s5, s4, s3
	s_cmp_ge_u32 s4, s3
	s_cselect_b32 s4, s5, s4
	s_sub_i32 s5, s4, s3
	s_cmp_ge_u32 s4, s3
	s_cselect_b32 s4, s5, s4
	s_sub_i32 s84, s2, s4
	v_cmp_gt_u32_e32 vcc, s84, v16
	v_pk_mov_b32 v[8:9], v[2:3], v[2:3] op_sel:[0,1]
	s_and_saveexec_b64 s[10:11], vcc
	s_cbranch_execz .LBB171_61
; %bb.58:                               ;   in Loop: Header=BB171_12 Depth=1
	s_and_b32 s93, s92, 0xfe
	v_lshlrev_b32_e32 v14, 3, v22
	v_mov_b32_e32 v23, v30
	s_mov_b64 s[12:13], 0
	s_mov_b64 s[56:57], 0
	s_mov_b64 s[90:91], 0
	s_mov_b64 s[4:5], 0
	v_pk_mov_b32 v[20:21], v[16:17], v[16:17] op_sel:[0,1]
.LBB171_59:                             ;   Parent Loop BB171_12 Depth=1
                                        ; =>  This Inner Loop Header: Depth=2
	ds_read_b64 v[2:3], v23
	v_add_co_u32_e32 v20, vcc, s3, v20
	v_addc_co_u32_e32 v21, vcc, 0, v21, vcc
	s_waitcnt lgkmcnt(0)
	v_add_u32_sdwa v4, sext(v2), s89 dst_sel:DWORD dst_unused:UNUSED_PAD src0_sel:WORD_0 src1_sel:DWORD
	v_add_u32_sdwa v2, sext(v2), s89 dst_sel:DWORD dst_unused:UNUSED_PAD src0_sel:WORD_1 src1_sel:DWORD
	v_and_b32_e32 v6, v4, v34
	v_bfe_u32 v4, v4, s93, 2
	v_add_u32_sdwa v5, sext(v3), s89 dst_sel:DWORD dst_unused:UNUSED_PAD src0_sel:WORD_0 src1_sel:DWORD
	v_and_b32_e32 v7, v2, v34
	v_bfe_u32 v2, v2, s93, 2
	v_cmp_eq_u32_e64 s[20:21], v6, v35
	v_cmp_eq_u32_e64 s[6:7], 0, v4
	v_add_u32_sdwa v3, sext(v3), s89 dst_sel:DWORD dst_unused:UNUSED_PAD src0_sel:WORD_1 src1_sel:DWORD
	v_and_b32_e32 v8, v5, v34
	v_bfe_u32 v5, v5, s93, 2
	v_cmp_eq_u32_e64 s[18:19], v7, v35
	v_cmp_eq_u32_e64 s[34:35], 0, v2
	s_and_b64 s[6:7], s[20:21], s[6:7]
	v_and_b32_e32 v9, v3, v34
	v_bfe_u32 v3, v3, s93, 2
	v_cmp_eq_u32_e64 s[16:17], v8, v35
	v_cmp_eq_u32_e64 s[36:37], 0, v5
	;; [unrolled: 1-line block ×5, first 2 shown]
	v_cndmask_b32_e64 v2, 0, 1, s[6:7]
	s_and_b64 s[6:7], s[18:19], s[34:35]
	v_cmp_eq_u32_e64 s[14:15], v9, v35
	v_cmp_eq_u32_e64 s[38:39], 0, v3
	;; [unrolled: 1-line block ×5, first 2 shown]
	v_cndmask_b32_e64 v3, 0, 1, s[6:7]
	s_and_b64 s[6:7], s[16:17], s[36:37]
	v_cmp_eq_u32_e64 s[40:41], 1, v4
	v_cmp_eq_u32_e64 s[48:49], 2, v4
	;; [unrolled: 1-line block ×3, first 2 shown]
	v_cndmask_b32_e64 v4, 0, 1, s[6:7]
	s_and_b64 s[6:7], s[14:15], s[38:39]
	v_cmp_eq_u32_e64 s[44:45], 1, v5
	v_cmp_eq_u32_e64 s[52:53], 2, v5
	;; [unrolled: 1-line block ×3, first 2 shown]
	v_cndmask_b32_e64 v5, 0, 1, s[6:7]
	v_cmp_ne_u32_e64 s[6:7], 0, v2
	v_cmp_ne_u32_e64 s[34:35], 0, v3
	v_cmp_ne_u32_e64 s[36:37], 0, v4
	v_cmp_ne_u32_e64 s[38:39], 0, v5
	s_bcnt1_i32_b64 s6, s[6:7]
	s_bcnt1_i32_b64 s7, s[34:35]
	s_bcnt1_i32_b64 s34, s[36:37]
	s_bcnt1_i32_b64 s35, s[38:39]
	s_add_u32 s4, s6, s4
	s_addc_u32 s5, 0, s5
	s_add_u32 s4, s4, s7
	s_addc_u32 s5, s5, 0
	s_add_u32 s4, s4, s34
	s_addc_u32 s5, s5, 0
	s_add_u32 s4, s4, s35
	s_addc_u32 s5, s5, 0
	s_and_b64 s[6:7], s[20:21], s[40:41]
	v_cndmask_b32_e64 v4, 0, 1, s[6:7]
	s_and_b64 s[6:7], s[18:19], s[42:43]
	v_cndmask_b32_e64 v5, 0, 1, s[6:7]
	s_and_b64 s[6:7], s[16:17], s[44:45]
	v_cndmask_b32_e64 v6, 0, 1, s[6:7]
	s_and_b64 s[6:7], s[14:15], s[46:47]
	v_cndmask_b32_e64 v7, 0, 1, s[6:7]
	v_cmp_ne_u32_e64 s[6:7], 0, v4
	v_cmp_ne_u32_e64 s[34:35], 0, v5
	v_cmp_ne_u32_e64 s[36:37], 0, v6
	v_cmp_ne_u32_e64 s[38:39], 0, v7
	s_bcnt1_i32_b64 s6, s[6:7]
	s_bcnt1_i32_b64 s7, s[34:35]
	s_bcnt1_i32_b64 s34, s[36:37]
	s_bcnt1_i32_b64 s35, s[38:39]
	s_add_u32 s6, s6, s90
	s_addc_u32 s36, 0, s91
	s_add_u32 s6, s6, s7
	s_addc_u32 s7, s36, 0
	s_add_u32 s6, s6, s34
	s_addc_u32 s7, s7, 0
	s_add_u32 s90, s6, s35
	s_addc_u32 s91, s7, 0
	s_and_b64 s[6:7], s[20:21], s[48:49]
	v_cndmask_b32_e64 v6, 0, 1, s[6:7]
	s_and_b64 s[6:7], s[18:19], s[50:51]
	v_cndmask_b32_e64 v7, 0, 1, s[6:7]
	s_and_b64 s[6:7], s[16:17], s[52:53]
	v_cndmask_b32_e64 v8, 0, 1, s[6:7]
	s_and_b64 s[6:7], s[14:15], s[54:55]
	;; [unrolled: 24-line block ×3, first 2 shown]
	v_cndmask_b32_e64 v38, 0, 1, s[6:7]
	v_cmp_ne_u32_e64 s[6:7], 0, v8
	v_cmp_ne_u32_e64 s[14:15], 0, v9
	;; [unrolled: 1-line block ×4, first 2 shown]
	s_bcnt1_i32_b64 s6, s[6:7]
	s_bcnt1_i32_b64 s7, s[14:15]
	;; [unrolled: 1-line block ×4, first 2 shown]
	s_add_u32 s6, s6, s12
	s_addc_u32 s12, 0, s13
	s_add_u32 s6, s6, s7
	s_addc_u32 s7, s12, 0
	;; [unrolled: 2-line block ×3, first 2 shown]
	s_add_u32 s12, s6, s15
	v_cmp_le_u64_e32 vcc, s[84:85], v[20:21]
	s_addc_u32 s13, s7, 0
	v_add_u32_e32 v23, v23, v14
	v_pk_mov_b32 v[2:3], s[4:5], s[4:5] op_sel:[0,1]
	v_pk_mov_b32 v[4:5], s[90:91], s[90:91] op_sel:[0,1]
	;; [unrolled: 1-line block ×3, first 2 shown]
	s_or_b64 s[8:9], vcc, s[8:9]
	v_pk_mov_b32 v[8:9], s[12:13], s[12:13] op_sel:[0,1]
	s_andn2_b64 exec, exec, s[8:9]
	s_cbranch_execnz .LBB171_59
; %bb.60:                               ;   in Loop: Header=BB171_12 Depth=1
	s_or_b64 exec, exec, s[8:9]
.LBB171_61:                             ;   in Loop: Header=BB171_12 Depth=1
	s_or_b64 exec, exec, s[10:11]
	v_add_u32_e32 v14, s84, v0
	v_cmp_gt_u32_e32 vcc, s2, v14
	s_and_saveexec_b64 s[4:5], vcc
	s_cbranch_execz .LBB171_65
; %bb.62:                               ;   in Loop: Header=BB171_12 Depth=1
	s_and_b32 s84, s2, 0x7fffffff
	s_and_b32 s8, s92, 0xfe
	v_lshlrev_b32_e32 v23, 1, v14
	v_lshlrev_b32_e32 v37, 1, v22
	s_mov_b64 s[2:3], 0
	v_pk_mov_b32 v[20:21], v[14:15], v[14:15] op_sel:[0,1]
.LBB171_63:                             ;   Parent Loop BB171_12 Depth=1
                                        ; =>  This Inner Loop Header: Depth=2
	ds_read_i16 v14, v23
	v_add_co_u32_e32 v20, vcc, v20, v22
	v_addc_co_u32_e32 v21, vcc, 0, v21, vcc
	s_waitcnt lgkmcnt(0)
	v_add_u32_e32 v14, 0x8000, v14
	v_and_b32_e32 v38, v14, v34
	v_bfe_u32 v14, v14, s8, 2
	v_cmp_eq_u32_e64 s[6:7], v38, v35
	v_cmp_eq_u32_e64 s[14:15], 0, v14
	;; [unrolled: 1-line block ×3, first 2 shown]
	s_and_b64 s[10:11], s[6:7], s[14:15]
	v_cmp_eq_u32_e64 s[18:19], 2, v14
	v_cmp_eq_u32_e64 s[20:21], 3, v14
	v_cndmask_b32_e64 v14, 0, 1, s[10:11]
	s_and_b64 s[10:11], s[6:7], s[16:17]
	v_cndmask_b32_e64 v38, 0, 1, s[10:11]
	s_and_b64 s[10:11], s[6:7], s[18:19]
	s_and_b64 s[6:7], s[6:7], s[20:21]
	v_cndmask_b32_e64 v39, 0, 1, s[10:11]
	v_cndmask_b32_e64 v40, 0, 1, s[6:7]
	v_cmp_ne_u32_e64 s[6:7], 0, v14
	v_cmp_ne_u32_e64 s[14:15], 0, v38
	;; [unrolled: 1-line block ×4, first 2 shown]
	v_cmp_le_u64_e32 vcc, s[84:85], v[20:21]
	s_bcnt1_i32_b64 s6, s[6:7]
	s_bcnt1_i32_b64 s7, s[14:15]
	;; [unrolled: 1-line block ×4, first 2 shown]
	s_or_b64 s[2:3], vcc, s[2:3]
	v_add_co_u32_e32 v2, vcc, s6, v2
	v_addc_co_u32_e32 v3, vcc, 0, v3, vcc
	v_add_co_u32_e32 v4, vcc, s7, v4
	v_addc_co_u32_e32 v5, vcc, 0, v5, vcc
	;; [unrolled: 2-line block ×3, first 2 shown]
	v_add_co_u32_e32 v8, vcc, s10, v8
	v_add_u32_e32 v23, v23, v37
	v_addc_co_u32_e32 v9, vcc, 0, v9, vcc
	s_andn2_b64 exec, exec, s[2:3]
	s_cbranch_execnz .LBB171_63
; %bb.64:                               ;   in Loop: Header=BB171_12 Depth=1
	s_or_b64 exec, exec, s[2:3]
.LBB171_65:                             ;   in Loop: Header=BB171_12 Depth=1
	s_or_b64 exec, exec, s[4:5]
.LBB171_66:                             ;   in Loop: Header=BB171_12 Depth=1
	v_readlane_b32 s2, v46, 52
	s_lshl_b32 s4, s2, 6
	s_and_saveexec_b64 s[2:3], s[0:1]
	s_cbranch_execz .LBB171_68
; %bb.67:                               ;   in Loop: Header=BB171_12 Depth=1
	s_waitcnt vmcnt(0)
	v_or_b32_e32 v14, s4, v27
	v_lshlrev_b32_e32 v14, 3, v14
	ds_write_b128 v14, v[2:5] offset:3072
	ds_write_b128 v14, v[6:9] offset:3088
.LBB171_68:                             ;   in Loop: Header=BB171_12 Depth=1
	s_or_b64 exec, exec, s[2:3]
	s_waitcnt lgkmcnt(0)
	s_barrier
	s_mov_b64 s[2:3], exec
	v_readlane_b32 s6, v46, 24
	v_readlane_b32 s7, v46, 25
	s_and_b64 s[6:7], s[2:3], s[6:7]
	s_mov_b64 exec, s[6:7]
	s_cbranch_execz .LBB171_80
; %bb.69:                               ;   in Loop: Header=BB171_12 Depth=1
	v_readlane_b32 s6, v46, 32
	v_readlane_b32 s7, v46, 33
	s_andn2_b64 vcc, exec, s[6:7]
	v_pk_mov_b32 v[2:3], 0, 0
	s_cbranch_vccnz .LBB171_79
; %bb.70:                               ;   in Loop: Header=BB171_12 Depth=1
	v_readlane_b32 s6, v46, 41
	v_readlane_b32 s7, v46, 42
	s_andn2_b64 vcc, exec, s[6:7]
	s_cbranch_vccnz .LBB171_75
; %bb.71:                               ;   in Loop: Header=BB171_12 Depth=1
	v_readlane_b32 s5, v46, 52
	s_waitcnt vmcnt(0)
	v_lshl_add_u32 v4, s5, 9, v31
	s_mov_b32 s5, 0
	v_pk_mov_b32 v[2:3], 0, 0
.LBB171_72:                             ;   Parent Loop BB171_12 Depth=1
                                        ; =>  This Inner Loop Header: Depth=2
	ds_read2_b64 v[6:9], v4 offset1:4
	ds_read2_b64 v[20:23], v4 offset0:8 offset1:12
	ds_read2_b64 v[38:41], v4 offset0:16 offset1:20
	;; [unrolled: 1-line block ×3, first 2 shown]
	s_add_i32 s5, s5, 8
	s_waitcnt lgkmcnt(3)
	v_add_co_u32_e32 v2, vcc, v6, v2
	v_addc_co_u32_e32 v3, vcc, v7, v3, vcc
	v_add_co_u32_e32 v2, vcc, v8, v2
	v_addc_co_u32_e32 v3, vcc, v9, v3, vcc
	s_waitcnt lgkmcnt(2)
	v_add_co_u32_e32 v2, vcc, v20, v2
	v_addc_co_u32_e32 v3, vcc, v21, v3, vcc
	v_add_co_u32_e32 v2, vcc, v22, v2
	v_addc_co_u32_e32 v3, vcc, v23, v3, vcc
	;; [unrolled: 5-line block ×3, first 2 shown]
	s_waitcnt lgkmcnt(0)
	v_add_co_u32_e32 v2, vcc, v42, v2
	v_addc_co_u32_e32 v3, vcc, v43, v3, vcc
	v_add_co_u32_e32 v2, vcc, v44, v2
	v_add_u32_e32 v4, 0x100, v4
	s_cmp_eq_u32 s94, s5
	v_addc_co_u32_e32 v3, vcc, v45, v3, vcc
	s_cbranch_scc0 .LBB171_72
; %bb.73:                               ;   in Loop: Header=BB171_12 Depth=1
	s_mov_b32 s5, s94
	s_branch .LBB171_76
.LBB171_74:                             ;   in Loop: Header=BB171_12 Depth=1
                                        ; implicit-def: $vgpr2_vgpr3
	s_branch .LBB171_42
.LBB171_75:                             ;   in Loop: Header=BB171_12 Depth=1
	s_mov_b32 s5, 0
	v_pk_mov_b32 v[2:3], 0, 0
.LBB171_76:                             ;   in Loop: Header=BB171_12 Depth=1
	v_readlane_b32 s6, v46, 44
	v_readlane_b32 s7, v46, 45
	s_andn2_b64 vcc, exec, s[6:7]
	s_cbranch_vccnz .LBB171_79
; %bb.77:                               ;   in Loop: Header=BB171_12 Depth=1
	v_readlane_b32 s6, v46, 52
	s_lshl_b32 s6, s6, 9
	s_lshl_b32 s5, s5, 5
	s_add_i32 s6, s6, s5
	s_waitcnt vmcnt(0)
	v_add_u32_e32 v4, s6, v31
	v_readlane_b32 s5, v46, 43
.LBB171_78:                             ;   Parent Loop BB171_12 Depth=1
                                        ; =>  This Inner Loop Header: Depth=2
	ds_read_b64 v[6:7], v4
	s_add_i32 s5, s5, -1
	v_add_u32_e32 v4, 32, v4
	s_cmp_lg_u32 s5, 0
	s_waitcnt lgkmcnt(0)
	v_add_co_u32_e32 v2, vcc, v6, v2
	v_addc_co_u32_e32 v3, vcc, v7, v3, vcc
	s_cbranch_scc1 .LBB171_78
.LBB171_79:                             ;   in Loop: Header=BB171_12 Depth=1
	s_waitcnt vmcnt(0)
	v_add_lshl_u32 v4, s4, v25, 3
	ds_write_b64 v4, v[2:3] offset:3072
.LBB171_80:                             ;   in Loop: Header=BB171_12 Depth=1
	s_or_b64 exec, exec, s[2:3]
	s_lshl_b32 s2, s4, 3
	v_mov_b32_e32 v6, s2
	s_waitcnt lgkmcnt(0)
	s_barrier
	s_waitcnt vmcnt(0)
	ds_read_b128 v[2:5], v6 offset:3072
	ds_read_b128 v[6:9], v6 offset:3088
	s_and_b32 s49, s92, 0xfe
	v_readlane_b32 s2, v46, 22
	s_lshl_b32 s84, 3, s49
	v_readlane_b32 s3, v46, 23
	s_waitcnt lgkmcnt(1)
	v_readfirstlane_b32 s17, v3
	v_readfirstlane_b32 s16, v2
	;; [unrolled: 1-line block ×4, first 2 shown]
	s_waitcnt lgkmcnt(0)
	v_readfirstlane_b32 s23, v7
	v_readfirstlane_b32 s22, v6
	;; [unrolled: 1-line block ×4, first 2 shown]
	s_not_b32 s48, s84
	s_andn2_b64 vcc, exec, s[2:3]
	v_cmp_eq_u64_e64 s[14:15], 1, v[18:19]
	s_cbranch_vccnz .LBB171_96
; %bb.81:                               ;   in Loop: Header=BB171_12 Depth=1
	s_cmp_eq_u64 s[16:17], 1
	s_cselect_b64 s[2:3], -1, 0
	s_and_b64 s[2:3], s[2:3], s[14:15]
	s_mov_b64 s[4:5], -1
	v_mov_b32_e32 v8, v35
	v_mov_b32_e32 v9, v34
	;; [unrolled: 1-line block ×3, first 2 shown]
                                        ; implicit-def: $sgpr20_sgpr21
                                        ; implicit-def: $sgpr36_sgpr37
                                        ; implicit-def: $sgpr34_sgpr35
	s_and_saveexec_b64 s[8:9], s[2:3]
	s_cbranch_execz .LBB171_118
; %bb.82:                               ;   in Loop: Header=BB171_12 Depth=1
	ds_read_b64 v[2:3], v15 offset:5120
	s_waitcnt lgkmcnt(0)
	s_barrier
	v_readfirstlane_b32 s4, v2
	v_readfirstlane_b32 s5, v3
	s_mov_b64 s[6:7], exec
	v_readlane_b32 s10, v46, 30
	v_readlane_b32 s11, v46, 31
	s_and_b64 s[10:11], s[6:7], s[10:11]
	s_mov_b64 exec, s[10:11]
	s_cbranch_execz .LBB171_84
; %bb.83:                               ;   in Loop: Header=BB171_12 Depth=1
	ds_write_b16 v29, v15
.LBB171_84:                             ;   in Loop: Header=BB171_12 Depth=1
	s_or_b64 exec, exec, s[6:7]
	v_and_b32_e32 v8, s48, v35
	v_or_b32_e32 v9, s84, v34
	s_cmp_eq_u64 s[4:5], 0
	s_waitcnt lgkmcnt(0)
	s_barrier
	s_cbranch_scc1 .LBB171_101
; %bb.85:                               ;   in Loop: Header=BB171_12 Depth=1
	v_readlane_b32 s6, v46, 34
	s_add_u32 s12, s6, s4
	v_readlane_b32 s6, v46, 36
	s_addc_u32 s7, s6, s5
	s_mov_b32 s6, s85
	s_cmp_lg_u64 s[6:7], 0
	s_cbranch_scc0 .LBB171_145
; %bb.86:                               ;   in Loop: Header=BB171_12 Depth=1
	v_cvt_f32_u32_e32 v2, s87
	s_sub_u32 s6, 0, s87
	s_subb_u32 s10, 0, 0
	v_mac_f32_e32 v2, 0, v32
	v_rcp_f32_e32 v2, v2
	v_mul_f32_e32 v2, 0x5f7ffffc, v2
	v_mul_f32_e32 v3, 0x2f800000, v2
	v_trunc_f32_e32 v3, v3
	v_mac_f32_e32 v2, 0xcf800000, v3
	v_cvt_u32_f32_e32 v3, v3
	v_cvt_u32_f32_e32 v2, v2
	v_readfirstlane_b32 s11, v3
	v_readfirstlane_b32 s13, v2
	s_mul_i32 s20, s6, s11
	s_mul_hi_u32 s26, s6, s13
	s_mul_i32 s21, s10, s13
	s_add_i32 s20, s26, s20
	s_mul_i32 s27, s6, s13
	s_add_i32 s20, s20, s21
	s_mul_hi_u32 s26, s13, s27
	s_mul_hi_u32 s21, s13, s20
	s_mul_i32 s13, s13, s20
	s_add_u32 s13, s26, s13
	s_addc_u32 s21, 0, s21
	s_mul_hi_u32 s28, s11, s27
	s_mul_i32 s27, s11, s27
	s_add_u32 s13, s13, s27
	s_mul_hi_u32 s26, s11, s20
	s_addc_u32 s13, s21, s28
	s_addc_u32 s21, s26, 0
	s_mul_i32 s20, s11, s20
	s_add_u32 s13, s13, s20
	s_addc_u32 s20, 0, s21
	v_add_co_u32_e32 v2, vcc, s13, v2
	s_cmp_lg_u64 vcc, 0
	s_addc_u32 s11, s11, s20
	v_readfirstlane_b32 s20, v2
	s_mul_i32 s13, s6, s11
	s_mul_hi_u32 s21, s6, s20
	s_add_i32 s13, s21, s13
	s_mul_i32 s10, s10, s20
	s_add_i32 s13, s13, s10
	s_mul_i32 s6, s6, s20
	s_mul_hi_u32 s21, s11, s6
	s_mul_i32 s26, s11, s6
	s_mul_i32 s28, s20, s13
	s_mul_hi_u32 s6, s20, s6
	s_mul_hi_u32 s27, s20, s13
	s_add_u32 s6, s6, s28
	s_addc_u32 s20, 0, s27
	s_add_u32 s6, s6, s26
	s_mul_hi_u32 s10, s11, s13
	s_addc_u32 s6, s20, s21
	s_addc_u32 s10, s10, 0
	s_mul_i32 s13, s11, s13
	s_add_u32 s6, s6, s13
	s_addc_u32 s10, 0, s10
	v_add_co_u32_e32 v2, vcc, s6, v2
	s_cmp_lg_u64 vcc, 0
	s_addc_u32 s6, s11, s10
	v_readfirstlane_b32 s13, v2
	s_mul_i32 s11, s12, s6
	s_mul_hi_u32 s20, s12, s13
	s_mul_hi_u32 s10, s12, s6
	s_add_u32 s11, s20, s11
	s_addc_u32 s10, 0, s10
	s_mul_hi_u32 s21, s7, s13
	s_mul_i32 s13, s7, s13
	s_add_u32 s11, s11, s13
	s_mul_hi_u32 s20, s7, s6
	s_addc_u32 s10, s10, s21
	s_addc_u32 s11, s20, 0
	s_mul_i32 s6, s7, s6
	s_add_u32 s6, s10, s6
	s_addc_u32 s10, 0, s11
	s_mul_hi_u32 s11, s87, s6
	s_mul_i32 s6, s87, s6
	s_mul_i32 s10, s87, s10
	v_mov_b32_e32 v2, s6
	s_add_i32 s11, s11, s10
	v_sub_co_u32_e32 v2, vcc, s12, v2
	s_cmp_lg_u64 vcc, 0
	s_subb_u32 s6, s7, s11
	v_subrev_co_u32_e32 v3, vcc, s87, v2
	s_cmp_lg_u64 vcc, 0
	s_subb_u32 s10, s6, 0
	v_subrev_co_u32_e32 v4, vcc, s87, v3
	s_cmp_lg_u64 vcc, 0
	s_subb_u32 s11, s10, 0
	v_cmp_le_u32_e32 vcc, s87, v3
	s_cmp_eq_u32 s10, 0
	v_cndmask_b32_e64 v5, 0, -1, vcc
	s_cselect_b64 vcc, -1, 0
	v_cndmask_b32_e32 v5, -1, v5, vcc
	v_mov_b32_e32 v6, s10
	v_mov_b32_e32 v7, s11
	v_cmp_ne_u32_e32 vcc, 0, v5
	v_cndmask_b32_e32 v5, v6, v7, vcc
	v_cndmask_b32_e32 v4, v3, v4, vcc
	v_cmp_le_u32_e32 vcc, s87, v2
	s_cmp_eq_u32 s6, 0
	v_cndmask_b32_e64 v3, 0, -1, vcc
	s_cselect_b64 vcc, -1, 0
	v_cndmask_b32_e32 v3, -1, v3, vcc
	v_mov_b32_e32 v6, s6
	v_cmp_ne_u32_e32 vcc, 0, v3
	v_cndmask_b32_e32 v3, v6, v5, vcc
	v_cndmask_b32_e32 v2, v2, v4, vcc
	s_cbranch_execnz .LBB171_88
.LBB171_87:                             ;   in Loop: Header=BB171_12 Depth=1
	v_cvt_f32_u32_e32 v2, s87
	s_sub_i32 s6, 0, s87
	v_rcp_iflag_f32_e32 v2, v2
	v_mul_f32_e32 v2, 0x4f7ffffe, v2
	v_cvt_u32_f32_e32 v2, v2
	v_mul_lo_u32 v3, s6, v2
	v_mul_hi_u32 v3, v2, v3
	v_add_u32_e32 v2, v2, v3
	v_mul_hi_u32 v2, s12, v2
	v_mul_lo_u32 v2, v2, s87
	v_sub_u32_e32 v2, s12, v2
	v_subrev_u32_e32 v3, s87, v2
	v_cmp_le_u32_e32 vcc, s87, v2
	v_cndmask_b32_e32 v2, v2, v3, vcc
	v_subrev_u32_e32 v3, s87, v2
	v_cmp_le_u32_e32 vcc, s87, v2
	v_cndmask_b32_e32 v14, v2, v3, vcc
	v_pk_mov_b32 v[2:3], v[14:15], v[14:15] op_sel:[0,1]
.LBB171_88:                             ;   in Loop: Header=BB171_12 Depth=1
	v_mov_b32_e32 v4, s7
	v_sub_co_u32_e32 v2, vcc, s12, v2
	v_subb_co_u32_e32 v3, vcc, v4, v3, vcc
	v_cmp_gt_u64_e32 vcc, v[2:3], v[0:1]
	s_mov_b64 s[6:7], 0
                                        ; implicit-def: $vgpr20
	s_and_saveexec_b64 s[10:11], vcc
	s_cbranch_execz .LBB171_103
; %bb.89:                               ;   in Loop: Header=BB171_12 Depth=1
	s_mov_b64 s[12:13], 0
	v_mov_b32_e32 v6, v28
	v_pk_mov_b32 v[4:5], v[0:1], v[0:1] op_sel:[0,1]
                                        ; implicit-def: $sgpr20_sgpr21
	s_branch .LBB171_91
.LBB171_90:                             ;   in Loop: Header=BB171_91 Depth=2
	s_or_b64 exec, exec, s[6:7]
	s_waitcnt lgkmcnt(0)
	s_barrier
	ds_read_b32 v7, v15 offset:3072
	v_mov_b32_e32 v14, s88
	v_add_co_u32_e64 v4, s[6:7], s87, v4
	v_addc_co_u32_e64 v5, s[6:7], v5, v14, s[6:7]
	s_waitcnt lgkmcnt(0)
	v_cmp_ne_u16_e32 vcc, 0, v7
	v_cmp_ge_u64_e64 s[6:7], v[4:5], v[2:3]
	s_or_b64 s[6:7], s[6:7], vcc
	s_and_b64 s[6:7], exec, s[6:7]
	s_or_b64 s[12:13], s[6:7], s[12:13]
	s_andn2_b64 s[6:7], s[20:21], exec
	s_and_b64 s[20:21], vcc, exec
	v_add_u32_e32 v6, s95, v6
	s_or_b64 s[20:21], s[6:7], s[20:21]
	s_barrier
	s_andn2_b64 exec, exec, s[12:13]
	s_cbranch_execz .LBB171_102
.LBB171_91:                             ;   Parent Loop BB171_12 Depth=1
                                        ; =>  This Inner Loop Header: Depth=2
	v_cmp_gt_u64_e32 vcc, s[4:5], v[4:5]
	v_mov_b32_e32 v7, 0
	s_and_saveexec_b64 s[6:7], vcc
	s_cbranch_execz .LBB171_93
; %bb.92:                               ;   in Loop: Header=BB171_91 Depth=2
	ds_read_u16 v7, v6
.LBB171_93:                             ;   in Loop: Header=BB171_91 Depth=2
	s_or_b64 exec, exec, s[6:7]
	s_and_saveexec_b64 s[6:7], vcc
	s_cbranch_execz .LBB171_90
; %bb.94:                               ;   in Loop: Header=BB171_91 Depth=2
	s_waitcnt lgkmcnt(0)
	v_add_u32_sdwa v14, sext(v7), s89 dst_sel:DWORD dst_unused:UNUSED_PAD src0_sel:WORD_0 src1_sel:DWORD
	v_and_b32_e32 v14, v14, v9
	v_cmp_eq_u32_e32 vcc, v14, v8
	s_and_b64 exec, exec, vcc
	s_cbranch_execz .LBB171_90
; %bb.95:                               ;   in Loop: Header=BB171_91 Depth=2
	v_perm_b32 v7, v7, 1, v33
	ds_write_b32 v15, v7 offset:3072
	s_branch .LBB171_90
.LBB171_96:                             ;   in Loop: Header=BB171_12 Depth=1
	s_mov_b64 s[28:29], 0
	s_mov_b64 s[26:27], 0
                                        ; implicit-def: $sgpr34_sgpr35
                                        ; implicit-def: $sgpr36_sgpr37
                                        ; implicit-def: $sgpr20_sgpr21
                                        ; implicit-def: $vgpr6
                                        ; implicit-def: $vgpr2_vgpr3
                                        ; implicit-def: $vgpr8
                                        ; implicit-def: $vgpr9
                                        ; implicit-def: $vgpr20
	s_cbranch_execnz .LBB171_282
.LBB171_97:                             ;   in Loop: Header=BB171_12 Depth=1
	s_mov_b64 s[14:15], s[20:21]
	s_mov_b64 s[38:39], s[20:21]
	s_and_saveexec_b64 s[2:3], s[28:29]
	s_cbranch_execnz .LBB171_478
	s_branch .LBB171_479
.LBB171_98:                             ;   in Loop: Header=BB171_12 Depth=1
	s_or_b64 exec, exec, s[4:5]
	s_waitcnt lgkmcnt(0)
	s_barrier
	s_mov_b64 s[4:5], exec
	v_readlane_b32 s6, v46, 12
	v_readlane_b32 s7, v46, 13
	s_and_b64 s[6:7], s[4:5], s[6:7]
	s_mov_b64 exec, s[6:7]
	s_cbranch_execz .LBB171_100
; %bb.99:                               ;   in Loop: Header=BB171_12 Depth=1
	ds_read_b32 v2, v15 offset:5144
	s_waitcnt lgkmcnt(0)
	v_ashrrev_i32_e32 v3, 31, v2
	ds_write_b64 v15, v[2:3] offset:5120
.LBB171_100:                            ;   in Loop: Header=BB171_12 Depth=1
	s_or_b64 exec, exec, s[4:5]
	s_waitcnt lgkmcnt(0)
	s_barrier
	s_mov_b64 s[4:5], -1
	s_and_b64 vcc, exec, s[2:3]
	s_cbranch_vccnz .LBB171_27
	s_branch .LBB171_37
.LBB171_101:                            ;   in Loop: Header=BB171_12 Depth=1
	s_mov_b64 s[20:21], -1
	s_mov_b64 s[6:7], 0
                                        ; implicit-def: $sgpr34_sgpr35
                                        ; implicit-def: $vgpr20
	s_mov_b64 s[36:37], s[20:21]
	s_cbranch_execnz .LBB171_104
	s_branch .LBB171_117
.LBB171_102:                            ;   in Loop: Header=BB171_12 Depth=1
	s_or_b64 exec, exec, s[12:13]
	v_lshrrev_b32_e32 v20, 16, v7
	s_and_b64 s[6:7], s[20:21], exec
.LBB171_103:                            ;   in Loop: Header=BB171_12 Depth=1
	s_or_b64 exec, exec, s[10:11]
	s_mov_b64 s[34:35], -1
	s_mov_b64 s[20:21], 0
	s_mov_b64 s[36:37], s[20:21]
	s_branch .LBB171_117
.LBB171_104:                            ;   in Loop: Header=BB171_12 Depth=1
	v_readlane_b32 s20, v46, 37
	v_readlane_b32 s21, v46, 38
	s_mov_b32 s20, s85
	s_cmp_lg_u64 s[20:21], 0
	v_writelane_b32 v46, s20, 37
	v_writelane_b32 v46, s21, 38
	s_cbranch_scc0 .LBB171_146
; %bb.105:                              ;   in Loop: Header=BB171_12 Depth=1
	v_cvt_f32_u32_e32 v2, s87
	s_sub_u32 s4, 0, s87
	s_subb_u32 s5, 0, 0
	v_mac_f32_e32 v2, 0, v32
	v_rcp_f32_e32 v2, v2
	v_mul_f32_e32 v2, 0x5f7ffffc, v2
	v_mul_f32_e32 v3, 0x2f800000, v2
	v_trunc_f32_e32 v3, v3
	v_mac_f32_e32 v2, 0xcf800000, v3
	v_cvt_u32_f32_e32 v3, v3
	v_cvt_u32_f32_e32 v2, v2
	v_readfirstlane_b32 s6, v3
	v_readfirstlane_b32 s7, v2
	s_mul_i32 s10, s4, s6
	s_mul_hi_u32 s12, s4, s7
	s_mul_i32 s11, s5, s7
	s_add_i32 s10, s12, s10
	s_mul_i32 s13, s4, s7
	s_add_i32 s10, s10, s11
	s_mul_hi_u32 s12, s7, s13
	s_mul_hi_u32 s11, s7, s10
	s_mul_i32 s7, s7, s10
	s_add_u32 s7, s12, s7
	s_addc_u32 s11, 0, s11
	s_mul_hi_u32 s20, s6, s13
	s_mul_i32 s13, s6, s13
	s_add_u32 s7, s7, s13
	s_mul_hi_u32 s12, s6, s10
	s_addc_u32 s7, s11, s20
	s_addc_u32 s11, s12, 0
	s_mul_i32 s10, s6, s10
	s_add_u32 s7, s7, s10
	s_addc_u32 s10, 0, s11
	v_add_co_u32_e32 v2, vcc, s7, v2
	s_cmp_lg_u64 vcc, 0
	s_addc_u32 s6, s6, s10
	v_readfirstlane_b32 s10, v2
	s_mul_i32 s7, s4, s6
	s_mul_hi_u32 s11, s4, s10
	s_add_i32 s7, s11, s7
	s_mul_i32 s5, s5, s10
	s_add_i32 s7, s7, s5
	s_mul_i32 s4, s4, s10
	s_mul_hi_u32 s11, s6, s4
	s_mul_i32 s12, s6, s4
	s_mul_i32 s20, s10, s7
	s_mul_hi_u32 s4, s10, s4
	s_mul_hi_u32 s13, s10, s7
	s_add_u32 s4, s4, s20
	s_addc_u32 s10, 0, s13
	s_add_u32 s4, s4, s12
	s_mul_hi_u32 s5, s6, s7
	s_addc_u32 s4, s10, s11
	s_addc_u32 s5, s5, 0
	s_mul_i32 s7, s6, s7
	s_add_u32 s4, s4, s7
	s_addc_u32 s5, 0, s5
	v_add_co_u32_e32 v2, vcc, s4, v2
	s_cmp_lg_u64 vcc, 0
	s_addc_u32 s4, s6, s5
	v_readlane_b32 s12, v46, 35
	v_readfirstlane_b32 s7, v2
	s_mul_i32 s6, s12, s4
	s_mul_hi_u32 s10, s12, s7
	s_mul_hi_u32 s5, s12, s4
	s_add_u32 s6, s10, s6
	s_addc_u32 s5, 0, s5
	s_mul_hi_u32 s11, s21, s7
	s_mul_i32 s7, s21, s7
	s_add_u32 s6, s6, s7
	s_mul_hi_u32 s10, s21, s4
	s_addc_u32 s5, s5, s11
	s_addc_u32 s6, s10, 0
	s_mul_i32 s4, s21, s4
	s_add_u32 s4, s5, s4
	s_addc_u32 s5, 0, s6
	s_mul_hi_u32 s6, s87, s4
	s_mul_i32 s4, s87, s4
	s_mul_i32 s5, s87, s5
	v_mov_b32_e32 v2, s4
	s_add_i32 s6, s6, s5
	v_sub_co_u32_e32 v2, vcc, s12, v2
	s_cmp_lg_u64 vcc, 0
	s_subb_u32 s4, s21, s6
	v_subrev_co_u32_e32 v3, vcc, s87, v2
	s_cmp_lg_u64 vcc, 0
	s_subb_u32 s5, s4, 0
	v_subrev_co_u32_e32 v4, vcc, s87, v3
	s_cmp_lg_u64 vcc, 0
	s_subb_u32 s6, s5, 0
	v_cmp_le_u32_e32 vcc, s87, v3
	s_cmp_eq_u32 s5, 0
	v_cndmask_b32_e64 v5, 0, -1, vcc
	s_cselect_b64 vcc, -1, 0
	v_cndmask_b32_e32 v5, -1, v5, vcc
	v_mov_b32_e32 v6, s5
	v_mov_b32_e32 v7, s6
	v_cmp_ne_u32_e32 vcc, 0, v5
	v_cndmask_b32_e32 v5, v6, v7, vcc
	v_cndmask_b32_e32 v4, v3, v4, vcc
	v_cmp_le_u32_e32 vcc, s87, v2
	s_cmp_eq_u32 s4, 0
	v_cndmask_b32_e64 v3, 0, -1, vcc
	s_cselect_b64 vcc, -1, 0
	v_cndmask_b32_e32 v3, -1, v3, vcc
	v_mov_b32_e32 v6, s4
	v_cmp_ne_u32_e32 vcc, 0, v3
	v_cndmask_b32_e32 v3, v6, v5, vcc
	v_cndmask_b32_e32 v2, v2, v4, vcc
	s_cbranch_execnz .LBB171_107
.LBB171_106:                            ;   in Loop: Header=BB171_12 Depth=1
	v_cvt_f32_u32_e32 v2, s87
	s_sub_i32 s4, 0, s87
	v_rcp_iflag_f32_e32 v2, v2
	v_mul_f32_e32 v2, 0x4f7ffffe, v2
	v_cvt_u32_f32_e32 v2, v2
	v_mul_lo_u32 v3, s4, v2
	v_mul_hi_u32 v3, v2, v3
	v_add_u32_e32 v2, v2, v3
	v_readlane_b32 s4, v46, 35
	v_mul_hi_u32 v2, s4, v2
	v_mul_lo_u32 v2, v2, s87
	v_sub_u32_e32 v2, s4, v2
	v_subrev_u32_e32 v3, s87, v2
	v_cmp_le_u32_e32 vcc, s87, v2
	v_cndmask_b32_e32 v2, v2, v3, vcc
	v_subrev_u32_e32 v3, s87, v2
	v_cmp_le_u32_e32 vcc, s87, v2
	v_cndmask_b32_e32 v14, v2, v3, vcc
	v_pk_mov_b32 v[2:3], v[14:15], v[14:15] op_sel:[0,1]
.LBB171_107:                            ;   in Loop: Header=BB171_12 Depth=1
	v_readlane_b32 s4, v46, 37
	v_readlane_b32 s5, v46, 38
	;; [unrolled: 1-line block ×3, first 2 shown]
	v_mov_b32_e32 v4, s5
	v_sub_co_u32_e32 v2, vcc, s4, v2
	v_subb_co_u32_e32 v3, vcc, v4, v3, vcc
	v_cmp_gt_u64_e32 vcc, v[2:3], v[0:1]
	s_mov_b64 s[6:7], 0
                                        ; implicit-def: $vgpr20
	s_and_saveexec_b64 s[4:5], vcc
	s_cbranch_execz .LBB171_116
; %bb.108:                              ;   in Loop: Header=BB171_12 Depth=1
	s_mov_b64 s[10:11], 0
	v_pk_mov_b32 v[4:5], v[0:1], v[0:1] op_sel:[0,1]
                                        ; implicit-def: $sgpr12_sgpr13
	s_branch .LBB171_110
.LBB171_109:                            ;   in Loop: Header=BB171_110 Depth=2
	s_or_b64 exec, exec, s[6:7]
	s_waitcnt lgkmcnt(0)
	s_barrier
	s_waitcnt vmcnt(0)
	ds_read_b32 v6, v15 offset:3072
	v_mov_b32_e32 v7, s88
	v_add_co_u32_e64 v4, s[6:7], s87, v4
	v_addc_co_u32_e64 v5, s[6:7], v5, v7, s[6:7]
	s_waitcnt lgkmcnt(0)
	v_cmp_ne_u16_e32 vcc, 0, v6
	v_cmp_ge_u64_e64 s[6:7], v[4:5], v[2:3]
	s_or_b64 s[6:7], s[6:7], vcc
	s_and_b64 s[6:7], exec, s[6:7]
	s_or_b64 s[10:11], s[6:7], s[10:11]
	s_andn2_b64 s[6:7], s[12:13], exec
	s_and_b64 s[12:13], vcc, exec
	s_or_b64 s[12:13], s[6:7], s[12:13]
	s_barrier
	s_andn2_b64 exec, exec, s[10:11]
	s_cbranch_execz .LBB171_115
.LBB171_110:                            ;   Parent Loop BB171_12 Depth=1
                                        ; =>  This Inner Loop Header: Depth=2
	v_cmp_gt_u64_e32 vcc, s[60:61], v[4:5]
	v_mov_b32_e32 v6, 0
	s_and_saveexec_b64 s[20:21], vcc
	s_cbranch_execz .LBB171_112
; %bb.111:                              ;   in Loop: Header=BB171_110 Depth=2
	v_mul_lo_u32 v14, v5, s58
	v_mul_lo_u32 v20, v4, s59
	v_mad_u64_u32 v[6:7], s[6:7], v4, s58, 0
	v_add3_u32 v7, v7, v20, v14
	v_lshlrev_b64 v[6:7], 1, v[6:7]
	v_mov_b32_e32 v14, s86
	v_add_co_u32_e64 v6, s[6:7], s33, v6
	v_addc_co_u32_e64 v7, s[6:7], v14, v7, s[6:7]
	global_load_ushort v6, v[6:7], off
.LBB171_112:                            ;   in Loop: Header=BB171_110 Depth=2
	s_or_b64 exec, exec, s[20:21]
	s_and_saveexec_b64 s[6:7], vcc
	s_cbranch_execz .LBB171_109
; %bb.113:                              ;   in Loop: Header=BB171_110 Depth=2
	s_waitcnt vmcnt(0)
	v_add_u32_sdwa v7, sext(v6), s89 dst_sel:DWORD dst_unused:UNUSED_PAD src0_sel:WORD_0 src1_sel:DWORD
	v_and_b32_e32 v7, v7, v9
	v_cmp_eq_u32_e32 vcc, v7, v8
	s_and_b64 exec, exec, vcc
	s_cbranch_execz .LBB171_109
; %bb.114:                              ;   in Loop: Header=BB171_110 Depth=2
	v_perm_b32 v6, v6, 1, v33
	ds_write_b32 v15, v6 offset:3072
	s_branch .LBB171_109
.LBB171_115:                            ;   in Loop: Header=BB171_12 Depth=1
	s_or_b64 exec, exec, s[10:11]
	v_lshrrev_b32_e32 v20, 16, v6
	s_and_b64 s[6:7], s[12:13], exec
.LBB171_116:                            ;   in Loop: Header=BB171_12 Depth=1
	s_or_b64 exec, exec, s[4:5]
	s_mov_b64 s[36:37], -1
	s_mov_b64 s[20:21], 0
	s_mov_b64 s[34:35], 0
.LBB171_117:                            ;   in Loop: Header=BB171_12 Depth=1
	s_orn2_b64 s[4:5], s[6:7], exec
.LBB171_118:                            ;   in Loop: Header=BB171_12 Depth=1
	s_or_b64 exec, exec, s[8:9]
	s_mov_b64 s[38:39], 0
	s_mov_b64 s[28:29], 0
	;; [unrolled: 1-line block ×3, first 2 shown]
                                        ; implicit-def: $vgpr6
                                        ; implicit-def: $vgpr2_vgpr3
	s_and_saveexec_b64 s[40:41], s[4:5]
	s_cbranch_execz .LBB171_281
; %bb.119:                              ;   in Loop: Header=BB171_12 Depth=1
	v_mov_b32_e32 v2, 1
	s_xor_b64 s[4:5], s[2:3], -1
	s_mov_b64 s[6:7], 0
	v_mov_b32_e32 v3, 0
	v_mov_b32_e32 v6, 1
	s_and_saveexec_b64 s[2:3], s[4:5]
	s_cbranch_execz .LBB171_129
; %bb.120:                              ;   in Loop: Header=BB171_12 Depth=1
	v_cmp_ge_u64_e32 vcc, s[16:17], v[18:19]
                                        ; implicit-def: $sgpr8
                                        ; implicit-def: $sgpr4_sgpr5
	s_and_saveexec_b64 s[6:7], vcc
	s_xor_b64 s[6:7], exec, s[6:7]
	s_cbranch_execz .LBB171_126
; %bb.121:                              ;   in Loop: Header=BB171_12 Depth=1
	ds_read_b64 v[2:3], v15 offset:5120
	s_waitcnt lgkmcnt(0)
	v_cmp_ne_u64_e32 vcc, 0, v[2:3]
	s_cbranch_vccnz .LBB171_125
; %bb.122:                              ;   in Loop: Header=BB171_12 Depth=1
	s_mov_b64 s[4:5], exec
	v_readlane_b32 s8, v46, 12
	v_readlane_b32 s9, v46, 13
	s_and_b64 s[8:9], s[4:5], s[8:9]
	s_mov_b64 exec, s[8:9]
	s_cbranch_execz .LBB171_124
; %bb.123:                              ;   in Loop: Header=BB171_12 Depth=1
	v_pk_mov_b32 v[2:3], s[16:17], s[16:17] op_sel:[0,1]
	ds_write_b64 v15, v[2:3] offset:5128
.LBB171_124:                            ;   in Loop: Header=BB171_12 Depth=1
	s_or_b64 exec, exec, s[4:5]
	s_waitcnt lgkmcnt(0)
	s_barrier
.LBB171_125:                            ;   in Loop: Header=BB171_12 Depth=1
	v_and_b32_e32 v8, s48, v8
	v_or_b32_e32 v9, s84, v9
	s_mov_b64 s[4:5], 0
	s_mov_b32 s8, 8
.LBB171_126:                            ;   in Loop: Header=BB171_12 Depth=1
	s_or_saveexec_b64 s[6:7], s[6:7]
	v_mov_b32_e32 v6, s8
	v_pk_mov_b32 v[2:3], v[18:19], v[18:19] op_sel:[0,1]
	s_xor_b64 exec, exec, s[6:7]
; %bb.127:                              ;   in Loop: Header=BB171_12 Depth=1
	v_mov_b32_e32 v3, s17
	v_subrev_co_u32_e32 v2, vcc, s16, v18
	v_subb_co_u32_e32 v3, vcc, v19, v3, vcc
	v_mov_b32_e32 v6, 0
	s_or_b64 s[4:5], s[4:5], exec
; %bb.128:                              ;   in Loop: Header=BB171_12 Depth=1
	s_or_b64 exec, exec, s[6:7]
	s_and_b64 s[6:7], s[4:5], exec
.LBB171_129:                            ;   in Loop: Header=BB171_12 Depth=1
	s_or_b64 exec, exec, s[2:3]
	s_mov_b64 s[12:13], -1
                                        ; implicit-def: $sgpr2_sgpr3
                                        ; implicit-def: $sgpr4_sgpr5
                                        ; implicit-def: $sgpr8_sgpr9
	s_and_saveexec_b64 s[10:11], s[6:7]
	s_xor_b64 s[26:27], exec, s[10:11]
	s_cbranch_execz .LBB171_278
; %bb.130:                              ;   in Loop: Header=BB171_12 Depth=1
	s_cmp_eq_u64 s[18:19], 1
	s_cselect_b64 s[2:3], -1, 0
	v_cmp_eq_u64_e32 vcc, 1, v[2:3]
	s_and_b64 s[2:3], s[2:3], vcc
	s_mov_b64 s[4:5], -1
                                        ; implicit-def: $sgpr28_sgpr29
                                        ; implicit-def: $sgpr44_sgpr45
                                        ; implicit-def: $sgpr42_sgpr43
	s_and_saveexec_b64 s[8:9], s[2:3]
	s_cbranch_execz .LBB171_164
; %bb.131:                              ;   in Loop: Header=BB171_12 Depth=1
	ds_read_b64 v[4:5], v15 offset:5120
	s_waitcnt lgkmcnt(0)
	s_barrier
	v_readfirstlane_b32 s4, v4
	v_readfirstlane_b32 s5, v5
	s_mov_b64 s[6:7], exec
	v_readlane_b32 s10, v46, 30
	v_readlane_b32 s11, v46, 31
	s_and_b64 s[10:11], s[6:7], s[10:11]
	s_mov_b64 exec, s[10:11]
	s_cbranch_execz .LBB171_133
; %bb.132:                              ;   in Loop: Header=BB171_12 Depth=1
	ds_write_b16 v29, v15
.LBB171_133:                            ;   in Loop: Header=BB171_12 Depth=1
	s_or_b64 exec, exec, s[6:7]
	v_and_b32_e32 v4, s48, v8
	v_lshl_or_b32 v8, 1, s49, v4
	v_or_b32_e32 v9, s84, v9
	s_cmp_eq_u64 s[4:5], 0
	s_waitcnt lgkmcnt(0)
	s_barrier
	s_cbranch_scc1 .LBB171_147
; %bb.134:                              ;   in Loop: Header=BB171_12 Depth=1
	v_readlane_b32 s6, v46, 34
	s_add_u32 s12, s6, s4
	v_readlane_b32 s6, v46, 36
	s_addc_u32 s7, s6, s5
	s_mov_b32 s6, s85
	s_cmp_lg_u64 s[6:7], 0
	s_cbranch_scc0 .LBB171_191
; %bb.135:                              ;   in Loop: Header=BB171_12 Depth=1
	v_cvt_f32_u32_e32 v4, s87
	s_sub_u32 s6, 0, s87
	s_subb_u32 s10, 0, 0
	v_mac_f32_e32 v4, 0, v32
	v_rcp_f32_e32 v4, v4
	v_mul_f32_e32 v4, 0x5f7ffffc, v4
	v_mul_f32_e32 v5, 0x2f800000, v4
	v_trunc_f32_e32 v5, v5
	v_mac_f32_e32 v4, 0xcf800000, v5
	v_cvt_u32_f32_e32 v5, v5
	v_cvt_u32_f32_e32 v4, v4
	v_readfirstlane_b32 s11, v5
	v_readfirstlane_b32 s13, v4
	s_mul_i32 s28, s6, s11
	s_mul_hi_u32 s42, s6, s13
	s_mul_i32 s29, s10, s13
	s_add_i32 s28, s42, s28
	s_mul_i32 s43, s6, s13
	s_add_i32 s28, s28, s29
	s_mul_hi_u32 s42, s13, s43
	s_mul_hi_u32 s29, s13, s28
	s_mul_i32 s13, s13, s28
	s_add_u32 s13, s42, s13
	s_addc_u32 s29, 0, s29
	s_mul_hi_u32 s44, s11, s43
	s_mul_i32 s43, s11, s43
	s_add_u32 s13, s13, s43
	s_mul_hi_u32 s42, s11, s28
	s_addc_u32 s13, s29, s44
	s_addc_u32 s29, s42, 0
	s_mul_i32 s28, s11, s28
	s_add_u32 s13, s13, s28
	s_addc_u32 s28, 0, s29
	v_add_co_u32_e32 v4, vcc, s13, v4
	s_cmp_lg_u64 vcc, 0
	s_addc_u32 s11, s11, s28
	v_readfirstlane_b32 s28, v4
	s_mul_i32 s13, s6, s11
	s_mul_hi_u32 s29, s6, s28
	s_add_i32 s13, s29, s13
	s_mul_i32 s10, s10, s28
	s_add_i32 s13, s13, s10
	s_mul_i32 s6, s6, s28
	s_mul_hi_u32 s29, s11, s6
	s_mul_i32 s42, s11, s6
	s_mul_i32 s44, s28, s13
	s_mul_hi_u32 s6, s28, s6
	s_mul_hi_u32 s43, s28, s13
	s_add_u32 s6, s6, s44
	s_addc_u32 s28, 0, s43
	s_add_u32 s6, s6, s42
	s_mul_hi_u32 s10, s11, s13
	s_addc_u32 s6, s28, s29
	s_addc_u32 s10, s10, 0
	s_mul_i32 s13, s11, s13
	s_add_u32 s6, s6, s13
	s_addc_u32 s10, 0, s10
	v_add_co_u32_e32 v4, vcc, s6, v4
	s_cmp_lg_u64 vcc, 0
	s_addc_u32 s6, s11, s10
	v_readfirstlane_b32 s13, v4
	s_mul_i32 s11, s12, s6
	s_mul_hi_u32 s28, s12, s13
	s_mul_hi_u32 s10, s12, s6
	s_add_u32 s11, s28, s11
	s_addc_u32 s10, 0, s10
	s_mul_hi_u32 s29, s7, s13
	s_mul_i32 s13, s7, s13
	s_add_u32 s11, s11, s13
	s_mul_hi_u32 s28, s7, s6
	s_addc_u32 s10, s10, s29
	s_addc_u32 s11, s28, 0
	s_mul_i32 s6, s7, s6
	s_add_u32 s6, s10, s6
	s_addc_u32 s10, 0, s11
	s_mul_hi_u32 s11, s87, s6
	s_mul_i32 s6, s87, s6
	s_mul_i32 s10, s87, s10
	v_mov_b32_e32 v4, s6
	s_add_i32 s11, s11, s10
	v_sub_co_u32_e32 v4, vcc, s12, v4
	s_cmp_lg_u64 vcc, 0
	s_subb_u32 s6, s7, s11
	v_subrev_co_u32_e32 v5, vcc, s87, v4
	s_cmp_lg_u64 vcc, 0
	s_subb_u32 s10, s6, 0
	v_subrev_co_u32_e32 v6, vcc, s87, v5
	s_cmp_lg_u64 vcc, 0
	s_subb_u32 s11, s10, 0
	v_cmp_le_u32_e32 vcc, s87, v5
	s_cmp_eq_u32 s10, 0
	v_cndmask_b32_e64 v7, 0, -1, vcc
	s_cselect_b64 vcc, -1, 0
	v_cndmask_b32_e32 v7, -1, v7, vcc
	v_mov_b32_e32 v14, s10
	v_mov_b32_e32 v20, s11
	v_cmp_ne_u32_e32 vcc, 0, v7
	v_cndmask_b32_e32 v7, v14, v20, vcc
	v_cndmask_b32_e32 v6, v5, v6, vcc
	v_cmp_le_u32_e32 vcc, s87, v4
	s_cmp_eq_u32 s6, 0
	v_cndmask_b32_e64 v5, 0, -1, vcc
	s_cselect_b64 vcc, -1, 0
	v_cndmask_b32_e32 v5, -1, v5, vcc
	v_mov_b32_e32 v14, s6
	v_cmp_ne_u32_e32 vcc, 0, v5
	v_cndmask_b32_e32 v5, v14, v7, vcc
	v_cndmask_b32_e32 v4, v4, v6, vcc
	s_cbranch_execnz .LBB171_137
.LBB171_136:                            ;   in Loop: Header=BB171_12 Depth=1
	v_cvt_f32_u32_e32 v4, s87
	s_sub_i32 s6, 0, s87
	v_rcp_iflag_f32_e32 v4, v4
	v_mul_f32_e32 v4, 0x4f7ffffe, v4
	v_cvt_u32_f32_e32 v4, v4
	v_mul_lo_u32 v5, s6, v4
	v_mul_hi_u32 v5, v4, v5
	v_add_u32_e32 v4, v4, v5
	v_mul_hi_u32 v4, s12, v4
	v_mul_lo_u32 v4, v4, s87
	v_sub_u32_e32 v4, s12, v4
	v_subrev_u32_e32 v5, s87, v4
	v_cmp_le_u32_e32 vcc, s87, v4
	v_cndmask_b32_e32 v4, v4, v5, vcc
	v_subrev_u32_e32 v5, s87, v4
	v_cmp_le_u32_e32 vcc, s87, v4
	v_cndmask_b32_e32 v14, v4, v5, vcc
	v_pk_mov_b32 v[4:5], v[14:15], v[14:15] op_sel:[0,1]
.LBB171_137:                            ;   in Loop: Header=BB171_12 Depth=1
	v_mov_b32_e32 v6, s7
	v_sub_co_u32_e32 v4, vcc, s12, v4
	v_subb_co_u32_e32 v5, vcc, v6, v5, vcc
	v_cmp_gt_u64_e32 vcc, v[4:5], v[0:1]
	s_mov_b64 s[6:7], 0
                                        ; implicit-def: $vgpr20
	s_and_saveexec_b64 s[10:11], vcc
	s_cbranch_execz .LBB171_149
; %bb.138:                              ;   in Loop: Header=BB171_12 Depth=1
	s_mov_b64 s[12:13], 0
	v_mov_b32_e32 v14, v28
	v_pk_mov_b32 v[6:7], v[0:1], v[0:1] op_sel:[0,1]
                                        ; implicit-def: $sgpr28_sgpr29
	s_branch .LBB171_140
.LBB171_139:                            ;   in Loop: Header=BB171_140 Depth=2
	s_or_b64 exec, exec, s[6:7]
	s_waitcnt lgkmcnt(0)
	s_barrier
	ds_read_b32 v20, v15 offset:3072
	v_mov_b32_e32 v21, s88
	v_add_co_u32_e64 v6, s[6:7], s87, v6
	v_addc_co_u32_e64 v7, s[6:7], v7, v21, s[6:7]
	s_waitcnt lgkmcnt(0)
	v_cmp_ne_u16_e32 vcc, 0, v20
	v_cmp_ge_u64_e64 s[6:7], v[6:7], v[4:5]
	s_or_b64 s[6:7], s[6:7], vcc
	s_and_b64 s[6:7], exec, s[6:7]
	s_or_b64 s[12:13], s[6:7], s[12:13]
	s_andn2_b64 s[6:7], s[28:29], exec
	s_and_b64 s[28:29], vcc, exec
	v_add_u32_e32 v14, s95, v14
	s_or_b64 s[28:29], s[6:7], s[28:29]
	s_barrier
	s_andn2_b64 exec, exec, s[12:13]
	s_cbranch_execz .LBB171_148
.LBB171_140:                            ;   Parent Loop BB171_12 Depth=1
                                        ; =>  This Inner Loop Header: Depth=2
	v_cmp_gt_u64_e32 vcc, s[4:5], v[6:7]
	v_mov_b32_e32 v20, 0
	s_and_saveexec_b64 s[6:7], vcc
	s_cbranch_execz .LBB171_142
; %bb.141:                              ;   in Loop: Header=BB171_140 Depth=2
	ds_read_u16 v20, v14
.LBB171_142:                            ;   in Loop: Header=BB171_140 Depth=2
	s_or_b64 exec, exec, s[6:7]
	s_and_saveexec_b64 s[6:7], vcc
	s_cbranch_execz .LBB171_139
; %bb.143:                              ;   in Loop: Header=BB171_140 Depth=2
	s_waitcnt lgkmcnt(0)
	v_add_u32_sdwa v21, sext(v20), s89 dst_sel:DWORD dst_unused:UNUSED_PAD src0_sel:WORD_0 src1_sel:DWORD
	v_and_b32_e32 v21, v21, v9
	v_cmp_eq_u32_e32 vcc, v21, v8
	s_and_b64 exec, exec, vcc
	s_cbranch_execz .LBB171_139
; %bb.144:                              ;   in Loop: Header=BB171_140 Depth=2
	v_perm_b32 v20, v20, 1, v33
	ds_write_b32 v15, v20 offset:3072
	s_branch .LBB171_139
.LBB171_145:                            ;   in Loop: Header=BB171_12 Depth=1
                                        ; implicit-def: $vgpr2_vgpr3
	s_branch .LBB171_87
.LBB171_146:                            ;   in Loop: Header=BB171_12 Depth=1
                                        ; implicit-def: $vgpr2_vgpr3
	s_branch .LBB171_106
.LBB171_147:                            ;   in Loop: Header=BB171_12 Depth=1
	s_mov_b64 s[28:29], -1
	s_mov_b64 s[6:7], 0
                                        ; implicit-def: $sgpr42_sgpr43
                                        ; implicit-def: $vgpr20
	s_mov_b64 s[44:45], s[28:29]
	s_cbranch_execnz .LBB171_150
	s_branch .LBB171_163
.LBB171_148:                            ;   in Loop: Header=BB171_12 Depth=1
	s_or_b64 exec, exec, s[12:13]
	v_lshrrev_b32_e32 v20, 16, v20
	s_and_b64 s[6:7], s[28:29], exec
.LBB171_149:                            ;   in Loop: Header=BB171_12 Depth=1
	s_or_b64 exec, exec, s[10:11]
	s_mov_b64 s[42:43], -1
	s_mov_b64 s[28:29], 0
	s_mov_b64 s[44:45], s[28:29]
	s_branch .LBB171_163
.LBB171_150:                            ;   in Loop: Header=BB171_12 Depth=1
	v_readlane_b32 s28, v46, 37
	v_readlane_b32 s29, v46, 38
	s_mov_b32 s28, s85
	s_cmp_lg_u64 s[28:29], 0
	v_writelane_b32 v46, s28, 37
	v_writelane_b32 v46, s29, 38
	s_cbranch_scc0 .LBB171_192
; %bb.151:                              ;   in Loop: Header=BB171_12 Depth=1
	v_cvt_f32_u32_e32 v4, s87
	s_sub_u32 s4, 0, s87
	s_subb_u32 s5, 0, 0
	v_mac_f32_e32 v4, 0, v32
	v_rcp_f32_e32 v4, v4
	v_mul_f32_e32 v4, 0x5f7ffffc, v4
	v_mul_f32_e32 v5, 0x2f800000, v4
	v_trunc_f32_e32 v5, v5
	v_mac_f32_e32 v4, 0xcf800000, v5
	v_cvt_u32_f32_e32 v5, v5
	v_cvt_u32_f32_e32 v4, v4
	v_readfirstlane_b32 s6, v5
	v_readfirstlane_b32 s7, v4
	s_mul_i32 s10, s4, s6
	s_mul_hi_u32 s12, s4, s7
	s_mul_i32 s11, s5, s7
	s_add_i32 s10, s12, s10
	s_mul_i32 s13, s4, s7
	s_add_i32 s10, s10, s11
	s_mul_hi_u32 s12, s7, s13
	s_mul_hi_u32 s11, s7, s10
	s_mul_i32 s7, s7, s10
	s_add_u32 s7, s12, s7
	s_addc_u32 s11, 0, s11
	s_mul_hi_u32 s28, s6, s13
	s_mul_i32 s13, s6, s13
	s_add_u32 s7, s7, s13
	s_mul_hi_u32 s12, s6, s10
	s_addc_u32 s7, s11, s28
	s_addc_u32 s11, s12, 0
	s_mul_i32 s10, s6, s10
	s_add_u32 s7, s7, s10
	s_addc_u32 s10, 0, s11
	v_add_co_u32_e32 v4, vcc, s7, v4
	s_cmp_lg_u64 vcc, 0
	s_addc_u32 s6, s6, s10
	v_readfirstlane_b32 s10, v4
	s_mul_i32 s7, s4, s6
	s_mul_hi_u32 s11, s4, s10
	s_add_i32 s7, s11, s7
	s_mul_i32 s5, s5, s10
	s_add_i32 s7, s7, s5
	s_mul_i32 s4, s4, s10
	s_mul_hi_u32 s11, s6, s4
	s_mul_i32 s12, s6, s4
	s_mul_i32 s28, s10, s7
	s_mul_hi_u32 s4, s10, s4
	s_mul_hi_u32 s13, s10, s7
	s_add_u32 s4, s4, s28
	s_addc_u32 s10, 0, s13
	s_add_u32 s4, s4, s12
	s_mul_hi_u32 s5, s6, s7
	s_addc_u32 s4, s10, s11
	s_addc_u32 s5, s5, 0
	s_mul_i32 s7, s6, s7
	s_add_u32 s4, s4, s7
	s_addc_u32 s5, 0, s5
	v_add_co_u32_e32 v4, vcc, s4, v4
	s_cmp_lg_u64 vcc, 0
	s_addc_u32 s4, s6, s5
	v_readlane_b32 s12, v46, 35
	v_readfirstlane_b32 s7, v4
	s_mul_i32 s6, s12, s4
	s_mul_hi_u32 s10, s12, s7
	s_mul_hi_u32 s5, s12, s4
	s_add_u32 s6, s10, s6
	s_addc_u32 s5, 0, s5
	s_mul_hi_u32 s11, s29, s7
	s_mul_i32 s7, s29, s7
	s_add_u32 s6, s6, s7
	s_mul_hi_u32 s10, s29, s4
	s_addc_u32 s5, s5, s11
	s_addc_u32 s6, s10, 0
	s_mul_i32 s4, s29, s4
	s_add_u32 s4, s5, s4
	s_addc_u32 s5, 0, s6
	s_mul_hi_u32 s6, s87, s4
	s_mul_i32 s4, s87, s4
	s_mul_i32 s5, s87, s5
	v_mov_b32_e32 v4, s4
	s_add_i32 s6, s6, s5
	v_sub_co_u32_e32 v4, vcc, s12, v4
	s_cmp_lg_u64 vcc, 0
	s_subb_u32 s4, s29, s6
	v_subrev_co_u32_e32 v5, vcc, s87, v4
	s_cmp_lg_u64 vcc, 0
	s_subb_u32 s5, s4, 0
	v_subrev_co_u32_e32 v6, vcc, s87, v5
	s_cmp_lg_u64 vcc, 0
	s_subb_u32 s6, s5, 0
	v_cmp_le_u32_e32 vcc, s87, v5
	s_cmp_eq_u32 s5, 0
	v_cndmask_b32_e64 v7, 0, -1, vcc
	s_cselect_b64 vcc, -1, 0
	v_cndmask_b32_e32 v7, -1, v7, vcc
	v_mov_b32_e32 v14, s5
	v_mov_b32_e32 v20, s6
	v_cmp_ne_u32_e32 vcc, 0, v7
	v_cndmask_b32_e32 v7, v14, v20, vcc
	v_cndmask_b32_e32 v6, v5, v6, vcc
	v_cmp_le_u32_e32 vcc, s87, v4
	s_cmp_eq_u32 s4, 0
	v_cndmask_b32_e64 v5, 0, -1, vcc
	s_cselect_b64 vcc, -1, 0
	v_cndmask_b32_e32 v5, -1, v5, vcc
	v_mov_b32_e32 v14, s4
	v_cmp_ne_u32_e32 vcc, 0, v5
	v_cndmask_b32_e32 v5, v14, v7, vcc
	v_cndmask_b32_e32 v4, v4, v6, vcc
	s_cbranch_execnz .LBB171_153
.LBB171_152:                            ;   in Loop: Header=BB171_12 Depth=1
	v_cvt_f32_u32_e32 v4, s87
	s_sub_i32 s4, 0, s87
	v_rcp_iflag_f32_e32 v4, v4
	v_mul_f32_e32 v4, 0x4f7ffffe, v4
	v_cvt_u32_f32_e32 v4, v4
	v_mul_lo_u32 v5, s4, v4
	v_mul_hi_u32 v5, v4, v5
	v_add_u32_e32 v4, v4, v5
	v_readlane_b32 s4, v46, 35
	v_mul_hi_u32 v4, s4, v4
	v_mul_lo_u32 v4, v4, s87
	v_sub_u32_e32 v4, s4, v4
	v_subrev_u32_e32 v5, s87, v4
	v_cmp_le_u32_e32 vcc, s87, v4
	v_cndmask_b32_e32 v4, v4, v5, vcc
	v_subrev_u32_e32 v5, s87, v4
	v_cmp_le_u32_e32 vcc, s87, v4
	v_cndmask_b32_e32 v14, v4, v5, vcc
	v_pk_mov_b32 v[4:5], v[14:15], v[14:15] op_sel:[0,1]
.LBB171_153:                            ;   in Loop: Header=BB171_12 Depth=1
	v_readlane_b32 s4, v46, 37
	v_readlane_b32 s5, v46, 38
	;; [unrolled: 1-line block ×3, first 2 shown]
	v_mov_b32_e32 v6, s5
	v_sub_co_u32_e32 v4, vcc, s4, v4
	v_subb_co_u32_e32 v5, vcc, v6, v5, vcc
	v_cmp_gt_u64_e32 vcc, v[4:5], v[0:1]
	s_mov_b64 s[6:7], 0
                                        ; implicit-def: $vgpr20
	s_and_saveexec_b64 s[4:5], vcc
	s_cbranch_execz .LBB171_162
; %bb.154:                              ;   in Loop: Header=BB171_12 Depth=1
	s_mov_b64 s[10:11], 0
	v_pk_mov_b32 v[6:7], v[0:1], v[0:1] op_sel:[0,1]
                                        ; implicit-def: $sgpr12_sgpr13
	s_branch .LBB171_156
.LBB171_155:                            ;   in Loop: Header=BB171_156 Depth=2
	s_or_b64 exec, exec, s[6:7]
	s_waitcnt lgkmcnt(0)
	s_barrier
	s_waitcnt vmcnt(0)
	ds_read_b32 v14, v15 offset:3072
	v_mov_b32_e32 v20, s88
	v_add_co_u32_e64 v6, s[6:7], s87, v6
	v_addc_co_u32_e64 v7, s[6:7], v7, v20, s[6:7]
	s_waitcnt lgkmcnt(0)
	v_cmp_ne_u16_e32 vcc, 0, v14
	v_cmp_ge_u64_e64 s[6:7], v[6:7], v[4:5]
	s_or_b64 s[6:7], s[6:7], vcc
	s_and_b64 s[6:7], exec, s[6:7]
	s_or_b64 s[10:11], s[6:7], s[10:11]
	s_andn2_b64 s[6:7], s[12:13], exec
	s_and_b64 s[12:13], vcc, exec
	s_or_b64 s[12:13], s[6:7], s[12:13]
	s_barrier
	s_andn2_b64 exec, exec, s[10:11]
	s_cbranch_execz .LBB171_161
.LBB171_156:                            ;   Parent Loop BB171_12 Depth=1
                                        ; =>  This Inner Loop Header: Depth=2
	v_cmp_gt_u64_e32 vcc, s[60:61], v[6:7]
	v_mov_b32_e32 v14, 0
	s_and_saveexec_b64 s[28:29], vcc
	s_cbranch_execz .LBB171_158
; %bb.157:                              ;   in Loop: Header=BB171_156 Depth=2
	v_mul_lo_u32 v14, v7, s58
	v_mul_lo_u32 v22, v6, s59
	v_mad_u64_u32 v[20:21], s[6:7], v6, s58, 0
	v_add3_u32 v21, v21, v22, v14
	v_lshlrev_b64 v[20:21], 1, v[20:21]
	v_mov_b32_e32 v14, s86
	v_add_co_u32_e64 v20, s[6:7], s33, v20
	v_addc_co_u32_e64 v21, s[6:7], v14, v21, s[6:7]
	global_load_ushort v14, v[20:21], off
.LBB171_158:                            ;   in Loop: Header=BB171_156 Depth=2
	s_or_b64 exec, exec, s[28:29]
	s_and_saveexec_b64 s[6:7], vcc
	s_cbranch_execz .LBB171_155
; %bb.159:                              ;   in Loop: Header=BB171_156 Depth=2
	s_waitcnt vmcnt(0)
	v_add_u32_sdwa v20, sext(v14), s89 dst_sel:DWORD dst_unused:UNUSED_PAD src0_sel:WORD_0 src1_sel:DWORD
	v_and_b32_e32 v20, v20, v9
	v_cmp_eq_u32_e32 vcc, v20, v8
	s_and_b64 exec, exec, vcc
	s_cbranch_execz .LBB171_155
; %bb.160:                              ;   in Loop: Header=BB171_156 Depth=2
	v_perm_b32 v14, v14, 1, v33
	ds_write_b32 v15, v14 offset:3072
	s_branch .LBB171_155
.LBB171_161:                            ;   in Loop: Header=BB171_12 Depth=1
	s_or_b64 exec, exec, s[10:11]
	v_lshrrev_b32_e32 v20, 16, v14
	s_and_b64 s[6:7], s[12:13], exec
.LBB171_162:                            ;   in Loop: Header=BB171_12 Depth=1
	s_or_b64 exec, exec, s[4:5]
	s_mov_b64 s[44:45], -1
	s_mov_b64 s[28:29], 0
	s_mov_b64 s[42:43], 0
.LBB171_163:                            ;   in Loop: Header=BB171_12 Depth=1
	s_orn2_b64 s[4:5], s[6:7], exec
.LBB171_164:                            ;   in Loop: Header=BB171_12 Depth=1
	s_or_b64 exec, exec, s[8:9]
	s_mov_b64 s[6:7], 0
                                        ; implicit-def: $vgpr6
	s_and_saveexec_b64 s[46:47], s[4:5]
	s_cbranch_execz .LBB171_277
; %bb.165:                              ;   in Loop: Header=BB171_12 Depth=1
	v_mov_b32_e32 v4, 1
	s_xor_b64 s[4:5], s[2:3], -1
	v_mov_b32_e32 v5, 0
	v_mov_b32_e32 v6, 1
	s_and_saveexec_b64 s[2:3], s[4:5]
	s_cbranch_execz .LBB171_175
; %bb.166:                              ;   in Loop: Header=BB171_12 Depth=1
	v_cmp_ge_u64_e32 vcc, s[18:19], v[2:3]
                                        ; implicit-def: $sgpr8
                                        ; implicit-def: $sgpr4_sgpr5
	s_and_saveexec_b64 s[6:7], vcc
	s_xor_b64 s[6:7], exec, s[6:7]
	s_cbranch_execz .LBB171_172
; %bb.167:                              ;   in Loop: Header=BB171_12 Depth=1
	ds_read_b64 v[4:5], v15 offset:5120
	s_waitcnt lgkmcnt(0)
	v_cmp_ne_u64_e32 vcc, 0, v[4:5]
	s_cbranch_vccnz .LBB171_171
; %bb.168:                              ;   in Loop: Header=BB171_12 Depth=1
	s_mov_b64 s[4:5], exec
	v_readlane_b32 s8, v46, 12
	v_readlane_b32 s9, v46, 13
	s_and_b64 s[8:9], s[4:5], s[8:9]
	s_mov_b64 exec, s[8:9]
	s_cbranch_execz .LBB171_170
; %bb.169:                              ;   in Loop: Header=BB171_12 Depth=1
	v_pk_mov_b32 v[4:5], s[18:19], s[18:19] op_sel:[0,1]
	ds_write_b64 v15, v[4:5] offset:5128
.LBB171_170:                            ;   in Loop: Header=BB171_12 Depth=1
	s_or_b64 exec, exec, s[4:5]
	s_waitcnt lgkmcnt(0)
	s_barrier
.LBB171_171:                            ;   in Loop: Header=BB171_12 Depth=1
	v_and_b32_e32 v4, s48, v8
	v_lshl_or_b32 v8, 1, s49, v4
	v_or_b32_e32 v9, s84, v9
	s_mov_b64 s[4:5], 0
	s_mov_b32 s8, 8
.LBB171_172:                            ;   in Loop: Header=BB171_12 Depth=1
	s_or_saveexec_b64 s[6:7], s[6:7]
	v_mov_b32_e32 v6, s8
	s_xor_b64 exec, exec, s[6:7]
; %bb.173:                              ;   in Loop: Header=BB171_12 Depth=1
	v_mov_b32_e32 v4, s19
	v_subrev_co_u32_e32 v2, vcc, s18, v2
	v_subb_co_u32_e32 v3, vcc, v3, v4, vcc
	v_mov_b32_e32 v6, 0
	s_or_b64 s[4:5], s[4:5], exec
; %bb.174:                              ;   in Loop: Header=BB171_12 Depth=1
	s_or_b64 exec, exec, s[6:7]
	s_and_b64 s[6:7], s[4:5], exec
	v_pk_mov_b32 v[4:5], v[2:3], v[2:3] op_sel:[0,1]
.LBB171_175:                            ;   in Loop: Header=BB171_12 Depth=1
	s_or_b64 exec, exec, s[2:3]
	s_mov_b64 s[2:3], -1
                                        ; implicit-def: $sgpr4_sgpr5
                                        ; implicit-def: $sgpr8_sgpr9
                                        ; implicit-def: $sgpr10_sgpr11
	s_and_saveexec_b64 s[50:51], s[6:7]
	s_cbranch_execz .LBB171_276
; %bb.176:                              ;   in Loop: Header=BB171_12 Depth=1
	s_cmp_eq_u64 s[22:23], 1
	s_cselect_b64 s[2:3], -1, 0
	v_cmp_eq_u64_e32 vcc, 1, v[4:5]
	s_and_b64 s[8:9], s[2:3], vcc
	s_mov_b64 s[4:5], -1
                                        ; implicit-def: $sgpr2_sgpr3
                                        ; implicit-def: $sgpr52_sgpr53
                                        ; implicit-def: $vcc
	s_and_saveexec_b64 s[54:55], s[8:9]
	s_cbranch_execz .LBB171_210
; %bb.177:                              ;   in Loop: Header=BB171_12 Depth=1
	ds_read_b64 v[2:3], v15 offset:5120
	s_waitcnt lgkmcnt(0)
	s_barrier
	v_readfirstlane_b32 s2, v2
	v_readfirstlane_b32 s3, v3
	s_mov_b64 s[4:5], exec
	v_readlane_b32 s6, v46, 30
	v_readlane_b32 s7, v46, 31
	s_and_b64 s[6:7], s[4:5], s[6:7]
	s_mov_b64 exec, s[6:7]
	s_cbranch_execz .LBB171_179
; %bb.178:                              ;   in Loop: Header=BB171_12 Depth=1
	ds_write_b16 v29, v15
.LBB171_179:                            ;   in Loop: Header=BB171_12 Depth=1
	s_or_b64 exec, exec, s[4:5]
	v_and_b32_e32 v2, s48, v8
	v_lshl_or_b32 v8, 2, s49, v2
	v_or_b32_e32 v9, s84, v9
	s_cmp_eq_u64 s[2:3], 0
	s_waitcnt lgkmcnt(0)
	s_barrier
	s_cbranch_scc1 .LBB171_193
; %bb.180:                              ;   in Loop: Header=BB171_12 Depth=1
	v_readlane_b32 s4, v46, 34
	s_add_u32 s10, s4, s2
	v_readlane_b32 s4, v46, 36
	s_addc_u32 s5, s4, s3
	s_mov_b32 s4, s85
	s_cmp_lg_u64 s[4:5], 0
	s_cbranch_scc0 .LBB171_228
; %bb.181:                              ;   in Loop: Header=BB171_12 Depth=1
	v_cvt_f32_u32_e32 v2, s87
	s_sub_u32 s4, 0, s87
	s_subb_u32 s6, 0, 0
	v_mac_f32_e32 v2, 0, v32
	v_rcp_f32_e32 v2, v2
	v_mul_f32_e32 v2, 0x5f7ffffc, v2
	v_mul_f32_e32 v3, 0x2f800000, v2
	v_trunc_f32_e32 v3, v3
	v_mac_f32_e32 v2, 0xcf800000, v3
	v_cvt_u32_f32_e32 v3, v3
	v_cvt_u32_f32_e32 v2, v2
	v_readfirstlane_b32 s7, v3
	v_readfirstlane_b32 s11, v2
	s_mul_i32 s12, s4, s7
	s_mul_hi_u32 s52, s4, s11
	s_mul_i32 s13, s6, s11
	s_add_i32 s12, s52, s12
	s_mul_i32 s53, s4, s11
	s_add_i32 s12, s12, s13
	s_mul_hi_u32 s52, s11, s53
	s_mul_hi_u32 s13, s11, s12
	s_mul_i32 s11, s11, s12
	s_add_u32 s11, s52, s11
	s_addc_u32 s13, 0, s13
	s_mul_hi_u32 s56, s7, s53
	s_mul_i32 s53, s7, s53
	s_add_u32 s11, s11, s53
	s_mul_hi_u32 s52, s7, s12
	s_addc_u32 s11, s13, s56
	s_addc_u32 s13, s52, 0
	s_mul_i32 s12, s7, s12
	s_add_u32 s11, s11, s12
	s_addc_u32 s12, 0, s13
	v_add_co_u32_e32 v2, vcc, s11, v2
	s_cmp_lg_u64 vcc, 0
	s_addc_u32 s7, s7, s12
	v_readfirstlane_b32 s12, v2
	s_mul_i32 s11, s4, s7
	s_mul_hi_u32 s13, s4, s12
	s_add_i32 s11, s13, s11
	s_mul_i32 s6, s6, s12
	s_add_i32 s11, s11, s6
	s_mul_i32 s4, s4, s12
	s_mul_hi_u32 s13, s7, s4
	s_mul_i32 s52, s7, s4
	s_mul_i32 s56, s12, s11
	s_mul_hi_u32 s4, s12, s4
	s_mul_hi_u32 s53, s12, s11
	s_add_u32 s4, s4, s56
	s_addc_u32 s12, 0, s53
	s_add_u32 s4, s4, s52
	s_mul_hi_u32 s6, s7, s11
	s_addc_u32 s4, s12, s13
	s_addc_u32 s6, s6, 0
	s_mul_i32 s11, s7, s11
	s_add_u32 s4, s4, s11
	s_addc_u32 s6, 0, s6
	v_add_co_u32_e32 v2, vcc, s4, v2
	s_cmp_lg_u64 vcc, 0
	s_addc_u32 s4, s7, s6
	v_readfirstlane_b32 s11, v2
	s_mul_i32 s7, s10, s4
	s_mul_hi_u32 s12, s10, s11
	s_mul_hi_u32 s6, s10, s4
	s_add_u32 s7, s12, s7
	s_addc_u32 s6, 0, s6
	s_mul_hi_u32 s13, s5, s11
	s_mul_i32 s11, s5, s11
	s_add_u32 s7, s7, s11
	s_mul_hi_u32 s12, s5, s4
	s_addc_u32 s6, s6, s13
	s_addc_u32 s7, s12, 0
	s_mul_i32 s4, s5, s4
	s_add_u32 s4, s6, s4
	s_addc_u32 s6, 0, s7
	s_mul_hi_u32 s7, s87, s4
	s_mul_i32 s4, s87, s4
	s_mul_i32 s6, s87, s6
	v_mov_b32_e32 v2, s4
	s_add_i32 s7, s7, s6
	v_sub_co_u32_e32 v2, vcc, s10, v2
	s_cmp_lg_u64 vcc, 0
	s_subb_u32 s4, s5, s7
	v_subrev_co_u32_e32 v3, vcc, s87, v2
	s_cmp_lg_u64 vcc, 0
	s_subb_u32 s6, s4, 0
	v_subrev_co_u32_e32 v6, vcc, s87, v3
	s_cmp_lg_u64 vcc, 0
	s_subb_u32 s7, s6, 0
	v_cmp_le_u32_e32 vcc, s87, v3
	s_cmp_eq_u32 s6, 0
	v_cndmask_b32_e64 v7, 0, -1, vcc
	s_cselect_b64 vcc, -1, 0
	v_cndmask_b32_e32 v7, -1, v7, vcc
	v_mov_b32_e32 v14, s6
	v_mov_b32_e32 v20, s7
	v_cmp_ne_u32_e32 vcc, 0, v7
	v_cndmask_b32_e32 v7, v14, v20, vcc
	v_cndmask_b32_e32 v6, v3, v6, vcc
	v_cmp_le_u32_e32 vcc, s87, v2
	s_cmp_eq_u32 s4, 0
	v_cndmask_b32_e64 v3, 0, -1, vcc
	s_cselect_b64 vcc, -1, 0
	v_cndmask_b32_e32 v3, -1, v3, vcc
	v_mov_b32_e32 v14, s4
	v_cmp_ne_u32_e32 vcc, 0, v3
	v_cndmask_b32_e32 v3, v14, v7, vcc
	v_cndmask_b32_e32 v2, v2, v6, vcc
	s_cbranch_execnz .LBB171_183
.LBB171_182:                            ;   in Loop: Header=BB171_12 Depth=1
	v_cvt_f32_u32_e32 v2, s87
	s_sub_i32 s4, 0, s87
	v_rcp_iflag_f32_e32 v2, v2
	v_mul_f32_e32 v2, 0x4f7ffffe, v2
	v_cvt_u32_f32_e32 v2, v2
	v_mul_lo_u32 v3, s4, v2
	v_mul_hi_u32 v3, v2, v3
	v_add_u32_e32 v2, v2, v3
	v_mul_hi_u32 v2, s10, v2
	v_mul_lo_u32 v2, v2, s87
	v_sub_u32_e32 v2, s10, v2
	v_subrev_u32_e32 v3, s87, v2
	v_cmp_le_u32_e32 vcc, s87, v2
	v_cndmask_b32_e32 v2, v2, v3, vcc
	v_subrev_u32_e32 v3, s87, v2
	v_cmp_le_u32_e32 vcc, s87, v2
	v_cndmask_b32_e32 v14, v2, v3, vcc
	v_pk_mov_b32 v[2:3], v[14:15], v[14:15] op_sel:[0,1]
.LBB171_183:                            ;   in Loop: Header=BB171_12 Depth=1
	v_mov_b32_e32 v6, s5
	v_sub_co_u32_e32 v2, vcc, s10, v2
	v_subb_co_u32_e32 v3, vcc, v6, v3, vcc
	v_cmp_gt_u64_e32 vcc, v[2:3], v[0:1]
	s_mov_b64 s[4:5], 0
                                        ; implicit-def: $vgpr20
	s_and_saveexec_b64 s[10:11], vcc
	s_cbranch_execz .LBB171_195
; %bb.184:                              ;   in Loop: Header=BB171_12 Depth=1
	v_mov_b32_e32 v14, v28
	v_pk_mov_b32 v[6:7], v[0:1], v[0:1] op_sel:[0,1]
                                        ; implicit-def: $sgpr12_sgpr13
	s_branch .LBB171_186
.LBB171_185:                            ;   in Loop: Header=BB171_186 Depth=2
	s_or_b64 exec, exec, s[6:7]
	s_waitcnt lgkmcnt(0)
	s_barrier
	ds_read_b32 v20, v15 offset:3072
	v_mov_b32_e32 v21, s88
	v_add_co_u32_e64 v6, s[6:7], s87, v6
	v_addc_co_u32_e64 v7, s[6:7], v7, v21, s[6:7]
	s_waitcnt lgkmcnt(0)
	v_cmp_ne_u16_e32 vcc, 0, v20
	v_cmp_ge_u64_e64 s[6:7], v[6:7], v[2:3]
	s_or_b64 s[6:7], s[6:7], vcc
	s_and_b64 s[6:7], exec, s[6:7]
	s_or_b64 s[4:5], s[6:7], s[4:5]
	s_andn2_b64 s[6:7], s[12:13], exec
	s_and_b64 s[12:13], vcc, exec
	v_add_u32_e32 v14, s95, v14
	s_or_b64 s[12:13], s[6:7], s[12:13]
	s_barrier
	s_andn2_b64 exec, exec, s[4:5]
	s_cbranch_execz .LBB171_194
.LBB171_186:                            ;   Parent Loop BB171_12 Depth=1
                                        ; =>  This Inner Loop Header: Depth=2
	v_cmp_gt_u64_e32 vcc, s[2:3], v[6:7]
	v_mov_b32_e32 v20, 0
	s_and_saveexec_b64 s[6:7], vcc
	s_cbranch_execz .LBB171_188
; %bb.187:                              ;   in Loop: Header=BB171_186 Depth=2
	ds_read_u16 v20, v14
.LBB171_188:                            ;   in Loop: Header=BB171_186 Depth=2
	s_or_b64 exec, exec, s[6:7]
	s_and_saveexec_b64 s[6:7], vcc
	s_cbranch_execz .LBB171_185
; %bb.189:                              ;   in Loop: Header=BB171_186 Depth=2
	s_waitcnt lgkmcnt(0)
	v_add_u32_sdwa v21, sext(v20), s89 dst_sel:DWORD dst_unused:UNUSED_PAD src0_sel:WORD_0 src1_sel:DWORD
	v_and_b32_e32 v21, v21, v9
	v_cmp_eq_u32_e32 vcc, v21, v8
	s_and_b64 exec, exec, vcc
	s_cbranch_execz .LBB171_185
; %bb.190:                              ;   in Loop: Header=BB171_186 Depth=2
	v_perm_b32 v20, v20, 1, v33
	ds_write_b32 v15, v20 offset:3072
	s_branch .LBB171_185
.LBB171_191:                            ;   in Loop: Header=BB171_12 Depth=1
                                        ; implicit-def: $vgpr4_vgpr5
	s_branch .LBB171_136
.LBB171_192:                            ;   in Loop: Header=BB171_12 Depth=1
                                        ; implicit-def: $vgpr4_vgpr5
	s_branch .LBB171_152
.LBB171_193:                            ;   in Loop: Header=BB171_12 Depth=1
	s_mov_b64 s[2:3], -1
	s_mov_b64 s[4:5], 0
                                        ; implicit-def: $sgpr6_sgpr7
                                        ; implicit-def: $vgpr20
	s_mov_b64 s[52:53], s[2:3]
	s_cbranch_execnz .LBB171_196
	s_branch .LBB171_209
.LBB171_194:                            ;   in Loop: Header=BB171_12 Depth=1
	s_or_b64 exec, exec, s[4:5]
	v_lshrrev_b32_e32 v20, 16, v20
	s_and_b64 s[4:5], s[12:13], exec
.LBB171_195:                            ;   in Loop: Header=BB171_12 Depth=1
	s_or_b64 exec, exec, s[10:11]
	s_mov_b64 s[6:7], -1
	s_mov_b64 s[2:3], 0
	s_mov_b64 s[52:53], s[2:3]
	s_branch .LBB171_209
.LBB171_196:                            ;   in Loop: Header=BB171_12 Depth=1
	v_readlane_b32 s12, v46, 37
	v_readlane_b32 s13, v46, 38
	s_mov_b32 s12, s85
	s_cmp_lg_u64 s[12:13], 0
	v_writelane_b32 v46, s12, 37
	v_writelane_b32 v46, s13, 38
	s_cbranch_scc0 .LBB171_229
; %bb.197:                              ;   in Loop: Header=BB171_12 Depth=1
	v_cvt_f32_u32_e32 v2, s87
	s_sub_u32 s2, 0, s87
	s_subb_u32 s3, 0, 0
	v_mac_f32_e32 v2, 0, v32
	v_rcp_f32_e32 v2, v2
	v_mul_f32_e32 v2, 0x5f7ffffc, v2
	v_mul_f32_e32 v3, 0x2f800000, v2
	v_trunc_f32_e32 v3, v3
	v_mac_f32_e32 v2, 0xcf800000, v3
	v_cvt_u32_f32_e32 v3, v3
	v_cvt_u32_f32_e32 v2, v2
	v_readfirstlane_b32 s4, v3
	v_readfirstlane_b32 s5, v2
	s_mul_i32 s6, s2, s4
	s_mul_hi_u32 s10, s2, s5
	s_mul_i32 s7, s3, s5
	s_add_i32 s6, s10, s6
	s_mul_i32 s11, s2, s5
	s_add_i32 s6, s6, s7
	s_mul_hi_u32 s10, s5, s11
	s_mul_hi_u32 s7, s5, s6
	s_mul_i32 s5, s5, s6
	s_add_u32 s5, s10, s5
	s_addc_u32 s7, 0, s7
	s_mul_hi_u32 s12, s4, s11
	s_mul_i32 s11, s4, s11
	s_add_u32 s5, s5, s11
	s_mul_hi_u32 s10, s4, s6
	s_addc_u32 s5, s7, s12
	s_addc_u32 s7, s10, 0
	s_mul_i32 s6, s4, s6
	s_add_u32 s5, s5, s6
	s_addc_u32 s6, 0, s7
	v_add_co_u32_e32 v2, vcc, s5, v2
	s_cmp_lg_u64 vcc, 0
	s_addc_u32 s4, s4, s6
	v_readfirstlane_b32 s6, v2
	s_mul_i32 s5, s2, s4
	s_mul_hi_u32 s7, s2, s6
	s_add_i32 s5, s7, s5
	s_mul_i32 s3, s3, s6
	s_add_i32 s5, s5, s3
	s_mul_i32 s2, s2, s6
	s_mul_hi_u32 s7, s4, s2
	s_mul_i32 s10, s4, s2
	s_mul_i32 s12, s6, s5
	s_mul_hi_u32 s2, s6, s2
	s_mul_hi_u32 s11, s6, s5
	s_add_u32 s2, s2, s12
	s_addc_u32 s6, 0, s11
	s_add_u32 s2, s2, s10
	s_mul_hi_u32 s3, s4, s5
	s_addc_u32 s2, s6, s7
	s_addc_u32 s3, s3, 0
	s_mul_i32 s5, s4, s5
	s_add_u32 s2, s2, s5
	s_addc_u32 s3, 0, s3
	v_add_co_u32_e32 v2, vcc, s2, v2
	s_cmp_lg_u64 vcc, 0
	s_addc_u32 s2, s4, s3
	v_readlane_b32 s10, v46, 35
	v_readfirstlane_b32 s5, v2
	s_mul_i32 s4, s10, s2
	s_mul_hi_u32 s6, s10, s5
	s_mul_hi_u32 s3, s10, s2
	s_add_u32 s4, s6, s4
	s_addc_u32 s3, 0, s3
	s_mul_hi_u32 s7, s13, s5
	s_mul_i32 s5, s13, s5
	s_add_u32 s4, s4, s5
	s_mul_hi_u32 s6, s13, s2
	s_addc_u32 s3, s3, s7
	s_addc_u32 s4, s6, 0
	s_mul_i32 s2, s13, s2
	s_add_u32 s2, s3, s2
	s_addc_u32 s3, 0, s4
	s_mul_hi_u32 s4, s87, s2
	s_mul_i32 s2, s87, s2
	s_mul_i32 s3, s87, s3
	v_mov_b32_e32 v2, s2
	s_add_i32 s4, s4, s3
	v_sub_co_u32_e32 v2, vcc, s10, v2
	s_cmp_lg_u64 vcc, 0
	s_subb_u32 s2, s13, s4
	v_subrev_co_u32_e32 v3, vcc, s87, v2
	s_cmp_lg_u64 vcc, 0
	s_subb_u32 s3, s2, 0
	v_subrev_co_u32_e32 v6, vcc, s87, v3
	s_cmp_lg_u64 vcc, 0
	s_subb_u32 s4, s3, 0
	v_cmp_le_u32_e32 vcc, s87, v3
	s_cmp_eq_u32 s3, 0
	v_cndmask_b32_e64 v7, 0, -1, vcc
	s_cselect_b64 vcc, -1, 0
	v_cndmask_b32_e32 v7, -1, v7, vcc
	v_mov_b32_e32 v14, s3
	v_mov_b32_e32 v20, s4
	v_cmp_ne_u32_e32 vcc, 0, v7
	v_cndmask_b32_e32 v7, v14, v20, vcc
	v_cndmask_b32_e32 v6, v3, v6, vcc
	v_cmp_le_u32_e32 vcc, s87, v2
	s_cmp_eq_u32 s2, 0
	v_cndmask_b32_e64 v3, 0, -1, vcc
	s_cselect_b64 vcc, -1, 0
	v_cndmask_b32_e32 v3, -1, v3, vcc
	v_mov_b32_e32 v14, s2
	v_cmp_ne_u32_e32 vcc, 0, v3
	v_cndmask_b32_e32 v3, v14, v7, vcc
	v_cndmask_b32_e32 v2, v2, v6, vcc
	s_cbranch_execnz .LBB171_199
.LBB171_198:                            ;   in Loop: Header=BB171_12 Depth=1
	v_cvt_f32_u32_e32 v2, s87
	s_sub_i32 s2, 0, s87
	v_rcp_iflag_f32_e32 v2, v2
	v_mul_f32_e32 v2, 0x4f7ffffe, v2
	v_cvt_u32_f32_e32 v2, v2
	v_mul_lo_u32 v3, s2, v2
	v_mul_hi_u32 v3, v2, v3
	v_add_u32_e32 v2, v2, v3
	v_readlane_b32 s2, v46, 35
	v_mul_hi_u32 v2, s2, v2
	v_mul_lo_u32 v2, v2, s87
	v_sub_u32_e32 v2, s2, v2
	v_subrev_u32_e32 v3, s87, v2
	v_cmp_le_u32_e32 vcc, s87, v2
	v_cndmask_b32_e32 v2, v2, v3, vcc
	v_subrev_u32_e32 v3, s87, v2
	v_cmp_le_u32_e32 vcc, s87, v2
	v_cndmask_b32_e32 v14, v2, v3, vcc
	v_pk_mov_b32 v[2:3], v[14:15], v[14:15] op_sel:[0,1]
.LBB171_199:                            ;   in Loop: Header=BB171_12 Depth=1
	v_readlane_b32 s2, v46, 37
	v_readlane_b32 s3, v46, 38
	;; [unrolled: 1-line block ×3, first 2 shown]
	v_mov_b32_e32 v6, s3
	v_sub_co_u32_e32 v2, vcc, s2, v2
	v_subb_co_u32_e32 v3, vcc, v6, v3, vcc
	v_cmp_gt_u64_e32 vcc, v[2:3], v[0:1]
	s_mov_b64 s[4:5], 0
                                        ; implicit-def: $vgpr20
	s_and_saveexec_b64 s[2:3], vcc
	s_cbranch_execz .LBB171_208
; %bb.200:                              ;   in Loop: Header=BB171_12 Depth=1
	v_pk_mov_b32 v[6:7], v[0:1], v[0:1] op_sel:[0,1]
                                        ; implicit-def: $sgpr10_sgpr11
	s_branch .LBB171_202
.LBB171_201:                            ;   in Loop: Header=BB171_202 Depth=2
	s_or_b64 exec, exec, s[6:7]
	s_waitcnt lgkmcnt(0)
	s_barrier
	s_waitcnt vmcnt(0)
	ds_read_b32 v14, v15 offset:3072
	v_mov_b32_e32 v20, s88
	v_add_co_u32_e64 v6, s[6:7], s87, v6
	v_addc_co_u32_e64 v7, s[6:7], v7, v20, s[6:7]
	s_waitcnt lgkmcnt(0)
	v_cmp_ne_u16_e32 vcc, 0, v14
	v_cmp_ge_u64_e64 s[6:7], v[6:7], v[2:3]
	s_or_b64 s[6:7], s[6:7], vcc
	s_and_b64 s[6:7], exec, s[6:7]
	s_or_b64 s[4:5], s[6:7], s[4:5]
	s_andn2_b64 s[6:7], s[10:11], exec
	s_and_b64 s[10:11], vcc, exec
	s_or_b64 s[10:11], s[6:7], s[10:11]
	s_barrier
	s_andn2_b64 exec, exec, s[4:5]
	s_cbranch_execz .LBB171_207
.LBB171_202:                            ;   Parent Loop BB171_12 Depth=1
                                        ; =>  This Inner Loop Header: Depth=2
	v_cmp_gt_u64_e32 vcc, s[60:61], v[6:7]
	v_mov_b32_e32 v14, 0
	s_and_saveexec_b64 s[12:13], vcc
	s_cbranch_execz .LBB171_204
; %bb.203:                              ;   in Loop: Header=BB171_202 Depth=2
	v_mul_lo_u32 v14, v7, s58
	v_mul_lo_u32 v22, v6, s59
	v_mad_u64_u32 v[20:21], s[6:7], v6, s58, 0
	v_add3_u32 v21, v21, v22, v14
	v_lshlrev_b64 v[20:21], 1, v[20:21]
	v_mov_b32_e32 v14, s86
	v_add_co_u32_e64 v20, s[6:7], s33, v20
	v_addc_co_u32_e64 v21, s[6:7], v14, v21, s[6:7]
	global_load_ushort v14, v[20:21], off
.LBB171_204:                            ;   in Loop: Header=BB171_202 Depth=2
	s_or_b64 exec, exec, s[12:13]
	s_and_saveexec_b64 s[6:7], vcc
	s_cbranch_execz .LBB171_201
; %bb.205:                              ;   in Loop: Header=BB171_202 Depth=2
	s_waitcnt vmcnt(0)
	v_add_u32_sdwa v20, sext(v14), s89 dst_sel:DWORD dst_unused:UNUSED_PAD src0_sel:WORD_0 src1_sel:DWORD
	v_and_b32_e32 v20, v20, v9
	v_cmp_eq_u32_e32 vcc, v20, v8
	s_and_b64 exec, exec, vcc
	s_cbranch_execz .LBB171_201
; %bb.206:                              ;   in Loop: Header=BB171_202 Depth=2
	v_perm_b32 v14, v14, 1, v33
	ds_write_b32 v15, v14 offset:3072
	s_branch .LBB171_201
.LBB171_207:                            ;   in Loop: Header=BB171_12 Depth=1
	s_or_b64 exec, exec, s[4:5]
	v_lshrrev_b32_e32 v20, 16, v14
	s_and_b64 s[4:5], s[10:11], exec
.LBB171_208:                            ;   in Loop: Header=BB171_12 Depth=1
	s_or_b64 exec, exec, s[2:3]
	s_mov_b64 s[52:53], -1
	s_mov_b64 s[2:3], 0
	s_mov_b64 s[6:7], 0
.LBB171_209:                            ;   in Loop: Header=BB171_12 Depth=1
	s_orn2_b64 s[4:5], s[4:5], exec
	s_mov_b64 vcc, s[6:7]
.LBB171_210:                            ;   in Loop: Header=BB171_12 Depth=1
	s_or_b64 exec, exec, s[54:55]
	s_mov_b64 s[6:7], 0
                                        ; implicit-def: $vgpr6
	s_and_saveexec_b64 s[54:55], s[4:5]
	s_cbranch_execz .LBB171_275
; %bb.211:                              ;   in Loop: Header=BB171_12 Depth=1
	v_mov_b32_e32 v2, 1
	s_xor_b64 s[6:7], s[8:9], -1
	s_mov_b64 s[56:57], 0
	v_mov_b32_e32 v3, 0
	v_mov_b32_e32 v6, 1
	s_and_saveexec_b64 s[4:5], s[6:7]
	s_cbranch_execz .LBB171_221
; %bb.212:                              ;   in Loop: Header=BB171_12 Depth=1
	s_mov_b64 s[90:91], vcc
	v_cmp_ge_u64_e32 vcc, s[22:23], v[4:5]
                                        ; implicit-def: $sgpr10
                                        ; implicit-def: $sgpr6_sgpr7
	s_and_saveexec_b64 s[8:9], vcc
	s_xor_b64 s[8:9], exec, s[8:9]
	s_cbranch_execz .LBB171_218
; %bb.213:                              ;   in Loop: Header=BB171_12 Depth=1
	ds_read_b64 v[2:3], v15 offset:5120
	s_waitcnt lgkmcnt(0)
	v_cmp_ne_u64_e32 vcc, 0, v[2:3]
	s_cbranch_vccnz .LBB171_217
; %bb.214:                              ;   in Loop: Header=BB171_12 Depth=1
	s_mov_b64 s[6:7], exec
	v_readlane_b32 s10, v46, 12
	v_readlane_b32 s11, v46, 13
	s_and_b64 s[10:11], s[6:7], s[10:11]
	s_mov_b64 exec, s[10:11]
	s_cbranch_execz .LBB171_216
; %bb.215:                              ;   in Loop: Header=BB171_12 Depth=1
	v_pk_mov_b32 v[2:3], s[22:23], s[22:23] op_sel:[0,1]
	ds_write_b64 v15, v[2:3] offset:5128
.LBB171_216:                            ;   in Loop: Header=BB171_12 Depth=1
	s_or_b64 exec, exec, s[6:7]
	s_waitcnt lgkmcnt(0)
	s_barrier
.LBB171_217:                            ;   in Loop: Header=BB171_12 Depth=1
	v_and_b32_e32 v2, s48, v8
	v_lshl_or_b32 v8, 2, s49, v2
	v_or_b32_e32 v9, s84, v9
	s_mov_b64 s[6:7], 0
	s_mov_b32 s10, 8
.LBB171_218:                            ;   in Loop: Header=BB171_12 Depth=1
	s_or_saveexec_b64 s[8:9], s[8:9]
	v_mov_b32_e32 v6, s10
	s_xor_b64 exec, exec, s[8:9]
; %bb.219:                              ;   in Loop: Header=BB171_12 Depth=1
	v_mov_b32_e32 v2, s23
	v_subrev_co_u32_e32 v4, vcc, s22, v4
	v_subb_co_u32_e32 v5, vcc, v5, v2, vcc
	v_mov_b32_e32 v6, 0
	s_or_b64 s[6:7], s[6:7], exec
; %bb.220:                              ;   in Loop: Header=BB171_12 Depth=1
	s_or_b64 exec, exec, s[8:9]
	s_and_b64 s[56:57], s[6:7], exec
	v_pk_mov_b32 v[2:3], v[4:5], v[4:5] op_sel:[0,1]
	s_mov_b64 vcc, s[90:91]
.LBB171_221:                            ;   in Loop: Header=BB171_12 Depth=1
	s_or_b64 exec, exec, s[4:5]
	s_mov_b64 s[12:13], -1
                                        ; implicit-def: $sgpr4_sgpr5
                                        ; implicit-def: $sgpr10_sgpr11
                                        ; implicit-def: $sgpr6_sgpr7
	s_and_saveexec_b64 s[8:9], s[56:57]
	s_cbranch_execz .LBB171_274
; %bb.222:                              ;   in Loop: Header=BB171_12 Depth=1
	v_writelane_b32 v46, vcc_lo, 53
	s_cmp_eq_u64 s[24:25], 1
	v_writelane_b32 v46, vcc_hi, 54
	s_cselect_b64 s[4:5], -1, 0
	v_cmp_eq_u64_e32 vcc, 1, v[2:3]
	s_mov_b64 s[56:57], -1
	s_and_b64 s[12:13], s[4:5], vcc
                                        ; implicit-def: $sgpr4_sgpr5
                                        ; implicit-def: $sgpr10_sgpr11
                                        ; implicit-def: $sgpr6_sgpr7
	s_mov_b64 s[90:91], exec
	v_writelane_b32 v46, s12, 55
	v_writelane_b32 v46, s13, 56
	s_and_b64 s[12:13], s[90:91], s[12:13]
	s_mov_b64 exec, s[12:13]
	s_cbranch_execz .LBB171_261
; %bb.223:                              ;   in Loop: Header=BB171_12 Depth=1
	ds_read_b64 v[4:5], v15 offset:5120
	s_waitcnt lgkmcnt(0)
	s_barrier
	v_readfirstlane_b32 s4, v4
	v_readfirstlane_b32 s5, v5
	s_mov_b64 s[6:7], exec
	v_readlane_b32 s10, v46, 30
	v_readlane_b32 s11, v46, 31
	s_and_b64 s[10:11], s[6:7], s[10:11]
	s_mov_b64 exec, s[10:11]
	s_cbranch_execz .LBB171_225
; %bb.224:                              ;   in Loop: Header=BB171_12 Depth=1
	ds_write_b16 v29, v15
.LBB171_225:                            ;   in Loop: Header=BB171_12 Depth=1
	s_or_b64 exec, exec, s[6:7]
	v_or_b32_e32 v8, s84, v8
	v_or_b32_e32 v9, s84, v9
	s_cmp_eq_u64 s[4:5], 0
	v_writelane_b32 v46, s90, 57
	s_waitcnt lgkmcnt(0)
	s_barrier
	v_writelane_b32 v46, s91, 58
	s_cbranch_scc1 .LBB171_230
; %bb.226:                              ;   in Loop: Header=BB171_12 Depth=1
	v_readlane_b32 s6, v46, 34
	s_add_u32 s12, s6, s4
	v_readlane_b32 s6, v46, 36
	s_addc_u32 s7, s6, s5
	s_mov_b32 s6, s85
	s_cmp_lg_u64 s[6:7], 0
	s_cbranch_scc0 .LBB171_231
; %bb.227:                              ;   in Loop: Header=BB171_12 Depth=1
	v_cvt_f32_u32_e32 v4, s87
	s_sub_u32 s6, 0, s87
	s_subb_u32 s10, 0, 0
	v_mac_f32_e32 v4, 0, v32
	v_rcp_f32_e32 v4, v4
	v_mul_f32_e32 v4, 0x5f7ffffc, v4
	v_mul_f32_e32 v5, 0x2f800000, v4
	v_trunc_f32_e32 v5, v5
	v_mac_f32_e32 v4, 0xcf800000, v5
	v_cvt_u32_f32_e32 v5, v5
	v_cvt_u32_f32_e32 v4, v4
	v_readfirstlane_b32 s11, v5
	v_readfirstlane_b32 s13, v4
	s_mul_i32 s56, s6, s11
	s_mul_hi_u32 s90, s6, s13
	s_mul_i32 s57, s10, s13
	s_add_i32 s56, s90, s56
	s_mul_i32 s91, s6, s13
	s_add_i32 s56, s56, s57
	s_mul_hi_u32 s90, s13, s91
	s_mul_hi_u32 s57, s13, s56
	s_mul_i32 s13, s13, s56
	s_add_u32 s13, s90, s13
	s_addc_u32 s57, 0, s57
	s_mul_hi_u32 s93, s11, s91
	s_mul_i32 s91, s11, s91
	s_add_u32 s13, s13, s91
	s_mul_hi_u32 s90, s11, s56
	s_addc_u32 s13, s57, s93
	s_addc_u32 s57, s90, 0
	s_mul_i32 s56, s11, s56
	s_add_u32 s13, s13, s56
	s_addc_u32 s56, 0, s57
	v_add_co_u32_e32 v4, vcc, s13, v4
	s_cmp_lg_u64 vcc, 0
	s_addc_u32 s11, s11, s56
	v_readfirstlane_b32 s56, v4
	s_mul_i32 s13, s6, s11
	s_mul_hi_u32 s57, s6, s56
	s_add_i32 s13, s57, s13
	s_mul_i32 s10, s10, s56
	s_add_i32 s13, s13, s10
	s_mul_i32 s6, s6, s56
	s_mul_hi_u32 s57, s11, s6
	s_mul_i32 s90, s11, s6
	s_mul_i32 s93, s56, s13
	s_mul_hi_u32 s6, s56, s6
	s_mul_hi_u32 s91, s56, s13
	s_add_u32 s6, s6, s93
	s_addc_u32 s56, 0, s91
	s_add_u32 s6, s6, s90
	s_mul_hi_u32 s10, s11, s13
	s_addc_u32 s6, s56, s57
	s_addc_u32 s10, s10, 0
	s_mul_i32 s13, s11, s13
	s_add_u32 s6, s6, s13
	s_addc_u32 s10, 0, s10
	v_add_co_u32_e32 v4, vcc, s6, v4
	s_cmp_lg_u64 vcc, 0
	s_addc_u32 s6, s11, s10
	v_readfirstlane_b32 s13, v4
	s_mul_i32 s11, s12, s6
	s_mul_hi_u32 s56, s12, s13
	s_mul_hi_u32 s10, s12, s6
	s_add_u32 s11, s56, s11
	s_addc_u32 s10, 0, s10
	s_mul_hi_u32 s57, s7, s13
	s_mul_i32 s13, s7, s13
	s_add_u32 s11, s11, s13
	s_mul_hi_u32 s56, s7, s6
	s_addc_u32 s10, s10, s57
	s_addc_u32 s11, s56, 0
	s_mul_i32 s6, s7, s6
	s_add_u32 s6, s10, s6
	s_addc_u32 s10, 0, s11
	s_mul_hi_u32 s11, s87, s6
	s_mul_i32 s6, s87, s6
	s_mul_i32 s10, s87, s10
	v_mov_b32_e32 v4, s6
	s_add_i32 s11, s11, s10
	v_sub_co_u32_e32 v4, vcc, s12, v4
	s_cmp_lg_u64 vcc, 0
	s_subb_u32 s6, s7, s11
	v_subrev_co_u32_e32 v5, vcc, s87, v4
	s_cmp_lg_u64 vcc, 0
	s_subb_u32 s10, s6, 0
	v_subrev_co_u32_e32 v6, vcc, s87, v5
	s_cmp_lg_u64 vcc, 0
	s_subb_u32 s11, s10, 0
	v_cmp_le_u32_e32 vcc, s87, v5
	s_cmp_eq_u32 s10, 0
	v_cndmask_b32_e64 v7, 0, -1, vcc
	s_cselect_b64 vcc, -1, 0
	v_cndmask_b32_e32 v7, -1, v7, vcc
	v_mov_b32_e32 v14, s10
	v_mov_b32_e32 v20, s11
	v_cmp_ne_u32_e32 vcc, 0, v7
	v_cndmask_b32_e32 v7, v14, v20, vcc
	v_cndmask_b32_e32 v6, v5, v6, vcc
	v_cmp_le_u32_e32 vcc, s87, v4
	s_cmp_eq_u32 s6, 0
	v_cndmask_b32_e64 v5, 0, -1, vcc
	s_cselect_b64 vcc, -1, 0
	v_cndmask_b32_e32 v5, -1, v5, vcc
	v_mov_b32_e32 v14, s6
	v_cmp_ne_u32_e32 vcc, 0, v5
	v_cndmask_b32_e32 v5, v14, v7, vcc
	v_cndmask_b32_e32 v4, v4, v6, vcc
	s_mov_b64 s[10:11], 0
	s_branch .LBB171_232
.LBB171_228:                            ;   in Loop: Header=BB171_12 Depth=1
                                        ; implicit-def: $vgpr2_vgpr3
	s_branch .LBB171_182
.LBB171_229:                            ;   in Loop: Header=BB171_12 Depth=1
                                        ; implicit-def: $vgpr2_vgpr3
	s_branch .LBB171_198
.LBB171_230:                            ;   in Loop: Header=BB171_12 Depth=1
	s_mov_b64 s[4:5], -1
	s_mov_b64 s[12:13], 0
                                        ; implicit-def: $sgpr6_sgpr7
                                        ; implicit-def: $vgpr20
	s_branch .LBB171_244
.LBB171_231:                            ;   in Loop: Header=BB171_12 Depth=1
	s_mov_b64 s[10:11], -1
                                        ; implicit-def: $vgpr4_vgpr5
.LBB171_232:                            ;   in Loop: Header=BB171_12 Depth=1
	s_andn2_b64 vcc, exec, s[10:11]
	s_cbranch_vccnz .LBB171_234
; %bb.233:                              ;   in Loop: Header=BB171_12 Depth=1
	v_cvt_f32_u32_e32 v4, s87
	s_sub_i32 s6, 0, s87
	v_rcp_iflag_f32_e32 v4, v4
	v_mul_f32_e32 v4, 0x4f7ffffe, v4
	v_cvt_u32_f32_e32 v4, v4
	v_mul_lo_u32 v5, s6, v4
	v_mul_hi_u32 v5, v4, v5
	v_add_u32_e32 v4, v4, v5
	v_mul_hi_u32 v4, s12, v4
	v_mul_lo_u32 v4, v4, s87
	v_sub_u32_e32 v4, s12, v4
	v_subrev_u32_e32 v5, s87, v4
	v_cmp_le_u32_e32 vcc, s87, v4
	v_cndmask_b32_e32 v4, v4, v5, vcc
	v_subrev_u32_e32 v5, s87, v4
	v_cmp_le_u32_e32 vcc, s87, v4
	v_cndmask_b32_e32 v14, v4, v5, vcc
	v_pk_mov_b32 v[4:5], v[14:15], v[14:15] op_sel:[0,1]
.LBB171_234:                            ;   in Loop: Header=BB171_12 Depth=1
	v_mov_b32_e32 v6, s7
	v_sub_co_u32_e32 v4, vcc, s12, v4
	v_subb_co_u32_e32 v5, vcc, v6, v5, vcc
	v_cmp_gt_u64_e32 vcc, v[4:5], v[0:1]
	s_mov_b64 s[12:13], 0
                                        ; implicit-def: $vgpr20
	s_and_saveexec_b64 s[10:11], vcc
	s_cbranch_execz .LBB171_243
; %bb.235:                              ;   in Loop: Header=BB171_12 Depth=1
	v_mov_b32_e32 v14, v28
	v_pk_mov_b32 v[6:7], v[0:1], v[0:1] op_sel:[0,1]
                                        ; implicit-def: $sgpr56_sgpr57
	s_branch .LBB171_237
.LBB171_236:                            ;   in Loop: Header=BB171_237 Depth=2
	s_or_b64 exec, exec, s[6:7]
	s_waitcnt lgkmcnt(0)
	s_barrier
	ds_read_b32 v20, v15 offset:3072
	v_mov_b32_e32 v21, s88
	v_add_co_u32_e64 v6, s[6:7], s87, v6
	v_addc_co_u32_e64 v7, s[6:7], v7, v21, s[6:7]
	s_waitcnt lgkmcnt(0)
	v_cmp_ne_u16_e32 vcc, 0, v20
	v_cmp_ge_u64_e64 s[6:7], v[6:7], v[4:5]
	s_or_b64 s[6:7], s[6:7], vcc
	s_and_b64 s[6:7], exec, s[6:7]
	s_or_b64 s[12:13], s[6:7], s[12:13]
	s_andn2_b64 s[6:7], s[56:57], exec
	s_and_b64 s[56:57], vcc, exec
	v_add_u32_e32 v14, s95, v14
	s_or_b64 s[56:57], s[6:7], s[56:57]
	s_barrier
	s_andn2_b64 exec, exec, s[12:13]
	s_cbranch_execz .LBB171_242
.LBB171_237:                            ;   Parent Loop BB171_12 Depth=1
                                        ; =>  This Inner Loop Header: Depth=2
	v_cmp_gt_u64_e32 vcc, s[4:5], v[6:7]
	v_mov_b32_e32 v20, 0
	s_and_saveexec_b64 s[6:7], vcc
	s_cbranch_execz .LBB171_239
; %bb.238:                              ;   in Loop: Header=BB171_237 Depth=2
	ds_read_u16 v20, v14
.LBB171_239:                            ;   in Loop: Header=BB171_237 Depth=2
	s_or_b64 exec, exec, s[6:7]
	s_and_saveexec_b64 s[6:7], vcc
	s_cbranch_execz .LBB171_236
; %bb.240:                              ;   in Loop: Header=BB171_237 Depth=2
	s_waitcnt lgkmcnt(0)
	v_add_u32_sdwa v21, sext(v20), s89 dst_sel:DWORD dst_unused:UNUSED_PAD src0_sel:WORD_0 src1_sel:DWORD
	v_and_b32_e32 v21, v21, v9
	v_cmp_eq_u32_e32 vcc, v21, v8
	s_and_b64 exec, exec, vcc
	s_cbranch_execz .LBB171_236
; %bb.241:                              ;   in Loop: Header=BB171_237 Depth=2
	v_perm_b32 v20, v20, 1, v33
	ds_write_b32 v15, v20 offset:3072
	s_branch .LBB171_236
.LBB171_242:                            ;   in Loop: Header=BB171_12 Depth=1
	s_or_b64 exec, exec, s[12:13]
	v_lshrrev_b32_e32 v20, 16, v20
	s_and_b64 s[12:13], s[56:57], exec
.LBB171_243:                            ;   in Loop: Header=BB171_12 Depth=1
	s_or_b64 exec, exec, s[10:11]
	s_mov_b64 s[6:7], -1
	s_mov_b64 s[4:5], 0
.LBB171_244:                            ;   in Loop: Header=BB171_12 Depth=1
	s_and_b64 vcc, exec, s[4:5]
	s_mov_b64 s[10:11], s[4:5]
	s_cbranch_vccz .LBB171_260
; %bb.245:                              ;   in Loop: Header=BB171_12 Depth=1
	v_readlane_b32 s56, v46, 37
	v_readlane_b32 s57, v46, 38
	s_mov_b32 s56, s85
	s_cmp_lg_u64 s[56:57], 0
	v_writelane_b32 v46, s56, 37
	v_writelane_b32 v46, s57, 38
	s_cbranch_scc0 .LBB171_247
; %bb.246:                              ;   in Loop: Header=BB171_12 Depth=1
	v_cvt_f32_u32_e32 v4, s87
	s_sub_u32 s4, 0, s87
	s_subb_u32 s5, 0, 0
	v_mac_f32_e32 v4, 0, v32
	v_rcp_f32_e32 v4, v4
	v_mul_f32_e32 v4, 0x5f7ffffc, v4
	v_mul_f32_e32 v5, 0x2f800000, v4
	v_trunc_f32_e32 v5, v5
	v_mac_f32_e32 v4, 0xcf800000, v5
	v_cvt_u32_f32_e32 v5, v5
	v_cvt_u32_f32_e32 v4, v4
	v_readfirstlane_b32 s6, v5
	v_readfirstlane_b32 s7, v4
	s_mul_i32 s10, s4, s6
	s_mul_hi_u32 s12, s4, s7
	s_mul_i32 s11, s5, s7
	s_add_i32 s10, s12, s10
	s_mul_i32 s13, s4, s7
	s_add_i32 s10, s10, s11
	s_mul_hi_u32 s12, s7, s13
	s_mul_hi_u32 s11, s7, s10
	s_mul_i32 s7, s7, s10
	s_add_u32 s7, s12, s7
	s_addc_u32 s11, 0, s11
	s_mul_hi_u32 s56, s6, s13
	s_mul_i32 s13, s6, s13
	s_add_u32 s7, s7, s13
	s_mul_hi_u32 s12, s6, s10
	s_addc_u32 s7, s11, s56
	s_addc_u32 s11, s12, 0
	s_mul_i32 s10, s6, s10
	s_add_u32 s7, s7, s10
	s_addc_u32 s10, 0, s11
	v_add_co_u32_e32 v4, vcc, s7, v4
	s_cmp_lg_u64 vcc, 0
	s_addc_u32 s6, s6, s10
	v_readfirstlane_b32 s10, v4
	s_mul_i32 s7, s4, s6
	s_mul_hi_u32 s11, s4, s10
	s_add_i32 s7, s11, s7
	s_mul_i32 s5, s5, s10
	s_add_i32 s7, s7, s5
	s_mul_i32 s4, s4, s10
	s_mul_hi_u32 s11, s6, s4
	s_mul_i32 s12, s6, s4
	s_mul_i32 s56, s10, s7
	s_mul_hi_u32 s4, s10, s4
	s_mul_hi_u32 s13, s10, s7
	s_add_u32 s4, s4, s56
	s_addc_u32 s10, 0, s13
	s_add_u32 s4, s4, s12
	s_mul_hi_u32 s5, s6, s7
	s_addc_u32 s4, s10, s11
	s_addc_u32 s5, s5, 0
	s_mul_i32 s7, s6, s7
	s_add_u32 s4, s4, s7
	s_addc_u32 s5, 0, s5
	v_add_co_u32_e32 v4, vcc, s4, v4
	s_cmp_lg_u64 vcc, 0
	s_addc_u32 s4, s6, s5
	v_readlane_b32 s12, v46, 35
	v_readfirstlane_b32 s7, v4
	s_mul_i32 s6, s12, s4
	s_mul_hi_u32 s10, s12, s7
	s_mul_hi_u32 s5, s12, s4
	s_add_u32 s6, s10, s6
	s_addc_u32 s5, 0, s5
	s_mul_hi_u32 s11, s57, s7
	s_mul_i32 s7, s57, s7
	s_add_u32 s6, s6, s7
	s_mul_hi_u32 s10, s57, s4
	s_addc_u32 s5, s5, s11
	s_addc_u32 s6, s10, 0
	s_mul_i32 s4, s57, s4
	s_add_u32 s4, s5, s4
	s_addc_u32 s5, 0, s6
	s_mul_hi_u32 s6, s87, s4
	s_mul_i32 s4, s87, s4
	s_mul_i32 s5, s87, s5
	v_mov_b32_e32 v4, s4
	s_add_i32 s6, s6, s5
	v_sub_co_u32_e32 v4, vcc, s12, v4
	s_cmp_lg_u64 vcc, 0
	s_subb_u32 s4, s57, s6
	v_subrev_co_u32_e32 v5, vcc, s87, v4
	s_cmp_lg_u64 vcc, 0
	s_subb_u32 s5, s4, 0
	v_subrev_co_u32_e32 v6, vcc, s87, v5
	s_cmp_lg_u64 vcc, 0
	s_subb_u32 s6, s5, 0
	v_cmp_le_u32_e32 vcc, s87, v5
	s_cmp_eq_u32 s5, 0
	v_cndmask_b32_e64 v7, 0, -1, vcc
	s_cselect_b64 vcc, -1, 0
	v_cndmask_b32_e32 v7, -1, v7, vcc
	v_mov_b32_e32 v14, s5
	v_mov_b32_e32 v20, s6
	v_cmp_ne_u32_e32 vcc, 0, v7
	v_cndmask_b32_e32 v7, v14, v20, vcc
	v_cndmask_b32_e32 v6, v5, v6, vcc
	v_cmp_le_u32_e32 vcc, s87, v4
	s_cmp_eq_u32 s4, 0
	v_cndmask_b32_e64 v5, 0, -1, vcc
	s_cselect_b64 vcc, -1, 0
	v_cndmask_b32_e32 v5, -1, v5, vcc
	v_mov_b32_e32 v14, s4
	v_cmp_ne_u32_e32 vcc, 0, v5
	v_cndmask_b32_e32 v5, v14, v7, vcc
	v_cndmask_b32_e32 v4, v4, v6, vcc
	s_mov_b64 s[4:5], 0
	s_branch .LBB171_248
.LBB171_247:                            ;   in Loop: Header=BB171_12 Depth=1
	s_mov_b64 s[4:5], -1
                                        ; implicit-def: $vgpr4_vgpr5
.LBB171_248:                            ;   in Loop: Header=BB171_12 Depth=1
	s_andn2_b64 vcc, exec, s[4:5]
	s_cbranch_vccnz .LBB171_250
; %bb.249:                              ;   in Loop: Header=BB171_12 Depth=1
	v_cvt_f32_u32_e32 v4, s87
	s_sub_i32 s4, 0, s87
	v_rcp_iflag_f32_e32 v4, v4
	v_mul_f32_e32 v4, 0x4f7ffffe, v4
	v_cvt_u32_f32_e32 v4, v4
	v_mul_lo_u32 v5, s4, v4
	v_mul_hi_u32 v5, v4, v5
	v_add_u32_e32 v4, v4, v5
	v_readlane_b32 s4, v46, 35
	v_mul_hi_u32 v4, s4, v4
	v_mul_lo_u32 v4, v4, s87
	v_sub_u32_e32 v4, s4, v4
	v_subrev_u32_e32 v5, s87, v4
	v_cmp_le_u32_e32 vcc, s87, v4
	v_cndmask_b32_e32 v4, v4, v5, vcc
	v_subrev_u32_e32 v5, s87, v4
	v_cmp_le_u32_e32 vcc, s87, v4
	v_cndmask_b32_e32 v14, v4, v5, vcc
	v_pk_mov_b32 v[4:5], v[14:15], v[14:15] op_sel:[0,1]
.LBB171_250:                            ;   in Loop: Header=BB171_12 Depth=1
	v_readlane_b32 s4, v46, 37
	v_readlane_b32 s5, v46, 38
	;; [unrolled: 1-line block ×3, first 2 shown]
	v_mov_b32_e32 v6, s5
	v_sub_co_u32_e32 v4, vcc, s4, v4
	v_subb_co_u32_e32 v5, vcc, v6, v5, vcc
	v_cmp_gt_u64_e32 vcc, v[4:5], v[0:1]
	s_mov_b64 s[12:13], 0
                                        ; implicit-def: $vgpr20
	s_and_saveexec_b64 s[4:5], vcc
	s_cbranch_execz .LBB171_259
; %bb.251:                              ;   in Loop: Header=BB171_12 Depth=1
	s_mov_b64 s[10:11], 0
	v_pk_mov_b32 v[6:7], v[0:1], v[0:1] op_sel:[0,1]
                                        ; implicit-def: $sgpr12_sgpr13
	s_branch .LBB171_253
.LBB171_252:                            ;   in Loop: Header=BB171_253 Depth=2
	s_or_b64 exec, exec, s[6:7]
	s_waitcnt lgkmcnt(0)
	s_barrier
	s_waitcnt vmcnt(0)
	ds_read_b32 v14, v15 offset:3072
	v_mov_b32_e32 v20, s88
	v_add_co_u32_e64 v6, s[6:7], s87, v6
	v_addc_co_u32_e64 v7, s[6:7], v7, v20, s[6:7]
	s_waitcnt lgkmcnt(0)
	v_cmp_ne_u16_e32 vcc, 0, v14
	v_cmp_ge_u64_e64 s[6:7], v[6:7], v[4:5]
	s_or_b64 s[6:7], s[6:7], vcc
	s_and_b64 s[6:7], exec, s[6:7]
	s_or_b64 s[10:11], s[6:7], s[10:11]
	s_andn2_b64 s[6:7], s[12:13], exec
	s_and_b64 s[12:13], vcc, exec
	s_or_b64 s[12:13], s[6:7], s[12:13]
	s_barrier
	s_andn2_b64 exec, exec, s[10:11]
	s_cbranch_execz .LBB171_258
.LBB171_253:                            ;   Parent Loop BB171_12 Depth=1
                                        ; =>  This Inner Loop Header: Depth=2
	v_cmp_gt_u64_e32 vcc, s[60:61], v[6:7]
	v_mov_b32_e32 v14, 0
	s_and_saveexec_b64 s[56:57], vcc
	s_cbranch_execz .LBB171_255
; %bb.254:                              ;   in Loop: Header=BB171_253 Depth=2
	v_mul_lo_u32 v14, v7, s58
	v_mul_lo_u32 v22, v6, s59
	v_mad_u64_u32 v[20:21], s[6:7], v6, s58, 0
	v_add3_u32 v21, v21, v22, v14
	v_lshlrev_b64 v[20:21], 1, v[20:21]
	v_mov_b32_e32 v14, s86
	v_add_co_u32_e64 v20, s[6:7], s33, v20
	v_addc_co_u32_e64 v21, s[6:7], v14, v21, s[6:7]
	global_load_ushort v14, v[20:21], off
.LBB171_255:                            ;   in Loop: Header=BB171_253 Depth=2
	s_or_b64 exec, exec, s[56:57]
	s_and_saveexec_b64 s[6:7], vcc
	s_cbranch_execz .LBB171_252
; %bb.256:                              ;   in Loop: Header=BB171_253 Depth=2
	s_waitcnt vmcnt(0)
	v_add_u32_sdwa v20, sext(v14), s89 dst_sel:DWORD dst_unused:UNUSED_PAD src0_sel:WORD_0 src1_sel:DWORD
	v_and_b32_e32 v20, v20, v9
	v_cmp_eq_u32_e32 vcc, v20, v8
	s_and_b64 exec, exec, vcc
	s_cbranch_execz .LBB171_252
; %bb.257:                              ;   in Loop: Header=BB171_253 Depth=2
	v_perm_b32 v14, v14, 1, v33
	ds_write_b32 v15, v14 offset:3072
	s_branch .LBB171_252
.LBB171_258:                            ;   in Loop: Header=BB171_12 Depth=1
	s_or_b64 exec, exec, s[10:11]
	v_lshrrev_b32_e32 v20, 16, v14
	s_and_b64 s[12:13], s[12:13], exec
.LBB171_259:                            ;   in Loop: Header=BB171_12 Depth=1
	s_or_b64 exec, exec, s[4:5]
	s_mov_b64 s[10:11], -1
	s_mov_b64 s[4:5], 0
	s_mov_b64 s[6:7], 0
.LBB171_260:                            ;   in Loop: Header=BB171_12 Depth=1
	v_readlane_b32 s90, v46, 57
	s_orn2_b64 s[56:57], s[12:13], exec
	v_readlane_b32 s91, v46, 58
.LBB171_261:                            ;   in Loop: Header=BB171_12 Depth=1
	s_or_b64 exec, exec, s[90:91]
	s_mov_b64 s[90:91], 0
                                        ; implicit-def: $vgpr6
                                        ; implicit-def: $vgpr4_vgpr5
	s_and_saveexec_b64 s[12:13], s[56:57]
	v_readlane_b32 vcc_lo, v46, 53
	v_readlane_b32 vcc_hi, v46, 54
	s_cbranch_execz .LBB171_273
; %bb.262:                              ;   in Loop: Header=BB171_12 Depth=1
	v_readlane_b32 s56, v46, 55
	v_readlane_b32 s57, v46, 56
	v_mov_b32_e32 v4, 1
	s_xor_b64 s[90:91], s[56:57], -1
	v_mov_b32_e32 v6, 1
	v_mov_b32_e32 v5, 0
	s_and_saveexec_b64 s[56:57], s[90:91]
	s_cbranch_execz .LBB171_272
; %bb.263:                              ;   in Loop: Header=BB171_12 Depth=1
	v_cmp_ge_u64_e32 vcc, s[24:25], v[2:3]
                                        ; implicit-def: $sgpr93
	s_and_saveexec_b64 s[90:91], vcc
	s_xor_b64 s[90:91], exec, s[90:91]
	s_cbranch_execz .LBB171_269
; %bb.264:                              ;   in Loop: Header=BB171_12 Depth=1
	ds_read_b64 v[4:5], v15 offset:5120
	s_waitcnt lgkmcnt(0)
	v_cmp_ne_u64_e32 vcc, 0, v[4:5]
	s_cbranch_vccnz .LBB171_268
; %bb.265:                              ;   in Loop: Header=BB171_12 Depth=1
	v_writelane_b32 v46, s8, 59
	v_writelane_b32 v46, s9, 60
	s_mov_b64 s[8:9], exec
	v_writelane_b32 v46, s8, 61
	v_writelane_b32 v46, s9, 62
	v_readlane_b32 vcc_lo, v46, 12
	v_readlane_b32 s8, v46, 61
	v_readlane_b32 vcc_hi, v46, 13
	v_readlane_b32 s9, v46, 62
	s_and_b64 vcc, s[8:9], vcc
	s_mov_b64 exec, vcc
	s_cbranch_execz .LBB171_267
; %bb.266:                              ;   in Loop: Header=BB171_12 Depth=1
	v_pk_mov_b32 v[4:5], s[24:25], s[24:25] op_sel:[0,1]
	ds_write_b64 v15, v[4:5] offset:5128
.LBB171_267:                            ;   in Loop: Header=BB171_12 Depth=1
	v_readlane_b32 vcc_lo, v46, 61
	v_readlane_b32 vcc_hi, v46, 62
	s_or_b64 exec, exec, vcc
	v_readlane_b32 s8, v46, 59
	v_readlane_b32 s9, v46, 60
	s_waitcnt lgkmcnt(0)
	s_barrier
.LBB171_268:                            ;   in Loop: Header=BB171_12 Depth=1
	v_or_b32_e32 v8, s84, v8
	v_or_b32_e32 v9, s84, v9
	s_mov_b32 s93, 8
.LBB171_269:                            ;   in Loop: Header=BB171_12 Depth=1
	s_or_saveexec_b64 s[90:91], s[90:91]
	v_mov_b32_e32 v6, s93
	s_xor_b64 exec, exec, s[90:91]
; %bb.270:                              ;   in Loop: Header=BB171_12 Depth=1
	v_mov_b32_e32 v4, s25
	v_subrev_co_u32_e32 v2, vcc, s24, v2
	v_subb_co_u32_e32 v3, vcc, v3, v4, vcc
	v_mov_b32_e32 v6, 8
; %bb.271:                              ;   in Loop: Header=BB171_12 Depth=1
	s_or_b64 exec, exec, s[90:91]
	v_readlane_b32 vcc_lo, v46, 53
	v_pk_mov_b32 v[4:5], v[2:3], v[2:3] op_sel:[0,1]
	v_readlane_b32 vcc_hi, v46, 54
.LBB171_272:                            ;   in Loop: Header=BB171_12 Depth=1
	s_or_b64 exec, exec, s[56:57]
	s_mov_b64 s[90:91], exec
.LBB171_273:                            ;   in Loop: Header=BB171_12 Depth=1
	s_or_b64 exec, exec, s[12:13]
	s_orn2_b64 s[12:13], s[90:91], exec
	v_pk_mov_b32 v[2:3], v[4:5], v[4:5] op_sel:[0,1]
.LBB171_274:                            ;   in Loop: Header=BB171_12 Depth=1
	s_or_b64 exec, exec, s[8:9]
	s_andn2_b64 s[2:3], s[2:3], exec
	s_and_b64 s[4:5], s[4:5], exec
	s_or_b64 s[2:3], s[2:3], s[4:5]
	s_andn2_b64 s[4:5], s[52:53], exec
	s_and_b64 s[8:9], s[10:11], exec
	s_or_b64 s[52:53], s[4:5], s[8:9]
	s_andn2_b64 s[4:5], vcc, exec
	s_and_b64 s[6:7], s[6:7], exec
	s_or_b64 vcc, s[4:5], s[6:7]
	s_and_b64 s[6:7], s[12:13], exec
	v_pk_mov_b32 v[4:5], v[2:3], v[2:3] op_sel:[0,1]
.LBB171_275:                            ;   in Loop: Header=BB171_12 Depth=1
	s_or_b64 exec, exec, s[54:55]
	s_and_b64 s[10:11], s[2:3], exec
	s_and_b64 s[8:9], s[52:53], exec
	s_and_b64 s[4:5], vcc, exec
	s_orn2_b64 s[2:3], s[6:7], exec
.LBB171_276:                            ;   in Loop: Header=BB171_12 Depth=1
	s_or_b64 exec, exec, s[50:51]
	s_andn2_b64 s[6:7], s[28:29], exec
	s_and_b64 s[10:11], s[10:11], exec
	s_or_b64 s[28:29], s[6:7], s[10:11]
	s_andn2_b64 s[6:7], s[44:45], exec
	s_and_b64 s[8:9], s[8:9], exec
	s_or_b64 s[44:45], s[6:7], s[8:9]
	;; [unrolled: 3-line block ×3, first 2 shown]
	s_and_b64 s[6:7], s[2:3], exec
	v_pk_mov_b32 v[2:3], v[4:5], v[4:5] op_sel:[0,1]
.LBB171_277:                            ;   in Loop: Header=BB171_12 Depth=1
	s_or_b64 exec, exec, s[46:47]
	s_and_b64 s[8:9], s[28:29], exec
	s_and_b64 s[4:5], s[44:45], exec
	;; [unrolled: 1-line block ×3, first 2 shown]
	s_orn2_b64 s[12:13], s[6:7], exec
.LBB171_278:                            ;   in Loop: Header=BB171_12 Depth=1
	s_or_b64 exec, exec, s[26:27]
	s_mov_b64 s[6:7], 0
	s_mov_b64 s[10:11], 0
	s_and_saveexec_b64 s[26:27], s[12:13]
	s_xor_b64 s[12:13], exec, s[26:27]
; %bb.279:                              ;   in Loop: Header=BB171_12 Depth=1
	v_cmp_eq_u32_e32 vcc, 8, v6
	v_cmp_ne_u32_e64 s[6:7], 8, v6
	s_andn2_b64 s[8:9], s[8:9], exec
	s_andn2_b64 s[4:5], s[4:5], exec
	;; [unrolled: 1-line block ×3, first 2 shown]
	s_and_b64 s[10:11], s[6:7], exec
	s_and_b64 s[6:7], vcc, exec
; %bb.280:                              ;   in Loop: Header=BB171_12 Depth=1
	s_or_b64 exec, exec, s[12:13]
	s_andn2_b64 s[12:13], s[20:21], exec
	s_and_b64 s[8:9], s[8:9], exec
	s_or_b64 s[20:21], s[12:13], s[8:9]
	s_andn2_b64 s[8:9], s[36:37], exec
	s_and_b64 s[4:5], s[4:5], exec
	s_or_b64 s[36:37], s[8:9], s[4:5]
	;; [unrolled: 3-line block ×3, first 2 shown]
	s_and_b64 s[26:27], s[10:11], exec
	s_and_b64 s[28:29], s[6:7], exec
.LBB171_281:                            ;   in Loop: Header=BB171_12 Depth=1
	s_or_b64 exec, exec, s[40:41]
	s_and_b64 vcc, exec, s[38:39]
	s_cbranch_vccz .LBB171_97
.LBB171_282:                            ;   in Loop: Header=BB171_12 Depth=1
	s_cmp_eq_u64 s[24:25], 1
	s_cselect_b64 s[2:3], -1, 0
	s_and_b64 s[2:3], s[2:3], s[14:15]
	s_mov_b64 s[4:5], -1
                                        ; implicit-def: $sgpr14_sgpr15
                                        ; implicit-def: $sgpr38_sgpr39
                                        ; implicit-def: $sgpr20_sgpr21
	s_and_saveexec_b64 s[8:9], s[2:3]
	s_cbranch_execz .LBB171_314
; %bb.283:                              ;   in Loop: Header=BB171_12 Depth=1
	ds_read_b64 v[2:3], v15 offset:5120
	s_waitcnt lgkmcnt(0)
	s_barrier
	v_readfirstlane_b32 s4, v2
	v_readfirstlane_b32 s5, v3
	s_mov_b64 s[6:7], exec
	v_readlane_b32 s10, v46, 30
	v_readlane_b32 s11, v46, 31
	s_and_b64 s[10:11], s[6:7], s[10:11]
	s_mov_b64 exec, s[10:11]
	s_cbranch_execz .LBB171_285
; %bb.284:                              ;   in Loop: Header=BB171_12 Depth=1
	ds_write_b16 v29, v15
.LBB171_285:                            ;   in Loop: Header=BB171_12 Depth=1
	s_or_b64 exec, exec, s[6:7]
	v_or_b32_e32 v35, s84, v35
	v_or_b32_e32 v34, s84, v34
	s_cmp_eq_u64 s[4:5], 0
	s_waitcnt lgkmcnt(0)
	s_barrier
	s_cbranch_scc1 .LBB171_297
; %bb.286:                              ;   in Loop: Header=BB171_12 Depth=1
	v_readlane_b32 s6, v46, 34
	s_add_u32 s12, s6, s4
	v_readlane_b32 s6, v46, 36
	s_addc_u32 s7, s6, s5
	s_mov_b32 s6, s85
	s_cmp_lg_u64 s[6:7], 0
	s_cbranch_scc0 .LBB171_341
; %bb.287:                              ;   in Loop: Header=BB171_12 Depth=1
	v_cvt_f32_u32_e32 v2, s87
	s_sub_u32 s6, 0, s87
	s_subb_u32 s10, 0, 0
	v_mac_f32_e32 v2, 0, v32
	v_rcp_f32_e32 v2, v2
	v_mul_f32_e32 v2, 0x5f7ffffc, v2
	v_mul_f32_e32 v3, 0x2f800000, v2
	v_trunc_f32_e32 v3, v3
	v_mac_f32_e32 v2, 0xcf800000, v3
	v_cvt_u32_f32_e32 v3, v3
	v_cvt_u32_f32_e32 v2, v2
	v_readfirstlane_b32 s11, v3
	v_readfirstlane_b32 s13, v2
	s_mul_i32 s14, s6, s11
	s_mul_hi_u32 s20, s6, s13
	s_mul_i32 s15, s10, s13
	s_add_i32 s14, s20, s14
	s_mul_i32 s21, s6, s13
	s_add_i32 s14, s14, s15
	s_mul_hi_u32 s20, s13, s21
	s_mul_hi_u32 s15, s13, s14
	s_mul_i32 s13, s13, s14
	s_add_u32 s13, s20, s13
	s_addc_u32 s15, 0, s15
	s_mul_hi_u32 s34, s11, s21
	s_mul_i32 s21, s11, s21
	s_add_u32 s13, s13, s21
	s_mul_hi_u32 s20, s11, s14
	s_addc_u32 s13, s15, s34
	s_addc_u32 s15, s20, 0
	s_mul_i32 s14, s11, s14
	s_add_u32 s13, s13, s14
	s_addc_u32 s14, 0, s15
	v_add_co_u32_e32 v2, vcc, s13, v2
	s_cmp_lg_u64 vcc, 0
	s_addc_u32 s11, s11, s14
	v_readfirstlane_b32 s14, v2
	s_mul_i32 s13, s6, s11
	s_mul_hi_u32 s15, s6, s14
	s_add_i32 s13, s15, s13
	s_mul_i32 s10, s10, s14
	s_add_i32 s13, s13, s10
	s_mul_i32 s6, s6, s14
	s_mul_hi_u32 s15, s11, s6
	s_mul_i32 s20, s11, s6
	s_mul_i32 s34, s14, s13
	s_mul_hi_u32 s6, s14, s6
	s_mul_hi_u32 s21, s14, s13
	s_add_u32 s6, s6, s34
	s_addc_u32 s14, 0, s21
	s_add_u32 s6, s6, s20
	s_mul_hi_u32 s10, s11, s13
	s_addc_u32 s6, s14, s15
	s_addc_u32 s10, s10, 0
	s_mul_i32 s13, s11, s13
	s_add_u32 s6, s6, s13
	s_addc_u32 s10, 0, s10
	v_add_co_u32_e32 v2, vcc, s6, v2
	s_cmp_lg_u64 vcc, 0
	s_addc_u32 s6, s11, s10
	v_readfirstlane_b32 s13, v2
	s_mul_i32 s11, s12, s6
	s_mul_hi_u32 s14, s12, s13
	s_mul_hi_u32 s10, s12, s6
	s_add_u32 s11, s14, s11
	s_addc_u32 s10, 0, s10
	s_mul_hi_u32 s15, s7, s13
	s_mul_i32 s13, s7, s13
	s_add_u32 s11, s11, s13
	s_mul_hi_u32 s14, s7, s6
	s_addc_u32 s10, s10, s15
	s_addc_u32 s11, s14, 0
	s_mul_i32 s6, s7, s6
	s_add_u32 s6, s10, s6
	s_addc_u32 s10, 0, s11
	s_mul_hi_u32 s11, s87, s6
	s_mul_i32 s6, s87, s6
	s_mul_i32 s10, s87, s10
	v_mov_b32_e32 v2, s6
	s_add_i32 s11, s11, s10
	v_sub_co_u32_e32 v2, vcc, s12, v2
	s_cmp_lg_u64 vcc, 0
	s_subb_u32 s6, s7, s11
	v_subrev_co_u32_e32 v3, vcc, s87, v2
	s_cmp_lg_u64 vcc, 0
	s_subb_u32 s10, s6, 0
	v_subrev_co_u32_e32 v4, vcc, s87, v3
	s_cmp_lg_u64 vcc, 0
	s_subb_u32 s11, s10, 0
	v_cmp_le_u32_e32 vcc, s87, v3
	s_cmp_eq_u32 s10, 0
	v_cndmask_b32_e64 v5, 0, -1, vcc
	s_cselect_b64 vcc, -1, 0
	v_cndmask_b32_e32 v5, -1, v5, vcc
	v_mov_b32_e32 v6, s10
	v_mov_b32_e32 v7, s11
	v_cmp_ne_u32_e32 vcc, 0, v5
	v_cndmask_b32_e32 v5, v6, v7, vcc
	v_cndmask_b32_e32 v4, v3, v4, vcc
	v_cmp_le_u32_e32 vcc, s87, v2
	s_cmp_eq_u32 s6, 0
	v_cndmask_b32_e64 v3, 0, -1, vcc
	s_cselect_b64 vcc, -1, 0
	v_cndmask_b32_e32 v3, -1, v3, vcc
	v_mov_b32_e32 v6, s6
	v_cmp_ne_u32_e32 vcc, 0, v3
	v_cndmask_b32_e32 v3, v6, v5, vcc
	v_cndmask_b32_e32 v2, v2, v4, vcc
	s_cbranch_execnz .LBB171_289
.LBB171_288:                            ;   in Loop: Header=BB171_12 Depth=1
	v_cvt_f32_u32_e32 v2, s87
	s_sub_i32 s6, 0, s87
	v_rcp_iflag_f32_e32 v2, v2
	v_mul_f32_e32 v2, 0x4f7ffffe, v2
	v_cvt_u32_f32_e32 v2, v2
	v_mul_lo_u32 v3, s6, v2
	v_mul_hi_u32 v3, v2, v3
	v_add_u32_e32 v2, v2, v3
	v_mul_hi_u32 v2, s12, v2
	v_mul_lo_u32 v2, v2, s87
	v_sub_u32_e32 v2, s12, v2
	v_subrev_u32_e32 v3, s87, v2
	v_cmp_le_u32_e32 vcc, s87, v2
	v_cndmask_b32_e32 v2, v2, v3, vcc
	v_subrev_u32_e32 v3, s87, v2
	v_cmp_le_u32_e32 vcc, s87, v2
	v_cndmask_b32_e32 v14, v2, v3, vcc
	v_pk_mov_b32 v[2:3], v[14:15], v[14:15] op_sel:[0,1]
.LBB171_289:                            ;   in Loop: Header=BB171_12 Depth=1
	v_mov_b32_e32 v4, s7
	v_sub_co_u32_e32 v2, vcc, s12, v2
	v_subb_co_u32_e32 v3, vcc, v4, v3, vcc
	v_cmp_gt_u64_e32 vcc, v[2:3], v[0:1]
	s_mov_b64 s[6:7], 0
                                        ; implicit-def: $vgpr36
	s_and_saveexec_b64 s[10:11], vcc
	s_cbranch_execz .LBB171_299
; %bb.290:                              ;   in Loop: Header=BB171_12 Depth=1
	s_mov_b64 s[12:13], 0
	v_mov_b32_e32 v6, v28
	v_pk_mov_b32 v[4:5], v[0:1], v[0:1] op_sel:[0,1]
                                        ; implicit-def: $sgpr14_sgpr15
	s_branch .LBB171_292
.LBB171_291:                            ;   in Loop: Header=BB171_292 Depth=2
	s_or_b64 exec, exec, s[6:7]
	s_waitcnt lgkmcnt(0)
	s_barrier
	ds_read_b32 v7, v15 offset:3072
	v_mov_b32_e32 v8, s88
	v_add_co_u32_e64 v4, s[6:7], s87, v4
	v_addc_co_u32_e64 v5, s[6:7], v5, v8, s[6:7]
	s_waitcnt lgkmcnt(0)
	v_cmp_ne_u16_e32 vcc, 0, v7
	v_cmp_ge_u64_e64 s[6:7], v[4:5], v[2:3]
	s_or_b64 s[6:7], s[6:7], vcc
	s_and_b64 s[6:7], exec, s[6:7]
	s_or_b64 s[12:13], s[6:7], s[12:13]
	s_andn2_b64 s[6:7], s[14:15], exec
	s_and_b64 s[14:15], vcc, exec
	v_add_u32_e32 v6, s95, v6
	s_or_b64 s[14:15], s[6:7], s[14:15]
	s_barrier
	s_andn2_b64 exec, exec, s[12:13]
	s_cbranch_execz .LBB171_298
.LBB171_292:                            ;   Parent Loop BB171_12 Depth=1
                                        ; =>  This Inner Loop Header: Depth=2
	v_cmp_gt_u64_e32 vcc, s[4:5], v[4:5]
	v_mov_b32_e32 v7, 0
	s_and_saveexec_b64 s[6:7], vcc
	s_cbranch_execz .LBB171_294
; %bb.293:                              ;   in Loop: Header=BB171_292 Depth=2
	ds_read_u16 v7, v6
.LBB171_294:                            ;   in Loop: Header=BB171_292 Depth=2
	s_or_b64 exec, exec, s[6:7]
	s_and_saveexec_b64 s[6:7], vcc
	s_cbranch_execz .LBB171_291
; %bb.295:                              ;   in Loop: Header=BB171_292 Depth=2
	s_waitcnt lgkmcnt(0)
	v_add_u32_sdwa v8, sext(v7), s89 dst_sel:DWORD dst_unused:UNUSED_PAD src0_sel:WORD_0 src1_sel:DWORD
	v_and_b32_e32 v8, v8, v34
	v_cmp_eq_u32_e32 vcc, v8, v35
	s_and_b64 exec, exec, vcc
	s_cbranch_execz .LBB171_291
; %bb.296:                              ;   in Loop: Header=BB171_292 Depth=2
	v_perm_b32 v7, v7, 1, v33
	ds_write_b32 v15, v7 offset:3072
	s_branch .LBB171_291
.LBB171_297:                            ;   in Loop: Header=BB171_12 Depth=1
	s_mov_b64 s[14:15], -1
	s_mov_b64 s[6:7], 0
                                        ; implicit-def: $sgpr38_sgpr39
                                        ; implicit-def: $vgpr36
	s_mov_b64 s[20:21], s[14:15]
	s_cbranch_execnz .LBB171_300
	s_branch .LBB171_313
.LBB171_298:                            ;   in Loop: Header=BB171_12 Depth=1
	s_or_b64 exec, exec, s[12:13]
	v_lshrrev_b32_e32 v36, 16, v7
	s_and_b64 s[6:7], s[14:15], exec
.LBB171_299:                            ;   in Loop: Header=BB171_12 Depth=1
	s_or_b64 exec, exec, s[10:11]
	s_mov_b64 s[14:15], 0
	s_mov_b64 s[38:39], -1
	s_mov_b64 s[20:21], s[14:15]
	s_branch .LBB171_313
.LBB171_300:                            ;   in Loop: Header=BB171_12 Depth=1
	v_readlane_b32 s14, v46, 37
	v_readlane_b32 s15, v46, 38
	s_mov_b32 s14, s85
	s_cmp_lg_u64 s[14:15], 0
	v_writelane_b32 v46, s14, 37
	v_writelane_b32 v46, s15, 38
	s_cbranch_scc0 .LBB171_342
; %bb.301:                              ;   in Loop: Header=BB171_12 Depth=1
	v_cvt_f32_u32_e32 v2, s87
	s_sub_u32 s4, 0, s87
	s_subb_u32 s5, 0, 0
	v_mac_f32_e32 v2, 0, v32
	v_rcp_f32_e32 v2, v2
	v_mul_f32_e32 v2, 0x5f7ffffc, v2
	v_mul_f32_e32 v3, 0x2f800000, v2
	v_trunc_f32_e32 v3, v3
	v_mac_f32_e32 v2, 0xcf800000, v3
	v_cvt_u32_f32_e32 v3, v3
	v_cvt_u32_f32_e32 v2, v2
	v_readfirstlane_b32 s6, v3
	v_readfirstlane_b32 s7, v2
	s_mul_i32 s10, s4, s6
	s_mul_hi_u32 s12, s4, s7
	s_mul_i32 s11, s5, s7
	s_add_i32 s10, s12, s10
	s_mul_i32 s13, s4, s7
	s_add_i32 s10, s10, s11
	s_mul_hi_u32 s12, s7, s13
	s_mul_hi_u32 s11, s7, s10
	s_mul_i32 s7, s7, s10
	s_add_u32 s7, s12, s7
	s_addc_u32 s11, 0, s11
	s_mul_hi_u32 s14, s6, s13
	s_mul_i32 s13, s6, s13
	s_add_u32 s7, s7, s13
	s_mul_hi_u32 s12, s6, s10
	s_addc_u32 s7, s11, s14
	s_addc_u32 s11, s12, 0
	s_mul_i32 s10, s6, s10
	s_add_u32 s7, s7, s10
	s_addc_u32 s10, 0, s11
	v_add_co_u32_e32 v2, vcc, s7, v2
	s_cmp_lg_u64 vcc, 0
	s_addc_u32 s6, s6, s10
	v_readfirstlane_b32 s10, v2
	s_mul_i32 s7, s4, s6
	s_mul_hi_u32 s11, s4, s10
	s_add_i32 s7, s11, s7
	s_mul_i32 s5, s5, s10
	s_add_i32 s7, s7, s5
	s_mul_i32 s4, s4, s10
	s_mul_hi_u32 s11, s6, s4
	s_mul_i32 s12, s6, s4
	s_mul_i32 s14, s10, s7
	s_mul_hi_u32 s4, s10, s4
	s_mul_hi_u32 s13, s10, s7
	s_add_u32 s4, s4, s14
	s_addc_u32 s10, 0, s13
	s_add_u32 s4, s4, s12
	s_mul_hi_u32 s5, s6, s7
	s_addc_u32 s4, s10, s11
	s_addc_u32 s5, s5, 0
	s_mul_i32 s7, s6, s7
	s_add_u32 s4, s4, s7
	s_addc_u32 s5, 0, s5
	v_add_co_u32_e32 v2, vcc, s4, v2
	s_cmp_lg_u64 vcc, 0
	s_addc_u32 s4, s6, s5
	v_readlane_b32 s12, v46, 35
	v_readfirstlane_b32 s7, v2
	s_mul_i32 s6, s12, s4
	s_mul_hi_u32 s10, s12, s7
	s_mul_hi_u32 s5, s12, s4
	s_add_u32 s6, s10, s6
	s_addc_u32 s5, 0, s5
	s_mul_hi_u32 s11, s15, s7
	s_mul_i32 s7, s15, s7
	s_add_u32 s6, s6, s7
	s_mul_hi_u32 s10, s15, s4
	s_addc_u32 s5, s5, s11
	s_addc_u32 s6, s10, 0
	s_mul_i32 s4, s15, s4
	s_add_u32 s4, s5, s4
	s_addc_u32 s5, 0, s6
	s_mul_hi_u32 s6, s87, s4
	s_mul_i32 s4, s87, s4
	s_mul_i32 s5, s87, s5
	v_mov_b32_e32 v2, s4
	s_add_i32 s6, s6, s5
	v_sub_co_u32_e32 v2, vcc, s12, v2
	s_cmp_lg_u64 vcc, 0
	s_subb_u32 s4, s15, s6
	v_subrev_co_u32_e32 v3, vcc, s87, v2
	s_cmp_lg_u64 vcc, 0
	s_subb_u32 s5, s4, 0
	v_subrev_co_u32_e32 v4, vcc, s87, v3
	s_cmp_lg_u64 vcc, 0
	s_subb_u32 s6, s5, 0
	v_cmp_le_u32_e32 vcc, s87, v3
	s_cmp_eq_u32 s5, 0
	v_cndmask_b32_e64 v5, 0, -1, vcc
	s_cselect_b64 vcc, -1, 0
	v_cndmask_b32_e32 v5, -1, v5, vcc
	v_mov_b32_e32 v6, s5
	v_mov_b32_e32 v7, s6
	v_cmp_ne_u32_e32 vcc, 0, v5
	v_cndmask_b32_e32 v5, v6, v7, vcc
	v_cndmask_b32_e32 v4, v3, v4, vcc
	v_cmp_le_u32_e32 vcc, s87, v2
	s_cmp_eq_u32 s4, 0
	v_cndmask_b32_e64 v3, 0, -1, vcc
	s_cselect_b64 vcc, -1, 0
	v_cndmask_b32_e32 v3, -1, v3, vcc
	v_mov_b32_e32 v6, s4
	v_cmp_ne_u32_e32 vcc, 0, v3
	v_cndmask_b32_e32 v3, v6, v5, vcc
	v_cndmask_b32_e32 v2, v2, v4, vcc
	s_cbranch_execnz .LBB171_303
.LBB171_302:                            ;   in Loop: Header=BB171_12 Depth=1
	v_cvt_f32_u32_e32 v2, s87
	s_sub_i32 s4, 0, s87
	v_rcp_iflag_f32_e32 v2, v2
	v_mul_f32_e32 v2, 0x4f7ffffe, v2
	v_cvt_u32_f32_e32 v2, v2
	v_mul_lo_u32 v3, s4, v2
	v_mul_hi_u32 v3, v2, v3
	v_add_u32_e32 v2, v2, v3
	v_readlane_b32 s4, v46, 35
	v_mul_hi_u32 v2, s4, v2
	v_mul_lo_u32 v2, v2, s87
	v_sub_u32_e32 v2, s4, v2
	v_subrev_u32_e32 v3, s87, v2
	v_cmp_le_u32_e32 vcc, s87, v2
	v_cndmask_b32_e32 v2, v2, v3, vcc
	v_subrev_u32_e32 v3, s87, v2
	v_cmp_le_u32_e32 vcc, s87, v2
	v_cndmask_b32_e32 v14, v2, v3, vcc
	v_pk_mov_b32 v[2:3], v[14:15], v[14:15] op_sel:[0,1]
.LBB171_303:                            ;   in Loop: Header=BB171_12 Depth=1
	v_readlane_b32 s4, v46, 37
	v_readlane_b32 s5, v46, 38
	;; [unrolled: 1-line block ×3, first 2 shown]
	v_mov_b32_e32 v4, s5
	v_sub_co_u32_e32 v2, vcc, s4, v2
	v_subb_co_u32_e32 v3, vcc, v4, v3, vcc
	v_cmp_gt_u64_e32 vcc, v[2:3], v[0:1]
	s_mov_b64 s[6:7], 0
                                        ; implicit-def: $vgpr36
	s_and_saveexec_b64 s[4:5], vcc
	s_cbranch_execz .LBB171_312
; %bb.304:                              ;   in Loop: Header=BB171_12 Depth=1
	s_mov_b64 s[10:11], 0
	v_pk_mov_b32 v[4:5], v[0:1], v[0:1] op_sel:[0,1]
                                        ; implicit-def: $sgpr12_sgpr13
	s_branch .LBB171_306
.LBB171_305:                            ;   in Loop: Header=BB171_306 Depth=2
	s_or_b64 exec, exec, s[6:7]
	s_waitcnt lgkmcnt(0)
	s_barrier
	s_waitcnt vmcnt(0)
	ds_read_b32 v6, v15 offset:3072
	v_mov_b32_e32 v7, s88
	v_add_co_u32_e64 v4, s[6:7], s87, v4
	v_addc_co_u32_e64 v5, s[6:7], v5, v7, s[6:7]
	s_waitcnt lgkmcnt(0)
	v_cmp_ne_u16_e32 vcc, 0, v6
	v_cmp_ge_u64_e64 s[6:7], v[4:5], v[2:3]
	s_or_b64 s[6:7], s[6:7], vcc
	s_and_b64 s[6:7], exec, s[6:7]
	s_or_b64 s[10:11], s[6:7], s[10:11]
	s_andn2_b64 s[6:7], s[12:13], exec
	s_and_b64 s[12:13], vcc, exec
	s_or_b64 s[12:13], s[6:7], s[12:13]
	s_barrier
	s_andn2_b64 exec, exec, s[10:11]
	s_cbranch_execz .LBB171_311
.LBB171_306:                            ;   Parent Loop BB171_12 Depth=1
                                        ; =>  This Inner Loop Header: Depth=2
	v_cmp_gt_u64_e32 vcc, s[60:61], v[4:5]
	v_mov_b32_e32 v6, 0
	s_and_saveexec_b64 s[14:15], vcc
	s_cbranch_execz .LBB171_308
; %bb.307:                              ;   in Loop: Header=BB171_306 Depth=2
	v_mul_lo_u32 v8, v5, s58
	v_mul_lo_u32 v9, v4, s59
	v_mad_u64_u32 v[6:7], s[6:7], v4, s58, 0
	v_add3_u32 v7, v7, v9, v8
	v_lshlrev_b64 v[6:7], 1, v[6:7]
	v_mov_b32_e32 v8, s86
	v_add_co_u32_e64 v6, s[6:7], s33, v6
	v_addc_co_u32_e64 v7, s[6:7], v8, v7, s[6:7]
	global_load_ushort v6, v[6:7], off
.LBB171_308:                            ;   in Loop: Header=BB171_306 Depth=2
	s_or_b64 exec, exec, s[14:15]
	s_and_saveexec_b64 s[6:7], vcc
	s_cbranch_execz .LBB171_305
; %bb.309:                              ;   in Loop: Header=BB171_306 Depth=2
	s_waitcnt vmcnt(0)
	v_add_u32_sdwa v7, sext(v6), s89 dst_sel:DWORD dst_unused:UNUSED_PAD src0_sel:WORD_0 src1_sel:DWORD
	v_and_b32_e32 v7, v7, v34
	v_cmp_eq_u32_e32 vcc, v7, v35
	s_and_b64 exec, exec, vcc
	s_cbranch_execz .LBB171_305
; %bb.310:                              ;   in Loop: Header=BB171_306 Depth=2
	v_perm_b32 v6, v6, 1, v33
	ds_write_b32 v15, v6 offset:3072
	s_branch .LBB171_305
.LBB171_311:                            ;   in Loop: Header=BB171_12 Depth=1
	s_or_b64 exec, exec, s[10:11]
	v_lshrrev_b32_e32 v36, 16, v6
	s_and_b64 s[6:7], s[12:13], exec
.LBB171_312:                            ;   in Loop: Header=BB171_12 Depth=1
	s_or_b64 exec, exec, s[4:5]
	s_mov_b64 s[38:39], 0
	s_mov_b64 s[14:15], -1
	s_mov_b64 s[20:21], 0
.LBB171_313:                            ;   in Loop: Header=BB171_12 Depth=1
	s_orn2_b64 s[4:5], s[6:7], exec
.LBB171_314:                            ;   in Loop: Header=BB171_12 Depth=1
	s_or_b64 exec, exec, s[8:9]
                                        ; implicit-def: $vgpr6
                                        ; implicit-def: $vgpr2_vgpr3
                                        ; implicit-def: $vgpr8
                                        ; implicit-def: $vgpr9
                                        ; implicit-def: $vgpr20
	s_and_saveexec_b64 s[34:35], s[4:5]
	s_cbranch_execz .LBB171_477
; %bb.315:                              ;   in Loop: Header=BB171_12 Depth=1
	v_mov_b32_e32 v2, 1
	s_xor_b64 s[4:5], s[2:3], -1
	s_mov_b64 s[6:7], 0
	v_mov_b32_e32 v3, 0
	v_mov_b32_e32 v6, 1
	s_and_saveexec_b64 s[2:3], s[4:5]
	s_cbranch_execz .LBB171_325
; %bb.316:                              ;   in Loop: Header=BB171_12 Depth=1
	v_cmp_ge_u64_e32 vcc, s[24:25], v[18:19]
                                        ; implicit-def: $sgpr8
                                        ; implicit-def: $sgpr4_sgpr5
	s_and_saveexec_b64 s[6:7], vcc
	s_xor_b64 s[6:7], exec, s[6:7]
	s_cbranch_execz .LBB171_322
; %bb.317:                              ;   in Loop: Header=BB171_12 Depth=1
	ds_read_b64 v[2:3], v15 offset:5120
	s_waitcnt lgkmcnt(0)
	v_cmp_ne_u64_e32 vcc, 0, v[2:3]
	s_cbranch_vccnz .LBB171_321
; %bb.318:                              ;   in Loop: Header=BB171_12 Depth=1
	s_mov_b64 s[4:5], exec
	v_readlane_b32 s8, v46, 12
	v_readlane_b32 s9, v46, 13
	s_and_b64 s[8:9], s[4:5], s[8:9]
	s_mov_b64 exec, s[8:9]
	s_cbranch_execz .LBB171_320
; %bb.319:                              ;   in Loop: Header=BB171_12 Depth=1
	v_pk_mov_b32 v[2:3], s[24:25], s[24:25] op_sel:[0,1]
	ds_write_b64 v15, v[2:3] offset:5128
.LBB171_320:                            ;   in Loop: Header=BB171_12 Depth=1
	s_or_b64 exec, exec, s[4:5]
	s_waitcnt lgkmcnt(0)
	s_barrier
.LBB171_321:                            ;   in Loop: Header=BB171_12 Depth=1
	v_or_b32_e32 v35, s84, v35
	v_or_b32_e32 v34, s84, v34
	s_mov_b64 s[4:5], 0
	s_mov_b32 s8, 5
.LBB171_322:                            ;   in Loop: Header=BB171_12 Depth=1
	s_or_saveexec_b64 s[6:7], s[6:7]
	v_mov_b32_e32 v6, s8
	s_xor_b64 exec, exec, s[6:7]
; %bb.323:                              ;   in Loop: Header=BB171_12 Depth=1
	v_mov_b32_e32 v2, s25
	v_subrev_co_u32_e32 v18, vcc, s24, v18
	v_subb_co_u32_e32 v19, vcc, v19, v2, vcc
	v_mov_b32_e32 v6, 0
	s_or_b64 s[4:5], s[4:5], exec
; %bb.324:                              ;   in Loop: Header=BB171_12 Depth=1
	s_or_b64 exec, exec, s[6:7]
	s_and_b64 s[6:7], s[4:5], exec
	v_pk_mov_b32 v[2:3], v[18:19], v[18:19] op_sel:[0,1]
.LBB171_325:                            ;   in Loop: Header=BB171_12 Depth=1
	s_or_b64 exec, exec, s[2:3]
	s_mov_b64 s[12:13], -1
                                        ; implicit-def: $sgpr2_sgpr3
                                        ; implicit-def: $sgpr4_sgpr5
                                        ; implicit-def: $sgpr8_sgpr9
	s_and_saveexec_b64 s[10:11], s[6:7]
	s_xor_b64 s[24:25], exec, s[10:11]
	s_cbranch_execz .LBB171_474
; %bb.326:                              ;   in Loop: Header=BB171_12 Depth=1
	s_cmp_eq_u64 s[22:23], 1
	s_cselect_b64 s[2:3], -1, 0
	v_cmp_eq_u64_e32 vcc, 1, v[2:3]
	s_and_b64 s[2:3], s[2:3], vcc
	s_mov_b64 s[4:5], -1
                                        ; implicit-def: $sgpr36_sgpr37
                                        ; implicit-def: $sgpr40_sgpr41
                                        ; implicit-def: $sgpr42_sgpr43
	s_and_saveexec_b64 s[8:9], s[2:3]
	s_cbranch_execz .LBB171_360
; %bb.327:                              ;   in Loop: Header=BB171_12 Depth=1
	ds_read_b64 v[4:5], v15 offset:5120
	s_waitcnt lgkmcnt(0)
	s_barrier
	v_readfirstlane_b32 s4, v4
	v_readfirstlane_b32 s5, v5
	s_mov_b64 s[6:7], exec
	v_readlane_b32 s10, v46, 30
	v_readlane_b32 s11, v46, 31
	s_and_b64 s[10:11], s[6:7], s[10:11]
	s_mov_b64 exec, s[10:11]
	s_cbranch_execz .LBB171_329
; %bb.328:                              ;   in Loop: Header=BB171_12 Depth=1
	ds_write_b16 v29, v15
.LBB171_329:                            ;   in Loop: Header=BB171_12 Depth=1
	s_or_b64 exec, exec, s[6:7]
	v_and_b32_e32 v4, s48, v35
	v_lshl_or_b32 v35, 2, s49, v4
	v_or_b32_e32 v34, s84, v34
	s_cmp_eq_u64 s[4:5], 0
	s_waitcnt lgkmcnt(0)
	s_barrier
	s_cbranch_scc1 .LBB171_343
; %bb.330:                              ;   in Loop: Header=BB171_12 Depth=1
	v_readlane_b32 s6, v46, 34
	s_add_u32 s12, s6, s4
	v_readlane_b32 s6, v46, 36
	s_addc_u32 s7, s6, s5
	s_mov_b32 s6, s85
	s_cmp_lg_u64 s[6:7], 0
	s_cbranch_scc0 .LBB171_387
; %bb.331:                              ;   in Loop: Header=BB171_12 Depth=1
	v_cvt_f32_u32_e32 v4, s87
	s_sub_u32 s6, 0, s87
	s_subb_u32 s10, 0, 0
	v_mac_f32_e32 v4, 0, v32
	v_rcp_f32_e32 v4, v4
	v_mul_f32_e32 v4, 0x5f7ffffc, v4
	v_mul_f32_e32 v5, 0x2f800000, v4
	v_trunc_f32_e32 v5, v5
	v_mac_f32_e32 v4, 0xcf800000, v5
	v_cvt_u32_f32_e32 v5, v5
	v_cvt_u32_f32_e32 v4, v4
	v_readfirstlane_b32 s11, v5
	v_readfirstlane_b32 s13, v4
	s_mul_i32 s36, s6, s11
	s_mul_hi_u32 s40, s6, s13
	s_mul_i32 s37, s10, s13
	s_add_i32 s36, s40, s36
	s_mul_i32 s41, s6, s13
	s_add_i32 s36, s36, s37
	s_mul_hi_u32 s40, s13, s41
	s_mul_hi_u32 s37, s13, s36
	s_mul_i32 s13, s13, s36
	s_add_u32 s13, s40, s13
	s_addc_u32 s37, 0, s37
	s_mul_hi_u32 s42, s11, s41
	s_mul_i32 s41, s11, s41
	s_add_u32 s13, s13, s41
	s_mul_hi_u32 s40, s11, s36
	s_addc_u32 s13, s37, s42
	s_addc_u32 s37, s40, 0
	s_mul_i32 s36, s11, s36
	s_add_u32 s13, s13, s36
	s_addc_u32 s36, 0, s37
	v_add_co_u32_e32 v4, vcc, s13, v4
	s_cmp_lg_u64 vcc, 0
	s_addc_u32 s11, s11, s36
	v_readfirstlane_b32 s36, v4
	s_mul_i32 s13, s6, s11
	s_mul_hi_u32 s37, s6, s36
	s_add_i32 s13, s37, s13
	s_mul_i32 s10, s10, s36
	s_add_i32 s13, s13, s10
	s_mul_i32 s6, s6, s36
	s_mul_hi_u32 s37, s11, s6
	s_mul_i32 s40, s11, s6
	s_mul_i32 s42, s36, s13
	s_mul_hi_u32 s6, s36, s6
	s_mul_hi_u32 s41, s36, s13
	s_add_u32 s6, s6, s42
	s_addc_u32 s36, 0, s41
	s_add_u32 s6, s6, s40
	s_mul_hi_u32 s10, s11, s13
	s_addc_u32 s6, s36, s37
	s_addc_u32 s10, s10, 0
	s_mul_i32 s13, s11, s13
	s_add_u32 s6, s6, s13
	s_addc_u32 s10, 0, s10
	v_add_co_u32_e32 v4, vcc, s6, v4
	s_cmp_lg_u64 vcc, 0
	s_addc_u32 s6, s11, s10
	v_readfirstlane_b32 s13, v4
	s_mul_i32 s11, s12, s6
	s_mul_hi_u32 s36, s12, s13
	s_mul_hi_u32 s10, s12, s6
	s_add_u32 s11, s36, s11
	s_addc_u32 s10, 0, s10
	s_mul_hi_u32 s37, s7, s13
	s_mul_i32 s13, s7, s13
	s_add_u32 s11, s11, s13
	s_mul_hi_u32 s36, s7, s6
	s_addc_u32 s10, s10, s37
	s_addc_u32 s11, s36, 0
	s_mul_i32 s6, s7, s6
	s_add_u32 s6, s10, s6
	s_addc_u32 s10, 0, s11
	s_mul_hi_u32 s11, s87, s6
	s_mul_i32 s6, s87, s6
	s_mul_i32 s10, s87, s10
	v_mov_b32_e32 v4, s6
	s_add_i32 s11, s11, s10
	v_sub_co_u32_e32 v4, vcc, s12, v4
	s_cmp_lg_u64 vcc, 0
	s_subb_u32 s6, s7, s11
	v_subrev_co_u32_e32 v5, vcc, s87, v4
	s_cmp_lg_u64 vcc, 0
	s_subb_u32 s10, s6, 0
	v_subrev_co_u32_e32 v6, vcc, s87, v5
	s_cmp_lg_u64 vcc, 0
	s_subb_u32 s11, s10, 0
	v_cmp_le_u32_e32 vcc, s87, v5
	s_cmp_eq_u32 s10, 0
	v_cndmask_b32_e64 v7, 0, -1, vcc
	s_cselect_b64 vcc, -1, 0
	v_cndmask_b32_e32 v7, -1, v7, vcc
	v_mov_b32_e32 v8, s10
	v_mov_b32_e32 v9, s11
	v_cmp_ne_u32_e32 vcc, 0, v7
	v_cndmask_b32_e32 v7, v8, v9, vcc
	v_cndmask_b32_e32 v6, v5, v6, vcc
	v_cmp_le_u32_e32 vcc, s87, v4
	s_cmp_eq_u32 s6, 0
	v_cndmask_b32_e64 v5, 0, -1, vcc
	s_cselect_b64 vcc, -1, 0
	v_cndmask_b32_e32 v5, -1, v5, vcc
	v_mov_b32_e32 v8, s6
	v_cmp_ne_u32_e32 vcc, 0, v5
	v_cndmask_b32_e32 v5, v8, v7, vcc
	v_cndmask_b32_e32 v4, v4, v6, vcc
	s_cbranch_execnz .LBB171_333
.LBB171_332:                            ;   in Loop: Header=BB171_12 Depth=1
	v_cvt_f32_u32_e32 v4, s87
	s_sub_i32 s6, 0, s87
	v_rcp_iflag_f32_e32 v4, v4
	v_mul_f32_e32 v4, 0x4f7ffffe, v4
	v_cvt_u32_f32_e32 v4, v4
	v_mul_lo_u32 v5, s6, v4
	v_mul_hi_u32 v5, v4, v5
	v_add_u32_e32 v4, v4, v5
	v_mul_hi_u32 v4, s12, v4
	v_mul_lo_u32 v4, v4, s87
	v_sub_u32_e32 v4, s12, v4
	v_subrev_u32_e32 v5, s87, v4
	v_cmp_le_u32_e32 vcc, s87, v4
	v_cndmask_b32_e32 v4, v4, v5, vcc
	v_subrev_u32_e32 v5, s87, v4
	v_cmp_le_u32_e32 vcc, s87, v4
	v_cndmask_b32_e32 v14, v4, v5, vcc
	v_pk_mov_b32 v[4:5], v[14:15], v[14:15] op_sel:[0,1]
.LBB171_333:                            ;   in Loop: Header=BB171_12 Depth=1
	v_mov_b32_e32 v6, s7
	v_sub_co_u32_e32 v4, vcc, s12, v4
	v_subb_co_u32_e32 v5, vcc, v6, v5, vcc
	v_cmp_gt_u64_e32 vcc, v[4:5], v[0:1]
	s_mov_b64 s[6:7], 0
                                        ; implicit-def: $vgpr36
	s_and_saveexec_b64 s[10:11], vcc
	s_cbranch_execz .LBB171_345
; %bb.334:                              ;   in Loop: Header=BB171_12 Depth=1
	s_mov_b64 s[12:13], 0
	v_mov_b32_e32 v8, v28
	v_pk_mov_b32 v[6:7], v[0:1], v[0:1] op_sel:[0,1]
                                        ; implicit-def: $sgpr36_sgpr37
	s_branch .LBB171_336
.LBB171_335:                            ;   in Loop: Header=BB171_336 Depth=2
	s_or_b64 exec, exec, s[6:7]
	s_waitcnt lgkmcnt(0)
	s_barrier
	ds_read_b32 v9, v15 offset:3072
	v_mov_b32_e32 v14, s88
	v_add_co_u32_e64 v6, s[6:7], s87, v6
	v_addc_co_u32_e64 v7, s[6:7], v7, v14, s[6:7]
	s_waitcnt lgkmcnt(0)
	v_cmp_ne_u16_e32 vcc, 0, v9
	v_cmp_ge_u64_e64 s[6:7], v[6:7], v[4:5]
	s_or_b64 s[6:7], s[6:7], vcc
	s_and_b64 s[6:7], exec, s[6:7]
	s_or_b64 s[12:13], s[6:7], s[12:13]
	s_andn2_b64 s[6:7], s[36:37], exec
	s_and_b64 s[36:37], vcc, exec
	v_add_u32_e32 v8, s95, v8
	s_or_b64 s[36:37], s[6:7], s[36:37]
	s_barrier
	s_andn2_b64 exec, exec, s[12:13]
	s_cbranch_execz .LBB171_344
.LBB171_336:                            ;   Parent Loop BB171_12 Depth=1
                                        ; =>  This Inner Loop Header: Depth=2
	v_cmp_gt_u64_e32 vcc, s[4:5], v[6:7]
	v_mov_b32_e32 v9, 0
	s_and_saveexec_b64 s[6:7], vcc
	s_cbranch_execz .LBB171_338
; %bb.337:                              ;   in Loop: Header=BB171_336 Depth=2
	ds_read_u16 v9, v8
.LBB171_338:                            ;   in Loop: Header=BB171_336 Depth=2
	s_or_b64 exec, exec, s[6:7]
	s_and_saveexec_b64 s[6:7], vcc
	s_cbranch_execz .LBB171_335
; %bb.339:                              ;   in Loop: Header=BB171_336 Depth=2
	s_waitcnt lgkmcnt(0)
	v_add_u32_sdwa v14, sext(v9), s89 dst_sel:DWORD dst_unused:UNUSED_PAD src0_sel:WORD_0 src1_sel:DWORD
	v_and_b32_e32 v14, v14, v34
	v_cmp_eq_u32_e32 vcc, v14, v35
	s_and_b64 exec, exec, vcc
	s_cbranch_execz .LBB171_335
; %bb.340:                              ;   in Loop: Header=BB171_336 Depth=2
	v_perm_b32 v9, v9, 1, v33
	ds_write_b32 v15, v9 offset:3072
	s_branch .LBB171_335
.LBB171_341:                            ;   in Loop: Header=BB171_12 Depth=1
                                        ; implicit-def: $vgpr2_vgpr3
	s_branch .LBB171_288
.LBB171_342:                            ;   in Loop: Header=BB171_12 Depth=1
                                        ; implicit-def: $vgpr2_vgpr3
	s_branch .LBB171_302
.LBB171_343:                            ;   in Loop: Header=BB171_12 Depth=1
	s_mov_b64 s[36:37], -1
	s_mov_b64 s[6:7], 0
                                        ; implicit-def: $sgpr40_sgpr41
                                        ; implicit-def: $vgpr36
	s_mov_b64 s[42:43], s[36:37]
	s_cbranch_execnz .LBB171_346
	s_branch .LBB171_359
.LBB171_344:                            ;   in Loop: Header=BB171_12 Depth=1
	s_or_b64 exec, exec, s[12:13]
	v_lshrrev_b32_e32 v36, 16, v9
	s_and_b64 s[6:7], s[36:37], exec
.LBB171_345:                            ;   in Loop: Header=BB171_12 Depth=1
	s_or_b64 exec, exec, s[10:11]
	s_mov_b64 s[36:37], 0
	s_mov_b64 s[40:41], -1
	s_mov_b64 s[42:43], s[36:37]
	s_branch .LBB171_359
.LBB171_346:                            ;   in Loop: Header=BB171_12 Depth=1
	v_readlane_b32 s36, v46, 37
	v_readlane_b32 s37, v46, 38
	s_mov_b32 s36, s85
	s_cmp_lg_u64 s[36:37], 0
	v_writelane_b32 v46, s36, 37
	v_writelane_b32 v46, s37, 38
	s_cbranch_scc0 .LBB171_388
; %bb.347:                              ;   in Loop: Header=BB171_12 Depth=1
	v_cvt_f32_u32_e32 v4, s87
	s_sub_u32 s4, 0, s87
	s_subb_u32 s5, 0, 0
	v_mac_f32_e32 v4, 0, v32
	v_rcp_f32_e32 v4, v4
	v_mul_f32_e32 v4, 0x5f7ffffc, v4
	v_mul_f32_e32 v5, 0x2f800000, v4
	v_trunc_f32_e32 v5, v5
	v_mac_f32_e32 v4, 0xcf800000, v5
	v_cvt_u32_f32_e32 v5, v5
	v_cvt_u32_f32_e32 v4, v4
	v_readfirstlane_b32 s6, v5
	v_readfirstlane_b32 s7, v4
	s_mul_i32 s10, s4, s6
	s_mul_hi_u32 s12, s4, s7
	s_mul_i32 s11, s5, s7
	s_add_i32 s10, s12, s10
	s_mul_i32 s13, s4, s7
	s_add_i32 s10, s10, s11
	s_mul_hi_u32 s12, s7, s13
	s_mul_hi_u32 s11, s7, s10
	s_mul_i32 s7, s7, s10
	s_add_u32 s7, s12, s7
	s_addc_u32 s11, 0, s11
	s_mul_hi_u32 s36, s6, s13
	s_mul_i32 s13, s6, s13
	s_add_u32 s7, s7, s13
	s_mul_hi_u32 s12, s6, s10
	s_addc_u32 s7, s11, s36
	s_addc_u32 s11, s12, 0
	s_mul_i32 s10, s6, s10
	s_add_u32 s7, s7, s10
	s_addc_u32 s10, 0, s11
	v_add_co_u32_e32 v4, vcc, s7, v4
	s_cmp_lg_u64 vcc, 0
	s_addc_u32 s6, s6, s10
	v_readfirstlane_b32 s10, v4
	s_mul_i32 s7, s4, s6
	s_mul_hi_u32 s11, s4, s10
	s_add_i32 s7, s11, s7
	s_mul_i32 s5, s5, s10
	s_add_i32 s7, s7, s5
	s_mul_i32 s4, s4, s10
	s_mul_hi_u32 s11, s6, s4
	s_mul_i32 s12, s6, s4
	s_mul_i32 s36, s10, s7
	s_mul_hi_u32 s4, s10, s4
	s_mul_hi_u32 s13, s10, s7
	s_add_u32 s4, s4, s36
	s_addc_u32 s10, 0, s13
	s_add_u32 s4, s4, s12
	s_mul_hi_u32 s5, s6, s7
	s_addc_u32 s4, s10, s11
	s_addc_u32 s5, s5, 0
	s_mul_i32 s7, s6, s7
	s_add_u32 s4, s4, s7
	s_addc_u32 s5, 0, s5
	v_add_co_u32_e32 v4, vcc, s4, v4
	s_cmp_lg_u64 vcc, 0
	s_addc_u32 s4, s6, s5
	v_readlane_b32 s12, v46, 35
	v_readfirstlane_b32 s7, v4
	s_mul_i32 s6, s12, s4
	s_mul_hi_u32 s10, s12, s7
	s_mul_hi_u32 s5, s12, s4
	s_add_u32 s6, s10, s6
	s_addc_u32 s5, 0, s5
	s_mul_hi_u32 s11, s37, s7
	s_mul_i32 s7, s37, s7
	s_add_u32 s6, s6, s7
	s_mul_hi_u32 s10, s37, s4
	s_addc_u32 s5, s5, s11
	s_addc_u32 s6, s10, 0
	s_mul_i32 s4, s37, s4
	s_add_u32 s4, s5, s4
	s_addc_u32 s5, 0, s6
	s_mul_hi_u32 s6, s87, s4
	s_mul_i32 s4, s87, s4
	s_mul_i32 s5, s87, s5
	v_mov_b32_e32 v4, s4
	s_add_i32 s6, s6, s5
	v_sub_co_u32_e32 v4, vcc, s12, v4
	s_cmp_lg_u64 vcc, 0
	s_subb_u32 s4, s37, s6
	v_subrev_co_u32_e32 v5, vcc, s87, v4
	s_cmp_lg_u64 vcc, 0
	s_subb_u32 s5, s4, 0
	v_subrev_co_u32_e32 v6, vcc, s87, v5
	s_cmp_lg_u64 vcc, 0
	s_subb_u32 s6, s5, 0
	v_cmp_le_u32_e32 vcc, s87, v5
	s_cmp_eq_u32 s5, 0
	v_cndmask_b32_e64 v7, 0, -1, vcc
	s_cselect_b64 vcc, -1, 0
	v_cndmask_b32_e32 v7, -1, v7, vcc
	v_mov_b32_e32 v8, s5
	v_mov_b32_e32 v9, s6
	v_cmp_ne_u32_e32 vcc, 0, v7
	v_cndmask_b32_e32 v7, v8, v9, vcc
	v_cndmask_b32_e32 v6, v5, v6, vcc
	v_cmp_le_u32_e32 vcc, s87, v4
	s_cmp_eq_u32 s4, 0
	v_cndmask_b32_e64 v5, 0, -1, vcc
	s_cselect_b64 vcc, -1, 0
	v_cndmask_b32_e32 v5, -1, v5, vcc
	v_mov_b32_e32 v8, s4
	v_cmp_ne_u32_e32 vcc, 0, v5
	v_cndmask_b32_e32 v5, v8, v7, vcc
	v_cndmask_b32_e32 v4, v4, v6, vcc
	s_cbranch_execnz .LBB171_349
.LBB171_348:                            ;   in Loop: Header=BB171_12 Depth=1
	v_cvt_f32_u32_e32 v4, s87
	s_sub_i32 s4, 0, s87
	v_rcp_iflag_f32_e32 v4, v4
	v_mul_f32_e32 v4, 0x4f7ffffe, v4
	v_cvt_u32_f32_e32 v4, v4
	v_mul_lo_u32 v5, s4, v4
	v_mul_hi_u32 v5, v4, v5
	v_add_u32_e32 v4, v4, v5
	v_readlane_b32 s4, v46, 35
	v_mul_hi_u32 v4, s4, v4
	v_mul_lo_u32 v4, v4, s87
	v_sub_u32_e32 v4, s4, v4
	v_subrev_u32_e32 v5, s87, v4
	v_cmp_le_u32_e32 vcc, s87, v4
	v_cndmask_b32_e32 v4, v4, v5, vcc
	v_subrev_u32_e32 v5, s87, v4
	v_cmp_le_u32_e32 vcc, s87, v4
	v_cndmask_b32_e32 v14, v4, v5, vcc
	v_pk_mov_b32 v[4:5], v[14:15], v[14:15] op_sel:[0,1]
.LBB171_349:                            ;   in Loop: Header=BB171_12 Depth=1
	v_readlane_b32 s4, v46, 37
	v_readlane_b32 s5, v46, 38
	;; [unrolled: 1-line block ×3, first 2 shown]
	v_mov_b32_e32 v6, s5
	v_sub_co_u32_e32 v4, vcc, s4, v4
	v_subb_co_u32_e32 v5, vcc, v6, v5, vcc
	v_cmp_gt_u64_e32 vcc, v[4:5], v[0:1]
	s_mov_b64 s[6:7], 0
                                        ; implicit-def: $vgpr36
	s_and_saveexec_b64 s[4:5], vcc
	s_cbranch_execz .LBB171_358
; %bb.350:                              ;   in Loop: Header=BB171_12 Depth=1
	s_mov_b64 s[10:11], 0
	v_pk_mov_b32 v[6:7], v[0:1], v[0:1] op_sel:[0,1]
                                        ; implicit-def: $sgpr12_sgpr13
	s_branch .LBB171_352
.LBB171_351:                            ;   in Loop: Header=BB171_352 Depth=2
	s_or_b64 exec, exec, s[6:7]
	s_waitcnt lgkmcnt(0)
	s_barrier
	s_waitcnt vmcnt(0)
	ds_read_b32 v8, v15 offset:3072
	v_mov_b32_e32 v9, s88
	v_add_co_u32_e64 v6, s[6:7], s87, v6
	v_addc_co_u32_e64 v7, s[6:7], v7, v9, s[6:7]
	s_waitcnt lgkmcnt(0)
	v_cmp_ne_u16_e32 vcc, 0, v8
	v_cmp_ge_u64_e64 s[6:7], v[6:7], v[4:5]
	s_or_b64 s[6:7], s[6:7], vcc
	s_and_b64 s[6:7], exec, s[6:7]
	s_or_b64 s[10:11], s[6:7], s[10:11]
	s_andn2_b64 s[6:7], s[12:13], exec
	s_and_b64 s[12:13], vcc, exec
	s_or_b64 s[12:13], s[6:7], s[12:13]
	s_barrier
	s_andn2_b64 exec, exec, s[10:11]
	s_cbranch_execz .LBB171_357
.LBB171_352:                            ;   Parent Loop BB171_12 Depth=1
                                        ; =>  This Inner Loop Header: Depth=2
	v_cmp_gt_u64_e32 vcc, s[60:61], v[6:7]
	v_mov_b32_e32 v8, 0
	s_and_saveexec_b64 s[36:37], vcc
	s_cbranch_execz .LBB171_354
; %bb.353:                              ;   in Loop: Header=BB171_352 Depth=2
	v_mul_lo_u32 v14, v7, s58
	v_mul_lo_u32 v18, v6, s59
	v_mad_u64_u32 v[8:9], s[6:7], v6, s58, 0
	v_add3_u32 v9, v9, v18, v14
	v_lshlrev_b64 v[8:9], 1, v[8:9]
	v_mov_b32_e32 v14, s86
	v_add_co_u32_e64 v8, s[6:7], s33, v8
	v_addc_co_u32_e64 v9, s[6:7], v14, v9, s[6:7]
	global_load_ushort v8, v[8:9], off
.LBB171_354:                            ;   in Loop: Header=BB171_352 Depth=2
	s_or_b64 exec, exec, s[36:37]
	s_and_saveexec_b64 s[6:7], vcc
	s_cbranch_execz .LBB171_351
; %bb.355:                              ;   in Loop: Header=BB171_352 Depth=2
	s_waitcnt vmcnt(0)
	v_add_u32_sdwa v9, sext(v8), s89 dst_sel:DWORD dst_unused:UNUSED_PAD src0_sel:WORD_0 src1_sel:DWORD
	v_and_b32_e32 v9, v9, v34
	v_cmp_eq_u32_e32 vcc, v9, v35
	s_and_b64 exec, exec, vcc
	s_cbranch_execz .LBB171_351
; %bb.356:                              ;   in Loop: Header=BB171_352 Depth=2
	v_perm_b32 v8, v8, 1, v33
	ds_write_b32 v15, v8 offset:3072
	s_branch .LBB171_351
.LBB171_357:                            ;   in Loop: Header=BB171_12 Depth=1
	s_or_b64 exec, exec, s[10:11]
	v_lshrrev_b32_e32 v36, 16, v8
	s_and_b64 s[6:7], s[12:13], exec
.LBB171_358:                            ;   in Loop: Header=BB171_12 Depth=1
	s_or_b64 exec, exec, s[4:5]
	s_mov_b64 s[40:41], 0
	s_mov_b64 s[36:37], -1
	s_mov_b64 s[42:43], 0
.LBB171_359:                            ;   in Loop: Header=BB171_12 Depth=1
	s_orn2_b64 s[4:5], s[6:7], exec
.LBB171_360:                            ;   in Loop: Header=BB171_12 Depth=1
	s_or_b64 exec, exec, s[8:9]
	s_mov_b64 s[6:7], 0
                                        ; implicit-def: $vgpr6
	s_and_saveexec_b64 s[44:45], s[4:5]
	s_cbranch_execz .LBB171_473
; %bb.361:                              ;   in Loop: Header=BB171_12 Depth=1
	v_mov_b32_e32 v4, 1
	s_xor_b64 s[4:5], s[2:3], -1
	v_mov_b32_e32 v5, 0
	v_mov_b32_e32 v6, 1
	s_and_saveexec_b64 s[2:3], s[4:5]
	s_cbranch_execz .LBB171_371
; %bb.362:                              ;   in Loop: Header=BB171_12 Depth=1
	v_cmp_ge_u64_e32 vcc, s[22:23], v[2:3]
                                        ; implicit-def: $sgpr8
                                        ; implicit-def: $sgpr4_sgpr5
	s_and_saveexec_b64 s[6:7], vcc
	s_xor_b64 s[6:7], exec, s[6:7]
	s_cbranch_execz .LBB171_368
; %bb.363:                              ;   in Loop: Header=BB171_12 Depth=1
	ds_read_b64 v[4:5], v15 offset:5120
	s_waitcnt lgkmcnt(0)
	v_cmp_ne_u64_e32 vcc, 0, v[4:5]
	s_cbranch_vccnz .LBB171_367
; %bb.364:                              ;   in Loop: Header=BB171_12 Depth=1
	s_mov_b64 s[4:5], exec
	v_readlane_b32 s8, v46, 12
	v_readlane_b32 s9, v46, 13
	s_and_b64 s[8:9], s[4:5], s[8:9]
	s_mov_b64 exec, s[8:9]
	s_cbranch_execz .LBB171_366
; %bb.365:                              ;   in Loop: Header=BB171_12 Depth=1
	v_pk_mov_b32 v[4:5], s[22:23], s[22:23] op_sel:[0,1]
	ds_write_b64 v15, v[4:5] offset:5128
.LBB171_366:                            ;   in Loop: Header=BB171_12 Depth=1
	s_or_b64 exec, exec, s[4:5]
	s_waitcnt lgkmcnt(0)
	s_barrier
.LBB171_367:                            ;   in Loop: Header=BB171_12 Depth=1
	v_and_b32_e32 v4, s48, v35
	v_lshl_or_b32 v35, 2, s49, v4
	v_or_b32_e32 v34, s84, v34
	s_mov_b64 s[4:5], 0
	s_mov_b32 s8, 5
.LBB171_368:                            ;   in Loop: Header=BB171_12 Depth=1
	s_or_saveexec_b64 s[6:7], s[6:7]
	v_mov_b32_e32 v6, s8
	s_xor_b64 exec, exec, s[6:7]
; %bb.369:                              ;   in Loop: Header=BB171_12 Depth=1
	v_mov_b32_e32 v4, s23
	v_subrev_co_u32_e32 v2, vcc, s22, v2
	v_subb_co_u32_e32 v3, vcc, v3, v4, vcc
	v_mov_b32_e32 v6, 0
	s_or_b64 s[4:5], s[4:5], exec
; %bb.370:                              ;   in Loop: Header=BB171_12 Depth=1
	s_or_b64 exec, exec, s[6:7]
	s_and_b64 s[6:7], s[4:5], exec
	v_pk_mov_b32 v[4:5], v[2:3], v[2:3] op_sel:[0,1]
.LBB171_371:                            ;   in Loop: Header=BB171_12 Depth=1
	s_or_b64 exec, exec, s[2:3]
	s_mov_b64 s[2:3], -1
                                        ; implicit-def: $sgpr4_sgpr5
                                        ; implicit-def: $sgpr8_sgpr9
                                        ; implicit-def: $sgpr10_sgpr11
	s_and_saveexec_b64 s[22:23], s[6:7]
	s_cbranch_execz .LBB171_472
; %bb.372:                              ;   in Loop: Header=BB171_12 Depth=1
	s_cmp_eq_u64 s[18:19], 1
	s_cselect_b64 s[2:3], -1, 0
	v_cmp_eq_u64_e32 vcc, 1, v[4:5]
	s_and_b64 s[8:9], s[2:3], vcc
	s_mov_b64 s[4:5], -1
                                        ; implicit-def: $sgpr2_sgpr3
                                        ; implicit-def: $sgpr46_sgpr47
                                        ; implicit-def: $sgpr56_sgpr57
	s_and_saveexec_b64 s[50:51], s[8:9]
	s_cbranch_execz .LBB171_406
; %bb.373:                              ;   in Loop: Header=BB171_12 Depth=1
	ds_read_b64 v[2:3], v15 offset:5120
	s_waitcnt lgkmcnt(0)
	s_barrier
	v_readfirstlane_b32 s2, v2
	v_readfirstlane_b32 s3, v3
	s_mov_b64 s[4:5], exec
	v_readlane_b32 s6, v46, 30
	v_readlane_b32 s7, v46, 31
	s_and_b64 s[6:7], s[4:5], s[6:7]
	s_mov_b64 exec, s[6:7]
	s_cbranch_execz .LBB171_375
; %bb.374:                              ;   in Loop: Header=BB171_12 Depth=1
	ds_write_b16 v29, v15
.LBB171_375:                            ;   in Loop: Header=BB171_12 Depth=1
	s_or_b64 exec, exec, s[4:5]
	v_and_b32_e32 v2, s48, v35
	v_lshl_or_b32 v35, 1, s49, v2
	v_or_b32_e32 v34, s84, v34
	s_cmp_eq_u64 s[2:3], 0
	s_waitcnt lgkmcnt(0)
	s_barrier
	s_cbranch_scc1 .LBB171_389
; %bb.376:                              ;   in Loop: Header=BB171_12 Depth=1
	v_readlane_b32 s4, v46, 34
	s_add_u32 s10, s4, s2
	v_readlane_b32 s4, v46, 36
	s_addc_u32 s5, s4, s3
	s_mov_b32 s4, s85
	s_cmp_lg_u64 s[4:5], 0
	s_cbranch_scc0 .LBB171_424
; %bb.377:                              ;   in Loop: Header=BB171_12 Depth=1
	v_cvt_f32_u32_e32 v2, s87
	s_sub_u32 s4, 0, s87
	s_subb_u32 s6, 0, 0
	v_mac_f32_e32 v2, 0, v32
	v_rcp_f32_e32 v2, v2
	v_mul_f32_e32 v2, 0x5f7ffffc, v2
	v_mul_f32_e32 v3, 0x2f800000, v2
	v_trunc_f32_e32 v3, v3
	v_mac_f32_e32 v2, 0xcf800000, v3
	v_cvt_u32_f32_e32 v3, v3
	v_cvt_u32_f32_e32 v2, v2
	v_readfirstlane_b32 s7, v3
	v_readfirstlane_b32 s11, v2
	s_mul_i32 s12, s4, s7
	s_mul_hi_u32 s46, s4, s11
	s_mul_i32 s13, s6, s11
	s_add_i32 s12, s46, s12
	s_mul_i32 s47, s4, s11
	s_add_i32 s12, s12, s13
	s_mul_hi_u32 s46, s11, s47
	s_mul_hi_u32 s13, s11, s12
	s_mul_i32 s11, s11, s12
	s_add_u32 s11, s46, s11
	s_addc_u32 s13, 0, s13
	s_mul_hi_u32 s52, s7, s47
	s_mul_i32 s47, s7, s47
	s_add_u32 s11, s11, s47
	s_mul_hi_u32 s46, s7, s12
	s_addc_u32 s11, s13, s52
	s_addc_u32 s13, s46, 0
	s_mul_i32 s12, s7, s12
	s_add_u32 s11, s11, s12
	s_addc_u32 s12, 0, s13
	v_add_co_u32_e32 v2, vcc, s11, v2
	s_cmp_lg_u64 vcc, 0
	s_addc_u32 s7, s7, s12
	v_readfirstlane_b32 s12, v2
	s_mul_i32 s11, s4, s7
	s_mul_hi_u32 s13, s4, s12
	s_add_i32 s11, s13, s11
	s_mul_i32 s6, s6, s12
	s_add_i32 s11, s11, s6
	s_mul_i32 s4, s4, s12
	s_mul_hi_u32 s13, s7, s4
	s_mul_i32 s46, s7, s4
	s_mul_i32 s52, s12, s11
	s_mul_hi_u32 s4, s12, s4
	s_mul_hi_u32 s47, s12, s11
	s_add_u32 s4, s4, s52
	s_addc_u32 s12, 0, s47
	s_add_u32 s4, s4, s46
	s_mul_hi_u32 s6, s7, s11
	s_addc_u32 s4, s12, s13
	s_addc_u32 s6, s6, 0
	s_mul_i32 s11, s7, s11
	s_add_u32 s4, s4, s11
	s_addc_u32 s6, 0, s6
	v_add_co_u32_e32 v2, vcc, s4, v2
	s_cmp_lg_u64 vcc, 0
	s_addc_u32 s4, s7, s6
	v_readfirstlane_b32 s11, v2
	s_mul_i32 s7, s10, s4
	s_mul_hi_u32 s12, s10, s11
	s_mul_hi_u32 s6, s10, s4
	s_add_u32 s7, s12, s7
	s_addc_u32 s6, 0, s6
	s_mul_hi_u32 s13, s5, s11
	s_mul_i32 s11, s5, s11
	s_add_u32 s7, s7, s11
	s_mul_hi_u32 s12, s5, s4
	s_addc_u32 s6, s6, s13
	s_addc_u32 s7, s12, 0
	s_mul_i32 s4, s5, s4
	s_add_u32 s4, s6, s4
	s_addc_u32 s6, 0, s7
	s_mul_hi_u32 s7, s87, s4
	s_mul_i32 s4, s87, s4
	s_mul_i32 s6, s87, s6
	v_mov_b32_e32 v2, s4
	s_add_i32 s7, s7, s6
	v_sub_co_u32_e32 v2, vcc, s10, v2
	s_cmp_lg_u64 vcc, 0
	s_subb_u32 s4, s5, s7
	v_subrev_co_u32_e32 v3, vcc, s87, v2
	s_cmp_lg_u64 vcc, 0
	s_subb_u32 s6, s4, 0
	v_subrev_co_u32_e32 v6, vcc, s87, v3
	s_cmp_lg_u64 vcc, 0
	s_subb_u32 s7, s6, 0
	v_cmp_le_u32_e32 vcc, s87, v3
	s_cmp_eq_u32 s6, 0
	v_cndmask_b32_e64 v7, 0, -1, vcc
	s_cselect_b64 vcc, -1, 0
	v_cndmask_b32_e32 v7, -1, v7, vcc
	v_mov_b32_e32 v8, s6
	v_mov_b32_e32 v9, s7
	v_cmp_ne_u32_e32 vcc, 0, v7
	v_cndmask_b32_e32 v7, v8, v9, vcc
	v_cndmask_b32_e32 v6, v3, v6, vcc
	v_cmp_le_u32_e32 vcc, s87, v2
	s_cmp_eq_u32 s4, 0
	v_cndmask_b32_e64 v3, 0, -1, vcc
	s_cselect_b64 vcc, -1, 0
	v_cndmask_b32_e32 v3, -1, v3, vcc
	v_mov_b32_e32 v8, s4
	v_cmp_ne_u32_e32 vcc, 0, v3
	v_cndmask_b32_e32 v3, v8, v7, vcc
	v_cndmask_b32_e32 v2, v2, v6, vcc
	s_cbranch_execnz .LBB171_379
.LBB171_378:                            ;   in Loop: Header=BB171_12 Depth=1
	v_cvt_f32_u32_e32 v2, s87
	s_sub_i32 s4, 0, s87
	v_rcp_iflag_f32_e32 v2, v2
	v_mul_f32_e32 v2, 0x4f7ffffe, v2
	v_cvt_u32_f32_e32 v2, v2
	v_mul_lo_u32 v3, s4, v2
	v_mul_hi_u32 v3, v2, v3
	v_add_u32_e32 v2, v2, v3
	v_mul_hi_u32 v2, s10, v2
	v_mul_lo_u32 v2, v2, s87
	v_sub_u32_e32 v2, s10, v2
	v_subrev_u32_e32 v3, s87, v2
	v_cmp_le_u32_e32 vcc, s87, v2
	v_cndmask_b32_e32 v2, v2, v3, vcc
	v_subrev_u32_e32 v3, s87, v2
	v_cmp_le_u32_e32 vcc, s87, v2
	v_cndmask_b32_e32 v14, v2, v3, vcc
	v_pk_mov_b32 v[2:3], v[14:15], v[14:15] op_sel:[0,1]
.LBB171_379:                            ;   in Loop: Header=BB171_12 Depth=1
	v_mov_b32_e32 v6, s5
	v_sub_co_u32_e32 v2, vcc, s10, v2
	v_subb_co_u32_e32 v3, vcc, v6, v3, vcc
	v_cmp_gt_u64_e32 vcc, v[2:3], v[0:1]
	s_mov_b64 s[4:5], 0
                                        ; implicit-def: $vgpr36
	s_and_saveexec_b64 s[10:11], vcc
	s_cbranch_execz .LBB171_391
; %bb.380:                              ;   in Loop: Header=BB171_12 Depth=1
	v_mov_b32_e32 v8, v28
	v_pk_mov_b32 v[6:7], v[0:1], v[0:1] op_sel:[0,1]
                                        ; implicit-def: $sgpr12_sgpr13
	s_branch .LBB171_382
.LBB171_381:                            ;   in Loop: Header=BB171_382 Depth=2
	s_or_b64 exec, exec, s[6:7]
	s_waitcnt lgkmcnt(0)
	s_barrier
	ds_read_b32 v9, v15 offset:3072
	v_mov_b32_e32 v14, s88
	v_add_co_u32_e64 v6, s[6:7], s87, v6
	v_addc_co_u32_e64 v7, s[6:7], v7, v14, s[6:7]
	s_waitcnt lgkmcnt(0)
	v_cmp_ne_u16_e32 vcc, 0, v9
	v_cmp_ge_u64_e64 s[6:7], v[6:7], v[2:3]
	s_or_b64 s[6:7], s[6:7], vcc
	s_and_b64 s[6:7], exec, s[6:7]
	s_or_b64 s[4:5], s[6:7], s[4:5]
	s_andn2_b64 s[6:7], s[12:13], exec
	s_and_b64 s[12:13], vcc, exec
	v_add_u32_e32 v8, s95, v8
	s_or_b64 s[12:13], s[6:7], s[12:13]
	s_barrier
	s_andn2_b64 exec, exec, s[4:5]
	s_cbranch_execz .LBB171_390
.LBB171_382:                            ;   Parent Loop BB171_12 Depth=1
                                        ; =>  This Inner Loop Header: Depth=2
	v_cmp_gt_u64_e32 vcc, s[2:3], v[6:7]
	v_mov_b32_e32 v9, 0
	s_and_saveexec_b64 s[6:7], vcc
	s_cbranch_execz .LBB171_384
; %bb.383:                              ;   in Loop: Header=BB171_382 Depth=2
	ds_read_u16 v9, v8
.LBB171_384:                            ;   in Loop: Header=BB171_382 Depth=2
	s_or_b64 exec, exec, s[6:7]
	s_and_saveexec_b64 s[6:7], vcc
	s_cbranch_execz .LBB171_381
; %bb.385:                              ;   in Loop: Header=BB171_382 Depth=2
	s_waitcnt lgkmcnt(0)
	v_add_u32_sdwa v14, sext(v9), s89 dst_sel:DWORD dst_unused:UNUSED_PAD src0_sel:WORD_0 src1_sel:DWORD
	v_and_b32_e32 v14, v14, v34
	v_cmp_eq_u32_e32 vcc, v14, v35
	s_and_b64 exec, exec, vcc
	s_cbranch_execz .LBB171_381
; %bb.386:                              ;   in Loop: Header=BB171_382 Depth=2
	v_perm_b32 v9, v9, 1, v33
	ds_write_b32 v15, v9 offset:3072
	s_branch .LBB171_381
.LBB171_387:                            ;   in Loop: Header=BB171_12 Depth=1
                                        ; implicit-def: $vgpr4_vgpr5
	s_branch .LBB171_332
.LBB171_388:                            ;   in Loop: Header=BB171_12 Depth=1
                                        ; implicit-def: $vgpr4_vgpr5
	s_branch .LBB171_348
.LBB171_389:                            ;   in Loop: Header=BB171_12 Depth=1
	s_mov_b64 s[2:3], -1
	s_mov_b64 s[4:5], 0
                                        ; implicit-def: $sgpr46_sgpr47
                                        ; implicit-def: $vgpr36
	s_mov_b64 s[56:57], s[2:3]
	s_cbranch_execnz .LBB171_392
	s_branch .LBB171_405
.LBB171_390:                            ;   in Loop: Header=BB171_12 Depth=1
	s_or_b64 exec, exec, s[4:5]
	v_lshrrev_b32_e32 v36, 16, v9
	s_and_b64 s[4:5], s[12:13], exec
.LBB171_391:                            ;   in Loop: Header=BB171_12 Depth=1
	s_or_b64 exec, exec, s[10:11]
	s_mov_b64 s[2:3], 0
	s_mov_b64 s[46:47], -1
	s_mov_b64 s[56:57], s[2:3]
	s_branch .LBB171_405
.LBB171_392:                            ;   in Loop: Header=BB171_12 Depth=1
	v_readlane_b32 s12, v46, 37
	v_readlane_b32 s13, v46, 38
	s_mov_b32 s12, s85
	s_cmp_lg_u64 s[12:13], 0
	v_writelane_b32 v46, s12, 37
	v_writelane_b32 v46, s13, 38
	s_cbranch_scc0 .LBB171_425
; %bb.393:                              ;   in Loop: Header=BB171_12 Depth=1
	v_cvt_f32_u32_e32 v2, s87
	s_sub_u32 s2, 0, s87
	s_subb_u32 s3, 0, 0
	v_mac_f32_e32 v2, 0, v32
	v_rcp_f32_e32 v2, v2
	v_mul_f32_e32 v2, 0x5f7ffffc, v2
	v_mul_f32_e32 v3, 0x2f800000, v2
	v_trunc_f32_e32 v3, v3
	v_mac_f32_e32 v2, 0xcf800000, v3
	v_cvt_u32_f32_e32 v3, v3
	v_cvt_u32_f32_e32 v2, v2
	v_readfirstlane_b32 s4, v3
	v_readfirstlane_b32 s5, v2
	s_mul_i32 s6, s2, s4
	s_mul_hi_u32 s10, s2, s5
	s_mul_i32 s7, s3, s5
	s_add_i32 s6, s10, s6
	s_mul_i32 s11, s2, s5
	s_add_i32 s6, s6, s7
	s_mul_hi_u32 s10, s5, s11
	s_mul_hi_u32 s7, s5, s6
	s_mul_i32 s5, s5, s6
	s_add_u32 s5, s10, s5
	s_addc_u32 s7, 0, s7
	s_mul_hi_u32 s12, s4, s11
	s_mul_i32 s11, s4, s11
	s_add_u32 s5, s5, s11
	s_mul_hi_u32 s10, s4, s6
	s_addc_u32 s5, s7, s12
	s_addc_u32 s7, s10, 0
	s_mul_i32 s6, s4, s6
	s_add_u32 s5, s5, s6
	s_addc_u32 s6, 0, s7
	v_add_co_u32_e32 v2, vcc, s5, v2
	s_cmp_lg_u64 vcc, 0
	s_addc_u32 s4, s4, s6
	v_readfirstlane_b32 s6, v2
	s_mul_i32 s5, s2, s4
	s_mul_hi_u32 s7, s2, s6
	s_add_i32 s5, s7, s5
	s_mul_i32 s3, s3, s6
	s_add_i32 s5, s5, s3
	s_mul_i32 s2, s2, s6
	s_mul_hi_u32 s7, s4, s2
	s_mul_i32 s10, s4, s2
	s_mul_i32 s12, s6, s5
	s_mul_hi_u32 s2, s6, s2
	s_mul_hi_u32 s11, s6, s5
	s_add_u32 s2, s2, s12
	s_addc_u32 s6, 0, s11
	s_add_u32 s2, s2, s10
	s_mul_hi_u32 s3, s4, s5
	s_addc_u32 s2, s6, s7
	s_addc_u32 s3, s3, 0
	s_mul_i32 s5, s4, s5
	s_add_u32 s2, s2, s5
	s_addc_u32 s3, 0, s3
	v_add_co_u32_e32 v2, vcc, s2, v2
	s_cmp_lg_u64 vcc, 0
	s_addc_u32 s2, s4, s3
	v_readlane_b32 s10, v46, 35
	v_readfirstlane_b32 s5, v2
	s_mul_i32 s4, s10, s2
	s_mul_hi_u32 s6, s10, s5
	s_mul_hi_u32 s3, s10, s2
	s_add_u32 s4, s6, s4
	s_addc_u32 s3, 0, s3
	s_mul_hi_u32 s7, s13, s5
	s_mul_i32 s5, s13, s5
	s_add_u32 s4, s4, s5
	s_mul_hi_u32 s6, s13, s2
	s_addc_u32 s3, s3, s7
	s_addc_u32 s4, s6, 0
	s_mul_i32 s2, s13, s2
	s_add_u32 s2, s3, s2
	s_addc_u32 s3, 0, s4
	s_mul_hi_u32 s4, s87, s2
	s_mul_i32 s2, s87, s2
	s_mul_i32 s3, s87, s3
	v_mov_b32_e32 v2, s2
	s_add_i32 s4, s4, s3
	v_sub_co_u32_e32 v2, vcc, s10, v2
	s_cmp_lg_u64 vcc, 0
	s_subb_u32 s2, s13, s4
	v_subrev_co_u32_e32 v3, vcc, s87, v2
	s_cmp_lg_u64 vcc, 0
	s_subb_u32 s3, s2, 0
	v_subrev_co_u32_e32 v6, vcc, s87, v3
	s_cmp_lg_u64 vcc, 0
	s_subb_u32 s4, s3, 0
	v_cmp_le_u32_e32 vcc, s87, v3
	s_cmp_eq_u32 s3, 0
	v_cndmask_b32_e64 v7, 0, -1, vcc
	s_cselect_b64 vcc, -1, 0
	v_cndmask_b32_e32 v7, -1, v7, vcc
	v_mov_b32_e32 v8, s3
	v_mov_b32_e32 v9, s4
	v_cmp_ne_u32_e32 vcc, 0, v7
	v_cndmask_b32_e32 v7, v8, v9, vcc
	v_cndmask_b32_e32 v6, v3, v6, vcc
	v_cmp_le_u32_e32 vcc, s87, v2
	s_cmp_eq_u32 s2, 0
	v_cndmask_b32_e64 v3, 0, -1, vcc
	s_cselect_b64 vcc, -1, 0
	v_cndmask_b32_e32 v3, -1, v3, vcc
	v_mov_b32_e32 v8, s2
	v_cmp_ne_u32_e32 vcc, 0, v3
	v_cndmask_b32_e32 v3, v8, v7, vcc
	v_cndmask_b32_e32 v2, v2, v6, vcc
	s_cbranch_execnz .LBB171_395
.LBB171_394:                            ;   in Loop: Header=BB171_12 Depth=1
	v_cvt_f32_u32_e32 v2, s87
	s_sub_i32 s2, 0, s87
	v_rcp_iflag_f32_e32 v2, v2
	v_mul_f32_e32 v2, 0x4f7ffffe, v2
	v_cvt_u32_f32_e32 v2, v2
	v_mul_lo_u32 v3, s2, v2
	v_mul_hi_u32 v3, v2, v3
	v_add_u32_e32 v2, v2, v3
	v_readlane_b32 s2, v46, 35
	v_mul_hi_u32 v2, s2, v2
	v_mul_lo_u32 v2, v2, s87
	v_sub_u32_e32 v2, s2, v2
	v_subrev_u32_e32 v3, s87, v2
	v_cmp_le_u32_e32 vcc, s87, v2
	v_cndmask_b32_e32 v2, v2, v3, vcc
	v_subrev_u32_e32 v3, s87, v2
	v_cmp_le_u32_e32 vcc, s87, v2
	v_cndmask_b32_e32 v14, v2, v3, vcc
	v_pk_mov_b32 v[2:3], v[14:15], v[14:15] op_sel:[0,1]
.LBB171_395:                            ;   in Loop: Header=BB171_12 Depth=1
	v_readlane_b32 s2, v46, 37
	v_readlane_b32 s3, v46, 38
	;; [unrolled: 1-line block ×3, first 2 shown]
	v_mov_b32_e32 v6, s3
	v_sub_co_u32_e32 v2, vcc, s2, v2
	v_subb_co_u32_e32 v3, vcc, v6, v3, vcc
	v_cmp_gt_u64_e32 vcc, v[2:3], v[0:1]
	s_mov_b64 s[4:5], 0
                                        ; implicit-def: $vgpr36
	s_and_saveexec_b64 s[2:3], vcc
	s_cbranch_execz .LBB171_404
; %bb.396:                              ;   in Loop: Header=BB171_12 Depth=1
	v_pk_mov_b32 v[6:7], v[0:1], v[0:1] op_sel:[0,1]
                                        ; implicit-def: $sgpr10_sgpr11
	s_branch .LBB171_398
.LBB171_397:                            ;   in Loop: Header=BB171_398 Depth=2
	s_or_b64 exec, exec, s[6:7]
	s_waitcnt lgkmcnt(0)
	s_barrier
	s_waitcnt vmcnt(0)
	ds_read_b32 v8, v15 offset:3072
	v_mov_b32_e32 v9, s88
	v_add_co_u32_e64 v6, s[6:7], s87, v6
	v_addc_co_u32_e64 v7, s[6:7], v7, v9, s[6:7]
	s_waitcnt lgkmcnt(0)
	v_cmp_ne_u16_e32 vcc, 0, v8
	v_cmp_ge_u64_e64 s[6:7], v[6:7], v[2:3]
	s_or_b64 s[6:7], s[6:7], vcc
	s_and_b64 s[6:7], exec, s[6:7]
	s_or_b64 s[4:5], s[6:7], s[4:5]
	s_andn2_b64 s[6:7], s[10:11], exec
	s_and_b64 s[10:11], vcc, exec
	s_or_b64 s[10:11], s[6:7], s[10:11]
	s_barrier
	s_andn2_b64 exec, exec, s[4:5]
	s_cbranch_execz .LBB171_403
.LBB171_398:                            ;   Parent Loop BB171_12 Depth=1
                                        ; =>  This Inner Loop Header: Depth=2
	v_cmp_gt_u64_e32 vcc, s[60:61], v[6:7]
	v_mov_b32_e32 v8, 0
	s_and_saveexec_b64 s[12:13], vcc
	s_cbranch_execz .LBB171_400
; %bb.399:                              ;   in Loop: Header=BB171_398 Depth=2
	v_mul_lo_u32 v14, v7, s58
	v_mul_lo_u32 v18, v6, s59
	v_mad_u64_u32 v[8:9], s[6:7], v6, s58, 0
	v_add3_u32 v9, v9, v18, v14
	v_lshlrev_b64 v[8:9], 1, v[8:9]
	v_mov_b32_e32 v14, s86
	v_add_co_u32_e64 v8, s[6:7], s33, v8
	v_addc_co_u32_e64 v9, s[6:7], v14, v9, s[6:7]
	global_load_ushort v8, v[8:9], off
.LBB171_400:                            ;   in Loop: Header=BB171_398 Depth=2
	s_or_b64 exec, exec, s[12:13]
	s_and_saveexec_b64 s[6:7], vcc
	s_cbranch_execz .LBB171_397
; %bb.401:                              ;   in Loop: Header=BB171_398 Depth=2
	s_waitcnt vmcnt(0)
	v_add_u32_sdwa v9, sext(v8), s89 dst_sel:DWORD dst_unused:UNUSED_PAD src0_sel:WORD_0 src1_sel:DWORD
	v_and_b32_e32 v9, v9, v34
	v_cmp_eq_u32_e32 vcc, v9, v35
	s_and_b64 exec, exec, vcc
	s_cbranch_execz .LBB171_397
; %bb.402:                              ;   in Loop: Header=BB171_398 Depth=2
	v_perm_b32 v8, v8, 1, v33
	ds_write_b32 v15, v8 offset:3072
	s_branch .LBB171_397
.LBB171_403:                            ;   in Loop: Header=BB171_12 Depth=1
	s_or_b64 exec, exec, s[4:5]
	v_lshrrev_b32_e32 v36, 16, v8
	s_and_b64 s[4:5], s[10:11], exec
.LBB171_404:                            ;   in Loop: Header=BB171_12 Depth=1
	s_or_b64 exec, exec, s[2:3]
	s_mov_b64 s[46:47], 0
	s_mov_b64 s[2:3], -1
	s_mov_b64 s[56:57], 0
.LBB171_405:                            ;   in Loop: Header=BB171_12 Depth=1
	s_orn2_b64 s[4:5], s[4:5], exec
.LBB171_406:                            ;   in Loop: Header=BB171_12 Depth=1
	s_or_b64 exec, exec, s[50:51]
	s_mov_b64 s[6:7], 0
                                        ; implicit-def: $vgpr6
	s_and_saveexec_b64 s[50:51], s[4:5]
	s_cbranch_execz .LBB171_471
; %bb.407:                              ;   in Loop: Header=BB171_12 Depth=1
	v_mov_b32_e32 v2, 1
	s_xor_b64 s[6:7], s[8:9], -1
	s_mov_b64 s[12:13], 0
	v_mov_b32_e32 v3, 0
	v_mov_b32_e32 v6, 1
	s_and_saveexec_b64 s[4:5], s[6:7]
	s_cbranch_execz .LBB171_417
; %bb.408:                              ;   in Loop: Header=BB171_12 Depth=1
	v_cmp_ge_u64_e32 vcc, s[18:19], v[4:5]
                                        ; implicit-def: $sgpr10
                                        ; implicit-def: $sgpr6_sgpr7
	s_and_saveexec_b64 s[8:9], vcc
	s_xor_b64 s[8:9], exec, s[8:9]
	s_cbranch_execz .LBB171_414
; %bb.409:                              ;   in Loop: Header=BB171_12 Depth=1
	ds_read_b64 v[2:3], v15 offset:5120
	s_waitcnt lgkmcnt(0)
	v_cmp_ne_u64_e32 vcc, 0, v[2:3]
	s_cbranch_vccnz .LBB171_413
; %bb.410:                              ;   in Loop: Header=BB171_12 Depth=1
	s_mov_b64 s[6:7], exec
	v_readlane_b32 s10, v46, 12
	v_readlane_b32 s11, v46, 13
	s_and_b64 s[10:11], s[6:7], s[10:11]
	s_mov_b64 exec, s[10:11]
	s_cbranch_execz .LBB171_412
; %bb.411:                              ;   in Loop: Header=BB171_12 Depth=1
	v_pk_mov_b32 v[2:3], s[18:19], s[18:19] op_sel:[0,1]
	ds_write_b64 v15, v[2:3] offset:5128
.LBB171_412:                            ;   in Loop: Header=BB171_12 Depth=1
	s_or_b64 exec, exec, s[6:7]
	s_waitcnt lgkmcnt(0)
	s_barrier
.LBB171_413:                            ;   in Loop: Header=BB171_12 Depth=1
	v_and_b32_e32 v2, s48, v35
	v_lshl_or_b32 v35, 1, s49, v2
	v_or_b32_e32 v34, s84, v34
	s_mov_b64 s[6:7], 0
	s_mov_b32 s10, 5
.LBB171_414:                            ;   in Loop: Header=BB171_12 Depth=1
	s_or_saveexec_b64 s[8:9], s[8:9]
	v_mov_b32_e32 v6, s10
	s_xor_b64 exec, exec, s[8:9]
; %bb.415:                              ;   in Loop: Header=BB171_12 Depth=1
	v_mov_b32_e32 v2, s19
	v_subrev_co_u32_e32 v4, vcc, s18, v4
	v_subb_co_u32_e32 v5, vcc, v5, v2, vcc
	v_mov_b32_e32 v6, 0
	s_or_b64 s[6:7], s[6:7], exec
; %bb.416:                              ;   in Loop: Header=BB171_12 Depth=1
	s_or_b64 exec, exec, s[8:9]
	s_and_b64 s[12:13], s[6:7], exec
	v_pk_mov_b32 v[2:3], v[4:5], v[4:5] op_sel:[0,1]
.LBB171_417:                            ;   in Loop: Header=BB171_12 Depth=1
	s_or_b64 exec, exec, s[4:5]
	s_mov_b64 s[8:9], -1
                                        ; implicit-def: $sgpr4_sgpr5
                                        ; implicit-def: $sgpr6_sgpr7
                                        ; implicit-def: $sgpr10_sgpr11
	s_and_saveexec_b64 s[18:19], s[12:13]
	s_cbranch_execz .LBB171_470
; %bb.418:                              ;   in Loop: Header=BB171_12 Depth=1
	s_cmp_eq_u64 s[16:17], 1
	s_cselect_b64 s[4:5], -1, 0
	v_cmp_eq_u64_e32 vcc, 1, v[2:3]
	s_and_b64 s[8:9], s[4:5], vcc
	s_mov_b64 s[54:55], -1
                                        ; implicit-def: $sgpr4_sgpr5
                                        ; implicit-def: $sgpr6_sgpr7
                                        ; implicit-def: $sgpr10_sgpr11
	s_and_saveexec_b64 s[52:53], s[8:9]
	s_cbranch_execz .LBB171_457
; %bb.419:                              ;   in Loop: Header=BB171_12 Depth=1
	ds_read_b64 v[4:5], v15 offset:5120
	s_waitcnt lgkmcnt(0)
	s_barrier
	v_readfirstlane_b32 s4, v4
	v_readfirstlane_b32 s5, v5
	s_mov_b64 s[6:7], exec
	v_readlane_b32 s10, v46, 30
	v_readlane_b32 s11, v46, 31
	s_and_b64 s[10:11], s[6:7], s[10:11]
	s_mov_b64 exec, s[10:11]
	s_cbranch_execz .LBB171_421
; %bb.420:                              ;   in Loop: Header=BB171_12 Depth=1
	ds_write_b16 v29, v15
.LBB171_421:                            ;   in Loop: Header=BB171_12 Depth=1
	s_or_b64 exec, exec, s[6:7]
	v_and_b32_e32 v35, s48, v35
	v_or_b32_e32 v34, s84, v34
	s_cmp_eq_u64 s[4:5], 0
	s_waitcnt lgkmcnt(0)
	s_barrier
	s_cbranch_scc1 .LBB171_426
; %bb.422:                              ;   in Loop: Header=BB171_12 Depth=1
	v_readlane_b32 s6, v46, 34
	s_add_u32 s12, s6, s4
	v_readlane_b32 s6, v46, 36
	s_addc_u32 s7, s6, s5
	s_mov_b32 s6, s85
	s_cmp_lg_u64 s[6:7], 0
	s_cbranch_scc0 .LBB171_427
; %bb.423:                              ;   in Loop: Header=BB171_12 Depth=1
	v_cvt_f32_u32_e32 v4, s87
	s_sub_u32 s6, 0, s87
	s_subb_u32 s10, 0, 0
	v_mac_f32_e32 v4, 0, v32
	v_rcp_f32_e32 v4, v4
	v_mul_f32_e32 v4, 0x5f7ffffc, v4
	v_mul_f32_e32 v5, 0x2f800000, v4
	v_trunc_f32_e32 v5, v5
	v_mac_f32_e32 v4, 0xcf800000, v5
	v_cvt_u32_f32_e32 v5, v5
	v_cvt_u32_f32_e32 v4, v4
	v_readfirstlane_b32 s11, v5
	v_readfirstlane_b32 s13, v4
	s_mul_i32 s49, s6, s11
	s_mul_hi_u32 s55, s6, s13
	s_mul_i32 s54, s10, s13
	s_add_i32 s49, s55, s49
	s_mul_i32 s90, s6, s13
	s_add_i32 s49, s49, s54
	s_mul_hi_u32 s55, s13, s90
	s_mul_hi_u32 s54, s13, s49
	s_mul_i32 s13, s13, s49
	s_add_u32 s13, s55, s13
	s_addc_u32 s54, 0, s54
	s_mul_hi_u32 s91, s11, s90
	s_mul_i32 s90, s11, s90
	s_add_u32 s13, s13, s90
	s_mul_hi_u32 s55, s11, s49
	s_addc_u32 s13, s54, s91
	s_addc_u32 s54, s55, 0
	s_mul_i32 s49, s11, s49
	s_add_u32 s13, s13, s49
	s_addc_u32 s49, 0, s54
	v_add_co_u32_e32 v4, vcc, s13, v4
	s_cmp_lg_u64 vcc, 0
	s_addc_u32 s11, s11, s49
	v_readfirstlane_b32 s49, v4
	s_mul_i32 s13, s6, s11
	s_mul_hi_u32 s54, s6, s49
	s_add_i32 s13, s54, s13
	s_mul_i32 s10, s10, s49
	s_add_i32 s13, s13, s10
	s_mul_i32 s6, s6, s49
	s_mul_hi_u32 s54, s11, s6
	s_mul_i32 s55, s11, s6
	s_mul_i32 s91, s49, s13
	s_mul_hi_u32 s6, s49, s6
	s_mul_hi_u32 s90, s49, s13
	s_add_u32 s6, s6, s91
	s_addc_u32 s49, 0, s90
	s_add_u32 s6, s6, s55
	s_mul_hi_u32 s10, s11, s13
	s_addc_u32 s6, s49, s54
	s_addc_u32 s10, s10, 0
	s_mul_i32 s13, s11, s13
	s_add_u32 s6, s6, s13
	s_addc_u32 s10, 0, s10
	v_add_co_u32_e32 v4, vcc, s6, v4
	s_cmp_lg_u64 vcc, 0
	s_addc_u32 s6, s11, s10
	v_readfirstlane_b32 s13, v4
	s_mul_i32 s11, s12, s6
	s_mul_hi_u32 s49, s12, s13
	s_mul_hi_u32 s10, s12, s6
	s_add_u32 s11, s49, s11
	s_addc_u32 s10, 0, s10
	s_mul_hi_u32 s54, s7, s13
	s_mul_i32 s13, s7, s13
	s_add_u32 s11, s11, s13
	s_mul_hi_u32 s49, s7, s6
	s_addc_u32 s10, s10, s54
	s_addc_u32 s11, s49, 0
	s_mul_i32 s6, s7, s6
	s_add_u32 s6, s10, s6
	s_addc_u32 s10, 0, s11
	s_mul_hi_u32 s11, s87, s6
	s_mul_i32 s6, s87, s6
	s_mul_i32 s10, s87, s10
	v_mov_b32_e32 v4, s6
	s_add_i32 s11, s11, s10
	v_sub_co_u32_e32 v4, vcc, s12, v4
	s_cmp_lg_u64 vcc, 0
	s_subb_u32 s6, s7, s11
	v_subrev_co_u32_e32 v5, vcc, s87, v4
	s_cmp_lg_u64 vcc, 0
	s_subb_u32 s10, s6, 0
	v_subrev_co_u32_e32 v6, vcc, s87, v5
	s_cmp_lg_u64 vcc, 0
	s_subb_u32 s11, s10, 0
	v_cmp_le_u32_e32 vcc, s87, v5
	s_cmp_eq_u32 s10, 0
	v_cndmask_b32_e64 v7, 0, -1, vcc
	s_cselect_b64 vcc, -1, 0
	v_cndmask_b32_e32 v7, -1, v7, vcc
	v_mov_b32_e32 v8, s10
	v_mov_b32_e32 v9, s11
	v_cmp_ne_u32_e32 vcc, 0, v7
	v_cndmask_b32_e32 v7, v8, v9, vcc
	v_cndmask_b32_e32 v6, v5, v6, vcc
	v_cmp_le_u32_e32 vcc, s87, v4
	s_cmp_eq_u32 s6, 0
	v_cndmask_b32_e64 v5, 0, -1, vcc
	s_cselect_b64 vcc, -1, 0
	v_cndmask_b32_e32 v5, -1, v5, vcc
	v_mov_b32_e32 v8, s6
	v_cmp_ne_u32_e32 vcc, 0, v5
	v_cndmask_b32_e32 v5, v8, v7, vcc
	v_cndmask_b32_e32 v4, v4, v6, vcc
	s_mov_b64 s[10:11], 0
	s_branch .LBB171_428
.LBB171_424:                            ;   in Loop: Header=BB171_12 Depth=1
                                        ; implicit-def: $vgpr2_vgpr3
	s_branch .LBB171_378
.LBB171_425:                            ;   in Loop: Header=BB171_12 Depth=1
                                        ; implicit-def: $vgpr2_vgpr3
	s_branch .LBB171_394
.LBB171_426:                            ;   in Loop: Header=BB171_12 Depth=1
	s_mov_b64 s[4:5], -1
	s_mov_b64 s[12:13], 0
                                        ; implicit-def: $sgpr6_sgpr7
                                        ; implicit-def: $vgpr36
	s_branch .LBB171_440
.LBB171_427:                            ;   in Loop: Header=BB171_12 Depth=1
	s_mov_b64 s[10:11], -1
                                        ; implicit-def: $vgpr4_vgpr5
.LBB171_428:                            ;   in Loop: Header=BB171_12 Depth=1
	s_andn2_b64 vcc, exec, s[10:11]
	s_cbranch_vccnz .LBB171_430
; %bb.429:                              ;   in Loop: Header=BB171_12 Depth=1
	v_cvt_f32_u32_e32 v4, s87
	s_sub_i32 s6, 0, s87
	v_rcp_iflag_f32_e32 v4, v4
	v_mul_f32_e32 v4, 0x4f7ffffe, v4
	v_cvt_u32_f32_e32 v4, v4
	v_mul_lo_u32 v5, s6, v4
	v_mul_hi_u32 v5, v4, v5
	v_add_u32_e32 v4, v4, v5
	v_mul_hi_u32 v4, s12, v4
	v_mul_lo_u32 v4, v4, s87
	v_sub_u32_e32 v4, s12, v4
	v_subrev_u32_e32 v5, s87, v4
	v_cmp_le_u32_e32 vcc, s87, v4
	v_cndmask_b32_e32 v4, v4, v5, vcc
	v_subrev_u32_e32 v5, s87, v4
	v_cmp_le_u32_e32 vcc, s87, v4
	v_cndmask_b32_e32 v14, v4, v5, vcc
	v_pk_mov_b32 v[4:5], v[14:15], v[14:15] op_sel:[0,1]
.LBB171_430:                            ;   in Loop: Header=BB171_12 Depth=1
	v_mov_b32_e32 v6, s7
	v_sub_co_u32_e32 v4, vcc, s12, v4
	v_subb_co_u32_e32 v5, vcc, v6, v5, vcc
	v_cmp_gt_u64_e32 vcc, v[4:5], v[0:1]
	s_mov_b64 s[12:13], 0
                                        ; implicit-def: $vgpr36
	s_and_saveexec_b64 s[10:11], vcc
	s_cbranch_execz .LBB171_439
; %bb.431:                              ;   in Loop: Header=BB171_12 Depth=1
	v_mov_b32_e32 v8, v28
	v_pk_mov_b32 v[6:7], v[0:1], v[0:1] op_sel:[0,1]
                                        ; implicit-def: $sgpr54_sgpr55
	s_branch .LBB171_433
.LBB171_432:                            ;   in Loop: Header=BB171_433 Depth=2
	s_or_b64 exec, exec, s[6:7]
	s_waitcnt lgkmcnt(0)
	s_barrier
	ds_read_b32 v9, v15 offset:3072
	v_mov_b32_e32 v14, s88
	v_add_co_u32_e64 v6, s[6:7], s87, v6
	v_addc_co_u32_e64 v7, s[6:7], v7, v14, s[6:7]
	s_waitcnt lgkmcnt(0)
	v_cmp_ne_u16_e32 vcc, 0, v9
	v_cmp_ge_u64_e64 s[6:7], v[6:7], v[4:5]
	s_or_b64 s[6:7], s[6:7], vcc
	s_and_b64 s[6:7], exec, s[6:7]
	s_or_b64 s[12:13], s[6:7], s[12:13]
	s_andn2_b64 s[6:7], s[54:55], exec
	s_and_b64 s[54:55], vcc, exec
	v_add_u32_e32 v8, s95, v8
	s_or_b64 s[54:55], s[6:7], s[54:55]
	s_barrier
	s_andn2_b64 exec, exec, s[12:13]
	s_cbranch_execz .LBB171_438
.LBB171_433:                            ;   Parent Loop BB171_12 Depth=1
                                        ; =>  This Inner Loop Header: Depth=2
	v_cmp_gt_u64_e32 vcc, s[4:5], v[6:7]
	v_mov_b32_e32 v9, 0
	s_and_saveexec_b64 s[6:7], vcc
	s_cbranch_execz .LBB171_435
; %bb.434:                              ;   in Loop: Header=BB171_433 Depth=2
	ds_read_u16 v9, v8
.LBB171_435:                            ;   in Loop: Header=BB171_433 Depth=2
	s_or_b64 exec, exec, s[6:7]
	s_and_saveexec_b64 s[6:7], vcc
	s_cbranch_execz .LBB171_432
; %bb.436:                              ;   in Loop: Header=BB171_433 Depth=2
	s_waitcnt lgkmcnt(0)
	v_add_u32_sdwa v14, sext(v9), s89 dst_sel:DWORD dst_unused:UNUSED_PAD src0_sel:WORD_0 src1_sel:DWORD
	v_and_b32_e32 v14, v14, v34
	v_cmp_eq_u32_e32 vcc, v14, v35
	s_and_b64 exec, exec, vcc
	s_cbranch_execz .LBB171_432
; %bb.437:                              ;   in Loop: Header=BB171_433 Depth=2
	v_perm_b32 v9, v9, 1, v33
	ds_write_b32 v15, v9 offset:3072
	s_branch .LBB171_432
.LBB171_438:                            ;   in Loop: Header=BB171_12 Depth=1
	s_or_b64 exec, exec, s[12:13]
	v_lshrrev_b32_e32 v36, 16, v9
	s_and_b64 s[12:13], s[54:55], exec
.LBB171_439:                            ;   in Loop: Header=BB171_12 Depth=1
	s_or_b64 exec, exec, s[10:11]
	s_mov_b64 s[4:5], 0
	s_mov_b64 s[6:7], -1
.LBB171_440:                            ;   in Loop: Header=BB171_12 Depth=1
	s_and_b64 vcc, exec, s[4:5]
	s_mov_b64 s[10:11], s[4:5]
	s_cbranch_vccz .LBB171_456
; %bb.441:                              ;   in Loop: Header=BB171_12 Depth=1
	v_readlane_b32 s54, v46, 37
	v_readlane_b32 s55, v46, 38
	s_mov_b32 s54, s85
	s_cmp_lg_u64 s[54:55], 0
	v_writelane_b32 v46, s54, 37
	v_writelane_b32 v46, s55, 38
	s_cbranch_scc0 .LBB171_443
; %bb.442:                              ;   in Loop: Header=BB171_12 Depth=1
	v_cvt_f32_u32_e32 v4, s87
	s_sub_u32 s4, 0, s87
	s_subb_u32 s5, 0, 0
	v_mac_f32_e32 v4, 0, v32
	v_rcp_f32_e32 v4, v4
	v_mul_f32_e32 v4, 0x5f7ffffc, v4
	v_mul_f32_e32 v5, 0x2f800000, v4
	v_trunc_f32_e32 v5, v5
	v_mac_f32_e32 v4, 0xcf800000, v5
	v_cvt_u32_f32_e32 v5, v5
	v_cvt_u32_f32_e32 v4, v4
	v_readfirstlane_b32 s6, v5
	v_readfirstlane_b32 s7, v4
	s_mul_i32 s10, s4, s6
	s_mul_hi_u32 s12, s4, s7
	s_mul_i32 s11, s5, s7
	s_add_i32 s10, s12, s10
	s_mul_i32 s13, s4, s7
	s_add_i32 s10, s10, s11
	s_mul_hi_u32 s12, s7, s13
	s_mul_hi_u32 s11, s7, s10
	s_mul_i32 s7, s7, s10
	s_add_u32 s7, s12, s7
	s_addc_u32 s11, 0, s11
	s_mul_hi_u32 s49, s6, s13
	s_mul_i32 s13, s6, s13
	s_add_u32 s7, s7, s13
	s_mul_hi_u32 s12, s6, s10
	s_addc_u32 s7, s11, s49
	s_addc_u32 s11, s12, 0
	s_mul_i32 s10, s6, s10
	s_add_u32 s7, s7, s10
	s_addc_u32 s10, 0, s11
	v_add_co_u32_e32 v4, vcc, s7, v4
	s_cmp_lg_u64 vcc, 0
	s_addc_u32 s6, s6, s10
	v_readfirstlane_b32 s10, v4
	s_mul_i32 s7, s4, s6
	s_mul_hi_u32 s11, s4, s10
	s_add_i32 s7, s11, s7
	s_mul_i32 s5, s5, s10
	s_add_i32 s7, s7, s5
	s_mul_i32 s4, s4, s10
	s_mul_hi_u32 s11, s6, s4
	s_mul_i32 s12, s6, s4
	s_mul_i32 s49, s10, s7
	s_mul_hi_u32 s4, s10, s4
	s_mul_hi_u32 s13, s10, s7
	s_add_u32 s4, s4, s49
	s_addc_u32 s10, 0, s13
	s_add_u32 s4, s4, s12
	s_mul_hi_u32 s5, s6, s7
	s_addc_u32 s4, s10, s11
	s_addc_u32 s5, s5, 0
	s_mul_i32 s7, s6, s7
	s_add_u32 s4, s4, s7
	s_addc_u32 s5, 0, s5
	v_add_co_u32_e32 v4, vcc, s4, v4
	s_cmp_lg_u64 vcc, 0
	s_addc_u32 s4, s6, s5
	v_readlane_b32 s12, v46, 35
	v_readfirstlane_b32 s7, v4
	s_mul_i32 s6, s12, s4
	s_mul_hi_u32 s10, s12, s7
	s_mul_hi_u32 s5, s12, s4
	s_add_u32 s6, s10, s6
	s_addc_u32 s5, 0, s5
	s_mul_hi_u32 s11, s55, s7
	s_mul_i32 s7, s55, s7
	s_add_u32 s6, s6, s7
	s_mul_hi_u32 s10, s55, s4
	s_addc_u32 s5, s5, s11
	s_addc_u32 s6, s10, 0
	s_mul_i32 s4, s55, s4
	s_add_u32 s4, s5, s4
	s_addc_u32 s5, 0, s6
	s_mul_hi_u32 s6, s87, s4
	s_mul_i32 s4, s87, s4
	s_mul_i32 s5, s87, s5
	v_mov_b32_e32 v4, s4
	s_add_i32 s6, s6, s5
	v_sub_co_u32_e32 v4, vcc, s12, v4
	s_cmp_lg_u64 vcc, 0
	s_subb_u32 s4, s55, s6
	v_subrev_co_u32_e32 v5, vcc, s87, v4
	s_cmp_lg_u64 vcc, 0
	s_subb_u32 s5, s4, 0
	v_subrev_co_u32_e32 v6, vcc, s87, v5
	s_cmp_lg_u64 vcc, 0
	s_subb_u32 s6, s5, 0
	v_cmp_le_u32_e32 vcc, s87, v5
	s_cmp_eq_u32 s5, 0
	v_cndmask_b32_e64 v7, 0, -1, vcc
	s_cselect_b64 vcc, -1, 0
	v_cndmask_b32_e32 v7, -1, v7, vcc
	v_mov_b32_e32 v8, s5
	v_mov_b32_e32 v9, s6
	v_cmp_ne_u32_e32 vcc, 0, v7
	v_cndmask_b32_e32 v7, v8, v9, vcc
	v_cndmask_b32_e32 v6, v5, v6, vcc
	v_cmp_le_u32_e32 vcc, s87, v4
	s_cmp_eq_u32 s4, 0
	v_cndmask_b32_e64 v5, 0, -1, vcc
	s_cselect_b64 vcc, -1, 0
	v_cndmask_b32_e32 v5, -1, v5, vcc
	v_mov_b32_e32 v8, s4
	v_cmp_ne_u32_e32 vcc, 0, v5
	v_cndmask_b32_e32 v5, v8, v7, vcc
	v_cndmask_b32_e32 v4, v4, v6, vcc
	s_mov_b64 s[4:5], 0
	s_branch .LBB171_444
.LBB171_443:                            ;   in Loop: Header=BB171_12 Depth=1
	s_mov_b64 s[4:5], -1
                                        ; implicit-def: $vgpr4_vgpr5
.LBB171_444:                            ;   in Loop: Header=BB171_12 Depth=1
	s_andn2_b64 vcc, exec, s[4:5]
	s_cbranch_vccnz .LBB171_446
; %bb.445:                              ;   in Loop: Header=BB171_12 Depth=1
	v_cvt_f32_u32_e32 v4, s87
	s_sub_i32 s4, 0, s87
	v_rcp_iflag_f32_e32 v4, v4
	v_mul_f32_e32 v4, 0x4f7ffffe, v4
	v_cvt_u32_f32_e32 v4, v4
	v_mul_lo_u32 v5, s4, v4
	v_mul_hi_u32 v5, v4, v5
	v_add_u32_e32 v4, v4, v5
	v_readlane_b32 s4, v46, 35
	v_mul_hi_u32 v4, s4, v4
	v_mul_lo_u32 v4, v4, s87
	v_sub_u32_e32 v4, s4, v4
	v_subrev_u32_e32 v5, s87, v4
	v_cmp_le_u32_e32 vcc, s87, v4
	v_cndmask_b32_e32 v4, v4, v5, vcc
	v_subrev_u32_e32 v5, s87, v4
	v_cmp_le_u32_e32 vcc, s87, v4
	v_cndmask_b32_e32 v14, v4, v5, vcc
	v_pk_mov_b32 v[4:5], v[14:15], v[14:15] op_sel:[0,1]
.LBB171_446:                            ;   in Loop: Header=BB171_12 Depth=1
	v_readlane_b32 s4, v46, 37
	v_readlane_b32 s5, v46, 38
	;; [unrolled: 1-line block ×3, first 2 shown]
	v_mov_b32_e32 v6, s5
	v_sub_co_u32_e32 v4, vcc, s4, v4
	v_subb_co_u32_e32 v5, vcc, v6, v5, vcc
	v_cmp_gt_u64_e32 vcc, v[4:5], v[0:1]
	s_mov_b64 s[12:13], 0
                                        ; implicit-def: $vgpr36
	s_and_saveexec_b64 s[4:5], vcc
	s_cbranch_execz .LBB171_455
; %bb.447:                              ;   in Loop: Header=BB171_12 Depth=1
	s_mov_b64 s[10:11], 0
	v_pk_mov_b32 v[6:7], v[0:1], v[0:1] op_sel:[0,1]
                                        ; implicit-def: $sgpr12_sgpr13
	s_branch .LBB171_449
.LBB171_448:                            ;   in Loop: Header=BB171_449 Depth=2
	s_or_b64 exec, exec, s[6:7]
	s_waitcnt lgkmcnt(0)
	s_barrier
	s_waitcnt vmcnt(0)
	ds_read_b32 v8, v15 offset:3072
	v_mov_b32_e32 v9, s88
	v_add_co_u32_e64 v6, s[6:7], s87, v6
	v_addc_co_u32_e64 v7, s[6:7], v7, v9, s[6:7]
	s_waitcnt lgkmcnt(0)
	v_cmp_ne_u16_e32 vcc, 0, v8
	v_cmp_ge_u64_e64 s[6:7], v[6:7], v[4:5]
	s_or_b64 s[6:7], s[6:7], vcc
	s_and_b64 s[6:7], exec, s[6:7]
	s_or_b64 s[10:11], s[6:7], s[10:11]
	s_andn2_b64 s[6:7], s[12:13], exec
	s_and_b64 s[12:13], vcc, exec
	s_or_b64 s[12:13], s[6:7], s[12:13]
	s_barrier
	s_andn2_b64 exec, exec, s[10:11]
	s_cbranch_execz .LBB171_454
.LBB171_449:                            ;   Parent Loop BB171_12 Depth=1
                                        ; =>  This Inner Loop Header: Depth=2
	v_cmp_gt_u64_e32 vcc, s[60:61], v[6:7]
	v_mov_b32_e32 v8, 0
	s_and_saveexec_b64 s[54:55], vcc
	s_cbranch_execz .LBB171_451
; %bb.450:                              ;   in Loop: Header=BB171_449 Depth=2
	v_mul_lo_u32 v14, v7, s58
	v_mul_lo_u32 v18, v6, s59
	v_mad_u64_u32 v[8:9], s[6:7], v6, s58, 0
	v_add3_u32 v9, v9, v18, v14
	v_lshlrev_b64 v[8:9], 1, v[8:9]
	v_mov_b32_e32 v14, s86
	v_add_co_u32_e64 v8, s[6:7], s33, v8
	v_addc_co_u32_e64 v9, s[6:7], v14, v9, s[6:7]
	global_load_ushort v8, v[8:9], off
.LBB171_451:                            ;   in Loop: Header=BB171_449 Depth=2
	s_or_b64 exec, exec, s[54:55]
	s_and_saveexec_b64 s[6:7], vcc
	s_cbranch_execz .LBB171_448
; %bb.452:                              ;   in Loop: Header=BB171_449 Depth=2
	s_waitcnt vmcnt(0)
	v_add_u32_sdwa v9, sext(v8), s89 dst_sel:DWORD dst_unused:UNUSED_PAD src0_sel:WORD_0 src1_sel:DWORD
	v_and_b32_e32 v9, v9, v34
	v_cmp_eq_u32_e32 vcc, v9, v35
	s_and_b64 exec, exec, vcc
	s_cbranch_execz .LBB171_448
; %bb.453:                              ;   in Loop: Header=BB171_449 Depth=2
	v_perm_b32 v8, v8, 1, v33
	ds_write_b32 v15, v8 offset:3072
	s_branch .LBB171_448
.LBB171_454:                            ;   in Loop: Header=BB171_12 Depth=1
	s_or_b64 exec, exec, s[10:11]
	v_lshrrev_b32_e32 v36, 16, v8
	s_and_b64 s[12:13], s[12:13], exec
.LBB171_455:                            ;   in Loop: Header=BB171_12 Depth=1
	s_or_b64 exec, exec, s[4:5]
	s_mov_b64 s[6:7], 0
	s_mov_b64 s[4:5], -1
	s_mov_b64 s[10:11], 0
.LBB171_456:                            ;   in Loop: Header=BB171_12 Depth=1
	s_orn2_b64 s[54:55], s[12:13], exec
.LBB171_457:                            ;   in Loop: Header=BB171_12 Depth=1
	s_or_b64 exec, exec, s[52:53]
	s_mov_b64 s[52:53], 0
                                        ; implicit-def: $vgpr6
                                        ; implicit-def: $vgpr4_vgpr5
	s_and_saveexec_b64 s[12:13], s[54:55]
	s_cbranch_execz .LBB171_469
; %bb.458:                              ;   in Loop: Header=BB171_12 Depth=1
	v_mov_b32_e32 v4, 1
	s_xor_b64 s[52:53], s[8:9], -1
	v_mov_b32_e32 v6, 1
	v_mov_b32_e32 v5, 0
	s_and_saveexec_b64 s[8:9], s[52:53]
	s_cbranch_execz .LBB171_468
; %bb.459:                              ;   in Loop: Header=BB171_12 Depth=1
	v_cmp_ge_u64_e32 vcc, s[16:17], v[2:3]
                                        ; implicit-def: $sgpr49
	s_and_saveexec_b64 s[52:53], vcc
	s_xor_b64 s[52:53], exec, s[52:53]
	s_cbranch_execz .LBB171_465
; %bb.460:                              ;   in Loop: Header=BB171_12 Depth=1
	ds_read_b64 v[4:5], v15 offset:5120
	s_waitcnt lgkmcnt(0)
	v_cmp_ne_u64_e32 vcc, 0, v[4:5]
	s_cbranch_vccnz .LBB171_464
; %bb.461:                              ;   in Loop: Header=BB171_12 Depth=1
	s_mov_b64 s[54:55], exec
	v_readlane_b32 s90, v46, 12
	v_readlane_b32 s91, v46, 13
	s_and_b64 s[90:91], s[54:55], s[90:91]
	s_mov_b64 exec, s[90:91]
	s_cbranch_execz .LBB171_463
; %bb.462:                              ;   in Loop: Header=BB171_12 Depth=1
	v_pk_mov_b32 v[4:5], s[16:17], s[16:17] op_sel:[0,1]
	ds_write_b64 v15, v[4:5] offset:5128
.LBB171_463:                            ;   in Loop: Header=BB171_12 Depth=1
	s_or_b64 exec, exec, s[54:55]
	s_waitcnt lgkmcnt(0)
	s_barrier
.LBB171_464:                            ;   in Loop: Header=BB171_12 Depth=1
	v_and_b32_e32 v35, s48, v35
	v_or_b32_e32 v34, s84, v34
	s_mov_b32 s49, 5
.LBB171_465:                            ;   in Loop: Header=BB171_12 Depth=1
	s_or_saveexec_b64 s[52:53], s[52:53]
	v_mov_b32_e32 v6, s49
	s_xor_b64 exec, exec, s[52:53]
; %bb.466:                              ;   in Loop: Header=BB171_12 Depth=1
	v_mov_b32_e32 v4, s17
	v_subrev_co_u32_e32 v2, vcc, s16, v2
	v_subb_co_u32_e32 v3, vcc, v3, v4, vcc
	v_mov_b32_e32 v6, 5
; %bb.467:                              ;   in Loop: Header=BB171_12 Depth=1
	s_or_b64 exec, exec, s[52:53]
	v_pk_mov_b32 v[4:5], v[2:3], v[2:3] op_sel:[0,1]
.LBB171_468:                            ;   in Loop: Header=BB171_12 Depth=1
	s_or_b64 exec, exec, s[8:9]
	s_mov_b64 s[52:53], exec
.LBB171_469:                            ;   in Loop: Header=BB171_12 Depth=1
	s_or_b64 exec, exec, s[12:13]
	s_orn2_b64 s[8:9], s[52:53], exec
	v_pk_mov_b32 v[2:3], v[4:5], v[4:5] op_sel:[0,1]
.LBB171_470:                            ;   in Loop: Header=BB171_12 Depth=1
	s_or_b64 exec, exec, s[18:19]
	s_andn2_b64 s[2:3], s[2:3], exec
	s_and_b64 s[4:5], s[4:5], exec
	s_or_b64 s[2:3], s[2:3], s[4:5]
	s_andn2_b64 s[4:5], s[46:47], exec
	s_and_b64 s[6:7], s[6:7], exec
	s_or_b64 s[46:47], s[4:5], s[6:7]
	;; [unrolled: 3-line block ×3, first 2 shown]
	s_and_b64 s[6:7], s[8:9], exec
	v_pk_mov_b32 v[4:5], v[2:3], v[2:3] op_sel:[0,1]
.LBB171_471:                            ;   in Loop: Header=BB171_12 Depth=1
	s_or_b64 exec, exec, s[50:51]
	s_and_b64 s[10:11], s[2:3], exec
	s_and_b64 s[8:9], s[46:47], exec
	;; [unrolled: 1-line block ×3, first 2 shown]
	s_orn2_b64 s[2:3], s[6:7], exec
.LBB171_472:                            ;   in Loop: Header=BB171_12 Depth=1
	s_or_b64 exec, exec, s[22:23]
	s_andn2_b64 s[6:7], s[36:37], exec
	s_and_b64 s[10:11], s[10:11], exec
	s_or_b64 s[36:37], s[6:7], s[10:11]
	s_andn2_b64 s[6:7], s[40:41], exec
	s_and_b64 s[8:9], s[8:9], exec
	s_or_b64 s[40:41], s[6:7], s[8:9]
	;; [unrolled: 3-line block ×3, first 2 shown]
	s_and_b64 s[6:7], s[2:3], exec
	v_pk_mov_b32 v[2:3], v[4:5], v[4:5] op_sel:[0,1]
.LBB171_473:                            ;   in Loop: Header=BB171_12 Depth=1
	s_or_b64 exec, exec, s[44:45]
	s_and_b64 s[8:9], s[36:37], exec
	s_and_b64 s[4:5], s[40:41], exec
	;; [unrolled: 1-line block ×3, first 2 shown]
	s_orn2_b64 s[12:13], s[6:7], exec
.LBB171_474:                            ;   in Loop: Header=BB171_12 Depth=1
	s_or_b64 exec, exec, s[24:25]
	s_mov_b64 s[6:7], s[28:29]
	s_mov_b64 s[10:11], s[26:27]
	s_and_saveexec_b64 s[16:17], s[12:13]
; %bb.475:                              ;   in Loop: Header=BB171_12 Depth=1
	v_cmp_ne_u32_e64 s[6:7], 5, v6
	v_cmp_eq_u32_e32 vcc, 5, v6
	s_andn2_b64 s[10:11], s[26:27], exec
	s_and_b64 s[6:7], s[6:7], exec
	s_or_b64 s[10:11], s[10:11], s[6:7]
	s_andn2_b64 s[6:7], s[28:29], exec
	s_and_b64 s[12:13], vcc, exec
	s_andn2_b64 s[8:9], s[8:9], exec
	s_andn2_b64 s[4:5], s[4:5], exec
	;; [unrolled: 1-line block ×3, first 2 shown]
	s_or_b64 s[6:7], s[6:7], s[12:13]
; %bb.476:                              ;   in Loop: Header=BB171_12 Depth=1
	s_or_b64 exec, exec, s[16:17]
	s_andn2_b64 s[12:13], s[14:15], exec
	s_and_b64 s[8:9], s[8:9], exec
	s_or_b64 s[14:15], s[12:13], s[8:9]
	s_andn2_b64 s[8:9], s[38:39], exec
	s_and_b64 s[4:5], s[4:5], exec
	s_or_b64 s[38:39], s[8:9], s[4:5]
	;; [unrolled: 3-line block ×5, first 2 shown]
	v_mov_b32_e32 v8, v35
	v_mov_b32_e32 v9, v34
	;; [unrolled: 1-line block ×3, first 2 shown]
.LBB171_477:                            ;   in Loop: Header=BB171_12 Depth=1
	s_or_b64 exec, exec, s[34:35]
	s_mov_b64 s[36:37], s[20:21]
	s_mov_b64 s[34:35], s[20:21]
	s_and_saveexec_b64 s[2:3], s[28:29]
.LBB171_478:                            ;   in Loop: Header=BB171_12 Depth=1
	v_mov_b32_e32 v6, 0
	s_andn2_b64 s[20:21], s[20:21], exec
	s_andn2_b64 s[14:15], s[14:15], exec
	;; [unrolled: 1-line block ×5, first 2 shown]
	s_or_b64 s[26:27], s[26:27], exec
.LBB171_479:                            ;   in Loop: Header=BB171_12 Depth=1
	s_or_b64 exec, exec, s[2:3]
	s_andn2_b64 s[2:3], s[82:83], exec
	s_and_b64 s[6:7], s[20:21], exec
	s_or_b64 s[82:83], s[2:3], s[6:7]
	s_andn2_b64 s[2:3], s[80:81], exec
	s_and_b64 s[6:7], s[14:15], exec
	s_or_b64 s[80:81], s[2:3], s[6:7]
	;; [unrolled: 3-line block ×4, first 2 shown]
	s_andn2_b64 s[2:3], s[74:75], exec
	s_and_b64 s[6:7], s[34:35], exec
	s_mov_b64 s[4:5], -1
	s_or_b64 s[74:75], s[2:3], s[6:7]
                                        ; implicit-def: $vgpr34
                                        ; implicit-def: $vgpr35
                                        ; implicit-def: $vgpr18_vgpr19
                                        ; implicit-def: $vgpr36
	s_and_saveexec_b64 s[2:3], s[26:27]
	s_xor_b64 s[2:3], exec, s[2:3]
	s_cbranch_execz .LBB171_11
; %bb.480:                              ;   in Loop: Header=BB171_12 Depth=1
	v_cmp_eq_u32_e32 vcc, 0, v6
	s_mov_b64 s[6:7], -1
	s_and_saveexec_b64 s[8:9], vcc
	s_cbranch_execz .LBB171_10
; %bb.481:                              ;   in Loop: Header=BB171_12 Depth=1
	v_readlane_b32 s4, v46, 52
	s_xor_b32 s4, s4, 1
	s_add_i32 s10, s92, -2
	s_cmp_eq_u32 s92, 0
	v_writelane_b32 v46, s4, 52
	s_cselect_b64 s[4:5], -1, 0
	s_xor_b64 s[6:7], exec, -1
	s_orn2_b64 s[4:5], s[4:5], exec
	s_mov_b32 s92, s10
	s_branch .LBB171_10
.LBB171_482:
	s_or_b64 exec, exec, s[64:65]
	s_xor_b64 s[4:5], s[72:73], -1
	s_xor_b64 s[14:15], s[78:79], -1
	;; [unrolled: 1-line block ×5, first 2 shown]
	s_mov_b64 s[8:9], 0
	s_and_saveexec_b64 s[10:11], s[6:7]
	s_xor_b64 s[6:7], exec, s[10:11]
	s_cbranch_execnz .LBB171_487
; %bb.483:
	s_andn2_saveexec_b64 s[0:1], s[6:7]
	s_cbranch_execnz .LBB171_506
.LBB171_484:
	s_or_b64 exec, exec, s[0:1]
	s_and_saveexec_b64 s[0:1], s[8:9]
.LBB171_485:
	; divergent unreachable
.LBB171_486:
	s_endpgm
.LBB171_487:
	s_mov_b64 s[10:11], 0
	s_and_saveexec_b64 s[8:9], s[12:13]
	s_xor_b64 s[8:9], exec, s[8:9]
	s_cbranch_execz .LBB171_504
; %bb.488:
	s_mov_b64 s[12:13], 0
	s_and_saveexec_b64 s[10:11], s[14:15]
	s_xor_b64 s[10:11], exec, s[10:11]
	s_cbranch_execz .LBB171_502
; %bb.489:
	;; [unrolled: 5-line block ×3, first 2 shown]
	s_and_saveexec_b64 s[4:5], s[2:3]
	s_xor_b64 s[2:3], exec, s[4:5]
; %bb.491:
	v_xor_b32_e32 v20, 0xffff8000, v8
; %bb.492:
	s_or_b64 exec, exec, s[2:3]
	s_mov_b64 s[2:3], exec
	v_readlane_b32 s4, v46, 12
	v_readlane_b32 s5, v46, 13
	;; [unrolled: 1-line block ×4, first 2 shown]
	s_and_b64 s[4:5], s[2:3], s[4:5]
	v_readlane_b32 s21, v46, 47
	v_readlane_b32 s18, v46, 14
	;; [unrolled: 1-line block ×4, first 2 shown]
	s_mov_b64 exec, s[4:5]
	s_cbranch_execz .LBB171_494
; %bb.493:
	v_mov_b32_e32 v2, 0
	v_mov_b32_e32 v3, v2
	ds_write_b64 v2, v[2:3] offset:5136
.LBB171_494:
	s_or_b64 exec, exec, s[2:3]
	v_mov_b32_e32 v16, 0
	s_waitcnt lgkmcnt(0)
	s_barrier
	s_mov_b64 s[2:3], exec
	v_readlane_b32 s4, v46, 28
	v_readlane_b32 s5, v46, 29
	s_and_b64 s[4:5], s[2:3], s[4:5]
	s_mov_b64 exec, s[4:5]
	s_cbranch_execz .LBB171_496
; %bb.495:
	global_load_ushort v16, v[12:13], off
.LBB171_496:
	s_or_b64 exec, exec, s[2:3]
	s_add_u32 s2, s60, 63
	s_addc_u32 s15, s61, 0
	s_and_b32 s14, s2, 0xffffffc0
	v_readlane_b32 s4, v46, 2
	v_readlane_b32 s2, v46, 0
	;; [unrolled: 1-line block ×4, first 2 shown]
	s_mov_b32 s16, s2
	s_mul_i32 s2, s2, s5
	s_mul_hi_u32 s3, s16, s4
	s_add_i32 s3, s3, s2
	s_mul_i32 s2, s16, s4
	v_readlane_b32 s24, v46, 16
	s_sub_u32 s2, s18, s2
	v_readlane_b32 s26, v46, 18
	v_readlane_b32 s27, v46, 19
	s_subb_u32 s3, 0, s3
	s_mul_i32 s4, s2, s27
	s_mul_hi_u32 s5, s2, s26
	v_readlane_b32 s25, v46, 17
	s_add_i32 s4, s5, s4
	s_mul_i32 s3, s3, s26
	s_add_i32 s3, s4, s3
	s_mul_i32 s4, s16, s25
	s_mul_hi_u32 s5, s16, s24
	s_add_i32 s5, s5, s4
	s_mul_i32 s4, s16, s24
	v_readlane_b32 s22, v46, 6
	v_readlane_b32 s16, v46, 4
	v_readlane_b32 s23, v46, 7
	v_readlane_b32 s17, v46, 5
	s_mov_b32 s24, s16
	s_mul_i32 s16, s16, s23
	s_mul_hi_u32 s17, s24, s22
	s_add_i32 s17, s17, s16
	s_mul_i32 s16, s24, s22
	v_readlane_b32 s28, v46, 48
	s_sub_u32 s16, s18, s16
	v_readlane_b32 s30, v46, 50
	v_readlane_b32 s31, v46, 51
	s_subb_u32 s17, 0, s17
	s_mul_i32 s18, s16, s31
	s_mul_hi_u32 s19, s16, s30
	v_readlane_b32 s29, v46, 49
	s_add_i32 s18, s19, s18
	s_mul_i32 s17, s17, s30
	s_add_i32 s17, s18, s17
	s_mul_i32 s18, s24, s29
	s_mul_hi_u32 s19, s24, s28
	s_add_i32 s19, s19, s18
	s_lshl_b64 s[4:5], s[4:5], 1
	v_readlane_b32 s22, v46, 10
	s_mul_i32 s2, s2, s26
	v_readlane_b32 s23, v46, 11
	s_add_u32 s4, s22, s4
	s_addc_u32 s5, s23, s5
	s_lshl_b64 s[2:3], s[2:3], 1
	s_mul_i32 s18, s24, s28
	s_add_u32 s46, s4, s2
	s_addc_u32 s47, s5, s3
	s_lshl_b64 s[2:3], s[18:19], 3
	v_readlane_b32 s4, v46, 8
	s_mul_i32 s16, s16, s30
	v_readlane_b32 s5, v46, 9
	s_add_u32 s4, s4, s2
	s_addc_u32 s5, s5, s3
	s_lshl_b64 s[2:3], s[16:17], 3
	s_load_dwordx2 s[16:17], s[20:21], 0x368
	s_load_dwordx2 s[18:19], s[20:21], 0x510
	s_add_u32 s48, s4, s2
	s_addc_u32 s49, s5, s3
	v_cmp_gt_u64_e32 vcc, s[14:15], v[0:1]
	s_mov_b64 s[22:23], -1
	s_mov_b64 s[2:3], 0
	s_mov_b64 s[4:5], 0
	s_and_saveexec_b64 s[20:21], vcc
	s_cbranch_execnz .LBB171_507
; %bb.497:
	s_or_b64 exec, exec, s[20:21]
	s_and_saveexec_b64 s[20:21], s[22:23]
	s_cbranch_execnz .LBB171_522
.LBB171_498:
	s_or_b64 exec, exec, s[20:21]
	s_and_saveexec_b64 s[0:1], s[4:5]
	s_xor_b64 s[0:1], exec, s[0:1]
	s_cbranch_execnz .LBB171_544
.LBB171_499:
	s_or_b64 exec, exec, s[0:1]
	s_and_b64 s[14:15], s[2:3], exec
.LBB171_500:
	s_andn2_saveexec_b64 s[0:1], s[12:13]
	s_cbranch_execnz .LBB171_547
.LBB171_501:
	s_or_b64 exec, exec, s[0:1]
	s_and_b64 s[12:13], s[14:15], exec
.LBB171_502:
	s_andn2_saveexec_b64 s[0:1], s[10:11]
	s_cbranch_execnz .LBB171_546
.LBB171_503:
	s_or_b64 exec, exec, s[0:1]
	s_and_b64 s[10:11], s[12:13], exec
.LBB171_504:
	s_andn2_saveexec_b64 s[0:1], s[8:9]
	s_cbranch_execnz .LBB171_545
.LBB171_505:
	s_or_b64 exec, exec, s[0:1]
	s_and_b64 s[8:9], s[10:11], exec
	s_andn2_saveexec_b64 s[0:1], s[6:7]
	s_cbranch_execz .LBB171_484
.LBB171_506:
	s_or_b64 s[8:9], s[8:9], exec
	s_trap 2
	s_or_b64 exec, exec, s[0:1]
	s_and_saveexec_b64 s[0:1], s[8:9]
	s_cbranch_execnz .LBB171_485
	s_branch .LBB171_486
.LBB171_507:
	s_mov_b32 s36, 0x8000
	v_add_u32_sdwa v17, sext(v20), s36 dst_sel:DWORD dst_unused:UNUSED_PAD src0_sel:WORD_0 src1_sel:DWORD
	s_mov_b64 s[22:23], 0
	v_mov_b32_e32 v18, s88
	v_mov_b32_e32 v3, 0
	v_pk_mov_b32 v[8:9], v[0:1], v[0:1] op_sel:[0,1]
                                        ; implicit-def: $sgpr24_sgpr25
                                        ; implicit-def: $vgpr6_vgpr7
	s_branch .LBB171_509
.LBB171_508:                            ;   in Loop: Header=BB171_509 Depth=1
	s_or_b64 exec, exec, s[26:27]
	s_xor_b64 s[26:27], s[30:31], -1
	s_and_b64 s[4:5], exec, s[4:5]
	s_or_b64 s[22:23], s[4:5], s[22:23]
	s_andn2_b64 s[4:5], s[24:25], exec
	s_and_b64 s[24:25], s[26:27], exec
	s_or_b64 s[24:25], s[4:5], s[24:25]
	v_mov_b32_e32 v16, v19
	v_pk_mov_b32 v[8:9], v[4:5], v[4:5] op_sel:[0,1]
	s_andn2_b64 exec, exec, s[22:23]
	s_cbranch_execz .LBB171_521
.LBB171_509:                            ; =>This Inner Loop Header: Depth=1
	v_add_co_u32_e32 v4, vcc, s87, v8
	v_addc_co_u32_e32 v5, vcc, v9, v18, vcc
	v_cmp_gt_u64_e32 vcc, s[60:61], v[4:5]
	v_mov_b32_e32 v19, 0
	s_and_saveexec_b64 s[4:5], vcc
	s_cbranch_execz .LBB171_511
; %bb.510:                              ;   in Loop: Header=BB171_509 Depth=1
	v_mul_lo_u32 v2, v5, s58
	v_mul_lo_u32 v19, v4, s59
	v_mad_u64_u32 v[14:15], s[26:27], v4, s58, 0
	v_add3_u32 v15, v15, v19, v2
	v_lshlrev_b64 v[14:15], 1, v[14:15]
	v_mov_b32_e32 v2, s86
	v_add_co_u32_e32 v14, vcc, s33, v14
	v_addc_co_u32_e32 v15, vcc, v2, v15, vcc
	global_load_ushort v19, v[14:15], off
.LBB171_511:                            ;   in Loop: Header=BB171_509 Depth=1
	s_or_b64 exec, exec, s[4:5]
	s_waitcnt vmcnt(0)
	v_add_u32_sdwa v2, sext(v16), s36 dst_sel:DWORD dst_unused:UNUSED_PAD src0_sel:WORD_0 src1_sel:DWORD
	v_cmp_gt_u32_e64 s[4:5], v2, v17
	v_cndmask_b32_e64 v14, 0, 1, s[4:5]
	v_cmp_lt_u32_e64 s[4:5], v2, v17
	v_cndmask_b32_e64 v2, 0, 1, s[4:5]
	v_cndmask_b32_e64 v2, v2, v14, s[38:39]
	v_and_b32_e32 v2, 1, v2
	v_cmp_gt_u64_e32 vcc, s[60:61], v[8:9]
	v_cmp_eq_u32_e64 s[4:5], 1, v2
	s_and_b64 s[28:29], vcc, s[4:5]
	v_cndmask_b32_e64 v2, 0, 1, s[28:29]
	v_cmp_ne_u32_e32 vcc, 0, v2
	s_cmp_lg_u64 vcc, 0
	s_cselect_b64 s[4:5], -1, 0
	s_and_b64 s[4:5], s[0:1], s[4:5]
	s_and_saveexec_b64 s[26:27], s[4:5]
	s_cbranch_execz .LBB171_515
; %bb.512:                              ;   in Loop: Header=BB171_509 Depth=1
	s_mov_b64 s[34:35], exec
	v_mbcnt_lo_u32_b32 v2, s34, 0
	v_mbcnt_hi_u32_b32 v14, s35, v2
	s_bcnt1_i32_b64 s37, vcc
	v_cmp_eq_u32_e64 s[4:5], 0, v14
                                        ; implicit-def: $vgpr6_vgpr7
	s_and_saveexec_b64 s[30:31], s[4:5]
	s_cbranch_execz .LBB171_514
; %bb.513:                              ;   in Loop: Header=BB171_509 Depth=1
	s_bcnt1_i32_b64 s4, s[34:35]
	s_mul_i32 s4, s37, s4
	v_mov_b32_e32 v2, s4
	s_waitcnt lgkmcnt(0)
	ds_add_rtn_u64 v[6:7], v3, v[2:3] offset:5136
.LBB171_514:                            ;   in Loop: Header=BB171_509 Depth=1
	s_or_b64 exec, exec, s[30:31]
	s_waitcnt lgkmcnt(0)
	v_readfirstlane_b32 s4, v7
	v_readfirstlane_b32 s5, v6
	v_mov_b32_e32 v6, s5
	v_mov_b32_e32 v7, s4
	v_mad_u64_u32 v[6:7], s[4:5], s37, v14, v[6:7]
.LBB171_515:                            ;   in Loop: Header=BB171_509 Depth=1
	s_or_b64 exec, exec, s[26:27]
	s_waitcnt lgkmcnt(0)
	ds_bpermute_b32 v6, v24, v6
	ds_bpermute_b32 v7, v24, v7
	s_mov_b64 s[4:5], -1
	s_mov_b64 s[34:35], -1
                                        ; implicit-def: $sgpr30_sgpr31
	s_and_saveexec_b64 s[26:27], s[28:29]
	s_cbranch_execz .LBB171_519
; %bb.516:                              ;   in Loop: Header=BB171_509 Depth=1
	v_and_b32_e32 v14, vcc_lo, v10
	v_and_b32_e32 v2, vcc_hi, v11
	v_bcnt_u32_b32 v14, v14, 0
	v_bcnt_u32_b32 v2, v2, v14
	s_waitcnt lgkmcnt(0)
	v_add_co_u32_e32 v14, vcc, v6, v2
	v_addc_co_u32_e32 v15, vcc, 0, v7, vcc
	v_cmp_gt_u64_e32 vcc, s[62:63], v[14:15]
	s_mov_b64 s[28:29], 0
	s_and_saveexec_b64 s[30:31], vcc
	s_cbranch_execz .LBB171_518
; %bb.517:                              ;   in Loop: Header=BB171_509 Depth=1
	v_mul_lo_u32 v2, v15, s16
	v_mul_lo_u32 v21, v14, s17
	v_mad_u64_u32 v[22:23], s[34:35], v14, s16, 0
	v_add3_u32 v23, v23, v21, v2
	v_mul_lo_u32 v2, v15, s18
	v_mul_lo_u32 v21, v14, s19
	v_mad_u64_u32 v[14:15], s[34:35], v14, s18, 0
	v_lshlrev_b64 v[22:23], 1, v[22:23]
	v_add3_u32 v15, v15, v21, v2
	v_mov_b32_e32 v2, s47
	v_add_co_u32_e32 v22, vcc, s46, v22
	v_addc_co_u32_e32 v23, vcc, v2, v23, vcc
	v_lshlrev_b64 v[14:15], 3, v[14:15]
	v_mov_b32_e32 v2, s49
	v_add_co_u32_e32 v14, vcc, s48, v14
	s_mov_b64 s[28:29], exec
	v_addc_co_u32_e32 v15, vcc, v2, v15, vcc
	global_store_short v[22:23], v16, off
	global_store_dwordx2 v[14:15], v[8:9], off
.LBB171_518:                            ;   in Loop: Header=BB171_509 Depth=1
	s_or_b64 exec, exec, s[30:31]
	s_mov_b64 s[30:31], -1
	s_orn2_b64 s[34:35], s[28:29], exec
.LBB171_519:                            ;   in Loop: Header=BB171_509 Depth=1
	s_or_b64 exec, exec, s[26:27]
	s_and_saveexec_b64 s[26:27], s[34:35]
	s_cbranch_execz .LBB171_508
; %bb.520:                              ;   in Loop: Header=BB171_509 Depth=1
	v_cmp_le_u64_e32 vcc, s[14:15], v[4:5]
	s_andn2_b64 s[30:31], s[30:31], exec
	s_orn2_b64 s[4:5], vcc, exec
	s_branch .LBB171_508
.LBB171_521:
	s_or_b64 exec, exec, s[22:23]
	s_mov_b64 s[4:5], exec
	s_orn2_b64 s[22:23], s[24:25], exec
	s_or_b64 exec, exec, s[20:21]
	s_and_saveexec_b64 s[20:21], s[22:23]
	s_cbranch_execz .LBB171_498
.LBB171_522:
	v_mov_b32_e32 v3, 0
	v_mov_b32_e32 v8, 0
	s_waitcnt lgkmcnt(0)
	s_barrier
	s_mov_b64 s[2:3], exec
	v_readlane_b32 s22, v46, 28
	v_readlane_b32 s23, v46, 29
	s_and_b64 s[22:23], s[2:3], s[22:23]
	s_mov_b64 exec, s[22:23]
	s_cbranch_execz .LBB171_524
; %bb.523:
	global_load_ushort v8, v[12:13], off
.LBB171_524:
	s_or_b64 exec, exec, s[2:3]
	s_mov_b64 s[24:25], 0
                                        ; implicit-def: $sgpr22_sgpr23
                                        ; implicit-def: $sgpr26_sgpr27
                                        ; implicit-def: $sgpr28_sgpr29
                                        ; implicit-def: $vgpr4_vgpr5
	s_branch .LBB171_527
.LBB171_525:                            ;   in Loop: Header=BB171_527 Depth=1
	s_or_b64 exec, exec, s[36:37]
	s_andn2_b64 s[28:29], s[28:29], exec
	s_and_b64 s[34:35], s[40:41], exec
	s_andn2_b64 s[26:27], s[26:27], exec
	s_and_b64 s[2:3], s[2:3], exec
	s_or_b64 s[28:29], s[28:29], s[34:35]
	s_or_b64 s[26:27], s[26:27], s[2:3]
	v_pk_mov_b32 v[0:1], v[6:7], v[6:7] op_sel:[0,1]
.LBB171_526:                            ;   in Loop: Header=BB171_527 Depth=1
	s_or_b64 exec, exec, s[30:31]
	s_xor_b64 s[2:3], s[28:29], -1
	s_and_b64 s[30:31], exec, s[26:27]
	s_or_b64 s[24:25], s[30:31], s[24:25]
	s_andn2_b64 s[22:23], s[22:23], exec
	s_and_b64 s[2:3], s[2:3], exec
	s_or_b64 s[22:23], s[22:23], s[2:3]
	s_andn2_b64 exec, exec, s[24:25]
	s_cbranch_execz .LBB171_542
.LBB171_527:                            ; =>This Inner Loop Header: Depth=1
	v_cmp_gt_u64_e32 vcc, s[14:15], v[0:1]
	s_or_b64 s[28:29], s[28:29], exec
	s_or_b64 s[26:27], s[26:27], exec
	s_and_saveexec_b64 s[30:31], vcc
	s_cbranch_execz .LBB171_526
; %bb.528:                              ;   in Loop: Header=BB171_527 Depth=1
	v_mov_b32_e32 v2, s88
	v_add_co_u32_e32 v6, vcc, s87, v0
	v_addc_co_u32_e32 v7, vcc, v1, v2, vcc
	v_cmp_gt_u64_e32 vcc, s[60:61], v[6:7]
	v_mov_b32_e32 v12, 0
	s_and_saveexec_b64 s[2:3], vcc
	s_cbranch_execz .LBB171_530
; %bb.529:                              ;   in Loop: Header=BB171_527 Depth=1
	v_mul_lo_u32 v2, v7, s58
	v_mul_lo_u32 v9, v6, s59
	v_mad_u64_u32 v[12:13], s[34:35], v6, s58, 0
	v_add3_u32 v13, v13, v9, v2
	v_lshlrev_b64 v[12:13], 1, v[12:13]
	v_mov_b32_e32 v2, s86
	v_add_co_u32_e32 v12, vcc, s33, v12
	v_addc_co_u32_e32 v13, vcc, v2, v13, vcc
	global_load_ushort v12, v[12:13], off
.LBB171_530:                            ;   in Loop: Header=BB171_527 Depth=1
	s_or_b64 exec, exec, s[2:3]
	v_cmp_gt_u64_e32 vcc, s[60:61], v[0:1]
	s_waitcnt vmcnt(0)
	v_cmp_eq_u16_e64 s[2:3], v8, v20
	s_and_b64 s[36:37], vcc, s[2:3]
	v_cndmask_b32_e64 v2, 0, 1, s[36:37]
	v_cmp_ne_u32_e32 vcc, 0, v2
	s_cmp_lg_u64 vcc, 0
	s_cselect_b64 s[2:3], -1, 0
	s_and_b64 s[2:3], s[0:1], s[2:3]
	s_and_saveexec_b64 s[34:35], s[2:3]
	s_cbranch_execz .LBB171_534
; %bb.531:                              ;   in Loop: Header=BB171_527 Depth=1
	s_mov_b64 s[40:41], exec
	v_mbcnt_lo_u32_b32 v2, s40, 0
	v_mbcnt_hi_u32_b32 v9, s41, v2
	s_bcnt1_i32_b64 s42, vcc
	v_cmp_eq_u32_e64 s[2:3], 0, v9
                                        ; implicit-def: $vgpr4_vgpr5
	s_and_saveexec_b64 s[38:39], s[2:3]
	s_cbranch_execz .LBB171_533
; %bb.532:                              ;   in Loop: Header=BB171_527 Depth=1
	s_bcnt1_i32_b64 s2, s[40:41]
	s_mul_i32 s2, s42, s2
	v_mov_b32_e32 v2, s2
	ds_add_rtn_u64 v[4:5], v3, v[2:3] offset:5136
.LBB171_533:                            ;   in Loop: Header=BB171_527 Depth=1
	s_or_b64 exec, exec, s[38:39]
	s_waitcnt lgkmcnt(0)
	v_readfirstlane_b32 s2, v5
	v_readfirstlane_b32 s3, v4
	v_mov_b32_e32 v4, s3
	v_mov_b32_e32 v5, s2
	v_mad_u64_u32 v[4:5], s[2:3], s42, v9, v[4:5]
.LBB171_534:                            ;   in Loop: Header=BB171_527 Depth=1
	s_or_b64 exec, exec, s[34:35]
	ds_bpermute_b32 v4, v24, v4
	ds_bpermute_b32 v5, v24, v5
	s_cmp_eq_u64 vcc, 0
	s_cselect_b64 s[34:35], -1, 0
	s_mov_b64 s[38:39], -1
	s_mov_b64 s[40:41], -1
	s_waitcnt lgkmcnt(0)
	v_cmp_gt_u64_e64 s[2:3], s[62:63], v[4:5]
	s_or_b64 s[34:35], s[34:35], s[2:3]
	v_cndmask_b32_e64 v8, v8, v12, s[34:35]
	s_and_b64 s[42:43], s[36:37], s[34:35]
	s_mov_b64 s[2:3], -1
	s_and_saveexec_b64 s[36:37], s[42:43]
	s_cbranch_execz .LBB171_540
; %bb.535:                              ;   in Loop: Header=BB171_527 Depth=1
	v_and_b32_e32 v8, vcc_lo, v10
	v_and_b32_e32 v2, vcc_hi, v11
	v_bcnt_u32_b32 v8, v8, 0
	v_bcnt_u32_b32 v2, v2, v8
	v_mov_b32_e32 v9, s63
	v_sub_co_u32_e32 v8, vcc, s62, v4
	v_subb_co_u32_e32 v9, vcc, v9, v5, vcc
	v_cmp_le_u64_e64 s[38:39], v[8:9], v[2:3]
	v_cmp_gt_u64_e32 vcc, v[8:9], v[2:3]
	s_mov_b64 s[42:43], -1
	s_and_saveexec_b64 s[40:41], vcc
	s_cbranch_execz .LBB171_539
; %bb.536:                              ;   in Loop: Header=BB171_527 Depth=1
	v_add_co_u32_e32 v8, vcc, v4, v2
	v_addc_co_u32_e32 v9, vcc, 0, v5, vcc
	v_cmp_gt_u64_e32 vcc, s[62:63], v[8:9]
	s_mov_b64 s[44:45], s[38:39]
	s_and_saveexec_b64 s[42:43], vcc
	s_cbranch_execz .LBB171_538
; %bb.537:                              ;   in Loop: Header=BB171_527 Depth=1
	v_mul_lo_u32 v2, v9, s16
	v_mul_lo_u32 v13, v8, s17
	v_mad_u64_u32 v[14:15], s[44:45], v8, s16, 0
	v_add3_u32 v15, v15, v13, v2
	v_mul_lo_u32 v2, v9, s18
	v_mul_lo_u32 v13, v8, s19
	v_mad_u64_u32 v[8:9], s[44:45], v8, s18, 0
	v_lshlrev_b64 v[14:15], 1, v[14:15]
	v_add3_u32 v9, v9, v13, v2
	v_mov_b32_e32 v2, s47
	v_add_co_u32_e32 v14, vcc, s46, v14
	v_addc_co_u32_e32 v15, vcc, v2, v15, vcc
	v_lshlrev_b64 v[8:9], 3, v[8:9]
	v_mov_b32_e32 v2, s49
	v_add_co_u32_e32 v8, vcc, s48, v8
	v_addc_co_u32_e32 v9, vcc, v2, v9, vcc
	s_or_b64 s[44:45], s[38:39], exec
	global_store_short v[14:15], v20, off
	global_store_dwordx2 v[8:9], v[0:1], off
.LBB171_538:                            ;   in Loop: Header=BB171_527 Depth=1
	s_or_b64 exec, exec, s[42:43]
	s_andn2_b64 s[38:39], s[38:39], exec
	s_and_b64 s[44:45], s[44:45], exec
	s_xor_b64 s[42:43], exec, -1
	s_or_b64 s[38:39], s[38:39], s[44:45]
.LBB171_539:                            ;   in Loop: Header=BB171_527 Depth=1
	s_or_b64 exec, exec, s[40:41]
	s_orn2_b64 s[40:41], s[42:43], exec
	s_or_b64 s[34:35], s[34:35], exec
	s_orn2_b64 s[38:39], s[38:39], exec
	v_mov_b32_e32 v8, v12
.LBB171_540:                            ;   in Loop: Header=BB171_527 Depth=1
	s_or_b64 exec, exec, s[36:37]
	s_and_saveexec_b64 s[36:37], s[38:39]
	s_cbranch_execz .LBB171_525
; %bb.541:                              ;   in Loop: Header=BB171_527 Depth=1
	s_xor_b64 s[2:3], s[34:35], -1
	s_or_b64 s[40:41], s[40:41], exec
	s_orn2_b64 s[2:3], s[2:3], exec
	s_branch .LBB171_525
.LBB171_542:
	s_or_b64 exec, exec, s[24:25]
	s_mov_b64 s[0:1], 0
	s_and_saveexec_b64 s[2:3], s[22:23]
	s_xor_b64 s[2:3], exec, s[2:3]
	s_cbranch_execnz .LBB171_548
.LBB171_543:
	s_or_b64 exec, exec, s[2:3]
	s_and_b64 s[2:3], s[0:1], exec
	s_andn2_b64 s[4:5], s[4:5], exec
	s_or_b64 exec, exec, s[20:21]
	s_and_saveexec_b64 s[0:1], s[4:5]
	s_xor_b64 s[0:1], exec, s[0:1]
	s_cbranch_execz .LBB171_499
.LBB171_544:
	s_or_b64 s[2:3], s[2:3], exec
	s_trap 2
	s_branch .LBB171_499
.LBB171_545:
	s_or_b64 s[10:11], s[10:11], exec
	s_trap 2
	s_branch .LBB171_505
.LBB171_546:
	s_or_b64 s[12:13], s[12:13], exec
	s_trap 2
	s_branch .LBB171_503
.LBB171_547:
	s_trap 2
	s_or_b64 s[14:15], s[14:15], exec
	s_branch .LBB171_501
.LBB171_548:
	s_mov_b64 s[0:1], exec
	s_trap 2
	s_branch .LBB171_543
	.section	.rodata,"a",@progbits
	.p2align	6, 0x0
	.amdhsa_kernel _ZN2at6native6sbtopk10gatherTopKIsmLi2ELb0EEEvNS_4cuda6detail10TensorInfoIKT_T0_EES8_S8_bS8_S8_NS5_IS6_S8_EES8_NS5_IlS8_EES8_PS6_
		.amdhsa_group_segment_fixed_size 5152
		.amdhsa_private_segment_fixed_size 0
		.amdhsa_kernarg_size 1568
		.amdhsa_user_sgpr_count 6
		.amdhsa_user_sgpr_private_segment_buffer 1
		.amdhsa_user_sgpr_dispatch_ptr 0
		.amdhsa_user_sgpr_queue_ptr 0
		.amdhsa_user_sgpr_kernarg_segment_ptr 1
		.amdhsa_user_sgpr_dispatch_id 0
		.amdhsa_user_sgpr_flat_scratch_init 0
		.amdhsa_user_sgpr_kernarg_preload_length 0
		.amdhsa_user_sgpr_kernarg_preload_offset 0
		.amdhsa_user_sgpr_private_segment_size 0
		.amdhsa_uses_dynamic_stack 0
		.amdhsa_system_sgpr_private_segment_wavefront_offset 0
		.amdhsa_system_sgpr_workgroup_id_x 1
		.amdhsa_system_sgpr_workgroup_id_y 1
		.amdhsa_system_sgpr_workgroup_id_z 1
		.amdhsa_system_sgpr_workgroup_info 0
		.amdhsa_system_vgpr_workitem_id 0
		.amdhsa_next_free_vgpr 47
		.amdhsa_next_free_sgpr 96
		.amdhsa_accum_offset 48
		.amdhsa_reserve_vcc 1
		.amdhsa_reserve_flat_scratch 0
		.amdhsa_float_round_mode_32 0
		.amdhsa_float_round_mode_16_64 0
		.amdhsa_float_denorm_mode_32 3
		.amdhsa_float_denorm_mode_16_64 3
		.amdhsa_dx10_clamp 1
		.amdhsa_ieee_mode 1
		.amdhsa_fp16_overflow 0
		.amdhsa_tg_split 0
		.amdhsa_exception_fp_ieee_invalid_op 0
		.amdhsa_exception_fp_denorm_src 0
		.amdhsa_exception_fp_ieee_div_zero 0
		.amdhsa_exception_fp_ieee_overflow 0
		.amdhsa_exception_fp_ieee_underflow 0
		.amdhsa_exception_fp_ieee_inexact 0
		.amdhsa_exception_int_div_zero 0
	.end_amdhsa_kernel
	.section	.text._ZN2at6native6sbtopk10gatherTopKIsmLi2ELb0EEEvNS_4cuda6detail10TensorInfoIKT_T0_EES8_S8_bS8_S8_NS5_IS6_S8_EES8_NS5_IlS8_EES8_PS6_,"axG",@progbits,_ZN2at6native6sbtopk10gatherTopKIsmLi2ELb0EEEvNS_4cuda6detail10TensorInfoIKT_T0_EES8_S8_bS8_S8_NS5_IS6_S8_EES8_NS5_IlS8_EES8_PS6_,comdat
.Lfunc_end171:
	.size	_ZN2at6native6sbtopk10gatherTopKIsmLi2ELb0EEEvNS_4cuda6detail10TensorInfoIKT_T0_EES8_S8_bS8_S8_NS5_IS6_S8_EES8_NS5_IlS8_EES8_PS6_, .Lfunc_end171-_ZN2at6native6sbtopk10gatherTopKIsmLi2ELb0EEEvNS_4cuda6detail10TensorInfoIKT_T0_EES8_S8_bS8_S8_NS5_IS6_S8_EES8_NS5_IlS8_EES8_PS6_
                                        ; -- End function
	.section	.AMDGPU.csdata,"",@progbits
; Kernel info:
; codeLenInByte = 27408
; NumSgprs: 100
; NumVgprs: 47
; NumAgprs: 0
; TotalNumVgprs: 47
; ScratchSize: 0
; MemoryBound: 0
; FloatMode: 240
; IeeeMode: 1
; LDSByteSize: 5152 bytes/workgroup (compile time only)
; SGPRBlocks: 12
; VGPRBlocks: 5
; NumSGPRsForWavesPerEU: 100
; NumVGPRsForWavesPerEU: 47
; AccumOffset: 48
; Occupancy: 8
; WaveLimiterHint : 1
; COMPUTE_PGM_RSRC2:SCRATCH_EN: 0
; COMPUTE_PGM_RSRC2:USER_SGPR: 6
; COMPUTE_PGM_RSRC2:TRAP_HANDLER: 0
; COMPUTE_PGM_RSRC2:TGID_X_EN: 1
; COMPUTE_PGM_RSRC2:TGID_Y_EN: 1
; COMPUTE_PGM_RSRC2:TGID_Z_EN: 1
; COMPUTE_PGM_RSRC2:TIDIG_COMP_CNT: 0
; COMPUTE_PGM_RSRC3_GFX90A:ACCUM_OFFSET: 11
; COMPUTE_PGM_RSRC3_GFX90A:TG_SPLIT: 0
	.section	.text._ZN2at6native6mbtopk23computeBlockDigitCountsIsmjLi3EEEvNS_4cuda6detail10TensorInfoIKT_T0_EEjPjjS8_iijT1_PSB_Ps,"axG",@progbits,_ZN2at6native6mbtopk23computeBlockDigitCountsIsmjLi3EEEvNS_4cuda6detail10TensorInfoIKT_T0_EEjPjjS8_iijT1_PSB_Ps,comdat
	.protected	_ZN2at6native6mbtopk23computeBlockDigitCountsIsmjLi3EEEvNS_4cuda6detail10TensorInfoIKT_T0_EEjPjjS8_iijT1_PSB_Ps ; -- Begin function _ZN2at6native6mbtopk23computeBlockDigitCountsIsmjLi3EEEvNS_4cuda6detail10TensorInfoIKT_T0_EEjPjjS8_iijT1_PSB_Ps
	.globl	_ZN2at6native6mbtopk23computeBlockDigitCountsIsmjLi3EEEvNS_4cuda6detail10TensorInfoIKT_T0_EEjPjjS8_iijT1_PSB_Ps
	.p2align	8
	.type	_ZN2at6native6mbtopk23computeBlockDigitCountsIsmjLi3EEEvNS_4cuda6detail10TensorInfoIKT_T0_EEjPjjS8_iijT1_PSB_Ps,@function
_ZN2at6native6mbtopk23computeBlockDigitCountsIsmjLi3EEEvNS_4cuda6detail10TensorInfoIKT_T0_EEjPjjS8_iijT1_PSB_Ps: ; @_ZN2at6native6mbtopk23computeBlockDigitCountsIsmjLi3EEEvNS_4cuda6detail10TensorInfoIKT_T0_EEjPjjS8_iijT1_PSB_Ps
; %bb.0:
	s_load_dwordx4 s[12:15], s[4:5], 0x1c0
	s_load_dword s2, s[4:5], 0x1b0
	s_load_dwordx2 s[0:1], s[4:5], 0x1e0
	s_mov_b32 s21, 0
	s_waitcnt lgkmcnt(0)
	v_cvt_f32_u32_e32 v1, s14
	s_sub_i32 s3, 0, s14
	s_mul_i32 s1, s1, s8
	s_add_i32 s1, s1, s7
	v_rcp_iflag_f32_e32 v1, v1
	s_mul_i32 s24, s1, s0
	s_add_i32 s24, s24, s6
	v_mul_f32_e32 v1, 0x4f7ffffe, v1
	v_cvt_u32_f32_e32 v1, v1
	v_readfirstlane_b32 s0, v1
	s_mul_i32 s3, s3, s0
	s_mul_hi_u32 s1, s0, s3
	s_add_i32 s0, s0, s1
	s_mul_hi_u32 s0, s24, s0
	s_mul_i32 s1, s0, s14
	s_sub_i32 s1, s24, s1
	s_add_i32 s3, s0, 1
	s_sub_i32 s6, s1, s14
	s_cmp_ge_u32 s1, s14
	s_cselect_b32 s0, s3, s0
	s_cselect_b32 s1, s6, s1
	s_add_i32 s3, s0, 1
	s_cmp_ge_u32 s1, s14
	s_cselect_b32 s20, s3, s0
	s_cmp_ge_u32 s20, s2
	s_cbranch_scc1 .LBB172_27
; %bb.1:
	s_load_dwordx4 s[0:3], s[4:5], 0x1d0
	s_load_dwordx4 s[8:11], s[4:5], 0x10
	s_lshl_b64 s[6:7], s[20:21], 2
	s_waitcnt lgkmcnt(0)
	s_add_u32 s22, s0, s6
	v_pk_mov_b32 v[2:3], s[10:11], s[10:11] op_sel:[0,1]
	v_cmp_lt_u64_e32 vcc, s[20:21], v[2:3]
	s_addc_u32 s23, s1, s7
	s_mov_b64 s[6:7], 0
	s_mov_b64 s[0:1], 0
	s_cbranch_vccnz .LBB172_3
; %bb.2:
	v_cvt_f32_u32_e32 v1, s10
	s_sub_i32 s0, 0, s10
	s_mov_b32 s1, 0
	v_rcp_iflag_f32_e32 v1, v1
	v_mul_f32_e32 v1, 0x4f7ffffe, v1
	v_cvt_u32_f32_e32 v1, v1
	v_readfirstlane_b32 s7, v1
	s_mul_i32 s0, s0, s7
	s_mul_hi_u32 s0, s7, s0
	s_add_i32 s7, s7, s0
	s_mul_hi_u32 s0, s20, s7
	s_mul_i32 s16, s0, s10
	s_sub_i32 s16, s20, s16
	s_add_i32 s7, s0, 1
	s_sub_i32 s17, s16, s10
	s_cmp_ge_u32 s16, s10
	s_cselect_b32 s0, s7, s0
	s_cselect_b32 s16, s17, s16
	s_add_i32 s7, s0, 1
	s_cmp_ge_u32 s16, s10
	s_cselect_b32 s0, s7, s0
.LBB172_3:
	v_pk_mov_b32 v[2:3], s[8:9], s[8:9] op_sel:[0,1]
	v_cmp_lt_u64_e32 vcc, s[0:1], v[2:3]
	s_cbranch_vccnz .LBB172_5
; %bb.4:
	v_cvt_f32_u32_e32 v1, s8
	s_sub_i32 s6, 0, s8
	v_rcp_iflag_f32_e32 v1, v1
	v_mul_f32_e32 v1, 0x4f7ffffe, v1
	v_cvt_u32_f32_e32 v1, v1
	v_readfirstlane_b32 s7, v1
	s_mul_i32 s6, s6, s7
	s_mul_hi_u32 s6, s7, s6
	s_add_i32 s7, s7, s6
	s_mul_hi_u32 s6, s0, s7
	s_mul_i32 s16, s6, s8
	s_sub_i32 s16, s0, s16
	s_add_i32 s7, s6, 1
	s_sub_i32 s17, s16, s8
	s_cmp_ge_u32 s16, s8
	s_cselect_b32 s6, s7, s6
	s_cselect_b32 s16, s17, s16
	s_add_i32 s7, s6, 1
	s_cmp_ge_u32 s16, s8
	s_cselect_b32 s6, s7, s6
.LBB172_5:
	s_movk_i32 s7, 0x100
	v_cmp_gt_u32_e32 vcc, s7, v0
	v_lshlrev_b32_e32 v1, 2, v0
	s_and_saveexec_b64 s[16:17], vcc
	s_cbranch_execz .LBB172_7
; %bb.6:
	v_mov_b32_e32 v2, 0
	ds_write_b32 v1, v2
.LBB172_7:
	s_or_b64 exec, exec, s[16:17]
	s_load_dword s21, s[4:5], 0x1a0
	s_mul_i32 s7, s20, s14
	s_sub_i32 s7, s24, s7
	s_add_i32 s16, s7, 1
	s_mul_i32 s7, s13, s7
	s_lshl_b32 s25, s7, 8
	s_waitcnt lgkmcnt(0)
	s_sub_i32 s7, s21, s25
	s_add_u32 s7, s7, 0xff
	s_addc_u32 s17, 0, 0
	v_mov_b32_e32 v2, s7
	v_alignbit_b32 v2, s17, v2, 8
	s_cmp_lt_u32 s16, s14
	v_readfirstlane_b32 s7, v2
	s_cselect_b32 s14, s13, s7
	s_cmp_lt_i32 s14, 1
	s_mov_b32 s7, 0
	s_barrier
	s_cbranch_scc1 .LBB172_23
; %bb.8:
	s_load_dwordx4 s[16:19], s[4:5], 0xd0
	s_load_dwordx2 s[26:27], s[4:5], 0x0
	s_load_dword s13, s[22:23], 0x0
	s_mul_i32 s11, s0, s11
	s_mul_hi_u32 s22, s0, s10
	s_add_i32 s11, s22, s11
	s_load_dwordx2 s[22:23], s[4:5], 0xe0
	s_mul_i32 s10, s0, s10
	s_sub_u32 s10, s20, s10
	s_subb_u32 s11, 0, s11
	s_mul_i32 s9, s6, s9
	s_waitcnt lgkmcnt(0)
	s_mul_i32 s20, s10, s23
	s_mul_hi_u32 s23, s10, s22
	s_add_i32 s20, s23, s20
	s_mul_i32 s11, s11, s22
	s_add_i32 s11, s20, s11
	s_mul_hi_u32 s20, s6, s8
	s_add_i32 s20, s20, s9
	s_mul_i32 s8, s6, s8
	s_sub_u32 s0, s0, s8
	s_subb_u32 s1, s1, s20
	s_mul_i32 s8, s0, s19
	s_mul_hi_u32 s9, s0, s18
	s_add_i32 s8, s9, s8
	s_mul_i32 s1, s1, s18
	s_add_i32 s1, s8, s1
	s_mul_i32 s8, s6, s17
	s_mul_hi_u32 s9, s6, s16
	s_add_i32 s9, s9, s8
	s_mul_i32 s8, s6, s16
	s_lshl_b64 s[8:9], s[8:9], 1
	s_mul_i32 s0, s0, s18
	s_add_u32 s6, s26, s8
	s_addc_u32 s8, s27, s9
	s_lshl_b64 s[0:1], s[0:1], 1
	s_load_dwordx2 s[4:5], s[4:5], 0x1b8
	s_mul_i32 s10, s10, s22
	s_add_u32 s6, s6, s0
	s_addc_u32 s8, s8, s1
	s_lshl_b64 s[0:1], s[10:11], 1
	s_add_u32 s9, s6, s0
	s_addc_u32 s10, s8, s1
	s_and_b32 s8, s12, 0xff
	s_cmp_eq_u32 s14, 1
	v_add_u32_e32 v2, s25, v0
	s_cbranch_scc1 .LBB172_18
; %bb.9:
	s_and_b32 s11, s14, 0x7ffffffe
	s_mov_b32 s12, 0
	v_mov_b32_e32 v3, 1
	v_mov_b32_e32 v4, v2
	s_branch .LBB172_11
.LBB172_10:                             ;   in Loop: Header=BB172_11 Depth=1
	s_or_b64 exec, exec, s[6:7]
	s_add_i32 s12, s12, 2
	s_cmp_eq_u32 s11, s12
	v_add_u32_e32 v4, 0x200, v4
	s_cbranch_scc1 .LBB172_17
.LBB172_11:                             ; =>This Inner Loop Header: Depth=1
	v_cmp_gt_u32_e64 s[0:1], s21, v4
	s_and_saveexec_b64 s[6:7], s[0:1]
	s_cbranch_execz .LBB172_14
; %bb.12:                               ;   in Loop: Header=BB172_11 Depth=1
	s_waitcnt lgkmcnt(0)
	v_mad_u64_u32 v[6:7], s[0:1], v4, s4, 0
	v_mov_b32_e32 v8, v7
	v_mad_u64_u32 v[8:9], s[0:1], v4, s5, v[8:9]
	v_mov_b32_e32 v7, v8
	v_lshlrev_b64 v[6:7], 1, v[6:7]
	v_mov_b32_e32 v5, s10
	v_add_co_u32_e64 v6, s[0:1], s9, v6
	v_addc_co_u32_e64 v7, s[0:1], v5, v7, s[0:1]
	global_load_sshort v5, v[6:7], off
	s_waitcnt vmcnt(0)
	v_add_u32_e32 v5, 0x8000, v5
	v_xor_b32_e32 v6, s13, v5
	v_and_b32_e32 v6, s15, v6
	v_cmp_eq_u32_e64 s[0:1], 0, v6
	s_and_b64 exec, exec, s[0:1]
	s_cbranch_execz .LBB172_14
; %bb.13:                               ;   in Loop: Header=BB172_11 Depth=1
	v_bfe_u32 v5, v5, s8, 8
	v_lshlrev_b32_e32 v5, 2, v5
	ds_add_u32 v5, v3
.LBB172_14:                             ;   in Loop: Header=BB172_11 Depth=1
	s_or_b64 exec, exec, s[6:7]
	v_add_u32_e32 v5, 0x100, v4
	v_cmp_gt_u32_e64 s[0:1], s21, v5
	s_and_saveexec_b64 s[6:7], s[0:1]
	s_cbranch_execz .LBB172_10
; %bb.15:                               ;   in Loop: Header=BB172_11 Depth=1
	s_waitcnt lgkmcnt(0)
	v_mad_u64_u32 v[6:7], s[0:1], v5, s4, 0
	v_mov_b32_e32 v8, v7
	v_mad_u64_u32 v[8:9], s[0:1], v5, s5, v[8:9]
	v_mov_b32_e32 v7, v8
	v_lshlrev_b64 v[6:7], 1, v[6:7]
	v_mov_b32_e32 v5, s10
	v_add_co_u32_e64 v6, s[0:1], s9, v6
	v_addc_co_u32_e64 v7, s[0:1], v5, v7, s[0:1]
	global_load_sshort v5, v[6:7], off
	s_waitcnt vmcnt(0)
	v_add_u32_e32 v5, 0x8000, v5
	v_xor_b32_e32 v6, s13, v5
	v_and_b32_e32 v6, s15, v6
	v_cmp_eq_u32_e64 s[0:1], 0, v6
	s_and_b64 exec, exec, s[0:1]
	s_cbranch_execz .LBB172_10
; %bb.16:                               ;   in Loop: Header=BB172_11 Depth=1
	v_bfe_u32 v5, v5, s8, 8
	v_lshlrev_b32_e32 v5, 2, v5
	ds_add_u32 v5, v3
	s_branch .LBB172_10
.LBB172_17:
	s_lshl_b32 s7, s11, 8
.LBB172_18:
	s_bitcmp0_b32 s14, 0
	s_cbranch_scc1 .LBB172_23
; %bb.19:
	v_add_u32_e32 v2, s7, v2
	v_cmp_gt_u32_e64 s[0:1], s21, v2
	s_and_saveexec_b64 s[6:7], s[0:1]
	s_cbranch_execz .LBB172_22
; %bb.20:
	s_waitcnt lgkmcnt(0)
	v_mad_u64_u32 v[4:5], s[0:1], v2, s4, 0
	v_mov_b32_e32 v6, v5
	v_mad_u64_u32 v[2:3], s[0:1], v2, s5, v[6:7]
	v_mov_b32_e32 v5, v2
	v_lshlrev_b64 v[2:3], 1, v[4:5]
	v_mov_b32_e32 v4, s10
	v_add_co_u32_e64 v2, s[0:1], s9, v2
	v_addc_co_u32_e64 v3, s[0:1], v4, v3, s[0:1]
	global_load_sshort v2, v[2:3], off
	s_waitcnt vmcnt(0)
	v_add_u32_e32 v2, 0x8000, v2
	v_xor_b32_e32 v3, s13, v2
	v_and_b32_e32 v3, s15, v3
	v_cmp_eq_u32_e64 s[0:1], 0, v3
	s_and_b64 exec, exec, s[0:1]
	s_cbranch_execz .LBB172_22
; %bb.21:
	v_bfe_u32 v2, v2, s8, 8
	v_lshlrev_b32_e32 v2, 2, v2
	v_mov_b32_e32 v3, 1
	ds_add_u32 v2, v3
.LBB172_22:
	s_or_b64 exec, exec, s[6:7]
.LBB172_23:
	v_mov_b32_e32 v2, 0
	s_waitcnt lgkmcnt(0)
	s_barrier
	s_and_saveexec_b64 s[0:1], vcc
	s_cbranch_execz .LBB172_25
; %bb.24:
	ds_read_b32 v2, v1
.LBB172_25:
	s_or_b64 exec, exec, s[0:1]
	s_and_saveexec_b64 s[0:1], vcc
	s_cbranch_execz .LBB172_27
; %bb.26:
	v_lshl_or_b32 v0, s24, 8, v0
	v_mov_b32_e32 v1, 0
	v_lshlrev_b64 v[0:1], 1, v[0:1]
	v_mov_b32_e32 v3, s3
	v_add_co_u32_e32 v0, vcc, s2, v0
	v_addc_co_u32_e32 v1, vcc, v3, v1, vcc
	s_waitcnt lgkmcnt(0)
	global_store_short v[0:1], v2, off
.LBB172_27:
	s_endpgm
	.section	.rodata,"a",@progbits
	.p2align	6, 0x0
	.amdhsa_kernel _ZN2at6native6mbtopk23computeBlockDigitCountsIsmjLi3EEEvNS_4cuda6detail10TensorInfoIKT_T0_EEjPjjS8_iijT1_PSB_Ps
		.amdhsa_group_segment_fixed_size 1024
		.amdhsa_private_segment_fixed_size 0
		.amdhsa_kernarg_size 736
		.amdhsa_user_sgpr_count 6
		.amdhsa_user_sgpr_private_segment_buffer 1
		.amdhsa_user_sgpr_dispatch_ptr 0
		.amdhsa_user_sgpr_queue_ptr 0
		.amdhsa_user_sgpr_kernarg_segment_ptr 1
		.amdhsa_user_sgpr_dispatch_id 0
		.amdhsa_user_sgpr_flat_scratch_init 0
		.amdhsa_user_sgpr_kernarg_preload_length 0
		.amdhsa_user_sgpr_kernarg_preload_offset 0
		.amdhsa_user_sgpr_private_segment_size 0
		.amdhsa_uses_dynamic_stack 0
		.amdhsa_system_sgpr_private_segment_wavefront_offset 0
		.amdhsa_system_sgpr_workgroup_id_x 1
		.amdhsa_system_sgpr_workgroup_id_y 1
		.amdhsa_system_sgpr_workgroup_id_z 1
		.amdhsa_system_sgpr_workgroup_info 0
		.amdhsa_system_vgpr_workitem_id 0
		.amdhsa_next_free_vgpr 10
		.amdhsa_next_free_sgpr 28
		.amdhsa_accum_offset 12
		.amdhsa_reserve_vcc 1
		.amdhsa_reserve_flat_scratch 0
		.amdhsa_float_round_mode_32 0
		.amdhsa_float_round_mode_16_64 0
		.amdhsa_float_denorm_mode_32 3
		.amdhsa_float_denorm_mode_16_64 3
		.amdhsa_dx10_clamp 1
		.amdhsa_ieee_mode 1
		.amdhsa_fp16_overflow 0
		.amdhsa_tg_split 0
		.amdhsa_exception_fp_ieee_invalid_op 0
		.amdhsa_exception_fp_denorm_src 0
		.amdhsa_exception_fp_ieee_div_zero 0
		.amdhsa_exception_fp_ieee_overflow 0
		.amdhsa_exception_fp_ieee_underflow 0
		.amdhsa_exception_fp_ieee_inexact 0
		.amdhsa_exception_int_div_zero 0
	.end_amdhsa_kernel
	.section	.text._ZN2at6native6mbtopk23computeBlockDigitCountsIsmjLi3EEEvNS_4cuda6detail10TensorInfoIKT_T0_EEjPjjS8_iijT1_PSB_Ps,"axG",@progbits,_ZN2at6native6mbtopk23computeBlockDigitCountsIsmjLi3EEEvNS_4cuda6detail10TensorInfoIKT_T0_EEjPjjS8_iijT1_PSB_Ps,comdat
.Lfunc_end172:
	.size	_ZN2at6native6mbtopk23computeBlockDigitCountsIsmjLi3EEEvNS_4cuda6detail10TensorInfoIKT_T0_EEjPjjS8_iijT1_PSB_Ps, .Lfunc_end172-_ZN2at6native6mbtopk23computeBlockDigitCountsIsmjLi3EEEvNS_4cuda6detail10TensorInfoIKT_T0_EEjPjjS8_iijT1_PSB_Ps
                                        ; -- End function
	.section	.AMDGPU.csdata,"",@progbits
; Kernel info:
; codeLenInByte = 1304
; NumSgprs: 32
; NumVgprs: 10
; NumAgprs: 0
; TotalNumVgprs: 10
; ScratchSize: 0
; MemoryBound: 0
; FloatMode: 240
; IeeeMode: 1
; LDSByteSize: 1024 bytes/workgroup (compile time only)
; SGPRBlocks: 3
; VGPRBlocks: 1
; NumSGPRsForWavesPerEU: 32
; NumVGPRsForWavesPerEU: 10
; AccumOffset: 12
; Occupancy: 8
; WaveLimiterHint : 1
; COMPUTE_PGM_RSRC2:SCRATCH_EN: 0
; COMPUTE_PGM_RSRC2:USER_SGPR: 6
; COMPUTE_PGM_RSRC2:TRAP_HANDLER: 0
; COMPUTE_PGM_RSRC2:TGID_X_EN: 1
; COMPUTE_PGM_RSRC2:TGID_Y_EN: 1
; COMPUTE_PGM_RSRC2:TGID_Z_EN: 1
; COMPUTE_PGM_RSRC2:TIDIG_COMP_CNT: 0
; COMPUTE_PGM_RSRC3_GFX90A:ACCUM_OFFSET: 2
; COMPUTE_PGM_RSRC3_GFX90A:TG_SPLIT: 0
	.section	.text._ZN2at6native6mbtopk10gatherTopKIsmLi3EEEvNS_4cuda6detail10TensorInfoIKT_T0_EES8_S8_bjS8_NS5_IS6_S8_EES8_NS5_IlS8_EES8_jjPS6_PjSD_j,"axG",@progbits,_ZN2at6native6mbtopk10gatherTopKIsmLi3EEEvNS_4cuda6detail10TensorInfoIKT_T0_EES8_S8_bjS8_NS5_IS6_S8_EES8_NS5_IlS8_EES8_jjPS6_PjSD_j,comdat
	.protected	_ZN2at6native6mbtopk10gatherTopKIsmLi3EEEvNS_4cuda6detail10TensorInfoIKT_T0_EES8_S8_bjS8_NS5_IS6_S8_EES8_NS5_IlS8_EES8_jjPS6_PjSD_j ; -- Begin function _ZN2at6native6mbtopk10gatherTopKIsmLi3EEEvNS_4cuda6detail10TensorInfoIKT_T0_EES8_S8_bjS8_NS5_IS6_S8_EES8_NS5_IlS8_EES8_jjPS6_PjSD_j
	.globl	_ZN2at6native6mbtopk10gatherTopKIsmLi3EEEvNS_4cuda6detail10TensorInfoIKT_T0_EES8_S8_bjS8_NS5_IS6_S8_EES8_NS5_IlS8_EES8_jjPS6_PjSD_j
	.p2align	8
	.type	_ZN2at6native6mbtopk10gatherTopKIsmLi3EEEvNS_4cuda6detail10TensorInfoIKT_T0_EES8_S8_bjS8_NS5_IS6_S8_EES8_NS5_IlS8_EES8_jjPS6_PjSD_j,@function
_ZN2at6native6mbtopk10gatherTopKIsmLi3EEEvNS_4cuda6detail10TensorInfoIKT_T0_EES8_S8_bjS8_NS5_IS6_S8_EES8_NS5_IlS8_EES8_jjPS6_PjSD_j: ; @_ZN2at6native6mbtopk10gatherTopKIsmLi3EEEvNS_4cuda6detail10TensorInfoIKT_T0_EES8_S8_bjS8_NS5_IS6_S8_EES8_NS5_IlS8_EES8_jjPS6_PjSD_j
; %bb.0:
	s_load_dwordx2 s[0:1], s[4:5], 0x538
	s_load_dword s2, s[4:5], 0x530
	s_waitcnt lgkmcnt(0)
	s_mul_i32 s1, s1, s8
	s_add_i32 s1, s1, s7
	s_mul_i32 s0, s1, s0
	s_add_i32 s0, s0, s6
	s_cmp_ge_u32 s0, s2
	s_cbranch_scc1 .LBB173_54
; %bb.1:
	s_load_dwordx2 s[34:35], s[4:5], 0x510
	s_load_dwordx4 s[8:11], s[4:5], 0x1a0
	s_load_dwordx4 s[12:15], s[4:5], 0x10
	s_mov_b32 s7, 0
	s_waitcnt lgkmcnt(0)
	v_cvt_f32_u32_e32 v1, s35
	s_sub_i32 s2, 0, s35
	s_lshl_b32 s1, s34, 8
	v_rcp_iflag_f32_e32 v1, v1
	v_mul_f32_e32 v1, 0x4f7ffffe, v1
	v_cvt_u32_f32_e32 v1, v1
	v_readfirstlane_b32 s3, v1
	s_mul_i32 s2, s2, s3
	s_mul_hi_u32 s2, s3, s2
	s_add_i32 s3, s3, s2
	s_mul_hi_u32 s2, s0, s3
	s_mul_i32 s3, s2, s35
	s_sub_i32 s3, s0, s3
	s_add_i32 s6, s2, 1
	s_sub_i32 s16, s3, s35
	s_cmp_ge_u32 s3, s35
	s_cselect_b32 s2, s6, s2
	s_cselect_b32 s3, s16, s3
	s_add_i32 s6, s2, 1
	s_cmp_ge_u32 s3, s35
	s_cselect_b32 s6, s6, s2
	s_mul_i32 s52, s6, s35
	s_sub_i32 s76, s0, s52
	s_add_i32 s0, s76, 1
	s_cmp_lt_u32 s0, s35
	s_mul_i32 s33, s76, s1
	s_cbranch_scc1 .LBB173_3
; %bb.2:
	s_sub_u32 s0, s8, s33
	s_subb_u32 s1, s9, 0
	s_add_u32 s0, s0, 0xff
	s_addc_u32 s1, s1, 0
	s_ashr_i32 s2, s1, 31
	s_lshr_b32 s2, s2, 24
	s_add_u32 s0, s0, s2
	s_addc_u32 s1, s1, 0
	v_mov_b32_e32 v1, s0
	v_alignbit_b32 v1, s1, v1, 8
	v_readfirstlane_b32 s34, v1
.LBB173_3:
	v_pk_mov_b32 v[2:3], s[14:15], s[14:15] op_sel:[0,1]
	v_cmp_lt_u64_e32 vcc, s[6:7], v[2:3]
	s_mov_b64 s[50:51], 0
	s_mov_b64 s[48:49], 0
	s_cbranch_vccnz .LBB173_5
; %bb.4:
	v_cvt_f32_u32_e32 v1, s14
	s_sub_i32 s0, 0, s14
	s_mov_b32 s49, 0
	v_rcp_iflag_f32_e32 v1, v1
	v_mul_f32_e32 v1, 0x4f7ffffe, v1
	v_cvt_u32_f32_e32 v1, v1
	v_readfirstlane_b32 s1, v1
	s_mul_i32 s0, s0, s1
	s_mul_hi_u32 s0, s1, s0
	s_add_i32 s1, s1, s0
	s_mul_hi_u32 s0, s6, s1
	s_mul_i32 s2, s0, s14
	s_sub_i32 s2, s6, s2
	s_add_i32 s1, s0, 1
	s_sub_i32 s3, s2, s14
	s_cmp_ge_u32 s2, s14
	s_cselect_b32 s0, s1, s0
	s_cselect_b32 s2, s3, s2
	s_add_i32 s1, s0, 1
	s_cmp_ge_u32 s2, s14
	s_cselect_b32 s48, s1, s0
.LBB173_5:
	s_load_dwordx4 s[16:19], s[4:5], 0x1d0
	v_pk_mov_b32 v[2:3], s[12:13], s[12:13] op_sel:[0,1]
	v_cmp_lt_u64_e32 vcc, s[48:49], v[2:3]
	s_cbranch_vccnz .LBB173_7
; %bb.6:
	v_cvt_f32_u32_e32 v1, s12
	s_sub_i32 s0, 0, s12
	v_rcp_iflag_f32_e32 v1, v1
	v_mul_f32_e32 v1, 0x4f7ffffe, v1
	v_cvt_u32_f32_e32 v1, v1
	v_readfirstlane_b32 s1, v1
	s_mul_i32 s0, s0, s1
	s_mul_hi_u32 s0, s1, s0
	s_add_i32 s1, s1, s0
	s_mul_hi_u32 s0, s48, s1
	s_mul_i32 s2, s0, s12
	s_sub_i32 s2, s48, s2
	s_add_i32 s1, s0, 1
	s_sub_i32 s3, s2, s12
	s_cmp_ge_u32 s2, s12
	s_cselect_b32 s0, s1, s0
	s_cselect_b32 s2, s3, s2
	s_add_i32 s1, s0, 1
	s_cmp_ge_u32 s2, s12
	s_cselect_b32 s50, s1, s0
.LBB173_7:
	s_waitcnt lgkmcnt(0)
	v_pk_mov_b32 v[2:3], s[18:19], s[18:19] op_sel:[0,1]
	v_cmp_lt_u64_e32 vcc, s[6:7], v[2:3]
	s_mov_b64 s[56:57], 0
	s_mov_b64 s[54:55], 0
	s_cbranch_vccnz .LBB173_9
; %bb.8:
	v_cvt_f32_u32_e32 v1, s18
	s_sub_i32 s0, 0, s18
	s_mov_b32 s55, 0
	v_rcp_iflag_f32_e32 v1, v1
	v_mul_f32_e32 v1, 0x4f7ffffe, v1
	v_cvt_u32_f32_e32 v1, v1
	v_readfirstlane_b32 s1, v1
	s_mul_i32 s0, s0, s1
	s_mul_hi_u32 s0, s1, s0
	s_add_i32 s1, s1, s0
	s_mul_hi_u32 s0, s6, s1
	s_mul_i32 s2, s0, s18
	s_sub_i32 s2, s6, s2
	s_add_i32 s1, s0, 1
	s_sub_i32 s3, s2, s18
	s_cmp_ge_u32 s2, s18
	s_cselect_b32 s0, s1, s0
	s_cselect_b32 s2, s3, s2
	s_add_i32 s1, s0, 1
	s_cmp_ge_u32 s2, s18
	s_cselect_b32 s54, s1, s0
.LBB173_9:
	s_load_dwordx4 s[28:31], s[4:5], 0x378
	v_pk_mov_b32 v[2:3], s[16:17], s[16:17] op_sel:[0,1]
	v_cmp_lt_u64_e32 vcc, s[54:55], v[2:3]
	s_cbranch_vccnz .LBB173_11
; %bb.10:
	v_cvt_f32_u32_e32 v1, s16
	s_sub_i32 s0, 0, s16
	v_rcp_iflag_f32_e32 v1, v1
	v_mul_f32_e32 v1, 0x4f7ffffe, v1
	v_cvt_u32_f32_e32 v1, v1
	v_readfirstlane_b32 s1, v1
	s_mul_i32 s0, s0, s1
	s_mul_hi_u32 s0, s1, s0
	s_add_i32 s1, s1, s0
	s_mul_hi_u32 s0, s54, s1
	s_mul_i32 s2, s0, s16
	s_sub_i32 s2, s54, s2
	s_add_i32 s1, s0, 1
	s_sub_i32 s3, s2, s16
	s_cmp_ge_u32 s2, s16
	s_cselect_b32 s0, s1, s0
	s_cselect_b32 s2, s3, s2
	s_add_i32 s1, s0, 1
	s_cmp_ge_u32 s2, s16
	s_cselect_b32 s56, s1, s0
.LBB173_11:
	s_waitcnt lgkmcnt(0)
	v_pk_mov_b32 v[2:3], s[30:31], s[30:31] op_sel:[0,1]
	v_cmp_lt_u64_e32 vcc, s[6:7], v[2:3]
	s_mov_b64 s[58:59], 0
	s_mov_b64 s[60:61], 0
	s_cbranch_vccnz .LBB173_13
; %bb.12:
	v_cvt_f32_u32_e32 v1, s30
	s_sub_i32 s0, 0, s30
	s_mov_b32 s61, 0
	v_rcp_iflag_f32_e32 v1, v1
	v_mul_f32_e32 v1, 0x4f7ffffe, v1
	v_cvt_u32_f32_e32 v1, v1
	v_readfirstlane_b32 s1, v1
	s_mul_i32 s0, s0, s1
	s_mul_hi_u32 s0, s1, s0
	s_add_i32 s1, s1, s0
	s_mul_hi_u32 s0, s6, s1
	s_mul_i32 s2, s0, s30
	s_sub_i32 s2, s6, s2
	s_add_i32 s1, s0, 1
	s_sub_i32 s3, s2, s30
	s_cmp_ge_u32 s2, s30
	s_cselect_b32 s0, s1, s0
	s_cselect_b32 s2, s3, s2
	s_add_i32 s1, s0, 1
	s_cmp_ge_u32 s2, s30
	s_cselect_b32 s60, s1, s0
.LBB173_13:
	s_load_dwordx2 s[62:63], s[4:5], 0xe0
	s_load_dwordx4 s[40:43], s[4:5], 0xd0
	s_load_dwordx2 s[66:67], s[4:5], 0x2a0
	s_load_dwordx4 s[44:47], s[4:5], 0x290
	;; [unrolled: 2-line block ×3, first 2 shown]
	v_pk_mov_b32 v[2:3], s[28:29], s[28:29] op_sel:[0,1]
	v_cmp_lt_u64_e32 vcc, s[60:61], v[2:3]
	s_cbranch_vccnz .LBB173_15
; %bb.14:
	v_cvt_f32_u32_e32 v1, s28
	s_sub_i32 s0, 0, s28
	v_rcp_iflag_f32_e32 v1, v1
	v_mul_f32_e32 v1, 0x4f7ffffe, v1
	v_cvt_u32_f32_e32 v1, v1
	v_readfirstlane_b32 s1, v1
	s_mul_i32 s0, s0, s1
	s_mul_hi_u32 s0, s1, s0
	s_add_i32 s1, s1, s0
	s_mul_hi_u32 s0, s60, s1
	s_mul_i32 s2, s0, s28
	s_sub_i32 s2, s60, s2
	s_add_i32 s1, s0, 1
	s_sub_i32 s3, s2, s28
	s_cmp_ge_u32 s2, s28
	s_cselect_b32 s0, s1, s0
	s_cselect_b32 s2, s3, s2
	s_add_i32 s1, s0, 1
	s_cmp_ge_u32 s2, s28
	s_cselect_b32 s58, s1, s0
.LBB173_15:
	s_load_dwordx4 s[20:23], s[4:5], 0x518
	s_load_dwordx2 s[64:65], s[4:5], 0x0
	s_lshl_b64 s[0:1], s[6:7], 1
	v_mov_b32_e32 v1, 0
	s_mov_b32 s53, 0
	s_waitcnt lgkmcnt(0)
	s_add_u32 s0, s20, s0
	s_addc_u32 s1, s21, s1
	global_load_ushort v5, v1, s[0:1]
	v_cmp_ne_u32_e64 s[0:1], 0, v0
	v_cmp_eq_u32_e64 s[2:3], 0, v0
	s_and_saveexec_b64 s[20:21], s[2:3]
	s_cbranch_execz .LBB173_31
; %bb.16:
	s_load_dwordx2 s[70:71], s[4:5], 0x528
	s_lshl_b64 s[72:73], s[52:53], 2
	s_add_u32 s24, s22, s72
	s_addc_u32 s25, s23, s73
	s_mov_b32 s51, 0
	s_waitcnt lgkmcnt(0)
	s_add_u32 s26, s70, s72
	s_addc_u32 s27, s71, s73
	s_cmp_lt_u32 s35, 4
	s_cbranch_scc1 .LBB173_28
; %bb.17:
	s_mov_b32 s52, 0
.LBB173_18:                             ; =>This Inner Loop Header: Depth=1
	s_add_u32 s24, s22, s72
	s_addc_u32 s25, s23, s73
	s_load_dwordx4 s[24:27], s[24:25], 0x0
	s_add_u32 s74, s70, s72
	s_addc_u32 s75, s71, s73
	s_cmp_ge_u32 s52, s76
	s_cbranch_scc0 .LBB173_25
; %bb.19:                               ;   in Loop: Header=BB173_18 Depth=1
	s_add_i32 s57, s52, 1
	s_cmp_ge_u32 s57, s76
	s_cbranch_scc0 .LBB173_26
.LBB173_20:                             ;   in Loop: Header=BB173_18 Depth=1
	s_add_i32 s57, s57, 1
	s_cmp_ge_u32 s57, s76
	s_cbranch_scc0 .LBB173_27
.LBB173_21:                             ;   in Loop: Header=BB173_18 Depth=1
	s_add_i32 s57, s57, 1
	s_cmp_ge_u32 s57, s76
	s_cbranch_scc1 .LBB173_23
.LBB173_22:                             ;   in Loop: Header=BB173_18 Depth=1
	s_load_dword s59, s[74:75], 0xc
	s_waitcnt lgkmcnt(0)
	s_add_i32 s53, s53, s27
	s_add_i32 s7, s59, s7
.LBB173_23:                             ;   in Loop: Header=BB173_18 Depth=1
	s_waitcnt lgkmcnt(0)
	s_add_i32 s24, s24, s51
	s_add_i32 s24, s24, s25
	;; [unrolled: 1-line block ×4, first 2 shown]
	s_add_u32 s22, s22, 16
	s_addc_u32 s23, s23, 0
	s_add_u32 s70, s70, 16
	s_addc_u32 s71, s71, 0
	s_add_i32 s59, s57, 4
	s_add_u32 s26, s70, s72
	s_addc_u32 s27, s71, s73
	s_add_u32 s24, s22, s72
	s_addc_u32 s25, s23, s73
	s_add_i32 s57, s57, 1
	s_cmp_ge_u32 s59, s35
	s_cbranch_scc1 .LBB173_29
; %bb.24:                               ;   in Loop: Header=BB173_18 Depth=1
	s_mov_b32 s52, s57
	s_branch .LBB173_18
.LBB173_25:                             ;   in Loop: Header=BB173_18 Depth=1
	s_load_dword s57, s[74:75], 0x0
	s_waitcnt lgkmcnt(0)
	s_add_i32 s53, s24, s53
	s_add_i32 s7, s57, s7
	;; [unrolled: 1-line block ×3, first 2 shown]
	s_cmp_ge_u32 s57, s76
	s_cbranch_scc1 .LBB173_20
.LBB173_26:                             ;   in Loop: Header=BB173_18 Depth=1
	s_load_dword s59, s[74:75], 0x4
	s_waitcnt lgkmcnt(0)
	s_add_i32 s53, s53, s25
	s_add_i32 s7, s59, s7
	;; [unrolled: 1-line block ×3, first 2 shown]
	s_cmp_ge_u32 s57, s76
	s_cbranch_scc1 .LBB173_21
.LBB173_27:                             ;   in Loop: Header=BB173_18 Depth=1
	s_load_dword s59, s[74:75], 0x8
	s_waitcnt lgkmcnt(0)
	s_add_i32 s53, s53, s26
	s_add_i32 s7, s59, s7
	;; [unrolled: 1-line block ×3, first 2 shown]
	s_cmp_ge_u32 s57, s76
	s_cbranch_scc0 .LBB173_22
	s_branch .LBB173_23
.LBB173_28:
	s_mov_b32 s22, 0
	s_cmp_ge_u32 s22, s35
	s_cbranch_scc0 .LBB173_52
	s_branch .LBB173_30
.LBB173_29:
	s_add_i32 s22, s52, 4
	s_cmp_ge_u32 s22, s35
	s_cbranch_scc0 .LBB173_52
.LBB173_30:
	v_mov_b32_e32 v2, s7
	v_mov_b32_e32 v3, s51
	;; [unrolled: 1-line block ×4, first 2 shown]
	ds_write_b96 v1, v[2:4] offset:1056
.LBB173_31:
	s_or_b64 exec, exec, s[20:21]
	s_load_dwordx4 s[20:23], s[4:5], 0x1b8
	s_load_dwordx4 s[24:27], s[4:5], 0x360
	s_cmp_eq_u32 s34, 0
	s_waitcnt lgkmcnt(0)
	s_barrier
	s_cbranch_scc1 .LBB173_54
; %bb.32:
	s_mul_i32 s7, s60, s31
	s_mul_hi_u32 s31, s60, s30
	s_add_i32 s31, s31, s7
	s_mul_i32 s7, s60, s30
	s_sub_u32 s7, s6, s7
	s_subb_u32 s30, 0, s31
	s_mul_i32 s31, s7, s69
	s_mul_hi_u32 s35, s7, s68
	s_add_i32 s31, s35, s31
	s_mul_i32 s30, s30, s68
	s_add_i32 s31, s31, s30
	s_mul_i32 s30, s7, s68
	s_mul_i32 s7, s56, s17
	s_mul_hi_u32 s17, s56, s16
	s_add_i32 s17, s17, s7
	s_mul_i32 s7, s56, s16
	s_sub_u32 s7, s54, s7
	s_subb_u32 s16, s55, s17
	s_mul_i32 s17, s7, s47
	s_mul_hi_u32 s35, s7, s46
	s_add_i32 s17, s35, s17
	s_mul_i32 s16, s16, s46
	s_add_i32 s47, s17, s16
	s_mul_i32 s46, s7, s46
	s_mul_i32 s7, s56, s45
	s_mul_hi_u32 s16, s56, s44
	s_add_i32 s45, s16, s7
	s_mul_i32 s7, s54, s19
	s_mul_hi_u32 s16, s54, s18
	s_add_i32 s16, s16, s7
	s_mul_i32 s7, s54, s18
	s_sub_u32 s7, s6, s7
	s_subb_u32 s16, 0, s16
	s_mul_i32 s17, s7, s67
	s_mul_hi_u32 s18, s7, s66
	s_add_i32 s17, s18, s17
	s_mul_i32 s16, s16, s66
	s_mul_i32 s18, s7, s66
	;; [unrolled: 1-line block ×3, first 2 shown]
	s_mul_hi_u32 s13, s50, s12
	s_add_i32 s19, s17, s16
	s_add_i32 s13, s13, s7
	s_mul_i32 s7, s50, s12
	s_sub_u32 s7, s48, s7
	s_subb_u32 s12, s49, s13
	s_mul_i32 s13, s7, s43
	s_mul_hi_u32 s16, s7, s42
	s_add_i32 s13, s16, s13
	s_mul_i32 s12, s12, s42
	s_add_i32 s13, s13, s12
	s_mul_i32 s12, s7, s42
	s_mul_i32 s7, s50, s41
	s_mul_hi_u32 s16, s50, s40
	s_add_i32 s17, s16, s7
	s_mul_i32 s7, s48, s15
	s_mul_hi_u32 s15, s48, s14
	s_add_i32 s15, s15, s7
	s_mul_i32 s7, s48, s14
	s_sub_u32 s6, s6, s7
	s_subb_u32 s7, 0, s15
	s_mul_i32 s14, s6, s63
	s_mul_hi_u32 s15, s6, s62
	s_add_i32 s14, s15, s14
	s_mul_i32 s7, s7, s62
	s_add_i32 s7, s14, s7
	s_mul_i32 s14, s58, s29
	s_mul_hi_u32 s15, s58, s28
	s_add_i32 s15, s15, s14
	s_mul_i32 s14, s58, s28
	s_sub_u32 s14, s60, s14
	s_subb_u32 s15, s61, s15
	s_mul_i32 s28, s14, s39
	s_mul_hi_u32 s29, s14, s38
	s_add_i32 s28, s29, s28
	s_mul_i32 s15, s15, s38
	s_mul_i32 s16, s50, s40
	s_add_i32 s15, s28, s15
	s_mul_i32 s28, s58, s37
	s_mul_hi_u32 s29, s58, s36
	s_add_i32 s29, s29, s28
	s_lshl_b64 s[16:17], s[16:17], 1
	s_add_u32 s16, s64, s16
	s_addc_u32 s17, s65, s17
	s_lshl_b64 s[12:13], s[12:13], 1
	s_mul_i32 s6, s6, s62
	s_add_u32 s12, s16, s12
	s_addc_u32 s13, s17, s13
	s_lshl_b64 s[6:7], s[6:7], 1
	s_mul_i32 s44, s56, s44
	s_add_u32 s16, s12, s6
	s_addc_u32 s17, s13, s7
	s_lshl_b64 s[6:7], s[44:45], 1
	s_add_u32 s12, s22, s6
	s_addc_u32 s13, s23, s7
	s_lshl_b64 s[6:7], s[46:47], 1
	;; [unrolled: 3-line block ×3, first 2 shown]
	s_mul_i32 s28, s58, s36
	s_add_u32 s18, s12, s6
	v_mov_b32_e32 v1, 0
	s_addc_u32 s19, s13, s7
	s_lshl_b64 s[6:7], s[28:29], 3
	ds_read_b96 v[2:4], v1 offset:1056
	s_mul_i32 s14, s14, s38
	s_add_u32 s12, s26, s6
	s_addc_u32 s13, s27, s7
	s_lshl_b64 s[6:7], s[14:15], 3
	s_add_u32 s12, s12, s6
	s_addc_u32 s13, s13, s7
	s_lshl_b64 s[6:7], s[30:31], 3
	s_add_u32 s22, s12, s6
	s_load_dword s6, s[4:5], 0x1b0
	s_waitcnt lgkmcnt(0)
	v_add_u32_e32 v2, v2, v3
	v_lshrrev_b32_e32 v3, 5, v0
	v_add_lshl_u32 v9, v3, v0, 2
	v_lshlrev_b32_e32 v3, 2, v0
	v_lshrrev_b32_e32 v6, 3, v0
	s_addc_u32 s23, s13, s7
	s_load_dwordx2 s[12:13], s[4:5], 0x508
	v_add_lshl_u32 v10, v6, v3, 2
	v_add_u32_e32 v3, -1, v0
	v_lshrrev_b32_e32 v6, 5, v3
	v_add_lshl_u32 v11, v6, v3, 2
	v_mbcnt_lo_u32_b32 v3, -1, 0
	s_mov_b32 s26, 0x8000
	s_bitcmp1_b32 s6, 0
	v_mbcnt_hi_u32_b32 v12, -1, v3
	s_waitcnt vmcnt(0)
	v_add_u32_sdwa v8, sext(v5), s26 dst_sel:DWORD dst_unused:UNUSED_PAD src0_sel:WORD_0 src1_sel:DWORD
	s_cselect_b64 s[4:5], -1, 0
	v_cmp_gt_u32_e64 s[6:7], 64, v0
	v_add_u32_e32 v0, s33, v0
	v_and_b32_e32 v13, 15, v12
	v_bfe_i32 v14, v12, 4, 1
	v_add_u32_e32 v15, -1, v12
	v_and_b32_e32 v16, 64, v12
                                        ; implicit-def: $vgpr17
	s_branch .LBB173_35
.LBB173_33:                             ;   in Loop: Header=BB173_35 Depth=1
	s_or_b64 exec, exec, s[14:15]
	v_add_u32_e32 v2, v3, v2
.LBB173_34:                             ;   in Loop: Header=BB173_35 Depth=1
	s_add_i32 s34, s34, -1
	v_add_u32_e32 v4, v18, v4
	s_cmp_lg_u32 s34, 0
	v_add_u32_e32 v0, 0x100, v0
	s_cbranch_scc0 .LBB173_54
.LBB173_35:                             ; =>This Inner Loop Header: Depth=1
	v_cmp_gt_u64_e32 vcc, s[8:9], v[0:1]
	v_mov_b32_e32 v3, v1
	v_mov_b32_e32 v6, v1
	s_and_saveexec_b64 s[14:15], vcc
	s_cbranch_execz .LBB173_37
; %bb.36:                               ;   in Loop: Header=BB173_35 Depth=1
	v_mad_u64_u32 v[6:7], s[28:29], v0, s20, 0
	v_mov_b32_e32 v18, v7
	v_mad_u64_u32 v[18:19], s[28:29], v0, s21, v[18:19]
	v_mov_b32_e32 v7, v18
	v_lshlrev_b64 v[6:7], 1, v[6:7]
	v_mov_b32_e32 v3, s17
	v_add_co_u32_e32 v6, vcc, s16, v6
	v_addc_co_u32_e32 v7, vcc, v3, v7, vcc
	global_load_ushort v17, v[6:7], off
	s_waitcnt vmcnt(0)
	v_add_u32_sdwa v3, sext(v17), s26 dst_sel:DWORD dst_unused:UNUSED_PAD src0_sel:WORD_0 src1_sel:DWORD
	v_cmp_gt_u32_e32 vcc, v3, v8
	v_cndmask_b32_e64 v6, 0, 1, vcc
	v_cmp_lt_u32_e32 vcc, v3, v8
	v_cndmask_b32_e64 v3, 0, 1, vcc
	v_cndmask_b32_e64 v3, v3, v6, s[4:5]
	v_cmp_eq_u16_e32 vcc, v17, v5
	v_and_b32_e32 v3, 1, v3
	v_cndmask_b32_e64 v6, 0, 1, vcc
.LBB173_37:                             ;   in Loop: Header=BB173_35 Depth=1
	s_or_b64 exec, exec, s[14:15]
	ds_write_b32 v9, v3
	s_waitcnt lgkmcnt(0)
	s_barrier
	s_and_saveexec_b64 s[14:15], s[6:7]
	s_cbranch_execz .LBB173_39
; %bb.38:                               ;   in Loop: Header=BB173_35 Depth=1
	ds_read2_b32 v[18:19], v10 offset1:1
	ds_read2_b32 v[20:21], v10 offset0:2 offset1:3
	v_cmp_ne_u32_e32 vcc, 0, v13
	; wave barrier
	s_waitcnt lgkmcnt(1)
	v_add_u32_e32 v7, v19, v18
	s_waitcnt lgkmcnt(0)
	v_add3_u32 v7, v7, v20, v21
	s_nop 1
	v_mov_b32_dpp v19, v7 row_shr:1 row_mask:0xf bank_mask:0xf
	v_cndmask_b32_e32 v19, 0, v19, vcc
	v_add_u32_e32 v7, v19, v7
	v_cmp_lt_u32_e32 vcc, 1, v13
	s_nop 0
	v_mov_b32_dpp v19, v7 row_shr:2 row_mask:0xf bank_mask:0xf
	v_cndmask_b32_e32 v19, 0, v19, vcc
	v_add_u32_e32 v7, v7, v19
	v_cmp_lt_u32_e32 vcc, 3, v13
	;; [unrolled: 5-line block ×4, first 2 shown]
	s_nop 0
	v_mov_b32_dpp v19, v7 row_bcast:15 row_mask:0xf bank_mask:0xf
	v_and_b32_e32 v19, v14, v19
	v_add_u32_e32 v7, v7, v19
	s_nop 1
	v_mov_b32_dpp v19, v7 row_bcast:31 row_mask:0xf bank_mask:0xf
	v_cndmask_b32_e32 v19, 0, v19, vcc
	v_cmp_lt_i32_e32 vcc, v15, v16
	v_add_u32_e32 v7, v7, v19
	v_cndmask_b32_e32 v19, v15, v12, vcc
	v_lshlrev_b32_e32 v19, 2, v19
	ds_bpermute_b32 v7, v19, v7
	s_waitcnt lgkmcnt(0)
	v_add_u32_e32 v7, v7, v18
	v_cndmask_b32_e64 v7, v7, v3, s[2:3]
	ds_write_b32 v10, v7
	; wave barrier
	ds_read2_b32 v[18:19], v10 offset0:1 offset1:2
	ds_read_b32 v20, v10 offset:12
	s_waitcnt lgkmcnt(1)
	v_add_u32_e32 v7, v18, v7
	v_add_u32_e32 v18, v19, v7
	ds_write2_b32 v10, v7, v18 offset0:1 offset1:2
	s_waitcnt lgkmcnt(1)
	v_add_u32_e32 v7, v20, v18
	ds_write_b32 v10, v7 offset:12
.LBB173_39:                             ;   in Loop: Header=BB173_35 Depth=1
	s_or_b64 exec, exec, s[14:15]
	v_mov_b32_e32 v7, 0
	s_waitcnt lgkmcnt(0)
	s_barrier
	s_and_saveexec_b64 s[14:15], s[0:1]
	s_cbranch_execz .LBB173_41
; %bb.40:                               ;   in Loop: Header=BB173_35 Depth=1
	ds_read_b32 v7, v11
.LBB173_41:                             ;   in Loop: Header=BB173_35 Depth=1
	s_or_b64 exec, exec, s[14:15]
	ds_read_b32 v18, v1 offset:1048
	v_cmp_ne_u32_e32 vcc, 0, v3
	s_waitcnt lgkmcnt(0)
	s_barrier
	s_and_saveexec_b64 s[14:15], vcc
	s_cbranch_execz .LBB173_43
; %bb.42:                               ;   in Loop: Header=BB173_35 Depth=1
	v_add_u32_e32 v3, v7, v4
	v_mad_u64_u32 v[20:21], s[28:29], v3, s24, 0
	v_mov_b32_e32 v22, v21
	v_mad_u64_u32 v[22:23], s[28:29], v3, s25, v[22:23]
	v_mov_b32_e32 v21, v22
	v_lshlrev_b64 v[20:21], 1, v[20:21]
	v_mov_b32_e32 v7, s19
	v_add_co_u32_e32 v20, vcc, s18, v20
	v_addc_co_u32_e32 v21, vcc, v7, v21, vcc
	global_store_short v[20:21], v17, off
	v_mad_u64_u32 v[20:21], s[28:29], v3, s12, 0
	v_mov_b32_e32 v22, v21
	v_mad_u64_u32 v[22:23], s[28:29], v3, s13, v[22:23]
	v_mov_b32_e32 v21, v22
	v_lshlrev_b64 v[20:21], 3, v[20:21]
	v_mov_b32_e32 v3, s23
	v_add_co_u32_e32 v20, vcc, s22, v20
	v_addc_co_u32_e32 v21, vcc, v3, v21, vcc
	global_store_dwordx2 v[20:21], v[0:1], off
.LBB173_43:                             ;   in Loop: Header=BB173_35 Depth=1
	s_or_b64 exec, exec, s[14:15]
	v_mov_b32_e32 v3, v1
	v_cmp_le_u64_e32 vcc, s[10:11], v[2:3]
	s_cbranch_vccnz .LBB173_34
; %bb.44:                               ;   in Loop: Header=BB173_35 Depth=1
	ds_write_b32 v9, v6
	s_waitcnt lgkmcnt(0)
	s_barrier
	s_and_saveexec_b64 s[14:15], s[6:7]
	s_cbranch_execz .LBB173_46
; %bb.45:                               ;   in Loop: Header=BB173_35 Depth=1
	ds_read2_b32 v[20:21], v10 offset1:1
	ds_read2_b32 v[22:23], v10 offset0:2 offset1:3
	v_cmp_ne_u32_e32 vcc, 0, v13
	; wave barrier
	s_waitcnt lgkmcnt(1)
	v_add_u32_e32 v3, v21, v20
	s_waitcnt lgkmcnt(0)
	v_add3_u32 v3, v3, v22, v23
	s_nop 1
	v_mov_b32_dpp v7, v3 row_shr:1 row_mask:0xf bank_mask:0xf
	v_cndmask_b32_e32 v7, 0, v7, vcc
	v_add_u32_e32 v3, v7, v3
	v_cmp_lt_u32_e32 vcc, 1, v13
	s_nop 0
	v_mov_b32_dpp v7, v3 row_shr:2 row_mask:0xf bank_mask:0xf
	v_cndmask_b32_e32 v7, 0, v7, vcc
	v_add_u32_e32 v3, v3, v7
	v_cmp_lt_u32_e32 vcc, 3, v13
	;; [unrolled: 5-line block ×4, first 2 shown]
	s_nop 0
	v_mov_b32_dpp v7, v3 row_bcast:15 row_mask:0xf bank_mask:0xf
	v_and_b32_e32 v7, v14, v7
	v_add_u32_e32 v3, v3, v7
	s_nop 1
	v_mov_b32_dpp v7, v3 row_bcast:31 row_mask:0xf bank_mask:0xf
	v_cndmask_b32_e32 v7, 0, v7, vcc
	v_cmp_lt_i32_e32 vcc, v15, v16
	v_add_u32_e32 v3, v3, v7
	v_cndmask_b32_e32 v7, v15, v12, vcc
	v_lshlrev_b32_e32 v7, 2, v7
	ds_bpermute_b32 v3, v7, v3
	s_waitcnt lgkmcnt(0)
	v_add_u32_e32 v3, v3, v20
	v_cndmask_b32_e64 v3, v3, v6, s[2:3]
	ds_write_b32 v10, v3
	; wave barrier
	ds_read2_b32 v[20:21], v10 offset0:1 offset1:2
	ds_read_b32 v7, v10 offset:12
	s_waitcnt lgkmcnt(1)
	v_add_u32_e32 v3, v20, v3
	v_add_u32_e32 v19, v21, v3
	ds_write2_b32 v10, v3, v19 offset0:1 offset1:2
	s_waitcnt lgkmcnt(1)
	v_add_u32_e32 v3, v7, v19
	ds_write_b32 v10, v3 offset:12
.LBB173_46:                             ;   in Loop: Header=BB173_35 Depth=1
	s_or_b64 exec, exec, s[14:15]
	v_mov_b32_e32 v7, 0
	s_waitcnt lgkmcnt(0)
	s_barrier
	s_and_saveexec_b64 s[14:15], s[0:1]
	s_cbranch_execz .LBB173_48
; %bb.47:                               ;   in Loop: Header=BB173_35 Depth=1
	ds_read_b32 v7, v11
.LBB173_48:                             ;   in Loop: Header=BB173_35 Depth=1
	s_or_b64 exec, exec, s[14:15]
	ds_read_b32 v3, v1 offset:1048
	v_cmp_ne_u32_e32 vcc, 0, v6
	s_waitcnt lgkmcnt(0)
	s_barrier
	s_and_saveexec_b64 s[14:15], vcc
	s_cbranch_execz .LBB173_33
; %bb.49:                               ;   in Loop: Header=BB173_35 Depth=1
	v_add_u32_e32 v6, v7, v2
	v_mov_b32_e32 v7, v1
	v_cmp_gt_u64_e32 vcc, s[10:11], v[6:7]
	s_and_b64 exec, exec, vcc
	s_cbranch_execz .LBB173_33
; %bb.50:                               ;   in Loop: Header=BB173_35 Depth=1
	v_mad_u64_u32 v[20:21], s[28:29], v6, s24, 0
	v_mov_b32_e32 v22, v21
	v_mad_u64_u32 v[22:23], s[28:29], v6, s25, v[22:23]
	v_mov_b32_e32 v21, v22
	v_lshlrev_b64 v[20:21], 1, v[20:21]
	v_mov_b32_e32 v7, s19
	v_add_co_u32_e32 v20, vcc, s18, v20
	v_addc_co_u32_e32 v21, vcc, v7, v21, vcc
	global_store_short v[20:21], v17, off
	v_mad_u64_u32 v[20:21], s[28:29], v6, s12, 0
	v_mov_b32_e32 v22, v21
	v_mad_u64_u32 v[6:7], s[28:29], v6, s13, v[22:23]
	v_mov_b32_e32 v21, v6
	v_lshlrev_b64 v[6:7], 3, v[20:21]
	v_mov_b32_e32 v19, s23
	v_add_co_u32_e32 v6, vcc, s22, v6
	v_addc_co_u32_e32 v7, vcc, v19, v7, vcc
	global_store_dwordx2 v[6:7], v[0:1], off
	s_branch .LBB173_33
.LBB173_51:                             ;   in Loop: Header=BB173_52 Depth=1
	s_add_u32 s24, s24, 4
	s_addc_u32 s25, s25, 0
	s_waitcnt lgkmcnt(0)
	s_add_i32 s51, s23, s51
	s_add_u32 s26, s26, 4
	s_addc_u32 s27, s27, 0
	s_add_i32 s22, s22, 1
	s_cmp_lt_u32 s22, s35
	s_cbranch_scc0 .LBB173_30
.LBB173_52:                             ; =>This Inner Loop Header: Depth=1
	s_load_dword s23, s[24:25], 0x0
	s_cmp_ge_u32 s22, s76
	s_cbranch_scc1 .LBB173_51
; %bb.53:                               ;   in Loop: Header=BB173_52 Depth=1
	s_load_dword s52, s[26:27], 0x0
	s_waitcnt lgkmcnt(0)
	s_add_i32 s53, s23, s53
	s_add_i32 s7, s52, s7
	s_branch .LBB173_51
.LBB173_54:
	s_endpgm
	.section	.rodata,"a",@progbits
	.p2align	6, 0x0
	.amdhsa_kernel _ZN2at6native6mbtopk10gatherTopKIsmLi3EEEvNS_4cuda6detail10TensorInfoIKT_T0_EES8_S8_bjS8_NS5_IS6_S8_EES8_NS5_IlS8_EES8_jjPS6_PjSD_j
		.amdhsa_group_segment_fixed_size 1068
		.amdhsa_private_segment_fixed_size 0
		.amdhsa_kernarg_size 1592
		.amdhsa_user_sgpr_count 6
		.amdhsa_user_sgpr_private_segment_buffer 1
		.amdhsa_user_sgpr_dispatch_ptr 0
		.amdhsa_user_sgpr_queue_ptr 0
		.amdhsa_user_sgpr_kernarg_segment_ptr 1
		.amdhsa_user_sgpr_dispatch_id 0
		.amdhsa_user_sgpr_flat_scratch_init 0
		.amdhsa_user_sgpr_kernarg_preload_length 0
		.amdhsa_user_sgpr_kernarg_preload_offset 0
		.amdhsa_user_sgpr_private_segment_size 0
		.amdhsa_uses_dynamic_stack 0
		.amdhsa_system_sgpr_private_segment_wavefront_offset 0
		.amdhsa_system_sgpr_workgroup_id_x 1
		.amdhsa_system_sgpr_workgroup_id_y 1
		.amdhsa_system_sgpr_workgroup_id_z 1
		.amdhsa_system_sgpr_workgroup_info 0
		.amdhsa_system_vgpr_workitem_id 0
		.amdhsa_next_free_vgpr 24
		.amdhsa_next_free_sgpr 77
		.amdhsa_accum_offset 24
		.amdhsa_reserve_vcc 1
		.amdhsa_reserve_flat_scratch 0
		.amdhsa_float_round_mode_32 0
		.amdhsa_float_round_mode_16_64 0
		.amdhsa_float_denorm_mode_32 3
		.amdhsa_float_denorm_mode_16_64 3
		.amdhsa_dx10_clamp 1
		.amdhsa_ieee_mode 1
		.amdhsa_fp16_overflow 0
		.amdhsa_tg_split 0
		.amdhsa_exception_fp_ieee_invalid_op 0
		.amdhsa_exception_fp_denorm_src 0
		.amdhsa_exception_fp_ieee_div_zero 0
		.amdhsa_exception_fp_ieee_overflow 0
		.amdhsa_exception_fp_ieee_underflow 0
		.amdhsa_exception_fp_ieee_inexact 0
		.amdhsa_exception_int_div_zero 0
	.end_amdhsa_kernel
	.section	.text._ZN2at6native6mbtopk10gatherTopKIsmLi3EEEvNS_4cuda6detail10TensorInfoIKT_T0_EES8_S8_bjS8_NS5_IS6_S8_EES8_NS5_IlS8_EES8_jjPS6_PjSD_j,"axG",@progbits,_ZN2at6native6mbtopk10gatherTopKIsmLi3EEEvNS_4cuda6detail10TensorInfoIKT_T0_EES8_S8_bjS8_NS5_IS6_S8_EES8_NS5_IlS8_EES8_jjPS6_PjSD_j,comdat
.Lfunc_end173:
	.size	_ZN2at6native6mbtopk10gatherTopKIsmLi3EEEvNS_4cuda6detail10TensorInfoIKT_T0_EES8_S8_bjS8_NS5_IS6_S8_EES8_NS5_IlS8_EES8_jjPS6_PjSD_j, .Lfunc_end173-_ZN2at6native6mbtopk10gatherTopKIsmLi3EEEvNS_4cuda6detail10TensorInfoIKT_T0_EES8_S8_bjS8_NS5_IS6_S8_EES8_NS5_IlS8_EES8_jjPS6_PjSD_j
                                        ; -- End function
	.section	.AMDGPU.csdata,"",@progbits
; Kernel info:
; codeLenInByte = 3244
; NumSgprs: 81
; NumVgprs: 24
; NumAgprs: 0
; TotalNumVgprs: 24
; ScratchSize: 0
; MemoryBound: 0
; FloatMode: 240
; IeeeMode: 1
; LDSByteSize: 1068 bytes/workgroup (compile time only)
; SGPRBlocks: 10
; VGPRBlocks: 2
; NumSGPRsForWavesPerEU: 81
; NumVGPRsForWavesPerEU: 24
; AccumOffset: 24
; Occupancy: 8
; WaveLimiterHint : 1
; COMPUTE_PGM_RSRC2:SCRATCH_EN: 0
; COMPUTE_PGM_RSRC2:USER_SGPR: 6
; COMPUTE_PGM_RSRC2:TRAP_HANDLER: 0
; COMPUTE_PGM_RSRC2:TGID_X_EN: 1
; COMPUTE_PGM_RSRC2:TGID_Y_EN: 1
; COMPUTE_PGM_RSRC2:TGID_Z_EN: 1
; COMPUTE_PGM_RSRC2:TIDIG_COMP_CNT: 0
; COMPUTE_PGM_RSRC3_GFX90A:ACCUM_OFFSET: 5
; COMPUTE_PGM_RSRC3_GFX90A:TG_SPLIT: 0
	.section	.text._ZN2at6native6sbtopk10gatherTopKIsmLi3ELb0EEEvNS_4cuda6detail10TensorInfoIKT_T0_EES8_S8_bS8_S8_NS5_IS6_S8_EES8_NS5_IlS8_EES8_PS6_,"axG",@progbits,_ZN2at6native6sbtopk10gatherTopKIsmLi3ELb0EEEvNS_4cuda6detail10TensorInfoIKT_T0_EES8_S8_bS8_S8_NS5_IS6_S8_EES8_NS5_IlS8_EES8_PS6_,comdat
	.protected	_ZN2at6native6sbtopk10gatherTopKIsmLi3ELb0EEEvNS_4cuda6detail10TensorInfoIKT_T0_EES8_S8_bS8_S8_NS5_IS6_S8_EES8_NS5_IlS8_EES8_PS6_ ; -- Begin function _ZN2at6native6sbtopk10gatherTopKIsmLi3ELb0EEEvNS_4cuda6detail10TensorInfoIKT_T0_EES8_S8_bS8_S8_NS5_IS6_S8_EES8_NS5_IlS8_EES8_PS6_
	.globl	_ZN2at6native6sbtopk10gatherTopKIsmLi3ELb0EEEvNS_4cuda6detail10TensorInfoIKT_T0_EES8_S8_bS8_S8_NS5_IS6_S8_EES8_NS5_IlS8_EES8_PS6_
	.p2align	8
	.type	_ZN2at6native6sbtopk10gatherTopKIsmLi3ELb0EEEvNS_4cuda6detail10TensorInfoIKT_T0_EES8_S8_bS8_S8_NS5_IS6_S8_EES8_NS5_IlS8_EES8_PS6_,@function
_ZN2at6native6sbtopk10gatherTopKIsmLi3ELb0EEEvNS_4cuda6detail10TensorInfoIKT_T0_EES8_S8_bS8_S8_NS5_IS6_S8_EES8_NS5_IlS8_EES8_PS6_: ; @_ZN2at6native6sbtopk10gatherTopKIsmLi3ELb0EEEvNS_4cuda6detail10TensorInfoIKT_T0_EES8_S8_bS8_S8_NS5_IS6_S8_EES8_NS5_IlS8_EES8_PS6_
; %bb.0:
	s_load_dwordx4 s[56:59], s[4:5], 0x1b8
	s_load_dwordx2 s[18:19], s[4:5], 0x520
	s_mov_b64 s[26:27], s[4:5]
	s_add_u32 s16, s26, 0x520
	s_addc_u32 s17, s27, 0
	s_waitcnt lgkmcnt(0)
	v_mov_b32_e32 v2, s56
	s_mul_i32 s0, s19, s8
	s_add_i32 s0, s0, s7
	s_mul_i32 s0, s0, s18
	v_mov_b32_e32 v3, s57
	s_add_i32 s28, s0, s6
	s_mov_b32 s29, 0
	v_cmp_ge_u64_e32 vcc, s[28:29], v[2:3]
	s_cbranch_vccnz .LBB174_492
; %bb.1:
	s_load_dwordx4 s[0:3], s[26:27], 0x10
	s_mov_b64 s[8:9], 0
	s_mov_b64 s[4:5], 0
	s_waitcnt lgkmcnt(0)
	v_pk_mov_b32 v[2:3], s[2:3], s[2:3] op_sel:[0,1]
	v_cmp_lt_u64_e32 vcc, s[28:29], v[2:3]
	s_cbranch_vccnz .LBB174_3
; %bb.2:
	v_cvt_f32_u32_e32 v1, s2
	s_sub_i32 s4, 0, s2
	s_mov_b32 s5, 0
	v_rcp_iflag_f32_e32 v1, v1
	v_mul_f32_e32 v1, 0x4f7ffffe, v1
	v_cvt_u32_f32_e32 v1, v1
	v_readfirstlane_b32 s7, v1
	s_mul_i32 s4, s4, s7
	s_mul_hi_u32 s4, s7, s4
	s_add_i32 s7, s7, s4
	s_mul_hi_u32 s4, s28, s7
	s_mul_i32 s9, s4, s2
	s_sub_i32 s9, s28, s9
	s_add_i32 s7, s4, 1
	s_sub_i32 s10, s9, s2
	s_cmp_ge_u32 s9, s2
	s_cselect_b32 s4, s7, s4
	s_cselect_b32 s9, s10, s9
	s_add_i32 s7, s4, 1
	s_cmp_ge_u32 s9, s2
	s_cselect_b32 s4, s7, s4
.LBB174_3:
	s_load_dwordx4 s[12:15], s[26:27], 0x1d8
	v_pk_mov_b32 v[2:3], s[0:1], s[0:1] op_sel:[0,1]
	v_cmp_lt_u64_e32 vcc, s[4:5], v[2:3]
	s_cbranch_vccnz .LBB174_5
; %bb.4:
	v_cvt_f32_u32_e32 v1, s0
	s_sub_i32 s7, 0, s0
	v_rcp_iflag_f32_e32 v1, v1
	v_mul_f32_e32 v1, 0x4f7ffffe, v1
	v_cvt_u32_f32_e32 v1, v1
	v_readfirstlane_b32 s8, v1
	s_mul_i32 s7, s7, s8
	s_mul_hi_u32 s7, s8, s7
	s_add_i32 s8, s8, s7
	s_mul_hi_u32 s7, s4, s8
	s_mul_i32 s9, s7, s0
	s_sub_i32 s9, s4, s9
	s_add_i32 s8, s7, 1
	s_sub_i32 s10, s9, s0
	s_cmp_ge_u32 s9, s0
	s_cselect_b32 s7, s8, s7
	s_cselect_b32 s9, s10, s9
	s_add_i32 s8, s7, 1
	s_cmp_ge_u32 s9, s0
	s_cselect_b32 s8, s8, s7
.LBB174_5:
	s_waitcnt lgkmcnt(0)
	v_pk_mov_b32 v[2:3], s[14:15], s[14:15] op_sel:[0,1]
	v_cmp_lt_u64_e32 vcc, s[28:29], v[2:3]
	s_mov_b64 s[10:11], 0
                                        ; implicit-def: $vgpr47 : SGPR spill to VGPR lane
	v_writelane_b32 v47, s10, 0
	s_mov_b64 s[20:21], 0
	v_writelane_b32 v47, s11, 1
	s_cbranch_vccnz .LBB174_7
; %bb.6:
	v_cvt_f32_u32_e32 v1, s14
	s_sub_i32 s7, 0, s14
	s_mov_b32 s21, 0
	v_rcp_iflag_f32_e32 v1, v1
	v_mul_f32_e32 v1, 0x4f7ffffe, v1
	v_cvt_u32_f32_e32 v1, v1
	v_readfirstlane_b32 s9, v1
	s_mul_i32 s7, s7, s9
	s_mul_hi_u32 s7, s9, s7
	s_add_i32 s9, s9, s7
	s_mul_hi_u32 s7, s28, s9
	s_mul_i32 s10, s7, s14
	s_sub_i32 s10, s28, s10
	s_add_i32 s9, s7, 1
	s_sub_i32 s11, s10, s14
	s_cmp_ge_u32 s10, s14
	s_cselect_b32 s7, s9, s7
	s_cselect_b32 s10, s11, s10
	s_add_i32 s9, s7, 1
	s_cmp_ge_u32 s10, s14
	s_cselect_b32 s20, s9, s7
.LBB174_7:
	s_load_dwordx4 s[36:39], s[26:27], 0x380
	v_pk_mov_b32 v[2:3], s[12:13], s[12:13] op_sel:[0,1]
	v_cmp_lt_u64_e32 vcc, s[20:21], v[2:3]
	s_cbranch_vccnz .LBB174_9
; %bb.8:
	v_cvt_f32_u32_e32 v1, s12
	s_sub_i32 s7, 0, s12
	v_rcp_iflag_f32_e32 v1, v1
	v_mul_f32_e32 v1, 0x4f7ffffe, v1
	v_cvt_u32_f32_e32 v1, v1
	v_readfirstlane_b32 s9, v1
	s_mul_i32 s7, s7, s9
	s_mul_hi_u32 s7, s9, s7
	s_add_i32 s9, s9, s7
	s_mul_hi_u32 s7, s20, s9
	s_mul_i32 s10, s7, s12
	s_sub_i32 s10, s20, s10
	s_add_i32 s9, s7, 1
	s_sub_i32 s11, s10, s12
	s_cmp_ge_u32 s10, s12
	s_cselect_b32 s7, s9, s7
	s_cselect_b32 s10, s11, s10
	s_add_i32 s9, s7, 1
	s_cmp_ge_u32 s10, s12
	s_cselect_b32 s10, s9, s7
	v_writelane_b32 v47, s10, 0
	v_writelane_b32 v47, s11, 1
.LBB174_9:
	v_writelane_b32 v47, s20, 2
	v_writelane_b32 v47, s21, 3
	;; [unrolled: 1-line block ×6, first 2 shown]
	s_load_dwordx2 s[10:11], s[26:27], 0xe0
	s_load_dwordx4 s[12:15], s[26:27], 0xd0
	s_waitcnt lgkmcnt(0)
	v_pk_mov_b32 v[2:3], s[38:39], s[38:39] op_sel:[0,1]
	s_mov_b64 s[20:21], 0
	v_cmp_lt_u64_e32 vcc, s[28:29], v[2:3]
	v_writelane_b32 v47, s20, 8
	v_writelane_b32 v47, s21, 9
	s_mov_b64 s[20:21], 0
	s_cbranch_vccnz .LBB174_11
; %bb.10:
	v_cvt_f32_u32_e32 v1, s38
	s_sub_i32 s7, 0, s38
	s_mov_b32 s21, 0
	v_rcp_iflag_f32_e32 v1, v1
	v_mul_f32_e32 v1, 0x4f7ffffe, v1
	v_cvt_u32_f32_e32 v1, v1
	v_readfirstlane_b32 s9, v1
	s_mul_i32 s7, s7, s9
	s_mul_hi_u32 s7, s9, s7
	s_add_i32 s9, s9, s7
	s_mul_hi_u32 s7, s28, s9
	s_mul_i32 s19, s7, s38
	s_sub_i32 s19, s28, s19
	s_add_i32 s9, s7, 1
	s_sub_i32 s20, s19, s38
	s_cmp_ge_u32 s19, s38
	s_cselect_b32 s7, s9, s7
	s_cselect_b32 s19, s20, s19
	s_add_i32 s9, s7, 1
	s_cmp_ge_u32 s19, s38
	s_cselect_b32 s20, s9, s7
.LBB174_11:
	s_load_dwordx2 s[22:23], s[26:27], 0x450
	s_load_dwordx4 s[40:43], s[26:27], 0x440
	v_pk_mov_b32 v[2:3], s[36:37], s[36:37] op_sel:[0,1]
	s_waitcnt lgkmcnt(0)
	v_writelane_b32 v47, s22, 10
	v_writelane_b32 v47, s23, 11
	s_load_dwordx2 s[22:23], s[26:27], 0x2a8
	v_writelane_b32 v47, s40, 12
	v_writelane_b32 v47, s41, 13
	;; [unrolled: 1-line block ×4, first 2 shown]
	s_load_dwordx4 s[40:43], s[26:27], 0x298
	s_waitcnt lgkmcnt(0)
	v_writelane_b32 v47, s22, 16
	v_writelane_b32 v47, s23, 17
	s_mov_b64 s[22:23], s[20:21]
	s_load_dwordx2 s[20:21], s[26:27], 0x0
	v_writelane_b32 v47, s40, 18
	v_writelane_b32 v47, s41, 19
	;; [unrolled: 1-line block ×5, first 2 shown]
	v_cmp_lt_u64_e32 vcc, s[22:23], v[2:3]
	v_writelane_b32 v47, s23, 23
	s_cbranch_vccnz .LBB174_13
; %bb.12:
	v_cvt_f32_u32_e32 v1, s36
	s_sub_i32 s7, 0, s36
	v_readlane_b32 s22, v47, 22
	v_readlane_b32 s23, v47, 23
	v_rcp_iflag_f32_e32 v1, v1
	v_mul_f32_e32 v1, 0x4f7ffffe, v1
	v_cvt_u32_f32_e32 v1, v1
	v_readfirstlane_b32 s9, v1
	s_mul_i32 s7, s7, s9
	s_mul_hi_u32 s7, s9, s7
	s_add_i32 s9, s9, s7
	s_mul_hi_u32 s7, s22, s9
	s_mul_i32 s19, s7, s36
	s_sub_i32 s19, s22, s19
	s_add_i32 s9, s7, 1
	s_sub_i32 s22, s19, s36
	s_cmp_ge_u32 s19, s36
	s_cselect_b32 s7, s9, s7
	s_cselect_b32 s19, s22, s19
	s_add_i32 s9, s7, 1
	s_cmp_ge_u32 s19, s36
	s_cselect_b32 s22, s9, s7
	v_writelane_b32 v47, s22, 8
	v_writelane_b32 v47, s23, 9
.LBB174_13:
	s_load_dwordx2 s[22:23], s[26:27], 0x370
	v_writelane_b32 v47, s36, 24
	v_writelane_b32 v47, s37, 25
	;; [unrolled: 1-line block ×4, first 2 shown]
	s_waitcnt lgkmcnt(0)
	v_writelane_b32 v47, s22, 28
	v_writelane_b32 v47, s23, 29
	s_load_dwordx2 s[22:23], s[26:27], 0x1c8
	s_load_dwordx4 s[60:63], s[26:27], 0x1a0
	s_mov_b32 s91, 0
	v_cmp_eq_u32_e64 s[24:25], 0, v0
	s_waitcnt lgkmcnt(0)
	v_writelane_b32 v47, s22, 30
	v_writelane_b32 v47, s23, 31
	s_mov_b64 s[22:23], exec
	v_writelane_b32 v47, s24, 32
	v_writelane_b32 v47, s25, 33
	s_and_b64 s[24:25], s[22:23], s[24:25]
	s_mov_b64 exec, s[24:25]
	s_cbranch_execz .LBB174_15
; %bb.14:
	v_mov_b32_e32 v2, 0
	v_mov_b32_e32 v4, s60
	;; [unrolled: 1-line block ×4, first 2 shown]
	ds_write_b32 v2, v2 offset:5144
	ds_write_b128 v2, v[2:5] offset:5120
.LBB174_15:
	s_or_b64 exec, exec, s[22:23]
	s_mul_i32 s1, s8, s1
	s_mul_hi_u32 s7, s8, s0
	s_add_i32 s7, s7, s1
	s_mul_i32 s0, s8, s0
	s_sub_u32 s0, s4, s0
	s_subb_u32 s1, s5, s7
	s_mul_i32 s5, s0, s15
	s_mul_hi_u32 s7, s0, s14
	s_add_i32 s5, s7, s5
	s_mul_i32 s1, s1, s14
	s_add_i32 s1, s5, s1
	s_mul_i32 s5, s8, s13
	s_mul_hi_u32 s7, s8, s12
	s_add_i32 s9, s7, s5
	s_mul_i32 s3, s4, s3
	s_mul_hi_u32 s5, s4, s2
	s_add_i32 s5, s5, s3
	s_mul_i32 s2, s4, s2
	s_mov_b32 s4, s28
	v_writelane_b32 v47, s4, 34
	s_sub_u32 s2, s28, s2
	v_writelane_b32 v47, s5, 35
	s_subb_u32 s3, 0, s5
	s_mul_i32 s4, s2, s11
	s_mul_hi_u32 s5, s2, s10
	s_mul_i32 s8, s8, s12
	s_add_i32 s4, s5, s4
	s_mul_i32 s3, s3, s10
	s_add_i32 s3, s4, s3
	s_lshl_b64 s[4:5], s[8:9], 1
	s_mul_i32 s0, s0, s14
	s_add_u32 s4, s20, s4
	s_addc_u32 s5, s21, s5
	s_lshl_b64 s[0:1], s[0:1], 1
	v_writelane_b32 v47, s26, 36
	s_load_dword s7, s[26:27], 0x1b0
	s_mul_i32 s2, s2, s10
	s_add_u32 s4, s4, s0
	s_addc_u32 s5, s5, s1
	s_lshl_b64 s[0:1], s[2:3], 1
	s_add_u32 s33, s4, s0
	s_addc_u32 s88, s5, s1
	s_waitcnt lgkmcnt(0)
	s_bitcmp1_b32 s7, 0
	v_writelane_b32 v47, s27, 37
	s_cselect_b64 s[0:1], -1, 0
	v_writelane_b32 v47, s0, 38
	v_mbcnt_lo_u32_b32 v1, -1, 0
	v_writelane_b32 v47, s1, 39
	s_xor_b64 s[0:1], s[0:1], -1
	v_mbcnt_hi_u32_b32 v25, -1, v1
	v_writelane_b32 v47, s0, 40
	v_cmp_gt_u32_e32 vcc, 64, v0
	v_cmp_gt_i32_e64 s[10:11], 4, v25
	v_writelane_b32 v47, s1, 41
	s_and_b64 s[2:3], vcc, s[10:11]
	v_mov_b32_e32 v2, 0x600
	v_writelane_b32 v47, s2, 42
	v_mov_b32_e32 v3, 0
	v_writelane_b32 v47, s3, 43
	v_cmp_gt_u64_e64 s[2:3], s[60:61], v[2:3]
	v_writelane_b32 v47, s2, 44
	v_writelane_b32 v47, s3, 45
	v_mad_u64_u32 v[2:3], s[2:3], v0, s58, 0
	v_mov_b32_e32 v15, 0
	v_mov_b32_e32 v4, v3
	;; [unrolled: 1-line block ×3, first 2 shown]
	v_mad_u64_u32 v[4:5], s[2:3], v0, s59, v[4:5]
	v_cmp_gt_u64_e64 s[2:3], s[60:61], v[0:1]
	v_writelane_b32 v47, s2, 46
	v_writelane_b32 v47, s3, 47
	v_cmp_gt_u32_e64 s[2:3], 2, v0
	v_writelane_b32 v47, s2, 48
	s_barrier
	v_writelane_b32 v47, s3, 49
	s_load_dword s2, s[16:17], 0xc
	v_mov_b32_e32 v3, v4
	v_lshlrev_b64 v[2:3], 1, v[2:3]
	v_add_co_u32_e32 v12, vcc, s33, v2
	s_waitcnt lgkmcnt(0)
	s_and_b32 s89, s2, 0xffff
	s_bfe_u32 s3, s2, 0xa0006
	v_cmp_gt_u16_e64 s[4:5], s2, 63
	v_writelane_b32 v47, s4, 50
	s_add_u32 s2, s89, -1
	v_writelane_b32 v47, s5, 51
	s_addc_u32 s4, 0, -1
	v_writelane_b32 v47, s2, 52
	s_add_u32 s2, s2, s60
	v_writelane_b32 v47, s2, 53
	s_addc_u32 s5, s4, s61
	v_writelane_b32 v47, s4, 54
	s_cmp_lt_u32 s6, s18
	v_writelane_b32 v47, s4, 55
	s_cselect_b32 s2, 12, 18
	v_writelane_b32 v47, s5, 56
	s_add_u32 s4, s16, s2
	s_addc_u32 s5, s17, 0
	v_writelane_b32 v47, s4, 57
	v_writelane_b32 v47, s5, 58
	s_add_i32 s2, s3, -1
	s_bfe_u32 s5, s89, 0x30006
	s_cmp_gt_u32 s2, 6
	v_lshrrev_b32_e32 v2, 4, v0
	s_cselect_b64 s[6:7], -1, 0
	v_mov_b32_e32 v26, s88
	v_and_b32_e32 v27, 60, v2
	v_lshlrev_b32_e32 v2, 2, v25
	v_writelane_b32 v47, s6, 59
	s_and_b32 s4, s3, 0x3f8
	v_addc_co_u32_e32 v13, vcc, v26, v3, vcc
	v_and_b32_e32 v24, 0x100, v2
	v_lshlrev_b64 v[2:3], v25, -1
	v_writelane_b32 v47, s7, 60
	s_cmp_lg_u32 s5, 0
	v_lshlrev_b32_e32 v28, 1, v0
	v_not_b32_e32 v10, v2
	v_writelane_b32 v47, s5, 61
	s_cselect_b64 s[2:3], -1, 0
	v_mov_b32_e32 v2, 0xc00
	v_cmp_eq_u32_e64 s[0:1], 0, v25
	v_lshlrev_b32_e32 v16, 2, v0
	v_mov_b32_e32 v17, v15
	v_add_u32_e32 v29, 0xc00, v28
	v_not_b32_e32 v11, v3
	s_mov_b32 s74, s91
	v_writelane_b32 v47, s2, 62
	v_lshlrev_b32_e32 v30, 3, v0
	v_lshl_or_b32 v31, v25, 3, v2
	s_lshl_b32 s5, s89, 1
	s_mov_b32 s72, 14
	s_mov_b64 s[82:83], 0
	v_pk_mov_b32 v[18:19], s[62:63], s[62:63] op_sel:[0,1]
	s_mov_b32 s75, 0x8000
	v_mov_b32_e32 v32, 0x4f800000
	v_mov_b32_e32 v33, 0x5040100
	;; [unrolled: 1-line block ×3, first 2 shown]
	s_mov_b32 s6, 0
                                        ; implicit-def: $vgpr46 : SGPR spill to VGPR lane
	v_mov_b32_e32 v35, 0
	v_mov_b32_e32 v34, 0
	v_writelane_b32 v47, s3, 63
                                        ; implicit-def: $sgpr2_sgpr3
                                        ; implicit-def: $sgpr84_sgpr85
                                        ; implicit-def: $sgpr66_sgpr67
                                        ; implicit-def: $sgpr68_sgpr69
                                        ; implicit-def: $sgpr64_sgpr65
                                        ; implicit-def: $sgpr70_sgpr71
                                        ; implicit-def: $sgpr80_sgpr81
	v_writelane_b32 v46, s6, 0
                                        ; implicit-def: $sgpr86_sgpr87
                                        ; implicit-def: $sgpr76_sgpr77
                                        ; implicit-def: $sgpr78_sgpr79
	s_branch .LBB174_18
.LBB174_16:                             ;   in Loop: Header=BB174_18 Depth=1
	s_or_b64 exec, exec, s[12:13]
	s_andn2_b64 s[12:13], s[78:79], exec
	s_and_b64 s[10:11], s[10:11], exec
	s_or_b64 s[78:79], s[12:13], s[10:11]
	s_andn2_b64 s[76:77], s[76:77], exec
	s_andn2_b64 s[86:87], s[86:87], exec
	;; [unrolled: 1-line block ×4, first 2 shown]
	s_orn2_b64 s[8:9], s[8:9], exec
	v_mov_b32_e32 v34, v9
	v_mov_b32_e32 v35, v8
	v_pk_mov_b32 v[18:19], v[2:3], v[2:3] op_sel:[0,1]
	v_mov_b32_e32 v36, v20
.LBB174_17:                             ;   in Loop: Header=BB174_18 Depth=1
	s_or_b64 exec, exec, s[6:7]
	s_and_b64 s[6:7], exec, s[8:9]
	s_or_b64 s[82:83], s[6:7], s[82:83]
	s_andn2_b64 s[6:7], s[64:65], exec
	s_and_b64 s[8:9], s[78:79], exec
	s_or_b64 s[64:65], s[6:7], s[8:9]
	s_andn2_b64 s[6:7], s[68:69], exec
	s_and_b64 s[8:9], s[76:77], exec
	;; [unrolled: 3-line block ×5, first 2 shown]
	s_or_b64 s[2:3], s[2:3], s[6:7]
	s_andn2_b64 exec, exec, s[82:83]
	s_cbranch_execz .LBB174_488
.LBB174_18:                             ; =>This Loop Header: Depth=1
                                        ;     Child Loop BB174_23 Depth 2
                                        ;     Child Loop BB174_38 Depth 2
	;; [unrolled: 1-line block ×24, first 2 shown]
	ds_read_b128 v[2:5], v15 offset:5120
	s_waitcnt lgkmcnt(0)
	v_readfirstlane_b32 s31, v3
	v_readfirstlane_b32 s30, v2
	s_cmp_lg_u64 s[30:31], 0
	s_cbranch_scc1 .LBB174_45
; %bb.19:                               ;   in Loop: Header=BB174_18 Depth=1
	v_readlane_b32 s6, v47, 44
	v_readlane_b32 s7, v47, 45
	s_and_b64 vcc, exec, s[6:7]
	s_cbranch_vccz .LBB174_31
; %bb.20:                               ;   in Loop: Header=BB174_18 Depth=1
	s_mov_b64 s[6:7], 0x601
	v_cmp_gt_u64_e32 vcc, s[6:7], v[4:5]
	s_mov_b64 s[30:31], 0
	s_mov_b64 s[6:7], 0
	s_cbranch_vccz .LBB174_32
; %bb.21:                               ;   in Loop: Header=BB174_18 Depth=1
	v_readlane_b32 s6, v47, 57
	v_readlane_b32 s7, v47, 58
	global_load_ushort v5, v[12:13], off
	s_mov_b64 s[8:9], 0
	v_pk_mov_b32 v[2:3], v[0:1], v[0:1] op_sel:[0,1]
	s_nop 1
	global_load_ushort v4, v15, s[6:7]
	s_branch .LBB174_23
.LBB174_22:                             ;   in Loop: Header=BB174_23 Depth=2
	s_or_b64 exec, exec, s[6:7]
	s_waitcnt vmcnt(0)
	v_mov_b32_e32 v5, v6
	s_andn2_b64 exec, exec, s[8:9]
	s_cbranch_execz .LBB174_104
.LBB174_23:                             ;   Parent Loop BB174_18 Depth=1
                                        ; =>  This Inner Loop Header: Depth=2
	s_waitcnt vmcnt(0)
	v_add_co_u32_sdwa v2, vcc, v2, v4 dst_sel:DWORD dst_unused:UNUSED_PAD src0_sel:DWORD src1_sel:WORD_0
	v_addc_co_u32_e32 v3, vcc, 0, v3, vcc
	v_cmp_gt_u64_e64 s[6:7], s[60:61], v[2:3]
	v_cmp_le_u64_e32 vcc, s[60:61], v[2:3]
	s_waitcnt lgkmcnt(0)
	v_mov_b32_e32 v7, 0
	v_mov_b32_e32 v6, 0
	s_and_saveexec_b64 s[10:11], s[6:7]
	s_cbranch_execz .LBB174_25
; %bb.24:                               ;   in Loop: Header=BB174_23 Depth=2
	v_mul_lo_u32 v6, v3, s58
	v_mul_lo_u32 v14, v2, s59
	v_mad_u64_u32 v[8:9], s[6:7], v2, s58, 0
	v_add3_u32 v9, v9, v14, v6
	v_lshlrev_b64 v[8:9], 1, v[8:9]
	v_add_co_u32_e64 v8, s[6:7], s33, v8
	v_addc_co_u32_e64 v9, s[6:7], v26, v9, s[6:7]
	global_load_ushort v6, v[8:9], off
.LBB174_25:                             ;   in Loop: Header=BB174_23 Depth=2
	s_or_b64 exec, exec, s[10:11]
	v_add_u32_sdwa v8, sext(v5), s75 dst_sel:DWORD dst_unused:UNUSED_PAD src0_sel:WORD_0 src1_sel:DWORD
	v_and_b32_e32 v8, v8, v34
	v_cmp_eq_u32_e64 s[14:15], v8, v35
	s_cmp_lg_u64 s[14:15], 0
	s_cselect_b64 s[6:7], -1, 0
	s_and_b64 s[6:7], s[0:1], s[6:7]
	s_and_saveexec_b64 s[10:11], s[6:7]
	s_cbranch_execz .LBB174_29
; %bb.26:                               ;   in Loop: Header=BB174_23 Depth=2
	s_mov_b64 s[16:17], exec
	v_mbcnt_lo_u32_b32 v7, s16, 0
	v_mbcnt_hi_u32_b32 v7, s17, v7
	s_bcnt1_i32_b64 s18, s[14:15]
	v_cmp_eq_u32_e64 s[6:7], 0, v7
                                        ; implicit-def: $vgpr8
	s_and_saveexec_b64 s[12:13], s[6:7]
	s_cbranch_execz .LBB174_28
; %bb.27:                               ;   in Loop: Header=BB174_23 Depth=2
	s_bcnt1_i32_b64 s6, s[16:17]
	s_mul_i32 s6, s18, s6
	v_mov_b32_e32 v8, s6
	ds_add_rtn_u32 v8, v15, v8 offset:5144
.LBB174_28:                             ;   in Loop: Header=BB174_23 Depth=2
	s_or_b64 exec, exec, s[12:13]
	s_waitcnt lgkmcnt(0)
	v_readfirstlane_b32 s6, v8
	v_mov_b32_e32 v8, s6
	v_mad_u32_u24 v7, s18, v7, v8
.LBB174_29:                             ;   in Loop: Header=BB174_23 Depth=2
	s_or_b64 exec, exec, s[10:11]
	ds_bpermute_b32 v7, v24, v7
	s_and_b64 s[6:7], exec, vcc
	s_or_b64 s[8:9], s[6:7], s[8:9]
	s_and_saveexec_b64 s[6:7], s[14:15]
	s_cbranch_execz .LBB174_22
; %bb.30:                               ;   in Loop: Header=BB174_23 Depth=2
	v_and_b32_e32 v9, s14, v10
	v_and_b32_e32 v8, s15, v11
	v_bcnt_u32_b32 v9, v9, 0
	v_bcnt_u32_b32 v8, v8, v9
	v_lshlrev_b32_e32 v8, 1, v8
	s_waitcnt lgkmcnt(0)
	v_lshl_add_u32 v7, v7, 1, v8
	ds_write_b16 v7, v5
	s_branch .LBB174_22
.LBB174_31:                             ;   in Loop: Header=BB174_18 Depth=1
	s_mov_b64 s[30:31], -1
	s_mov_b64 s[6:7], 0
.LBB174_32:                             ;   in Loop: Header=BB174_18 Depth=1
	s_and_b64 vcc, exec, s[30:31]
	s_cbranch_vccz .LBB174_43
.LBB174_33:                             ;   in Loop: Header=BB174_18 Depth=1
	v_mov_b32_e32 v4, 0
	s_mov_b64 s[6:7], exec
	v_readlane_b32 s8, v47, 46
	v_readlane_b32 s9, v47, 47
	s_and_b64 s[8:9], s[6:7], s[8:9]
	s_mov_b64 exec, s[8:9]
	s_cbranch_execz .LBB174_35
; %bb.34:                               ;   in Loop: Header=BB174_18 Depth=1
	global_load_ushort v4, v[12:13], off
.LBB174_35:                             ;   in Loop: Header=BB174_18 Depth=1
	s_or_b64 exec, exec, s[6:7]
	s_mov_b64 s[8:9], exec
	v_readlane_b32 s6, v47, 46
	v_readlane_b32 s7, v47, 47
	s_and_b64 s[6:7], s[8:9], s[6:7]
	s_mov_b64 exec, s[6:7]
	s_cbranch_execz .LBB174_40
; %bb.36:                               ;   in Loop: Header=BB174_18 Depth=1
	v_readlane_b32 s6, v47, 57
	v_readlane_b32 s7, v47, 58
	s_mov_b64 s[10:11], 0
	v_mov_b32_e32 v5, v28
	s_nop 2
	global_load_ushort v2, v15, s[6:7]
	s_waitcnt vmcnt(0)
	v_and_b32_e32 v6, 0xffff, v2
	v_lshlrev_b32_e32 v7, 1, v6
	v_pk_mov_b32 v[2:3], v[0:1], v[0:1] op_sel:[0,1]
	s_branch .LBB174_38
.LBB174_37:                             ;   in Loop: Header=BB174_38 Depth=2
	s_or_b64 exec, exec, s[12:13]
	s_and_b64 s[6:7], exec, vcc
	s_or_b64 s[10:11], s[6:7], s[10:11]
	ds_write_b16 v5, v4
	v_add_u32_e32 v5, v5, v7
	s_waitcnt vmcnt(0)
	v_mov_b32_e32 v4, v8
	s_andn2_b64 exec, exec, s[10:11]
	s_cbranch_execz .LBB174_40
.LBB174_38:                             ;   Parent Loop BB174_18 Depth=1
                                        ; =>  This Inner Loop Header: Depth=2
	v_add_co_u32_e32 v2, vcc, v2, v6
	v_addc_co_u32_e32 v3, vcc, 0, v3, vcc
	v_cmp_gt_u64_e64 s[6:7], s[60:61], v[2:3]
	v_cmp_le_u64_e32 vcc, s[60:61], v[2:3]
	v_mov_b32_e32 v8, 0
	s_and_saveexec_b64 s[12:13], s[6:7]
	s_cbranch_execz .LBB174_37
; %bb.39:                               ;   in Loop: Header=BB174_38 Depth=2
	v_mul_lo_u32 v14, v3, s58
	v_mul_lo_u32 v20, v2, s59
	v_mad_u64_u32 v[8:9], s[6:7], v2, s58, 0
	v_add3_u32 v9, v9, v20, v14
	v_lshlrev_b64 v[8:9], 1, v[8:9]
	v_mov_b32_e32 v14, s88
	v_add_co_u32_e64 v8, s[6:7], s33, v8
	v_addc_co_u32_e64 v9, s[6:7], v14, v9, s[6:7]
	global_load_ushort v8, v[8:9], off
	s_branch .LBB174_37
.LBB174_40:                             ;   in Loop: Header=BB174_18 Depth=1
	s_or_b64 exec, exec, s[8:9]
	s_waitcnt lgkmcnt(0)
	s_barrier
	s_mov_b64 s[6:7], exec
	v_readlane_b32 s8, v47, 32
	v_readlane_b32 s9, v47, 33
	s_and_b64 s[8:9], s[6:7], s[8:9]
	s_mov_b64 exec, s[8:9]
	s_cbranch_execz .LBB174_42
; %bb.41:                               ;   in Loop: Header=BB174_18 Depth=1
	v_pk_mov_b32 v[2:3], s[60:61], s[60:61] op_sel:[0,1]
	ds_write_b64 v15, v[2:3] offset:5120
.LBB174_42:                             ;   in Loop: Header=BB174_18 Depth=1
	s_or_b64 exec, exec, s[6:7]
	s_mov_b64 s[6:7], -1
	s_waitcnt lgkmcnt(0)
	s_barrier
                                        ; implicit-def: $sgpr30_sgpr31
.LBB174_43:                             ;   in Loop: Header=BB174_18 Depth=1
	s_and_b64 vcc, exec, s[6:7]
	s_cbranch_vccz .LBB174_45
; %bb.44:                               ;   in Loop: Header=BB174_18 Depth=1
	ds_read_b64 v[2:3], v15 offset:5120
	s_waitcnt lgkmcnt(0)
	v_readfirstlane_b32 s30, v2
.LBB174_45:                             ;   in Loop: Header=BB174_18 Depth=1
	s_cmp_lt_i32 s30, 1
	s_cbranch_scc0 .LBB174_60
; %bb.46:                               ;   in Loop: Header=BB174_18 Depth=1
	v_readlane_b32 s6, v47, 57
	v_readlane_b32 s7, v47, 58
	s_nop 4
	global_load_ushort v37, v15, s[6:7]
	s_mov_b32 s6, s91
	s_waitcnt vmcnt(0)
	v_readfirstlane_b32 s7, v37
	s_and_b32 s7, 0xffff, s7
	s_lshl_b32 s31, s7, 2
	s_mov_b32 s7, s61
	s_cmp_lg_u64 s[6:7], 0
	s_cbranch_scc0 .LBB174_80
; %bb.47:                               ;   in Loop: Header=BB174_18 Depth=1
	v_cvt_f32_u32_e32 v2, s31
	s_sub_u32 s6, 0, s31
	s_subb_u32 s7, 0, 0
	v_mac_f32_e32 v2, 0, v32
	v_rcp_f32_e32 v2, v2
	v_mul_f32_e32 v2, 0x5f7ffffc, v2
	v_mul_f32_e32 v3, 0x2f800000, v2
	v_trunc_f32_e32 v3, v3
	v_mac_f32_e32 v2, 0xcf800000, v3
	v_cvt_u32_f32_e32 v3, v3
	v_cvt_u32_f32_e32 v2, v2
	v_readfirstlane_b32 s8, v3
	v_readfirstlane_b32 s9, v2
	s_mul_i32 s10, s6, s8
	s_mul_hi_u32 s12, s6, s9
	s_mul_i32 s11, s7, s9
	s_add_i32 s10, s12, s10
	s_mul_i32 s13, s6, s9
	s_add_i32 s10, s10, s11
	s_mul_hi_u32 s12, s9, s13
	s_mul_hi_u32 s11, s9, s10
	s_mul_i32 s9, s9, s10
	s_add_u32 s9, s12, s9
	s_addc_u32 s11, 0, s11
	s_mul_hi_u32 s14, s8, s13
	s_mul_i32 s13, s8, s13
	s_add_u32 s9, s9, s13
	s_mul_hi_u32 s12, s8, s10
	s_addc_u32 s9, s11, s14
	s_addc_u32 s11, s12, 0
	s_mul_i32 s10, s8, s10
	s_add_u32 s9, s9, s10
	s_addc_u32 s10, 0, s11
	v_add_co_u32_e32 v2, vcc, s9, v2
	s_cmp_lg_u64 vcc, 0
	s_addc_u32 s8, s8, s10
	v_readfirstlane_b32 s10, v2
	s_mul_i32 s9, s6, s8
	s_mul_hi_u32 s11, s6, s10
	s_add_i32 s9, s11, s9
	s_mul_i32 s7, s7, s10
	s_add_i32 s9, s9, s7
	s_mul_i32 s6, s6, s10
	s_mul_hi_u32 s11, s8, s6
	s_mul_i32 s12, s8, s6
	s_mul_i32 s14, s10, s9
	s_mul_hi_u32 s6, s10, s6
	s_mul_hi_u32 s13, s10, s9
	s_add_u32 s6, s6, s14
	s_addc_u32 s10, 0, s13
	s_add_u32 s6, s6, s12
	s_mul_hi_u32 s7, s8, s9
	s_addc_u32 s6, s10, s11
	s_addc_u32 s7, s7, 0
	s_mul_i32 s9, s8, s9
	s_add_u32 s6, s6, s9
	s_addc_u32 s7, 0, s7
	v_add_co_u32_e32 v2, vcc, s6, v2
	s_cmp_lg_u64 vcc, 0
	s_addc_u32 s6, s8, s7
	v_readfirstlane_b32 s9, v2
	s_mul_i32 s8, s60, s6
	s_mul_hi_u32 s10, s60, s9
	s_mul_hi_u32 s7, s60, s6
	s_add_u32 s8, s10, s8
	s_addc_u32 s7, 0, s7
	s_mul_hi_u32 s11, s61, s9
	s_mul_i32 s9, s61, s9
	s_add_u32 s8, s8, s9
	s_mul_hi_u32 s10, s61, s6
	s_addc_u32 s7, s7, s11
	s_addc_u32 s8, s10, 0
	s_mul_i32 s6, s61, s6
	s_add_u32 s6, s7, s6
	s_addc_u32 s7, 0, s8
	s_mul_hi_u32 s8, s31, s6
	s_mul_i32 s6, s31, s6
	s_mul_i32 s7, s31, s7
	v_mov_b32_e32 v2, s6
	s_add_i32 s8, s8, s7
	v_sub_co_u32_e32 v2, vcc, s60, v2
	s_cmp_lg_u64 vcc, 0
	s_subb_u32 s6, s61, s8
	v_subrev_co_u32_e32 v3, vcc, s31, v2
	s_cmp_lg_u64 vcc, 0
	s_subb_u32 s7, s6, 0
	v_subrev_co_u32_e32 v4, vcc, s31, v3
	s_cmp_lg_u64 vcc, 0
	s_subb_u32 s8, s7, 0
	v_cmp_le_u32_e32 vcc, s31, v3
	s_cmp_eq_u32 s7, 0
	v_cndmask_b32_e64 v5, 0, -1, vcc
	s_cselect_b64 vcc, -1, 0
	v_cndmask_b32_e32 v5, -1, v5, vcc
	v_mov_b32_e32 v6, s7
	v_mov_b32_e32 v7, s8
	v_cmp_ne_u32_e32 vcc, 0, v5
	v_cndmask_b32_e32 v5, v6, v7, vcc
	v_cndmask_b32_e32 v4, v3, v4, vcc
	v_cmp_le_u32_e32 vcc, s31, v2
	s_cmp_eq_u32 s6, 0
	v_cndmask_b32_e64 v3, 0, -1, vcc
	s_cselect_b64 vcc, -1, 0
	v_cndmask_b32_e32 v3, -1, v3, vcc
	v_mov_b32_e32 v6, s6
	v_cmp_ne_u32_e32 vcc, 0, v3
	v_cndmask_b32_e32 v3, v6, v5, vcc
	v_cndmask_b32_e32 v2, v2, v4, vcc
	s_cbranch_execnz .LBB174_49
.LBB174_48:                             ;   in Loop: Header=BB174_18 Depth=1
	v_cvt_f32_u32_e32 v2, s31
	s_sub_i32 s6, 0, s31
	v_rcp_iflag_f32_e32 v2, v2
	v_mul_f32_e32 v2, 0x4f7ffffe, v2
	v_cvt_u32_f32_e32 v2, v2
	v_mul_lo_u32 v3, s6, v2
	v_mul_hi_u32 v3, v2, v3
	v_add_u32_e32 v2, v2, v3
	v_mul_hi_u32 v2, s60, v2
	v_mul_lo_u32 v2, v2, s31
	v_sub_u32_e32 v2, s60, v2
	v_subrev_u32_e32 v3, s31, v2
	v_cmp_le_u32_e32 vcc, s31, v2
	v_cndmask_b32_e32 v2, v2, v3, vcc
	v_subrev_u32_e32 v3, s31, v2
	v_cmp_le_u32_e32 vcc, s31, v2
	v_cndmask_b32_e32 v14, v2, v3, vcc
	v_pk_mov_b32 v[2:3], v[14:15], v[14:15] op_sel:[0,1]
.LBB174_49:                             ;   in Loop: Header=BB174_18 Depth=1
	v_mov_b32_e32 v4, s61
	v_sub_co_u32_e32 v20, vcc, s60, v2
	v_subb_co_u32_e32 v21, vcc, v4, v3, vcc
	v_pk_mov_b32 v[2:3], 0, 0
	v_cmp_gt_u64_e32 vcc, v[20:21], v[16:17]
	s_mov_b64 s[54:55], 0
	v_pk_mov_b32 v[4:5], v[2:3], v[2:3] op_sel:[0,1]
	v_pk_mov_b32 v[6:7], v[2:3], v[2:3] op_sel:[0,1]
	;; [unrolled: 1-line block ×3, first 2 shown]
	s_and_saveexec_b64 s[8:9], vcc
	s_cbranch_execz .LBB174_53
; %bb.50:                               ;   in Loop: Header=BB174_18 Depth=1
	s_and_b32 s90, s72, 0xfe
	s_mov_b64 s[10:11], 0
	s_mov_b64 s[56:57], 0
	;; [unrolled: 1-line block ×4, first 2 shown]
	v_pk_mov_b32 v[22:23], v[16:17], v[16:17] op_sel:[0,1]
.LBB174_51:                             ;   Parent Loop BB174_18 Depth=1
                                        ; =>  This Inner Loop Header: Depth=2
	v_mul_lo_u32 v4, v23, s58
	v_mul_lo_u32 v5, v22, s59
	v_mad_u64_u32 v[2:3], s[6:7], v22, s58, 0
	v_add3_u32 v3, v3, v5, v4
	v_lshlrev_b64 v[2:3], 1, v[2:3]
	v_mov_b32_e32 v6, s88
	v_add_co_u32_e64 v2, s[6:7], s33, v2
	s_lshl_b64 s[14:15], s[58:59], 1
	v_addc_co_u32_e64 v3, s[6:7], v6, v3, s[6:7]
	v_mov_b32_e32 v7, s15
	v_add_co_u32_e64 v4, s[6:7], s14, v2
	v_addc_co_u32_e64 v5, s[6:7], v3, v7, s[6:7]
	global_load_sshort v6, v[2:3], off
	global_load_sshort v8, v[4:5], off
	v_add_co_u32_e64 v2, s[6:7], s14, v4
	v_addc_co_u32_e64 v3, s[6:7], v5, v7, s[6:7]
	global_load_sshort v4, v[2:3], off
	v_add_co_u32_e64 v2, s[6:7], s14, v2
	v_addc_co_u32_e64 v3, s[6:7], v3, v7, s[6:7]
	global_load_sshort v2, v[2:3], off
	v_add_co_u32_e32 v22, vcc, s31, v22
	v_addc_co_u32_e32 v23, vcc, 0, v23, vcc
	v_cmp_ge_u64_e32 vcc, v[22:23], v[20:21]
	s_waitcnt vmcnt(3)
	v_add_u32_e32 v3, 0x8000, v6
	s_waitcnt vmcnt(2)
	v_add_u32_e32 v5, 0x8000, v8
	v_and_b32_e32 v6, v3, v34
	v_bfe_u32 v3, v3, s90, 2
	v_cmp_eq_u32_e64 s[14:15], v6, v35
	v_and_b32_e32 v6, v5, v34
	v_bfe_u32 v5, v5, s90, 2
	v_cmp_eq_u32_e64 s[6:7], 0, v3
	s_waitcnt vmcnt(1)
	v_add_u32_e32 v4, 0x8000, v4
	v_cmp_eq_u32_e64 s[16:17], v6, v35
	v_cmp_eq_u32_e64 s[26:27], 0, v5
	s_and_b64 s[6:7], s[14:15], s[6:7]
	v_cmp_eq_u32_e64 s[34:35], 1, v3
	v_cmp_eq_u32_e64 s[36:37], 2, v3
	;; [unrolled: 1-line block ×3, first 2 shown]
	s_waitcnt vmcnt(0)
	v_add_u32_e32 v2, 0x8000, v2
	v_and_b32_e32 v3, v4, v34
	v_bfe_u32 v4, v4, s90, 2
	v_cmp_eq_u32_e64 s[38:39], 1, v5
	v_cmp_eq_u32_e64 s[40:41], 2, v5
	;; [unrolled: 1-line block ×3, first 2 shown]
	v_cndmask_b32_e64 v5, 0, 1, s[6:7]
	s_and_b64 s[26:27], s[16:17], s[26:27]
	v_cmp_eq_u32_e64 s[22:23], v3, v35
	v_and_b32_e32 v3, v2, v34
	v_bfe_u32 v2, v2, s90, 2
	v_cmp_eq_u32_e64 s[6:7], 0, v4
	v_cmp_eq_u32_e64 s[42:43], 1, v4
	;; [unrolled: 1-line block ×4, first 2 shown]
	v_cmp_ne_u32_e64 s[46:47], 0, v5
	v_cndmask_b32_e64 v4, 0, 1, s[26:27]
	v_cmp_eq_u32_e64 s[26:27], v3, v35
	v_cmp_eq_u32_e64 s[48:49], 0, v2
	s_bcnt1_i32_b64 s73, s[46:47]
	v_cmp_ne_u32_e64 s[46:47], 0, v4
	s_and_b64 s[6:7], s[22:23], s[6:7]
	v_cmp_eq_u32_e64 s[50:51], 1, v2
	v_cmp_eq_u32_e64 s[52:53], 2, v2
	;; [unrolled: 1-line block ×3, first 2 shown]
	v_cndmask_b32_e64 v2, 0, 1, s[6:7]
	s_bcnt1_i32_b64 s92, s[46:47]
	s_and_b64 s[46:47], s[26:27], s[48:49]
	v_cmp_ne_u32_e64 s[6:7], 0, v2
	v_cndmask_b32_e64 v2, 0, 1, s[46:47]
	s_bcnt1_i32_b64 s46, s[6:7]
	v_cmp_ne_u32_e64 s[6:7], 0, v2
	s_bcnt1_i32_b64 s6, s[6:7]
	s_add_u32 s7, s73, s12
	s_addc_u32 s12, 0, s13
	s_add_u32 s7, s7, s92
	s_addc_u32 s12, s12, 0
	s_add_u32 s7, s7, s46
	s_addc_u32 s13, s12, 0
	s_add_u32 s12, s7, s6
	s_addc_u32 s13, s13, 0
	s_and_b64 s[6:7], s[14:15], s[34:35]
	v_cndmask_b32_e64 v4, 0, 1, s[6:7]
	s_and_b64 s[6:7], s[16:17], s[38:39]
	v_cndmask_b32_e64 v5, 0, 1, s[6:7]
	s_and_b64 s[6:7], s[22:23], s[42:43]
	v_cndmask_b32_e64 v6, 0, 1, s[6:7]
	s_and_b64 s[6:7], s[26:27], s[50:51]
	v_cndmask_b32_e64 v7, 0, 1, s[6:7]
	v_cmp_ne_u32_e64 s[6:7], 0, v4
	v_cmp_ne_u32_e64 s[34:35], 0, v5
	v_cmp_ne_u32_e64 s[38:39], 0, v6
	v_cmp_ne_u32_e64 s[42:43], 0, v7
	s_bcnt1_i32_b64 s6, s[6:7]
	s_bcnt1_i32_b64 s7, s[34:35]
	s_bcnt1_i32_b64 s34, s[38:39]
	s_bcnt1_i32_b64 s35, s[42:43]
	s_add_u32 s6, s6, s94
	s_addc_u32 s38, 0, s95
	s_add_u32 s6, s6, s7
	s_addc_u32 s7, s38, 0
	s_add_u32 s6, s6, s34
	s_addc_u32 s7, s7, 0
	s_add_u32 s94, s6, s35
	s_addc_u32 s95, s7, 0
	s_and_b64 s[6:7], s[14:15], s[36:37]
	v_cndmask_b32_e64 v6, 0, 1, s[6:7]
	s_and_b64 s[6:7], s[16:17], s[40:41]
	v_cndmask_b32_e64 v7, 0, 1, s[6:7]
	s_and_b64 s[6:7], s[22:23], s[44:45]
	v_cndmask_b32_e64 v8, 0, 1, s[6:7]
	s_and_b64 s[6:7], s[26:27], s[52:53]
	v_cndmask_b32_e64 v9, 0, 1, s[6:7]
	v_cmp_ne_u32_e64 s[6:7], 0, v6
	v_cmp_ne_u32_e64 s[34:35], 0, v7
	v_cmp_ne_u32_e64 s[36:37], 0, v8
	v_cmp_ne_u32_e64 s[38:39], 0, v9
	s_bcnt1_i32_b64 s6, s[6:7]
	s_bcnt1_i32_b64 s7, s[34:35]
	s_bcnt1_i32_b64 s34, s[36:37]
	;; [unrolled: 24-line block ×3, first 2 shown]
	s_bcnt1_i32_b64 s15, s[18:19]
	s_add_u32 s6, s6, s10
	s_addc_u32 s10, 0, s11
	s_add_u32 s6, s6, s7
	s_addc_u32 s7, s10, 0
	;; [unrolled: 2-line block ×4, first 2 shown]
	v_pk_mov_b32 v[2:3], s[12:13], s[12:13] op_sel:[0,1]
	v_pk_mov_b32 v[4:5], s[94:95], s[94:95] op_sel:[0,1]
	;; [unrolled: 1-line block ×3, first 2 shown]
	s_or_b64 s[54:55], vcc, s[54:55]
	v_pk_mov_b32 v[8:9], s[10:11], s[10:11] op_sel:[0,1]
	s_andn2_b64 exec, exec, s[54:55]
	s_cbranch_execnz .LBB174_51
; %bb.52:                               ;   in Loop: Header=BB174_18 Depth=1
	s_or_b64 exec, exec, s[54:55]
.LBB174_53:                             ;   in Loop: Header=BB174_18 Depth=1
	s_or_b64 exec, exec, s[8:9]
	v_add_co_u32_e32 v20, vcc, v20, v0
	v_addc_co_u32_e32 v21, vcc, 0, v21, vcc
	v_cmp_gt_u64_e32 vcc, s[60:61], v[20:21]
	v_mov_b32_e32 v14, 0
	s_and_saveexec_b64 s[8:9], vcc
	s_cbranch_execz .LBB174_55
; %bb.54:                               ;   in Loop: Header=BB174_18 Depth=1
	v_mul_lo_u32 v14, v21, s58
	v_mul_lo_u32 v38, v20, s59
	v_mad_u64_u32 v[22:23], s[6:7], v20, s58, 0
	v_add3_u32 v23, v23, v38, v14
	v_lshlrev_b64 v[22:23], 1, v[22:23]
	v_mov_b32_e32 v14, s88
	v_add_co_u32_e64 v22, s[6:7], s33, v22
	v_addc_co_u32_e64 v23, s[6:7], v14, v23, s[6:7]
	global_load_ushort v14, v[22:23], off
.LBB174_55:                             ;   in Loop: Header=BB174_18 Depth=1
	s_or_b64 exec, exec, s[8:9]
	s_and_saveexec_b64 s[8:9], vcc
	s_cbranch_execz .LBB174_62
; %bb.56:                               ;   in Loop: Header=BB174_18 Depth=1
	s_and_b32 s14, s72, 0xfe
	s_mov_b64 s[10:11], 0
	s_branch .LBB174_58
.LBB174_57:                             ;   in Loop: Header=BB174_58 Depth=2
	s_or_b64 exec, exec, s[12:13]
	s_waitcnt vmcnt(0)
	v_add_u32_sdwa v14, sext(v14), s75 dst_sel:DWORD dst_unused:UNUSED_PAD src0_sel:WORD_0 src1_sel:DWORD
	s_and_b64 s[6:7], exec, vcc
	v_and_b32_e32 v23, v14, v34
	v_bfe_u32 v14, v14, s14, 2
	s_or_b64 s[10:11], s[6:7], s[10:11]
	v_cmp_eq_u32_e32 vcc, v23, v35
	v_cmp_eq_u32_e64 s[6:7], 0, v14
	s_and_b64 s[6:7], vcc, s[6:7]
	v_cndmask_b32_e64 v23, 0, 1, s[6:7]
	v_cmp_ne_u32_e64 s[6:7], 0, v23
	s_bcnt1_i32_b64 s6, s[6:7]
	v_add_co_u32_e64 v2, s[6:7], s6, v2
	v_addc_co_u32_e64 v3, s[6:7], 0, v3, s[6:7]
	v_cmp_eq_u32_e64 s[6:7], 1, v14
	s_and_b64 s[6:7], vcc, s[6:7]
	v_cndmask_b32_e64 v23, 0, 1, s[6:7]
	v_cmp_ne_u32_e64 s[6:7], 0, v23
	s_bcnt1_i32_b64 s6, s[6:7]
	v_add_co_u32_e64 v4, s[6:7], s6, v4
	v_addc_co_u32_e64 v5, s[6:7], 0, v5, s[6:7]
	;; [unrolled: 7-line block ×3, first 2 shown]
	v_cmp_eq_u32_e64 s[6:7], 3, v14
	s_and_b64 s[6:7], vcc, s[6:7]
	v_cndmask_b32_e64 v14, 0, 1, s[6:7]
	v_cmp_ne_u32_e32 vcc, 0, v14
	s_bcnt1_i32_b64 s6, vcc
	v_add_co_u32_e32 v8, vcc, s6, v8
	v_addc_co_u32_e32 v9, vcc, 0, v9, vcc
	v_mov_b32_e32 v14, v22
	s_andn2_b64 exec, exec, s[10:11]
	s_cbranch_execz .LBB174_61
.LBB174_58:                             ;   Parent Loop BB174_18 Depth=1
                                        ; =>  This Inner Loop Header: Depth=2
	v_add_co_u32_sdwa v20, vcc, v20, v37 dst_sel:DWORD dst_unused:UNUSED_PAD src0_sel:DWORD src1_sel:WORD_0
	v_addc_co_u32_e32 v21, vcc, 0, v21, vcc
	v_cmp_gt_u64_e64 s[6:7], s[60:61], v[20:21]
	v_cmp_le_u64_e32 vcc, s[60:61], v[20:21]
	v_mov_b32_e32 v22, 0
	s_and_saveexec_b64 s[12:13], s[6:7]
	s_cbranch_execz .LBB174_57
; %bb.59:                               ;   in Loop: Header=BB174_58 Depth=2
	v_mul_lo_u32 v38, v21, s58
	v_mul_lo_u32 v39, v20, s59
	v_mad_u64_u32 v[22:23], s[6:7], v20, s58, 0
	v_add3_u32 v23, v23, v39, v38
	v_lshlrev_b64 v[22:23], 1, v[22:23]
	v_mov_b32_e32 v38, s88
	v_add_co_u32_e64 v22, s[6:7], s33, v22
	v_addc_co_u32_e64 v23, s[6:7], v38, v23, s[6:7]
	global_load_ushort v22, v[22:23], off
	s_branch .LBB174_57
.LBB174_60:                             ;   in Loop: Header=BB174_18 Depth=1
                                        ; implicit-def: $vgpr8_vgpr9
                                        ; implicit-def: $vgpr4_vgpr5
	s_cbranch_execnz .LBB174_63
	s_branch .LBB174_72
.LBB174_61:                             ;   in Loop: Header=BB174_18 Depth=1
	s_or_b64 exec, exec, s[10:11]
.LBB174_62:                             ;   in Loop: Header=BB174_18 Depth=1
	s_or_b64 exec, exec, s[8:9]
	s_branch .LBB174_72
.LBB174_63:                             ;   in Loop: Header=BB174_18 Depth=1
	v_readlane_b32 s6, v47, 57
	v_readlane_b32 s7, v47, 58
	s_mov_b64 s[8:9], 0
	s_nop 3
	global_load_ushort v8, v15, s[6:7]
	s_waitcnt vmcnt(0)
	v_readfirstlane_b32 s6, v8
	s_and_b32 s6, 0xffff, s6
	s_lshl_b32 s31, s6, 2
	v_cvt_f32_u32_e32 v2, s31
	s_sub_i32 s6, 0, s31
	v_and_b32_e32 v22, 0xffff, v8
	v_rcp_iflag_f32_e32 v6, v2
	v_pk_mov_b32 v[2:3], 0, 0
	v_pk_mov_b32 v[4:5], v[2:3], v[2:3] op_sel:[0,1]
	v_mul_f32_e32 v6, 0x4f7ffffe, v6
	v_cvt_u32_f32_e32 v9, v6
	v_pk_mov_b32 v[6:7], v[2:3], v[2:3] op_sel:[0,1]
	v_readfirstlane_b32 s7, v9
	s_mul_i32 s6, s6, s7
	s_mul_hi_u32 s6, s7, s6
	s_add_i32 s7, s7, s6
	s_mul_hi_u32 s6, s30, s7
	s_mul_i32 s6, s6, s31
	s_sub_i32 s6, s30, s6
	s_sub_i32 s7, s6, s31
	s_cmp_ge_u32 s6, s31
	s_cselect_b32 s6, s7, s6
	s_sub_i32 s7, s6, s31
	s_cmp_ge_u32 s6, s31
	s_cselect_b32 s6, s7, s6
	s_sub_i32 s90, s30, s6
	v_cmp_gt_u32_e32 vcc, s90, v16
	v_pk_mov_b32 v[8:9], v[2:3], v[2:3] op_sel:[0,1]
	s_and_saveexec_b64 s[10:11], vcc
	s_cbranch_execz .LBB174_67
; %bb.64:                               ;   in Loop: Header=BB174_18 Depth=1
	s_and_b32 s73, s72, 0xfe
	v_lshlrev_b32_e32 v14, 3, v22
	v_mov_b32_e32 v23, v30
	s_mov_b64 s[12:13], 0
	s_mov_b64 s[56:57], 0
	;; [unrolled: 1-line block ×4, first 2 shown]
	v_pk_mov_b32 v[20:21], v[16:17], v[16:17] op_sel:[0,1]
.LBB174_65:                             ;   Parent Loop BB174_18 Depth=1
                                        ; =>  This Inner Loop Header: Depth=2
	ds_read_b64 v[2:3], v23
	v_add_co_u32_e32 v20, vcc, s31, v20
	v_addc_co_u32_e32 v21, vcc, 0, v21, vcc
	s_waitcnt lgkmcnt(0)
	v_add_u32_sdwa v4, sext(v2), s75 dst_sel:DWORD dst_unused:UNUSED_PAD src0_sel:WORD_0 src1_sel:DWORD
	v_add_u32_sdwa v2, sext(v2), s75 dst_sel:DWORD dst_unused:UNUSED_PAD src0_sel:WORD_1 src1_sel:DWORD
	v_and_b32_e32 v6, v4, v34
	v_bfe_u32 v4, v4, s73, 2
	v_add_u32_sdwa v5, sext(v3), s75 dst_sel:DWORD dst_unused:UNUSED_PAD src0_sel:WORD_0 src1_sel:DWORD
	v_and_b32_e32 v7, v2, v34
	v_bfe_u32 v2, v2, s73, 2
	v_cmp_eq_u32_e64 s[20:21], v6, v35
	v_cmp_eq_u32_e64 s[6:7], 0, v4
	v_add_u32_sdwa v3, sext(v3), s75 dst_sel:DWORD dst_unused:UNUSED_PAD src0_sel:WORD_1 src1_sel:DWORD
	v_and_b32_e32 v8, v5, v34
	v_bfe_u32 v5, v5, s73, 2
	v_cmp_eq_u32_e64 s[18:19], v7, v35
	v_cmp_eq_u32_e64 s[34:35], 0, v2
	s_and_b64 s[6:7], s[20:21], s[6:7]
	v_and_b32_e32 v9, v3, v34
	v_bfe_u32 v3, v3, s73, 2
	v_cmp_eq_u32_e64 s[16:17], v8, v35
	v_cmp_eq_u32_e64 s[36:37], 0, v5
	;; [unrolled: 1-line block ×5, first 2 shown]
	v_cndmask_b32_e64 v2, 0, 1, s[6:7]
	s_and_b64 s[6:7], s[18:19], s[34:35]
	v_cmp_eq_u32_e64 s[14:15], v9, v35
	v_cmp_eq_u32_e64 s[38:39], 0, v3
	;; [unrolled: 1-line block ×5, first 2 shown]
	v_cndmask_b32_e64 v3, 0, 1, s[6:7]
	s_and_b64 s[6:7], s[16:17], s[36:37]
	v_cmp_eq_u32_e64 s[40:41], 1, v4
	v_cmp_eq_u32_e64 s[48:49], 2, v4
	;; [unrolled: 1-line block ×3, first 2 shown]
	v_cndmask_b32_e64 v4, 0, 1, s[6:7]
	s_and_b64 s[6:7], s[14:15], s[38:39]
	v_cmp_eq_u32_e64 s[44:45], 1, v5
	v_cmp_eq_u32_e64 s[52:53], 2, v5
	;; [unrolled: 1-line block ×3, first 2 shown]
	v_cndmask_b32_e64 v5, 0, 1, s[6:7]
	v_cmp_ne_u32_e64 s[6:7], 0, v2
	v_cmp_ne_u32_e64 s[34:35], 0, v3
	v_cmp_ne_u32_e64 s[36:37], 0, v4
	v_cmp_ne_u32_e64 s[38:39], 0, v5
	s_bcnt1_i32_b64 s6, s[6:7]
	s_bcnt1_i32_b64 s7, s[34:35]
	s_bcnt1_i32_b64 s34, s[36:37]
	s_bcnt1_i32_b64 s35, s[38:39]
	s_add_u32 s6, s6, s92
	s_addc_u32 s36, 0, s93
	s_add_u32 s6, s6, s7
	s_addc_u32 s7, s36, 0
	s_add_u32 s6, s6, s34
	s_addc_u32 s7, s7, 0
	s_add_u32 s92, s6, s35
	s_addc_u32 s93, s7, 0
	s_and_b64 s[6:7], s[20:21], s[40:41]
	v_cndmask_b32_e64 v4, 0, 1, s[6:7]
	s_and_b64 s[6:7], s[18:19], s[42:43]
	v_cndmask_b32_e64 v5, 0, 1, s[6:7]
	s_and_b64 s[6:7], s[16:17], s[44:45]
	v_cndmask_b32_e64 v6, 0, 1, s[6:7]
	s_and_b64 s[6:7], s[14:15], s[46:47]
	v_cndmask_b32_e64 v7, 0, 1, s[6:7]
	v_cmp_ne_u32_e64 s[6:7], 0, v4
	v_cmp_ne_u32_e64 s[34:35], 0, v5
	v_cmp_ne_u32_e64 s[36:37], 0, v6
	v_cmp_ne_u32_e64 s[38:39], 0, v7
	s_bcnt1_i32_b64 s6, s[6:7]
	s_bcnt1_i32_b64 s7, s[34:35]
	s_bcnt1_i32_b64 s34, s[36:37]
	s_bcnt1_i32_b64 s35, s[38:39]
	s_add_u32 s6, s6, s94
	s_addc_u32 s36, 0, s95
	s_add_u32 s6, s6, s7
	s_addc_u32 s7, s36, 0
	s_add_u32 s6, s6, s34
	s_addc_u32 s7, s7, 0
	s_add_u32 s94, s6, s35
	s_addc_u32 s95, s7, 0
	s_and_b64 s[6:7], s[20:21], s[48:49]
	v_cndmask_b32_e64 v6, 0, 1, s[6:7]
	s_and_b64 s[6:7], s[18:19], s[50:51]
	v_cndmask_b32_e64 v7, 0, 1, s[6:7]
	s_and_b64 s[6:7], s[16:17], s[52:53]
	v_cndmask_b32_e64 v8, 0, 1, s[6:7]
	s_and_b64 s[6:7], s[14:15], s[54:55]
	;; [unrolled: 24-line block ×3, first 2 shown]
	v_cndmask_b32_e64 v38, 0, 1, s[6:7]
	v_cmp_ne_u32_e64 s[6:7], 0, v8
	v_cmp_ne_u32_e64 s[14:15], 0, v9
	;; [unrolled: 1-line block ×4, first 2 shown]
	s_bcnt1_i32_b64 s6, s[6:7]
	s_bcnt1_i32_b64 s7, s[14:15]
	;; [unrolled: 1-line block ×4, first 2 shown]
	s_add_u32 s6, s6, s12
	s_addc_u32 s12, 0, s13
	s_add_u32 s6, s6, s7
	s_addc_u32 s7, s12, 0
	;; [unrolled: 2-line block ×3, first 2 shown]
	s_add_u32 s12, s6, s15
	v_cmp_le_u64_e32 vcc, s[90:91], v[20:21]
	s_addc_u32 s13, s7, 0
	v_add_u32_e32 v23, v23, v14
	v_pk_mov_b32 v[2:3], s[92:93], s[92:93] op_sel:[0,1]
	v_pk_mov_b32 v[4:5], s[94:95], s[94:95] op_sel:[0,1]
	;; [unrolled: 1-line block ×3, first 2 shown]
	s_or_b64 s[8:9], vcc, s[8:9]
	v_pk_mov_b32 v[8:9], s[12:13], s[12:13] op_sel:[0,1]
	s_andn2_b64 exec, exec, s[8:9]
	s_cbranch_execnz .LBB174_65
; %bb.66:                               ;   in Loop: Header=BB174_18 Depth=1
	s_or_b64 exec, exec, s[8:9]
.LBB174_67:                             ;   in Loop: Header=BB174_18 Depth=1
	s_or_b64 exec, exec, s[10:11]
	v_add_u32_e32 v14, s90, v0
	v_cmp_gt_u32_e32 vcc, s30, v14
	s_and_saveexec_b64 s[8:9], vcc
	s_cbranch_execz .LBB174_71
; %bb.68:                               ;   in Loop: Header=BB174_18 Depth=1
	s_and_b32 s90, s30, 0x7fffffff
	s_and_b32 s12, s72, 0xfe
	v_lshlrev_b32_e32 v23, 1, v14
	v_lshlrev_b32_e32 v37, 1, v22
	s_mov_b64 s[10:11], 0
	v_pk_mov_b32 v[20:21], v[14:15], v[14:15] op_sel:[0,1]
.LBB174_69:                             ;   Parent Loop BB174_18 Depth=1
                                        ; =>  This Inner Loop Header: Depth=2
	ds_read_i16 v14, v23
	v_add_co_u32_e32 v20, vcc, v20, v22
	v_addc_co_u32_e32 v21, vcc, 0, v21, vcc
	s_waitcnt lgkmcnt(0)
	v_add_u32_e32 v14, 0x8000, v14
	v_and_b32_e32 v38, v14, v34
	v_bfe_u32 v14, v14, s12, 2
	v_cmp_eq_u32_e64 s[6:7], v38, v35
	v_cmp_eq_u32_e64 s[14:15], 0, v14
	;; [unrolled: 1-line block ×3, first 2 shown]
	s_and_b64 s[14:15], s[6:7], s[14:15]
	v_cmp_eq_u32_e64 s[18:19], 2, v14
	v_cmp_eq_u32_e64 s[20:21], 3, v14
	v_cndmask_b32_e64 v14, 0, 1, s[14:15]
	s_and_b64 s[14:15], s[6:7], s[16:17]
	v_cndmask_b32_e64 v38, 0, 1, s[14:15]
	s_and_b64 s[14:15], s[6:7], s[18:19]
	s_and_b64 s[6:7], s[6:7], s[20:21]
	v_cndmask_b32_e64 v39, 0, 1, s[14:15]
	v_cndmask_b32_e64 v40, 0, 1, s[6:7]
	v_cmp_ne_u32_e64 s[6:7], 0, v14
	v_cmp_ne_u32_e64 s[14:15], 0, v38
	;; [unrolled: 1-line block ×4, first 2 shown]
	v_cmp_le_u64_e32 vcc, s[90:91], v[20:21]
	s_bcnt1_i32_b64 s6, s[6:7]
	s_bcnt1_i32_b64 s7, s[14:15]
	;; [unrolled: 1-line block ×4, first 2 shown]
	s_or_b64 s[10:11], vcc, s[10:11]
	v_add_co_u32_e32 v2, vcc, s6, v2
	v_addc_co_u32_e32 v3, vcc, 0, v3, vcc
	v_add_co_u32_e32 v4, vcc, s7, v4
	v_addc_co_u32_e32 v5, vcc, 0, v5, vcc
	;; [unrolled: 2-line block ×3, first 2 shown]
	v_add_co_u32_e32 v8, vcc, s14, v8
	v_add_u32_e32 v23, v23, v37
	v_addc_co_u32_e32 v9, vcc, 0, v9, vcc
	s_andn2_b64 exec, exec, s[10:11]
	s_cbranch_execnz .LBB174_69
; %bb.70:                               ;   in Loop: Header=BB174_18 Depth=1
	s_or_b64 exec, exec, s[10:11]
.LBB174_71:                             ;   in Loop: Header=BB174_18 Depth=1
	s_or_b64 exec, exec, s[8:9]
.LBB174_72:                             ;   in Loop: Header=BB174_18 Depth=1
	v_readlane_b32 s6, v46, 0
	s_lshl_b32 s8, s6, 6
	s_and_saveexec_b64 s[6:7], s[0:1]
	s_cbranch_execz .LBB174_74
; %bb.73:                               ;   in Loop: Header=BB174_18 Depth=1
	s_waitcnt vmcnt(0)
	v_or_b32_e32 v14, s8, v27
	v_lshlrev_b32_e32 v14, 3, v14
	ds_write_b128 v14, v[2:5] offset:3072
	ds_write_b128 v14, v[6:9] offset:3088
.LBB174_74:                             ;   in Loop: Header=BB174_18 Depth=1
	s_or_b64 exec, exec, s[6:7]
	s_waitcnt lgkmcnt(0)
	s_barrier
	s_mov_b64 s[6:7], exec
	v_readlane_b32 s10, v47, 42
	v_readlane_b32 s11, v47, 43
	s_and_b64 s[10:11], s[6:7], s[10:11]
	s_mov_b64 exec, s[10:11]
	s_cbranch_execz .LBB174_86
; %bb.75:                               ;   in Loop: Header=BB174_18 Depth=1
	v_readlane_b32 s10, v47, 50
	v_readlane_b32 s11, v47, 51
	s_andn2_b64 vcc, exec, s[10:11]
	v_pk_mov_b32 v[2:3], 0, 0
	s_cbranch_vccnz .LBB174_85
; %bb.76:                               ;   in Loop: Header=BB174_18 Depth=1
	v_readlane_b32 s10, v47, 59
	v_readlane_b32 s11, v47, 60
	s_andn2_b64 vcc, exec, s[10:11]
	s_cbranch_vccnz .LBB174_81
; %bb.77:                               ;   in Loop: Header=BB174_18 Depth=1
	v_readlane_b32 s9, v46, 0
	s_waitcnt vmcnt(0)
	v_lshl_add_u32 v4, s9, 9, v31
	s_mov_b32 s9, 0
	v_pk_mov_b32 v[2:3], 0, 0
.LBB174_78:                             ;   Parent Loop BB174_18 Depth=1
                                        ; =>  This Inner Loop Header: Depth=2
	ds_read2_b64 v[6:9], v4 offset1:4
	ds_read2_b64 v[20:23], v4 offset0:8 offset1:12
	ds_read2_b64 v[38:41], v4 offset0:16 offset1:20
	;; [unrolled: 1-line block ×3, first 2 shown]
	s_add_i32 s9, s9, 8
	s_waitcnt lgkmcnt(3)
	v_add_co_u32_e32 v2, vcc, v6, v2
	v_addc_co_u32_e32 v3, vcc, v7, v3, vcc
	v_add_co_u32_e32 v2, vcc, v8, v2
	v_addc_co_u32_e32 v3, vcc, v9, v3, vcc
	s_waitcnt lgkmcnt(2)
	v_add_co_u32_e32 v2, vcc, v20, v2
	v_addc_co_u32_e32 v3, vcc, v21, v3, vcc
	v_add_co_u32_e32 v2, vcc, v22, v2
	v_addc_co_u32_e32 v3, vcc, v23, v3, vcc
	;; [unrolled: 5-line block ×3, first 2 shown]
	s_waitcnt lgkmcnt(0)
	v_add_co_u32_e32 v2, vcc, v42, v2
	v_addc_co_u32_e32 v3, vcc, v43, v3, vcc
	v_add_co_u32_e32 v2, vcc, v44, v2
	v_add_u32_e32 v4, 0x100, v4
	s_cmp_eq_u32 s4, s9
	v_addc_co_u32_e32 v3, vcc, v45, v3, vcc
	s_cbranch_scc0 .LBB174_78
; %bb.79:                               ;   in Loop: Header=BB174_18 Depth=1
	s_mov_b32 s9, s4
	s_branch .LBB174_82
.LBB174_80:                             ;   in Loop: Header=BB174_18 Depth=1
                                        ; implicit-def: $vgpr2_vgpr3
	s_branch .LBB174_48
.LBB174_81:                             ;   in Loop: Header=BB174_18 Depth=1
	s_mov_b32 s9, 0
	v_pk_mov_b32 v[2:3], 0, 0
.LBB174_82:                             ;   in Loop: Header=BB174_18 Depth=1
	v_readlane_b32 s10, v47, 62
	v_readlane_b32 s11, v47, 63
	s_andn2_b64 vcc, exec, s[10:11]
	s_cbranch_vccnz .LBB174_85
; %bb.83:                               ;   in Loop: Header=BB174_18 Depth=1
	v_readlane_b32 s10, v46, 0
	s_lshl_b32 s10, s10, 9
	s_lshl_b32 s9, s9, 5
	s_add_i32 s10, s10, s9
	s_waitcnt vmcnt(0)
	v_add_u32_e32 v4, s10, v31
	v_readlane_b32 s9, v47, 61
.LBB174_84:                             ;   Parent Loop BB174_18 Depth=1
                                        ; =>  This Inner Loop Header: Depth=2
	ds_read_b64 v[6:7], v4
	s_add_i32 s9, s9, -1
	v_add_u32_e32 v4, 32, v4
	s_cmp_lg_u32 s9, 0
	s_waitcnt lgkmcnt(0)
	v_add_co_u32_e32 v2, vcc, v6, v2
	v_addc_co_u32_e32 v3, vcc, v7, v3, vcc
	s_cbranch_scc1 .LBB174_84
.LBB174_85:                             ;   in Loop: Header=BB174_18 Depth=1
	s_waitcnt vmcnt(0)
	v_add_lshl_u32 v4, s8, v25, 3
	ds_write_b64 v4, v[2:3] offset:3072
.LBB174_86:                             ;   in Loop: Header=BB174_18 Depth=1
	s_or_b64 exec, exec, s[6:7]
	s_lshl_b32 s6, s8, 3
	v_mov_b32_e32 v6, s6
	s_waitcnt lgkmcnt(0)
	s_barrier
	s_waitcnt vmcnt(0)
	ds_read_b128 v[2:5], v6 offset:3072
	ds_read_b128 v[6:9], v6 offset:3088
	s_and_b32 s49, s72, 0xfe
	v_readlane_b32 s6, v47, 40
	s_lshl_b32 s90, 3, s49
	v_readlane_b32 s7, v47, 41
	s_waitcnt lgkmcnt(1)
	v_readfirstlane_b32 s17, v3
	v_readfirstlane_b32 s16, v2
	;; [unrolled: 1-line block ×4, first 2 shown]
	s_waitcnt lgkmcnt(0)
	v_readfirstlane_b32 s23, v7
	v_readfirstlane_b32 s22, v6
	;; [unrolled: 1-line block ×4, first 2 shown]
	s_not_b32 s48, s90
	s_andn2_b64 vcc, exec, s[6:7]
	v_cmp_eq_u64_e64 s[14:15], 1, v[18:19]
	s_cbranch_vccnz .LBB174_102
; %bb.87:                               ;   in Loop: Header=BB174_18 Depth=1
	s_cmp_eq_u64 s[16:17], 1
	s_cselect_b64 s[6:7], -1, 0
	s_and_b64 s[8:9], s[6:7], s[14:15]
	s_mov_b64 s[6:7], -1
	v_mov_b32_e32 v8, v35
	v_mov_b32_e32 v9, v34
	;; [unrolled: 1-line block ×3, first 2 shown]
                                        ; implicit-def: $sgpr20_sgpr21
                                        ; implicit-def: $sgpr36_sgpr37
                                        ; implicit-def: $sgpr34_sgpr35
	s_and_saveexec_b64 s[26:27], s[8:9]
	s_cbranch_execz .LBB174_124
; %bb.88:                               ;   in Loop: Header=BB174_18 Depth=1
	ds_read_b64 v[2:3], v15 offset:5120
	s_waitcnt lgkmcnt(0)
	s_barrier
	v_readfirstlane_b32 s10, v2
	v_readfirstlane_b32 s11, v3
	s_mov_b64 s[6:7], exec
	v_readlane_b32 s12, v47, 48
	v_readlane_b32 s13, v47, 49
	s_and_b64 s[12:13], s[6:7], s[12:13]
	s_mov_b64 exec, s[12:13]
	s_cbranch_execz .LBB174_90
; %bb.89:                               ;   in Loop: Header=BB174_18 Depth=1
	ds_write_b16 v29, v15
.LBB174_90:                             ;   in Loop: Header=BB174_18 Depth=1
	s_or_b64 exec, exec, s[6:7]
	v_and_b32_e32 v8, s48, v35
	v_or_b32_e32 v9, s90, v34
	s_cmp_eq_u64 s[10:11], 0
	s_waitcnt lgkmcnt(0)
	s_barrier
	s_cbranch_scc1 .LBB174_107
; %bb.91:                               ;   in Loop: Header=BB174_18 Depth=1
	v_readlane_b32 s6, v47, 52
	s_add_u32 s20, s6, s10
	v_readlane_b32 s6, v47, 54
	s_addc_u32 s7, s6, s11
	s_mov_b32 s6, s91
	s_cmp_lg_u64 s[6:7], 0
	s_cbranch_scc0 .LBB174_151
; %bb.92:                               ;   in Loop: Header=BB174_18 Depth=1
	v_cvt_f32_u32_e32 v2, s89
	s_sub_u32 s6, 0, s89
	s_subb_u32 s12, 0, 0
	v_mac_f32_e32 v2, 0, v32
	v_rcp_f32_e32 v2, v2
	v_mul_f32_e32 v2, 0x5f7ffffc, v2
	v_mul_f32_e32 v3, 0x2f800000, v2
	v_trunc_f32_e32 v3, v3
	v_mac_f32_e32 v2, 0xcf800000, v3
	v_cvt_u32_f32_e32 v3, v3
	v_cvt_u32_f32_e32 v2, v2
	v_readfirstlane_b32 s13, v3
	v_readfirstlane_b32 s21, v2
	s_mul_i32 s28, s6, s13
	s_mul_hi_u32 s30, s6, s21
	s_mul_i32 s29, s12, s21
	s_add_i32 s28, s30, s28
	s_mul_i32 s31, s6, s21
	s_add_i32 s28, s28, s29
	s_mul_hi_u32 s30, s21, s31
	s_mul_hi_u32 s29, s21, s28
	s_mul_i32 s21, s21, s28
	s_add_u32 s21, s30, s21
	s_addc_u32 s29, 0, s29
	s_mul_hi_u32 s34, s13, s31
	s_mul_i32 s31, s13, s31
	s_add_u32 s21, s21, s31
	s_mul_hi_u32 s30, s13, s28
	s_addc_u32 s21, s29, s34
	s_addc_u32 s29, s30, 0
	s_mul_i32 s28, s13, s28
	s_add_u32 s21, s21, s28
	s_addc_u32 s28, 0, s29
	v_add_co_u32_e32 v2, vcc, s21, v2
	s_cmp_lg_u64 vcc, 0
	s_addc_u32 s13, s13, s28
	v_readfirstlane_b32 s28, v2
	s_mul_i32 s21, s6, s13
	s_mul_hi_u32 s29, s6, s28
	s_add_i32 s21, s29, s21
	s_mul_i32 s12, s12, s28
	s_add_i32 s21, s21, s12
	s_mul_i32 s6, s6, s28
	s_mul_hi_u32 s29, s13, s6
	s_mul_i32 s30, s13, s6
	s_mul_i32 s34, s28, s21
	s_mul_hi_u32 s6, s28, s6
	s_mul_hi_u32 s31, s28, s21
	s_add_u32 s6, s6, s34
	s_addc_u32 s28, 0, s31
	s_add_u32 s6, s6, s30
	s_mul_hi_u32 s12, s13, s21
	s_addc_u32 s6, s28, s29
	s_addc_u32 s12, s12, 0
	s_mul_i32 s21, s13, s21
	s_add_u32 s6, s6, s21
	s_addc_u32 s12, 0, s12
	v_add_co_u32_e32 v2, vcc, s6, v2
	s_cmp_lg_u64 vcc, 0
	s_addc_u32 s6, s13, s12
	v_readfirstlane_b32 s21, v2
	s_mul_i32 s13, s20, s6
	s_mul_hi_u32 s28, s20, s21
	s_mul_hi_u32 s12, s20, s6
	s_add_u32 s13, s28, s13
	s_addc_u32 s12, 0, s12
	s_mul_hi_u32 s29, s7, s21
	s_mul_i32 s21, s7, s21
	s_add_u32 s13, s13, s21
	s_mul_hi_u32 s28, s7, s6
	s_addc_u32 s12, s12, s29
	s_addc_u32 s13, s28, 0
	s_mul_i32 s6, s7, s6
	s_add_u32 s6, s12, s6
	s_addc_u32 s12, 0, s13
	s_mul_hi_u32 s13, s89, s6
	s_mul_i32 s6, s89, s6
	s_mul_i32 s12, s89, s12
	v_mov_b32_e32 v2, s6
	s_add_i32 s13, s13, s12
	v_sub_co_u32_e32 v2, vcc, s20, v2
	s_cmp_lg_u64 vcc, 0
	s_subb_u32 s6, s7, s13
	v_subrev_co_u32_e32 v3, vcc, s89, v2
	s_cmp_lg_u64 vcc, 0
	s_subb_u32 s12, s6, 0
	v_subrev_co_u32_e32 v4, vcc, s89, v3
	s_cmp_lg_u64 vcc, 0
	s_subb_u32 s13, s12, 0
	v_cmp_le_u32_e32 vcc, s89, v3
	s_cmp_eq_u32 s12, 0
	v_cndmask_b32_e64 v5, 0, -1, vcc
	s_cselect_b64 vcc, -1, 0
	v_cndmask_b32_e32 v5, -1, v5, vcc
	v_mov_b32_e32 v6, s12
	v_mov_b32_e32 v7, s13
	v_cmp_ne_u32_e32 vcc, 0, v5
	v_cndmask_b32_e32 v5, v6, v7, vcc
	v_cndmask_b32_e32 v4, v3, v4, vcc
	v_cmp_le_u32_e32 vcc, s89, v2
	s_cmp_eq_u32 s6, 0
	v_cndmask_b32_e64 v3, 0, -1, vcc
	s_cselect_b64 vcc, -1, 0
	v_cndmask_b32_e32 v3, -1, v3, vcc
	v_mov_b32_e32 v6, s6
	v_cmp_ne_u32_e32 vcc, 0, v3
	v_cndmask_b32_e32 v3, v6, v5, vcc
	v_cndmask_b32_e32 v2, v2, v4, vcc
	s_cbranch_execnz .LBB174_94
.LBB174_93:                             ;   in Loop: Header=BB174_18 Depth=1
	v_cvt_f32_u32_e32 v2, s89
	s_sub_i32 s6, 0, s89
	v_rcp_iflag_f32_e32 v2, v2
	v_mul_f32_e32 v2, 0x4f7ffffe, v2
	v_cvt_u32_f32_e32 v2, v2
	v_mul_lo_u32 v3, s6, v2
	v_mul_hi_u32 v3, v2, v3
	v_add_u32_e32 v2, v2, v3
	v_mul_hi_u32 v2, s20, v2
	v_mul_lo_u32 v2, v2, s89
	v_sub_u32_e32 v2, s20, v2
	v_subrev_u32_e32 v3, s89, v2
	v_cmp_le_u32_e32 vcc, s89, v2
	v_cndmask_b32_e32 v2, v2, v3, vcc
	v_subrev_u32_e32 v3, s89, v2
	v_cmp_le_u32_e32 vcc, s89, v2
	v_cndmask_b32_e32 v14, v2, v3, vcc
	v_pk_mov_b32 v[2:3], v[14:15], v[14:15] op_sel:[0,1]
.LBB174_94:                             ;   in Loop: Header=BB174_18 Depth=1
	v_mov_b32_e32 v4, s7
	v_sub_co_u32_e32 v2, vcc, s20, v2
	v_subb_co_u32_e32 v3, vcc, v4, v3, vcc
	v_cmp_gt_u64_e32 vcc, v[2:3], v[0:1]
	s_mov_b64 s[6:7], 0
                                        ; implicit-def: $vgpr20
	s_and_saveexec_b64 s[12:13], vcc
	s_cbranch_execz .LBB174_109
; %bb.95:                               ;   in Loop: Header=BB174_18 Depth=1
	s_mov_b64 s[20:21], 0
	v_mov_b32_e32 v6, v28
	v_pk_mov_b32 v[4:5], v[0:1], v[0:1] op_sel:[0,1]
                                        ; implicit-def: $sgpr28_sgpr29
	s_branch .LBB174_97
.LBB174_96:                             ;   in Loop: Header=BB174_97 Depth=2
	s_or_b64 exec, exec, s[6:7]
	s_waitcnt lgkmcnt(0)
	s_barrier
	ds_read_b32 v7, v15 offset:3072
	v_mov_b32_e32 v14, s74
	v_add_co_u32_e64 v4, s[6:7], s89, v4
	v_addc_co_u32_e64 v5, s[6:7], v5, v14, s[6:7]
	s_waitcnt lgkmcnt(0)
	v_cmp_ne_u16_e32 vcc, 0, v7
	v_cmp_ge_u64_e64 s[6:7], v[4:5], v[2:3]
	s_or_b64 s[6:7], s[6:7], vcc
	s_and_b64 s[6:7], exec, s[6:7]
	s_or_b64 s[20:21], s[6:7], s[20:21]
	s_andn2_b64 s[6:7], s[28:29], exec
	s_and_b64 s[28:29], vcc, exec
	v_add_u32_e32 v6, s5, v6
	s_or_b64 s[28:29], s[6:7], s[28:29]
	s_barrier
	s_andn2_b64 exec, exec, s[20:21]
	s_cbranch_execz .LBB174_108
.LBB174_97:                             ;   Parent Loop BB174_18 Depth=1
                                        ; =>  This Inner Loop Header: Depth=2
	v_cmp_gt_u64_e32 vcc, s[10:11], v[4:5]
	v_mov_b32_e32 v7, 0
	s_and_saveexec_b64 s[6:7], vcc
	s_cbranch_execz .LBB174_99
; %bb.98:                               ;   in Loop: Header=BB174_97 Depth=2
	ds_read_u16 v7, v6
.LBB174_99:                             ;   in Loop: Header=BB174_97 Depth=2
	s_or_b64 exec, exec, s[6:7]
	s_and_saveexec_b64 s[6:7], vcc
	s_cbranch_execz .LBB174_96
; %bb.100:                              ;   in Loop: Header=BB174_97 Depth=2
	s_waitcnt lgkmcnt(0)
	v_add_u32_sdwa v14, sext(v7), s75 dst_sel:DWORD dst_unused:UNUSED_PAD src0_sel:WORD_0 src1_sel:DWORD
	v_and_b32_e32 v14, v14, v9
	v_cmp_eq_u32_e32 vcc, v14, v8
	s_and_b64 exec, exec, vcc
	s_cbranch_execz .LBB174_96
; %bb.101:                              ;   in Loop: Header=BB174_97 Depth=2
	v_perm_b32 v7, v7, 1, v33
	ds_write_b32 v15, v7 offset:3072
	s_branch .LBB174_96
.LBB174_102:                            ;   in Loop: Header=BB174_18 Depth=1
	s_mov_b64 s[28:29], 0
	s_mov_b64 s[26:27], 0
                                        ; implicit-def: $sgpr34_sgpr35
                                        ; implicit-def: $sgpr36_sgpr37
                                        ; implicit-def: $sgpr20_sgpr21
                                        ; implicit-def: $vgpr6
                                        ; implicit-def: $vgpr2_vgpr3
                                        ; implicit-def: $vgpr8
                                        ; implicit-def: $vgpr9
                                        ; implicit-def: $vgpr20
	s_cbranch_execnz .LBB174_288
.LBB174_103:                            ;   in Loop: Header=BB174_18 Depth=1
	s_mov_b64 s[14:15], s[20:21]
	s_mov_b64 s[38:39], s[20:21]
	s_and_saveexec_b64 s[6:7], s[28:29]
	s_cbranch_execnz .LBB174_484
	s_branch .LBB174_485
.LBB174_104:                            ;   in Loop: Header=BB174_18 Depth=1
	s_or_b64 exec, exec, s[8:9]
	s_waitcnt lgkmcnt(0)
	s_barrier
	s_mov_b64 s[6:7], exec
	v_readlane_b32 s8, v47, 32
	v_readlane_b32 s9, v47, 33
	s_and_b64 s[8:9], s[6:7], s[8:9]
	s_mov_b64 exec, s[8:9]
	s_cbranch_execz .LBB174_106
; %bb.105:                              ;   in Loop: Header=BB174_18 Depth=1
	ds_read_b32 v2, v15 offset:5144
	s_waitcnt lgkmcnt(0)
	v_ashrrev_i32_e32 v3, 31, v2
	ds_write_b64 v15, v[2:3] offset:5120
.LBB174_106:                            ;   in Loop: Header=BB174_18 Depth=1
	s_or_b64 exec, exec, s[6:7]
	s_waitcnt lgkmcnt(0)
	s_barrier
	s_mov_b64 s[6:7], -1
	s_and_b64 vcc, exec, s[30:31]
	s_cbranch_vccnz .LBB174_33
	s_branch .LBB174_43
.LBB174_107:                            ;   in Loop: Header=BB174_18 Depth=1
	s_mov_b64 s[20:21], -1
	s_mov_b64 s[6:7], 0
                                        ; implicit-def: $sgpr34_sgpr35
                                        ; implicit-def: $vgpr20
	s_mov_b64 s[36:37], s[20:21]
	s_cbranch_execnz .LBB174_110
	s_branch .LBB174_123
.LBB174_108:                            ;   in Loop: Header=BB174_18 Depth=1
	s_or_b64 exec, exec, s[20:21]
	v_lshrrev_b32_e32 v20, 16, v7
	s_and_b64 s[6:7], s[28:29], exec
.LBB174_109:                            ;   in Loop: Header=BB174_18 Depth=1
	s_or_b64 exec, exec, s[12:13]
	s_mov_b64 s[34:35], -1
	s_mov_b64 s[20:21], 0
	s_mov_b64 s[36:37], s[20:21]
	s_branch .LBB174_123
.LBB174_110:                            ;   in Loop: Header=BB174_18 Depth=1
	v_readlane_b32 s28, v47, 55
	v_readlane_b32 s29, v47, 56
	s_mov_b32 s28, s91
	s_cmp_lg_u64 s[28:29], 0
	v_writelane_b32 v47, s28, 55
	v_writelane_b32 v47, s29, 56
	s_cbranch_scc0 .LBB174_152
; %bb.111:                              ;   in Loop: Header=BB174_18 Depth=1
	v_cvt_f32_u32_e32 v2, s89
	s_sub_u32 s6, 0, s89
	s_subb_u32 s7, 0, 0
	v_mac_f32_e32 v2, 0, v32
	v_rcp_f32_e32 v2, v2
	v_mul_f32_e32 v2, 0x5f7ffffc, v2
	v_mul_f32_e32 v3, 0x2f800000, v2
	v_trunc_f32_e32 v3, v3
	v_mac_f32_e32 v2, 0xcf800000, v3
	v_cvt_u32_f32_e32 v3, v3
	v_cvt_u32_f32_e32 v2, v2
	v_readfirstlane_b32 s10, v3
	v_readfirstlane_b32 s11, v2
	s_mul_i32 s12, s6, s10
	s_mul_hi_u32 s20, s6, s11
	s_mul_i32 s13, s7, s11
	s_add_i32 s12, s20, s12
	s_mul_i32 s21, s6, s11
	s_add_i32 s12, s12, s13
	s_mul_hi_u32 s20, s11, s21
	s_mul_hi_u32 s13, s11, s12
	s_mul_i32 s11, s11, s12
	s_add_u32 s11, s20, s11
	s_addc_u32 s13, 0, s13
	s_mul_hi_u32 s28, s10, s21
	s_mul_i32 s21, s10, s21
	s_add_u32 s11, s11, s21
	s_mul_hi_u32 s20, s10, s12
	s_addc_u32 s11, s13, s28
	s_addc_u32 s13, s20, 0
	s_mul_i32 s12, s10, s12
	s_add_u32 s11, s11, s12
	s_addc_u32 s12, 0, s13
	v_add_co_u32_e32 v2, vcc, s11, v2
	s_cmp_lg_u64 vcc, 0
	s_addc_u32 s10, s10, s12
	v_readfirstlane_b32 s12, v2
	s_mul_i32 s11, s6, s10
	s_mul_hi_u32 s13, s6, s12
	s_add_i32 s11, s13, s11
	s_mul_i32 s7, s7, s12
	s_add_i32 s11, s11, s7
	s_mul_i32 s6, s6, s12
	s_mul_hi_u32 s13, s10, s6
	s_mul_i32 s20, s10, s6
	s_mul_i32 s28, s12, s11
	s_mul_hi_u32 s6, s12, s6
	s_mul_hi_u32 s21, s12, s11
	s_add_u32 s6, s6, s28
	s_addc_u32 s12, 0, s21
	s_add_u32 s6, s6, s20
	s_mul_hi_u32 s7, s10, s11
	s_addc_u32 s6, s12, s13
	s_addc_u32 s7, s7, 0
	s_mul_i32 s11, s10, s11
	s_add_u32 s6, s6, s11
	s_addc_u32 s7, 0, s7
	v_add_co_u32_e32 v2, vcc, s6, v2
	s_cmp_lg_u64 vcc, 0
	s_addc_u32 s6, s10, s7
	v_readlane_b32 s20, v47, 53
	v_readfirstlane_b32 s11, v2
	s_mul_i32 s10, s20, s6
	s_mul_hi_u32 s12, s20, s11
	s_mul_hi_u32 s7, s20, s6
	s_add_u32 s10, s12, s10
	s_addc_u32 s7, 0, s7
	s_mul_hi_u32 s13, s29, s11
	s_mul_i32 s11, s29, s11
	s_add_u32 s10, s10, s11
	s_mul_hi_u32 s12, s29, s6
	s_addc_u32 s7, s7, s13
	s_addc_u32 s10, s12, 0
	s_mul_i32 s6, s29, s6
	s_add_u32 s6, s7, s6
	s_addc_u32 s7, 0, s10
	s_mul_hi_u32 s10, s89, s6
	s_mul_i32 s6, s89, s6
	s_mul_i32 s7, s89, s7
	v_mov_b32_e32 v2, s6
	s_add_i32 s10, s10, s7
	v_sub_co_u32_e32 v2, vcc, s20, v2
	s_cmp_lg_u64 vcc, 0
	s_subb_u32 s6, s29, s10
	v_subrev_co_u32_e32 v3, vcc, s89, v2
	s_cmp_lg_u64 vcc, 0
	s_subb_u32 s7, s6, 0
	v_subrev_co_u32_e32 v4, vcc, s89, v3
	s_cmp_lg_u64 vcc, 0
	s_subb_u32 s10, s7, 0
	v_cmp_le_u32_e32 vcc, s89, v3
	s_cmp_eq_u32 s7, 0
	v_cndmask_b32_e64 v5, 0, -1, vcc
	s_cselect_b64 vcc, -1, 0
	v_cndmask_b32_e32 v5, -1, v5, vcc
	v_mov_b32_e32 v6, s7
	v_mov_b32_e32 v7, s10
	v_cmp_ne_u32_e32 vcc, 0, v5
	v_cndmask_b32_e32 v5, v6, v7, vcc
	v_cndmask_b32_e32 v4, v3, v4, vcc
	v_cmp_le_u32_e32 vcc, s89, v2
	s_cmp_eq_u32 s6, 0
	v_cndmask_b32_e64 v3, 0, -1, vcc
	s_cselect_b64 vcc, -1, 0
	v_cndmask_b32_e32 v3, -1, v3, vcc
	v_mov_b32_e32 v6, s6
	v_cmp_ne_u32_e32 vcc, 0, v3
	v_cndmask_b32_e32 v3, v6, v5, vcc
	v_cndmask_b32_e32 v2, v2, v4, vcc
	s_cbranch_execnz .LBB174_113
.LBB174_112:                            ;   in Loop: Header=BB174_18 Depth=1
	v_cvt_f32_u32_e32 v2, s89
	s_sub_i32 s6, 0, s89
	v_rcp_iflag_f32_e32 v2, v2
	v_mul_f32_e32 v2, 0x4f7ffffe, v2
	v_cvt_u32_f32_e32 v2, v2
	v_mul_lo_u32 v3, s6, v2
	v_mul_hi_u32 v3, v2, v3
	v_add_u32_e32 v2, v2, v3
	v_readlane_b32 s6, v47, 53
	v_mul_hi_u32 v2, s6, v2
	v_mul_lo_u32 v2, v2, s89
	v_sub_u32_e32 v2, s6, v2
	v_subrev_u32_e32 v3, s89, v2
	v_cmp_le_u32_e32 vcc, s89, v2
	v_cndmask_b32_e32 v2, v2, v3, vcc
	v_subrev_u32_e32 v3, s89, v2
	v_cmp_le_u32_e32 vcc, s89, v2
	v_cndmask_b32_e32 v14, v2, v3, vcc
	v_pk_mov_b32 v[2:3], v[14:15], v[14:15] op_sel:[0,1]
.LBB174_113:                            ;   in Loop: Header=BB174_18 Depth=1
	v_readlane_b32 s6, v47, 55
	v_readlane_b32 s7, v47, 56
	v_readlane_b32 s6, v47, 53
	v_mov_b32_e32 v4, s7
	v_sub_co_u32_e32 v2, vcc, s6, v2
	v_subb_co_u32_e32 v3, vcc, v4, v3, vcc
	v_cmp_gt_u64_e32 vcc, v[2:3], v[0:1]
	s_mov_b64 s[6:7], 0
                                        ; implicit-def: $vgpr20
	s_and_saveexec_b64 s[10:11], vcc
	s_cbranch_execz .LBB174_122
; %bb.114:                              ;   in Loop: Header=BB174_18 Depth=1
	s_mov_b64 s[12:13], 0
	v_pk_mov_b32 v[4:5], v[0:1], v[0:1] op_sel:[0,1]
                                        ; implicit-def: $sgpr20_sgpr21
	s_branch .LBB174_116
.LBB174_115:                            ;   in Loop: Header=BB174_116 Depth=2
	s_or_b64 exec, exec, s[6:7]
	s_waitcnt lgkmcnt(0)
	s_barrier
	s_waitcnt vmcnt(0)
	ds_read_b32 v6, v15 offset:3072
	v_mov_b32_e32 v7, s74
	v_add_co_u32_e64 v4, s[6:7], s89, v4
	v_addc_co_u32_e64 v5, s[6:7], v5, v7, s[6:7]
	s_waitcnt lgkmcnt(0)
	v_cmp_ne_u16_e32 vcc, 0, v6
	v_cmp_ge_u64_e64 s[6:7], v[4:5], v[2:3]
	s_or_b64 s[6:7], s[6:7], vcc
	s_and_b64 s[6:7], exec, s[6:7]
	s_or_b64 s[12:13], s[6:7], s[12:13]
	s_andn2_b64 s[6:7], s[20:21], exec
	s_and_b64 s[20:21], vcc, exec
	s_or_b64 s[20:21], s[6:7], s[20:21]
	s_barrier
	s_andn2_b64 exec, exec, s[12:13]
	s_cbranch_execz .LBB174_121
.LBB174_116:                            ;   Parent Loop BB174_18 Depth=1
                                        ; =>  This Inner Loop Header: Depth=2
	v_cmp_gt_u64_e32 vcc, s[60:61], v[4:5]
	v_mov_b32_e32 v6, 0
	s_and_saveexec_b64 s[28:29], vcc
	s_cbranch_execz .LBB174_118
; %bb.117:                              ;   in Loop: Header=BB174_116 Depth=2
	v_mul_lo_u32 v14, v5, s58
	v_mul_lo_u32 v20, v4, s59
	v_mad_u64_u32 v[6:7], s[6:7], v4, s58, 0
	v_add3_u32 v7, v7, v20, v14
	v_lshlrev_b64 v[6:7], 1, v[6:7]
	v_mov_b32_e32 v14, s88
	v_add_co_u32_e64 v6, s[6:7], s33, v6
	v_addc_co_u32_e64 v7, s[6:7], v14, v7, s[6:7]
	global_load_ushort v6, v[6:7], off
.LBB174_118:                            ;   in Loop: Header=BB174_116 Depth=2
	s_or_b64 exec, exec, s[28:29]
	s_and_saveexec_b64 s[6:7], vcc
	s_cbranch_execz .LBB174_115
; %bb.119:                              ;   in Loop: Header=BB174_116 Depth=2
	s_waitcnt vmcnt(0)
	v_add_u32_sdwa v7, sext(v6), s75 dst_sel:DWORD dst_unused:UNUSED_PAD src0_sel:WORD_0 src1_sel:DWORD
	v_and_b32_e32 v7, v7, v9
	v_cmp_eq_u32_e32 vcc, v7, v8
	s_and_b64 exec, exec, vcc
	s_cbranch_execz .LBB174_115
; %bb.120:                              ;   in Loop: Header=BB174_116 Depth=2
	v_perm_b32 v6, v6, 1, v33
	ds_write_b32 v15, v6 offset:3072
	s_branch .LBB174_115
.LBB174_121:                            ;   in Loop: Header=BB174_18 Depth=1
	s_or_b64 exec, exec, s[12:13]
	v_lshrrev_b32_e32 v20, 16, v6
	s_and_b64 s[6:7], s[20:21], exec
.LBB174_122:                            ;   in Loop: Header=BB174_18 Depth=1
	s_or_b64 exec, exec, s[10:11]
	s_mov_b64 s[36:37], -1
	s_mov_b64 s[20:21], 0
	s_mov_b64 s[34:35], 0
.LBB174_123:                            ;   in Loop: Header=BB174_18 Depth=1
	s_orn2_b64 s[6:7], s[6:7], exec
.LBB174_124:                            ;   in Loop: Header=BB174_18 Depth=1
	s_or_b64 exec, exec, s[26:27]
	s_mov_b64 s[38:39], 0
	s_mov_b64 s[28:29], 0
	;; [unrolled: 1-line block ×3, first 2 shown]
                                        ; implicit-def: $vgpr6
                                        ; implicit-def: $vgpr2_vgpr3
	s_and_saveexec_b64 s[40:41], s[6:7]
	s_cbranch_execz .LBB174_287
; %bb.125:                              ;   in Loop: Header=BB174_18 Depth=1
	v_mov_b32_e32 v2, 1
	s_xor_b64 s[8:9], s[8:9], -1
	v_mov_b32_e32 v3, 0
	v_mov_b32_e32 v6, 1
	s_and_saveexec_b64 s[6:7], s[8:9]
	s_cbranch_execz .LBB174_135
; %bb.126:                              ;   in Loop: Header=BB174_18 Depth=1
	v_cmp_ge_u64_e32 vcc, s[16:17], v[18:19]
                                        ; implicit-def: $sgpr12
                                        ; implicit-def: $sgpr8_sgpr9
	s_and_saveexec_b64 s[10:11], vcc
	s_xor_b64 s[10:11], exec, s[10:11]
	s_cbranch_execz .LBB174_132
; %bb.127:                              ;   in Loop: Header=BB174_18 Depth=1
	ds_read_b64 v[2:3], v15 offset:5120
	s_waitcnt lgkmcnt(0)
	v_cmp_ne_u64_e32 vcc, 0, v[2:3]
	s_cbranch_vccnz .LBB174_131
; %bb.128:                              ;   in Loop: Header=BB174_18 Depth=1
	s_mov_b64 s[8:9], exec
	v_readlane_b32 s12, v47, 32
	v_readlane_b32 s13, v47, 33
	s_and_b64 s[12:13], s[8:9], s[12:13]
	s_mov_b64 exec, s[12:13]
	s_cbranch_execz .LBB174_130
; %bb.129:                              ;   in Loop: Header=BB174_18 Depth=1
	v_pk_mov_b32 v[2:3], s[16:17], s[16:17] op_sel:[0,1]
	ds_write_b64 v15, v[2:3] offset:5128
.LBB174_130:                            ;   in Loop: Header=BB174_18 Depth=1
	s_or_b64 exec, exec, s[8:9]
	s_waitcnt lgkmcnt(0)
	s_barrier
.LBB174_131:                            ;   in Loop: Header=BB174_18 Depth=1
	v_and_b32_e32 v8, s48, v8
	v_or_b32_e32 v9, s90, v9
	s_mov_b64 s[8:9], 0
	s_mov_b32 s12, 8
.LBB174_132:                            ;   in Loop: Header=BB174_18 Depth=1
	s_or_saveexec_b64 s[10:11], s[10:11]
	v_mov_b32_e32 v6, s12
	v_pk_mov_b32 v[2:3], v[18:19], v[18:19] op_sel:[0,1]
	s_xor_b64 exec, exec, s[10:11]
; %bb.133:                              ;   in Loop: Header=BB174_18 Depth=1
	v_mov_b32_e32 v3, s17
	v_subrev_co_u32_e32 v2, vcc, s16, v18
	v_subb_co_u32_e32 v3, vcc, v19, v3, vcc
	v_mov_b32_e32 v6, 0
	s_or_b64 s[8:9], s[8:9], exec
; %bb.134:                              ;   in Loop: Header=BB174_18 Depth=1
	s_or_b64 exec, exec, s[10:11]
	s_and_b64 s[26:27], s[8:9], exec
.LBB174_135:                            ;   in Loop: Header=BB174_18 Depth=1
	s_or_b64 exec, exec, s[6:7]
	s_mov_b64 s[28:29], -1
                                        ; implicit-def: $sgpr8_sgpr9
                                        ; implicit-def: $sgpr10_sgpr11
                                        ; implicit-def: $sgpr12_sgpr13
	s_and_saveexec_b64 s[6:7], s[26:27]
	s_xor_b64 s[26:27], exec, s[6:7]
	s_cbranch_execz .LBB174_284
; %bb.136:                              ;   in Loop: Header=BB174_18 Depth=1
	s_cmp_eq_u64 s[18:19], 1
	s_cselect_b64 s[6:7], -1, 0
	v_cmp_eq_u64_e32 vcc, 1, v[2:3]
	s_and_b64 s[8:9], s[6:7], vcc
	s_mov_b64 s[10:11], -1
                                        ; implicit-def: $sgpr28_sgpr29
                                        ; implicit-def: $sgpr44_sgpr45
                                        ; implicit-def: $sgpr42_sgpr43
	s_and_saveexec_b64 s[30:31], s[8:9]
	s_cbranch_execz .LBB174_170
; %bb.137:                              ;   in Loop: Header=BB174_18 Depth=1
	ds_read_b64 v[4:5], v15 offset:5120
	s_waitcnt lgkmcnt(0)
	s_barrier
	v_readfirstlane_b32 s10, v4
	v_readfirstlane_b32 s11, v5
	s_mov_b64 s[6:7], exec
	v_readlane_b32 s12, v47, 48
	v_readlane_b32 s13, v47, 49
	s_and_b64 s[12:13], s[6:7], s[12:13]
	s_mov_b64 exec, s[12:13]
	s_cbranch_execz .LBB174_139
; %bb.138:                              ;   in Loop: Header=BB174_18 Depth=1
	ds_write_b16 v29, v15
.LBB174_139:                            ;   in Loop: Header=BB174_18 Depth=1
	s_or_b64 exec, exec, s[6:7]
	v_and_b32_e32 v4, s48, v8
	v_lshl_or_b32 v8, 1, s49, v4
	v_or_b32_e32 v9, s90, v9
	s_cmp_eq_u64 s[10:11], 0
	s_waitcnt lgkmcnt(0)
	s_barrier
	s_cbranch_scc1 .LBB174_153
; %bb.140:                              ;   in Loop: Header=BB174_18 Depth=1
	v_readlane_b32 s6, v47, 52
	s_add_u32 s28, s6, s10
	v_readlane_b32 s6, v47, 54
	s_addc_u32 s7, s6, s11
	s_mov_b32 s6, s91
	s_cmp_lg_u64 s[6:7], 0
	s_cbranch_scc0 .LBB174_197
; %bb.141:                              ;   in Loop: Header=BB174_18 Depth=1
	v_cvt_f32_u32_e32 v4, s89
	s_sub_u32 s6, 0, s89
	s_subb_u32 s12, 0, 0
	v_mac_f32_e32 v4, 0, v32
	v_rcp_f32_e32 v4, v4
	v_mul_f32_e32 v4, 0x5f7ffffc, v4
	v_mul_f32_e32 v5, 0x2f800000, v4
	v_trunc_f32_e32 v5, v5
	v_mac_f32_e32 v4, 0xcf800000, v5
	v_cvt_u32_f32_e32 v5, v5
	v_cvt_u32_f32_e32 v4, v4
	v_readfirstlane_b32 s13, v5
	v_readfirstlane_b32 s29, v4
	s_mul_i32 s42, s6, s13
	s_mul_hi_u32 s44, s6, s29
	s_mul_i32 s43, s12, s29
	s_add_i32 s42, s44, s42
	s_mul_i32 s45, s6, s29
	s_add_i32 s42, s42, s43
	s_mul_hi_u32 s44, s29, s45
	s_mul_hi_u32 s43, s29, s42
	s_mul_i32 s29, s29, s42
	s_add_u32 s29, s44, s29
	s_addc_u32 s43, 0, s43
	s_mul_hi_u32 s46, s13, s45
	s_mul_i32 s45, s13, s45
	s_add_u32 s29, s29, s45
	s_mul_hi_u32 s44, s13, s42
	s_addc_u32 s29, s43, s46
	s_addc_u32 s43, s44, 0
	s_mul_i32 s42, s13, s42
	s_add_u32 s29, s29, s42
	s_addc_u32 s42, 0, s43
	v_add_co_u32_e32 v4, vcc, s29, v4
	s_cmp_lg_u64 vcc, 0
	s_addc_u32 s13, s13, s42
	v_readfirstlane_b32 s42, v4
	s_mul_i32 s29, s6, s13
	s_mul_hi_u32 s43, s6, s42
	s_add_i32 s29, s43, s29
	s_mul_i32 s12, s12, s42
	s_add_i32 s29, s29, s12
	s_mul_i32 s6, s6, s42
	s_mul_hi_u32 s43, s13, s6
	s_mul_i32 s44, s13, s6
	s_mul_i32 s46, s42, s29
	s_mul_hi_u32 s6, s42, s6
	s_mul_hi_u32 s45, s42, s29
	s_add_u32 s6, s6, s46
	s_addc_u32 s42, 0, s45
	s_add_u32 s6, s6, s44
	s_mul_hi_u32 s12, s13, s29
	s_addc_u32 s6, s42, s43
	s_addc_u32 s12, s12, 0
	s_mul_i32 s29, s13, s29
	s_add_u32 s6, s6, s29
	s_addc_u32 s12, 0, s12
	v_add_co_u32_e32 v4, vcc, s6, v4
	s_cmp_lg_u64 vcc, 0
	s_addc_u32 s6, s13, s12
	v_readfirstlane_b32 s29, v4
	s_mul_i32 s13, s28, s6
	s_mul_hi_u32 s42, s28, s29
	s_mul_hi_u32 s12, s28, s6
	s_add_u32 s13, s42, s13
	s_addc_u32 s12, 0, s12
	s_mul_hi_u32 s43, s7, s29
	s_mul_i32 s29, s7, s29
	s_add_u32 s13, s13, s29
	s_mul_hi_u32 s42, s7, s6
	s_addc_u32 s12, s12, s43
	s_addc_u32 s13, s42, 0
	s_mul_i32 s6, s7, s6
	s_add_u32 s6, s12, s6
	s_addc_u32 s12, 0, s13
	s_mul_hi_u32 s13, s89, s6
	s_mul_i32 s6, s89, s6
	s_mul_i32 s12, s89, s12
	v_mov_b32_e32 v4, s6
	s_add_i32 s13, s13, s12
	v_sub_co_u32_e32 v4, vcc, s28, v4
	s_cmp_lg_u64 vcc, 0
	s_subb_u32 s6, s7, s13
	v_subrev_co_u32_e32 v5, vcc, s89, v4
	s_cmp_lg_u64 vcc, 0
	s_subb_u32 s12, s6, 0
	v_subrev_co_u32_e32 v6, vcc, s89, v5
	s_cmp_lg_u64 vcc, 0
	s_subb_u32 s13, s12, 0
	v_cmp_le_u32_e32 vcc, s89, v5
	s_cmp_eq_u32 s12, 0
	v_cndmask_b32_e64 v7, 0, -1, vcc
	s_cselect_b64 vcc, -1, 0
	v_cndmask_b32_e32 v7, -1, v7, vcc
	v_mov_b32_e32 v14, s12
	v_mov_b32_e32 v20, s13
	v_cmp_ne_u32_e32 vcc, 0, v7
	v_cndmask_b32_e32 v7, v14, v20, vcc
	v_cndmask_b32_e32 v6, v5, v6, vcc
	v_cmp_le_u32_e32 vcc, s89, v4
	s_cmp_eq_u32 s6, 0
	v_cndmask_b32_e64 v5, 0, -1, vcc
	s_cselect_b64 vcc, -1, 0
	v_cndmask_b32_e32 v5, -1, v5, vcc
	v_mov_b32_e32 v14, s6
	v_cmp_ne_u32_e32 vcc, 0, v5
	v_cndmask_b32_e32 v5, v14, v7, vcc
	v_cndmask_b32_e32 v4, v4, v6, vcc
	s_cbranch_execnz .LBB174_143
.LBB174_142:                            ;   in Loop: Header=BB174_18 Depth=1
	v_cvt_f32_u32_e32 v4, s89
	s_sub_i32 s6, 0, s89
	v_rcp_iflag_f32_e32 v4, v4
	v_mul_f32_e32 v4, 0x4f7ffffe, v4
	v_cvt_u32_f32_e32 v4, v4
	v_mul_lo_u32 v5, s6, v4
	v_mul_hi_u32 v5, v4, v5
	v_add_u32_e32 v4, v4, v5
	v_mul_hi_u32 v4, s28, v4
	v_mul_lo_u32 v4, v4, s89
	v_sub_u32_e32 v4, s28, v4
	v_subrev_u32_e32 v5, s89, v4
	v_cmp_le_u32_e32 vcc, s89, v4
	v_cndmask_b32_e32 v4, v4, v5, vcc
	v_subrev_u32_e32 v5, s89, v4
	v_cmp_le_u32_e32 vcc, s89, v4
	v_cndmask_b32_e32 v14, v4, v5, vcc
	v_pk_mov_b32 v[4:5], v[14:15], v[14:15] op_sel:[0,1]
.LBB174_143:                            ;   in Loop: Header=BB174_18 Depth=1
	v_mov_b32_e32 v6, s7
	v_sub_co_u32_e32 v4, vcc, s28, v4
	v_subb_co_u32_e32 v5, vcc, v6, v5, vcc
	v_cmp_gt_u64_e32 vcc, v[4:5], v[0:1]
	s_mov_b64 s[6:7], 0
                                        ; implicit-def: $vgpr20
	s_and_saveexec_b64 s[12:13], vcc
	s_cbranch_execz .LBB174_155
; %bb.144:                              ;   in Loop: Header=BB174_18 Depth=1
	s_mov_b64 s[28:29], 0
	v_mov_b32_e32 v14, v28
	v_pk_mov_b32 v[6:7], v[0:1], v[0:1] op_sel:[0,1]
                                        ; implicit-def: $sgpr42_sgpr43
	s_branch .LBB174_146
.LBB174_145:                            ;   in Loop: Header=BB174_146 Depth=2
	s_or_b64 exec, exec, s[6:7]
	s_waitcnt lgkmcnt(0)
	s_barrier
	ds_read_b32 v20, v15 offset:3072
	v_mov_b32_e32 v21, s74
	v_add_co_u32_e64 v6, s[6:7], s89, v6
	v_addc_co_u32_e64 v7, s[6:7], v7, v21, s[6:7]
	s_waitcnt lgkmcnt(0)
	v_cmp_ne_u16_e32 vcc, 0, v20
	v_cmp_ge_u64_e64 s[6:7], v[6:7], v[4:5]
	s_or_b64 s[6:7], s[6:7], vcc
	s_and_b64 s[6:7], exec, s[6:7]
	s_or_b64 s[28:29], s[6:7], s[28:29]
	s_andn2_b64 s[6:7], s[42:43], exec
	s_and_b64 s[42:43], vcc, exec
	v_add_u32_e32 v14, s5, v14
	s_or_b64 s[42:43], s[6:7], s[42:43]
	s_barrier
	s_andn2_b64 exec, exec, s[28:29]
	s_cbranch_execz .LBB174_154
.LBB174_146:                            ;   Parent Loop BB174_18 Depth=1
                                        ; =>  This Inner Loop Header: Depth=2
	v_cmp_gt_u64_e32 vcc, s[10:11], v[6:7]
	v_mov_b32_e32 v20, 0
	s_and_saveexec_b64 s[6:7], vcc
	s_cbranch_execz .LBB174_148
; %bb.147:                              ;   in Loop: Header=BB174_146 Depth=2
	ds_read_u16 v20, v14
.LBB174_148:                            ;   in Loop: Header=BB174_146 Depth=2
	s_or_b64 exec, exec, s[6:7]
	s_and_saveexec_b64 s[6:7], vcc
	s_cbranch_execz .LBB174_145
; %bb.149:                              ;   in Loop: Header=BB174_146 Depth=2
	s_waitcnt lgkmcnt(0)
	v_add_u32_sdwa v21, sext(v20), s75 dst_sel:DWORD dst_unused:UNUSED_PAD src0_sel:WORD_0 src1_sel:DWORD
	v_and_b32_e32 v21, v21, v9
	v_cmp_eq_u32_e32 vcc, v21, v8
	s_and_b64 exec, exec, vcc
	s_cbranch_execz .LBB174_145
; %bb.150:                              ;   in Loop: Header=BB174_146 Depth=2
	v_perm_b32 v20, v20, 1, v33
	ds_write_b32 v15, v20 offset:3072
	s_branch .LBB174_145
.LBB174_151:                            ;   in Loop: Header=BB174_18 Depth=1
                                        ; implicit-def: $vgpr2_vgpr3
	s_branch .LBB174_93
.LBB174_152:                            ;   in Loop: Header=BB174_18 Depth=1
                                        ; implicit-def: $vgpr2_vgpr3
	s_branch .LBB174_112
.LBB174_153:                            ;   in Loop: Header=BB174_18 Depth=1
	s_mov_b64 s[28:29], -1
	s_mov_b64 s[6:7], 0
                                        ; implicit-def: $sgpr42_sgpr43
                                        ; implicit-def: $vgpr20
	s_mov_b64 s[44:45], s[28:29]
	s_cbranch_execnz .LBB174_156
	s_branch .LBB174_169
.LBB174_154:                            ;   in Loop: Header=BB174_18 Depth=1
	s_or_b64 exec, exec, s[28:29]
	v_lshrrev_b32_e32 v20, 16, v20
	s_and_b64 s[6:7], s[42:43], exec
.LBB174_155:                            ;   in Loop: Header=BB174_18 Depth=1
	s_or_b64 exec, exec, s[12:13]
	s_mov_b64 s[42:43], -1
	s_mov_b64 s[28:29], 0
	s_mov_b64 s[44:45], s[28:29]
	s_branch .LBB174_169
.LBB174_156:                            ;   in Loop: Header=BB174_18 Depth=1
	v_readlane_b32 s42, v47, 55
	v_readlane_b32 s43, v47, 56
	s_mov_b32 s42, s91
	s_cmp_lg_u64 s[42:43], 0
	v_writelane_b32 v47, s42, 55
	v_writelane_b32 v47, s43, 56
	s_cbranch_scc0 .LBB174_198
; %bb.157:                              ;   in Loop: Header=BB174_18 Depth=1
	v_cvt_f32_u32_e32 v4, s89
	s_sub_u32 s6, 0, s89
	s_subb_u32 s7, 0, 0
	v_mac_f32_e32 v4, 0, v32
	v_rcp_f32_e32 v4, v4
	v_mul_f32_e32 v4, 0x5f7ffffc, v4
	v_mul_f32_e32 v5, 0x2f800000, v4
	v_trunc_f32_e32 v5, v5
	v_mac_f32_e32 v4, 0xcf800000, v5
	v_cvt_u32_f32_e32 v5, v5
	v_cvt_u32_f32_e32 v4, v4
	v_readfirstlane_b32 s10, v5
	v_readfirstlane_b32 s11, v4
	s_mul_i32 s12, s6, s10
	s_mul_hi_u32 s28, s6, s11
	s_mul_i32 s13, s7, s11
	s_add_i32 s12, s28, s12
	s_mul_i32 s29, s6, s11
	s_add_i32 s12, s12, s13
	s_mul_hi_u32 s28, s11, s29
	s_mul_hi_u32 s13, s11, s12
	s_mul_i32 s11, s11, s12
	s_add_u32 s11, s28, s11
	s_addc_u32 s13, 0, s13
	s_mul_hi_u32 s42, s10, s29
	s_mul_i32 s29, s10, s29
	s_add_u32 s11, s11, s29
	s_mul_hi_u32 s28, s10, s12
	s_addc_u32 s11, s13, s42
	s_addc_u32 s13, s28, 0
	s_mul_i32 s12, s10, s12
	s_add_u32 s11, s11, s12
	s_addc_u32 s12, 0, s13
	v_add_co_u32_e32 v4, vcc, s11, v4
	s_cmp_lg_u64 vcc, 0
	s_addc_u32 s10, s10, s12
	v_readfirstlane_b32 s12, v4
	s_mul_i32 s11, s6, s10
	s_mul_hi_u32 s13, s6, s12
	s_add_i32 s11, s13, s11
	s_mul_i32 s7, s7, s12
	s_add_i32 s11, s11, s7
	s_mul_i32 s6, s6, s12
	s_mul_hi_u32 s13, s10, s6
	s_mul_i32 s28, s10, s6
	s_mul_i32 s42, s12, s11
	s_mul_hi_u32 s6, s12, s6
	s_mul_hi_u32 s29, s12, s11
	s_add_u32 s6, s6, s42
	s_addc_u32 s12, 0, s29
	s_add_u32 s6, s6, s28
	s_mul_hi_u32 s7, s10, s11
	s_addc_u32 s6, s12, s13
	s_addc_u32 s7, s7, 0
	s_mul_i32 s11, s10, s11
	s_add_u32 s6, s6, s11
	s_addc_u32 s7, 0, s7
	v_add_co_u32_e32 v4, vcc, s6, v4
	s_cmp_lg_u64 vcc, 0
	s_addc_u32 s6, s10, s7
	v_readlane_b32 s28, v47, 53
	v_readfirstlane_b32 s11, v4
	s_mul_i32 s10, s28, s6
	s_mul_hi_u32 s12, s28, s11
	s_mul_hi_u32 s7, s28, s6
	s_add_u32 s10, s12, s10
	s_addc_u32 s7, 0, s7
	s_mul_hi_u32 s13, s43, s11
	s_mul_i32 s11, s43, s11
	s_add_u32 s10, s10, s11
	s_mul_hi_u32 s12, s43, s6
	s_addc_u32 s7, s7, s13
	s_addc_u32 s10, s12, 0
	s_mul_i32 s6, s43, s6
	s_add_u32 s6, s7, s6
	s_addc_u32 s7, 0, s10
	s_mul_hi_u32 s10, s89, s6
	s_mul_i32 s6, s89, s6
	s_mul_i32 s7, s89, s7
	v_mov_b32_e32 v4, s6
	s_add_i32 s10, s10, s7
	v_sub_co_u32_e32 v4, vcc, s28, v4
	s_cmp_lg_u64 vcc, 0
	s_subb_u32 s6, s43, s10
	v_subrev_co_u32_e32 v5, vcc, s89, v4
	s_cmp_lg_u64 vcc, 0
	s_subb_u32 s7, s6, 0
	v_subrev_co_u32_e32 v6, vcc, s89, v5
	s_cmp_lg_u64 vcc, 0
	s_subb_u32 s10, s7, 0
	v_cmp_le_u32_e32 vcc, s89, v5
	s_cmp_eq_u32 s7, 0
	v_cndmask_b32_e64 v7, 0, -1, vcc
	s_cselect_b64 vcc, -1, 0
	v_cndmask_b32_e32 v7, -1, v7, vcc
	v_mov_b32_e32 v14, s7
	v_mov_b32_e32 v20, s10
	v_cmp_ne_u32_e32 vcc, 0, v7
	v_cndmask_b32_e32 v7, v14, v20, vcc
	v_cndmask_b32_e32 v6, v5, v6, vcc
	v_cmp_le_u32_e32 vcc, s89, v4
	s_cmp_eq_u32 s6, 0
	v_cndmask_b32_e64 v5, 0, -1, vcc
	s_cselect_b64 vcc, -1, 0
	v_cndmask_b32_e32 v5, -1, v5, vcc
	v_mov_b32_e32 v14, s6
	v_cmp_ne_u32_e32 vcc, 0, v5
	v_cndmask_b32_e32 v5, v14, v7, vcc
	v_cndmask_b32_e32 v4, v4, v6, vcc
	s_cbranch_execnz .LBB174_159
.LBB174_158:                            ;   in Loop: Header=BB174_18 Depth=1
	v_cvt_f32_u32_e32 v4, s89
	s_sub_i32 s6, 0, s89
	v_rcp_iflag_f32_e32 v4, v4
	v_mul_f32_e32 v4, 0x4f7ffffe, v4
	v_cvt_u32_f32_e32 v4, v4
	v_mul_lo_u32 v5, s6, v4
	v_mul_hi_u32 v5, v4, v5
	v_add_u32_e32 v4, v4, v5
	v_readlane_b32 s6, v47, 53
	v_mul_hi_u32 v4, s6, v4
	v_mul_lo_u32 v4, v4, s89
	v_sub_u32_e32 v4, s6, v4
	v_subrev_u32_e32 v5, s89, v4
	v_cmp_le_u32_e32 vcc, s89, v4
	v_cndmask_b32_e32 v4, v4, v5, vcc
	v_subrev_u32_e32 v5, s89, v4
	v_cmp_le_u32_e32 vcc, s89, v4
	v_cndmask_b32_e32 v14, v4, v5, vcc
	v_pk_mov_b32 v[4:5], v[14:15], v[14:15] op_sel:[0,1]
.LBB174_159:                            ;   in Loop: Header=BB174_18 Depth=1
	v_readlane_b32 s6, v47, 55
	v_readlane_b32 s7, v47, 56
	v_readlane_b32 s6, v47, 53
	v_mov_b32_e32 v6, s7
	v_sub_co_u32_e32 v4, vcc, s6, v4
	v_subb_co_u32_e32 v5, vcc, v6, v5, vcc
	v_cmp_gt_u64_e32 vcc, v[4:5], v[0:1]
	s_mov_b64 s[6:7], 0
                                        ; implicit-def: $vgpr20
	s_and_saveexec_b64 s[10:11], vcc
	s_cbranch_execz .LBB174_168
; %bb.160:                              ;   in Loop: Header=BB174_18 Depth=1
	s_mov_b64 s[12:13], 0
	v_pk_mov_b32 v[6:7], v[0:1], v[0:1] op_sel:[0,1]
                                        ; implicit-def: $sgpr28_sgpr29
	s_branch .LBB174_162
.LBB174_161:                            ;   in Loop: Header=BB174_162 Depth=2
	s_or_b64 exec, exec, s[6:7]
	s_waitcnt lgkmcnt(0)
	s_barrier
	s_waitcnt vmcnt(0)
	ds_read_b32 v14, v15 offset:3072
	v_mov_b32_e32 v20, s74
	v_add_co_u32_e64 v6, s[6:7], s89, v6
	v_addc_co_u32_e64 v7, s[6:7], v7, v20, s[6:7]
	s_waitcnt lgkmcnt(0)
	v_cmp_ne_u16_e32 vcc, 0, v14
	v_cmp_ge_u64_e64 s[6:7], v[6:7], v[4:5]
	s_or_b64 s[6:7], s[6:7], vcc
	s_and_b64 s[6:7], exec, s[6:7]
	s_or_b64 s[12:13], s[6:7], s[12:13]
	s_andn2_b64 s[6:7], s[28:29], exec
	s_and_b64 s[28:29], vcc, exec
	s_or_b64 s[28:29], s[6:7], s[28:29]
	s_barrier
	s_andn2_b64 exec, exec, s[12:13]
	s_cbranch_execz .LBB174_167
.LBB174_162:                            ;   Parent Loop BB174_18 Depth=1
                                        ; =>  This Inner Loop Header: Depth=2
	v_cmp_gt_u64_e32 vcc, s[60:61], v[6:7]
	v_mov_b32_e32 v14, 0
	s_and_saveexec_b64 s[42:43], vcc
	s_cbranch_execz .LBB174_164
; %bb.163:                              ;   in Loop: Header=BB174_162 Depth=2
	v_mul_lo_u32 v14, v7, s58
	v_mul_lo_u32 v22, v6, s59
	v_mad_u64_u32 v[20:21], s[6:7], v6, s58, 0
	v_add3_u32 v21, v21, v22, v14
	v_lshlrev_b64 v[20:21], 1, v[20:21]
	v_mov_b32_e32 v14, s88
	v_add_co_u32_e64 v20, s[6:7], s33, v20
	v_addc_co_u32_e64 v21, s[6:7], v14, v21, s[6:7]
	global_load_ushort v14, v[20:21], off
.LBB174_164:                            ;   in Loop: Header=BB174_162 Depth=2
	s_or_b64 exec, exec, s[42:43]
	s_and_saveexec_b64 s[6:7], vcc
	s_cbranch_execz .LBB174_161
; %bb.165:                              ;   in Loop: Header=BB174_162 Depth=2
	s_waitcnt vmcnt(0)
	v_add_u32_sdwa v20, sext(v14), s75 dst_sel:DWORD dst_unused:UNUSED_PAD src0_sel:WORD_0 src1_sel:DWORD
	v_and_b32_e32 v20, v20, v9
	v_cmp_eq_u32_e32 vcc, v20, v8
	s_and_b64 exec, exec, vcc
	s_cbranch_execz .LBB174_161
; %bb.166:                              ;   in Loop: Header=BB174_162 Depth=2
	v_perm_b32 v14, v14, 1, v33
	ds_write_b32 v15, v14 offset:3072
	s_branch .LBB174_161
.LBB174_167:                            ;   in Loop: Header=BB174_18 Depth=1
	s_or_b64 exec, exec, s[12:13]
	v_lshrrev_b32_e32 v20, 16, v14
	s_and_b64 s[6:7], s[28:29], exec
.LBB174_168:                            ;   in Loop: Header=BB174_18 Depth=1
	s_or_b64 exec, exec, s[10:11]
	s_mov_b64 s[44:45], -1
	s_mov_b64 s[28:29], 0
	s_mov_b64 s[42:43], 0
.LBB174_169:                            ;   in Loop: Header=BB174_18 Depth=1
	s_orn2_b64 s[10:11], s[6:7], exec
.LBB174_170:                            ;   in Loop: Header=BB174_18 Depth=1
	s_or_b64 exec, exec, s[30:31]
	s_mov_b64 s[6:7], 0
                                        ; implicit-def: $vgpr6
	s_and_saveexec_b64 s[46:47], s[10:11]
	s_cbranch_execz .LBB174_283
; %bb.171:                              ;   in Loop: Header=BB174_18 Depth=1
	v_mov_b32_e32 v4, 1
	s_xor_b64 s[8:9], s[8:9], -1
	s_mov_b64 s[30:31], 0
	v_mov_b32_e32 v5, 0
	v_mov_b32_e32 v6, 1
	s_and_saveexec_b64 s[6:7], s[8:9]
	s_cbranch_execz .LBB174_181
; %bb.172:                              ;   in Loop: Header=BB174_18 Depth=1
	v_cmp_ge_u64_e32 vcc, s[18:19], v[2:3]
                                        ; implicit-def: $sgpr12
                                        ; implicit-def: $sgpr8_sgpr9
	s_and_saveexec_b64 s[10:11], vcc
	s_xor_b64 s[10:11], exec, s[10:11]
	s_cbranch_execz .LBB174_178
; %bb.173:                              ;   in Loop: Header=BB174_18 Depth=1
	ds_read_b64 v[4:5], v15 offset:5120
	s_waitcnt lgkmcnt(0)
	v_cmp_ne_u64_e32 vcc, 0, v[4:5]
	s_cbranch_vccnz .LBB174_177
; %bb.174:                              ;   in Loop: Header=BB174_18 Depth=1
	s_mov_b64 s[8:9], exec
	v_readlane_b32 s12, v47, 32
	v_readlane_b32 s13, v47, 33
	s_and_b64 s[12:13], s[8:9], s[12:13]
	s_mov_b64 exec, s[12:13]
	s_cbranch_execz .LBB174_176
; %bb.175:                              ;   in Loop: Header=BB174_18 Depth=1
	v_pk_mov_b32 v[4:5], s[18:19], s[18:19] op_sel:[0,1]
	ds_write_b64 v15, v[4:5] offset:5128
.LBB174_176:                            ;   in Loop: Header=BB174_18 Depth=1
	s_or_b64 exec, exec, s[8:9]
	s_waitcnt lgkmcnt(0)
	s_barrier
.LBB174_177:                            ;   in Loop: Header=BB174_18 Depth=1
	v_and_b32_e32 v4, s48, v8
	v_lshl_or_b32 v8, 1, s49, v4
	v_or_b32_e32 v9, s90, v9
	s_mov_b64 s[8:9], 0
	s_mov_b32 s12, 8
.LBB174_178:                            ;   in Loop: Header=BB174_18 Depth=1
	s_or_saveexec_b64 s[10:11], s[10:11]
	v_mov_b32_e32 v6, s12
	s_xor_b64 exec, exec, s[10:11]
; %bb.179:                              ;   in Loop: Header=BB174_18 Depth=1
	v_mov_b32_e32 v4, s19
	v_subrev_co_u32_e32 v2, vcc, s18, v2
	v_subb_co_u32_e32 v3, vcc, v3, v4, vcc
	v_mov_b32_e32 v6, 0
	s_or_b64 s[8:9], s[8:9], exec
; %bb.180:                              ;   in Loop: Header=BB174_18 Depth=1
	s_or_b64 exec, exec, s[10:11]
	s_and_b64 s[30:31], s[8:9], exec
	v_pk_mov_b32 v[4:5], v[2:3], v[2:3] op_sel:[0,1]
.LBB174_181:                            ;   in Loop: Header=BB174_18 Depth=1
	s_or_b64 exec, exec, s[6:7]
	s_mov_b64 s[6:7], -1
                                        ; implicit-def: $sgpr8_sgpr9
                                        ; implicit-def: $sgpr10_sgpr11
                                        ; implicit-def: $sgpr12_sgpr13
	s_and_saveexec_b64 s[52:53], s[30:31]
	s_cbranch_execz .LBB174_282
; %bb.182:                              ;   in Loop: Header=BB174_18 Depth=1
	s_cmp_eq_u64 s[22:23], 1
	s_cselect_b64 s[6:7], -1, 0
	v_cmp_eq_u64_e32 vcc, 1, v[4:5]
	s_and_b64 s[8:9], s[6:7], vcc
	s_mov_b64 s[10:11], -1
                                        ; implicit-def: $sgpr30_sgpr31
                                        ; implicit-def: $sgpr50_sgpr51
                                        ; implicit-def: $vcc
	s_and_saveexec_b64 s[54:55], s[8:9]
	s_cbranch_execz .LBB174_216
; %bb.183:                              ;   in Loop: Header=BB174_18 Depth=1
	ds_read_b64 v[2:3], v15 offset:5120
	s_waitcnt lgkmcnt(0)
	s_barrier
	v_readfirstlane_b32 s10, v2
	v_readfirstlane_b32 s11, v3
	s_mov_b64 s[6:7], exec
	v_readlane_b32 s12, v47, 48
	v_readlane_b32 s13, v47, 49
	s_and_b64 s[12:13], s[6:7], s[12:13]
	s_mov_b64 exec, s[12:13]
	s_cbranch_execz .LBB174_185
; %bb.184:                              ;   in Loop: Header=BB174_18 Depth=1
	ds_write_b16 v29, v15
.LBB174_185:                            ;   in Loop: Header=BB174_18 Depth=1
	s_or_b64 exec, exec, s[6:7]
	v_and_b32_e32 v2, s48, v8
	v_lshl_or_b32 v8, 2, s49, v2
	v_or_b32_e32 v9, s90, v9
	s_cmp_eq_u64 s[10:11], 0
	s_waitcnt lgkmcnt(0)
	s_barrier
	s_cbranch_scc1 .LBB174_199
; %bb.186:                              ;   in Loop: Header=BB174_18 Depth=1
	v_readlane_b32 s6, v47, 52
	s_add_u32 s30, s6, s10
	v_readlane_b32 s6, v47, 54
	s_addc_u32 s7, s6, s11
	s_mov_b32 s6, s91
	s_cmp_lg_u64 s[6:7], 0
	s_cbranch_scc0 .LBB174_234
; %bb.187:                              ;   in Loop: Header=BB174_18 Depth=1
	v_cvt_f32_u32_e32 v2, s89
	s_sub_u32 s6, 0, s89
	s_subb_u32 s12, 0, 0
	v_mac_f32_e32 v2, 0, v32
	v_rcp_f32_e32 v2, v2
	v_mul_f32_e32 v2, 0x5f7ffffc, v2
	v_mul_f32_e32 v3, 0x2f800000, v2
	v_trunc_f32_e32 v3, v3
	v_mac_f32_e32 v2, 0xcf800000, v3
	v_cvt_u32_f32_e32 v3, v3
	v_cvt_u32_f32_e32 v2, v2
	v_readfirstlane_b32 s13, v3
	v_readfirstlane_b32 s31, v2
	s_mul_i32 s50, s6, s13
	s_mul_hi_u32 s56, s6, s31
	s_mul_i32 s51, s12, s31
	s_add_i32 s50, s56, s50
	s_mul_i32 s57, s6, s31
	s_add_i32 s50, s50, s51
	s_mul_hi_u32 s56, s31, s57
	s_mul_hi_u32 s51, s31, s50
	s_mul_i32 s31, s31, s50
	s_add_u32 s31, s56, s31
	s_addc_u32 s51, 0, s51
	s_mul_hi_u32 s73, s13, s57
	s_mul_i32 s57, s13, s57
	s_add_u32 s31, s31, s57
	s_mul_hi_u32 s56, s13, s50
	s_addc_u32 s31, s51, s73
	s_addc_u32 s51, s56, 0
	s_mul_i32 s50, s13, s50
	s_add_u32 s31, s31, s50
	s_addc_u32 s50, 0, s51
	v_add_co_u32_e32 v2, vcc, s31, v2
	s_cmp_lg_u64 vcc, 0
	s_addc_u32 s13, s13, s50
	v_readfirstlane_b32 s50, v2
	s_mul_i32 s31, s6, s13
	s_mul_hi_u32 s51, s6, s50
	s_add_i32 s31, s51, s31
	s_mul_i32 s12, s12, s50
	s_add_i32 s31, s31, s12
	s_mul_i32 s6, s6, s50
	s_mul_hi_u32 s51, s13, s6
	s_mul_i32 s56, s13, s6
	s_mul_i32 s73, s50, s31
	s_mul_hi_u32 s6, s50, s6
	s_mul_hi_u32 s57, s50, s31
	s_add_u32 s6, s6, s73
	s_addc_u32 s50, 0, s57
	s_add_u32 s6, s6, s56
	s_mul_hi_u32 s12, s13, s31
	s_addc_u32 s6, s50, s51
	s_addc_u32 s12, s12, 0
	s_mul_i32 s31, s13, s31
	s_add_u32 s6, s6, s31
	s_addc_u32 s12, 0, s12
	v_add_co_u32_e32 v2, vcc, s6, v2
	s_cmp_lg_u64 vcc, 0
	s_addc_u32 s6, s13, s12
	v_readfirstlane_b32 s31, v2
	s_mul_i32 s13, s30, s6
	s_mul_hi_u32 s50, s30, s31
	s_mul_hi_u32 s12, s30, s6
	s_add_u32 s13, s50, s13
	s_addc_u32 s12, 0, s12
	s_mul_hi_u32 s51, s7, s31
	s_mul_i32 s31, s7, s31
	s_add_u32 s13, s13, s31
	s_mul_hi_u32 s50, s7, s6
	s_addc_u32 s12, s12, s51
	s_addc_u32 s13, s50, 0
	s_mul_i32 s6, s7, s6
	s_add_u32 s6, s12, s6
	s_addc_u32 s12, 0, s13
	s_mul_hi_u32 s13, s89, s6
	s_mul_i32 s6, s89, s6
	s_mul_i32 s12, s89, s12
	v_mov_b32_e32 v2, s6
	s_add_i32 s13, s13, s12
	v_sub_co_u32_e32 v2, vcc, s30, v2
	s_cmp_lg_u64 vcc, 0
	s_subb_u32 s6, s7, s13
	v_subrev_co_u32_e32 v3, vcc, s89, v2
	s_cmp_lg_u64 vcc, 0
	s_subb_u32 s12, s6, 0
	v_subrev_co_u32_e32 v6, vcc, s89, v3
	s_cmp_lg_u64 vcc, 0
	s_subb_u32 s13, s12, 0
	v_cmp_le_u32_e32 vcc, s89, v3
	s_cmp_eq_u32 s12, 0
	v_cndmask_b32_e64 v7, 0, -1, vcc
	s_cselect_b64 vcc, -1, 0
	v_cndmask_b32_e32 v7, -1, v7, vcc
	v_mov_b32_e32 v14, s12
	v_mov_b32_e32 v20, s13
	v_cmp_ne_u32_e32 vcc, 0, v7
	v_cndmask_b32_e32 v7, v14, v20, vcc
	v_cndmask_b32_e32 v6, v3, v6, vcc
	v_cmp_le_u32_e32 vcc, s89, v2
	s_cmp_eq_u32 s6, 0
	v_cndmask_b32_e64 v3, 0, -1, vcc
	s_cselect_b64 vcc, -1, 0
	v_cndmask_b32_e32 v3, -1, v3, vcc
	v_mov_b32_e32 v14, s6
	v_cmp_ne_u32_e32 vcc, 0, v3
	v_cndmask_b32_e32 v3, v14, v7, vcc
	v_cndmask_b32_e32 v2, v2, v6, vcc
	s_cbranch_execnz .LBB174_189
.LBB174_188:                            ;   in Loop: Header=BB174_18 Depth=1
	v_cvt_f32_u32_e32 v2, s89
	s_sub_i32 s6, 0, s89
	v_rcp_iflag_f32_e32 v2, v2
	v_mul_f32_e32 v2, 0x4f7ffffe, v2
	v_cvt_u32_f32_e32 v2, v2
	v_mul_lo_u32 v3, s6, v2
	v_mul_hi_u32 v3, v2, v3
	v_add_u32_e32 v2, v2, v3
	v_mul_hi_u32 v2, s30, v2
	v_mul_lo_u32 v2, v2, s89
	v_sub_u32_e32 v2, s30, v2
	v_subrev_u32_e32 v3, s89, v2
	v_cmp_le_u32_e32 vcc, s89, v2
	v_cndmask_b32_e32 v2, v2, v3, vcc
	v_subrev_u32_e32 v3, s89, v2
	v_cmp_le_u32_e32 vcc, s89, v2
	v_cndmask_b32_e32 v14, v2, v3, vcc
	v_pk_mov_b32 v[2:3], v[14:15], v[14:15] op_sel:[0,1]
.LBB174_189:                            ;   in Loop: Header=BB174_18 Depth=1
	v_mov_b32_e32 v6, s7
	v_sub_co_u32_e32 v2, vcc, s30, v2
	v_subb_co_u32_e32 v3, vcc, v6, v3, vcc
	v_cmp_gt_u64_e32 vcc, v[2:3], v[0:1]
	s_mov_b64 s[6:7], 0
                                        ; implicit-def: $vgpr20
	s_and_saveexec_b64 s[12:13], vcc
	s_cbranch_execz .LBB174_201
; %bb.190:                              ;   in Loop: Header=BB174_18 Depth=1
	s_mov_b64 s[30:31], 0
	v_mov_b32_e32 v14, v28
	v_pk_mov_b32 v[6:7], v[0:1], v[0:1] op_sel:[0,1]
                                        ; implicit-def: $sgpr50_sgpr51
	s_branch .LBB174_192
.LBB174_191:                            ;   in Loop: Header=BB174_192 Depth=2
	s_or_b64 exec, exec, s[6:7]
	s_waitcnt lgkmcnt(0)
	s_barrier
	ds_read_b32 v20, v15 offset:3072
	v_mov_b32_e32 v21, s74
	v_add_co_u32_e64 v6, s[6:7], s89, v6
	v_addc_co_u32_e64 v7, s[6:7], v7, v21, s[6:7]
	s_waitcnt lgkmcnt(0)
	v_cmp_ne_u16_e32 vcc, 0, v20
	v_cmp_ge_u64_e64 s[6:7], v[6:7], v[2:3]
	s_or_b64 s[6:7], s[6:7], vcc
	s_and_b64 s[6:7], exec, s[6:7]
	s_or_b64 s[30:31], s[6:7], s[30:31]
	s_andn2_b64 s[6:7], s[50:51], exec
	s_and_b64 s[50:51], vcc, exec
	v_add_u32_e32 v14, s5, v14
	s_or_b64 s[50:51], s[6:7], s[50:51]
	s_barrier
	s_andn2_b64 exec, exec, s[30:31]
	s_cbranch_execz .LBB174_200
.LBB174_192:                            ;   Parent Loop BB174_18 Depth=1
                                        ; =>  This Inner Loop Header: Depth=2
	v_cmp_gt_u64_e32 vcc, s[10:11], v[6:7]
	v_mov_b32_e32 v20, 0
	s_and_saveexec_b64 s[6:7], vcc
	s_cbranch_execz .LBB174_194
; %bb.193:                              ;   in Loop: Header=BB174_192 Depth=2
	ds_read_u16 v20, v14
.LBB174_194:                            ;   in Loop: Header=BB174_192 Depth=2
	s_or_b64 exec, exec, s[6:7]
	s_and_saveexec_b64 s[6:7], vcc
	s_cbranch_execz .LBB174_191
; %bb.195:                              ;   in Loop: Header=BB174_192 Depth=2
	s_waitcnt lgkmcnt(0)
	v_add_u32_sdwa v21, sext(v20), s75 dst_sel:DWORD dst_unused:UNUSED_PAD src0_sel:WORD_0 src1_sel:DWORD
	v_and_b32_e32 v21, v21, v9
	v_cmp_eq_u32_e32 vcc, v21, v8
	s_and_b64 exec, exec, vcc
	s_cbranch_execz .LBB174_191
; %bb.196:                              ;   in Loop: Header=BB174_192 Depth=2
	v_perm_b32 v20, v20, 1, v33
	ds_write_b32 v15, v20 offset:3072
	s_branch .LBB174_191
.LBB174_197:                            ;   in Loop: Header=BB174_18 Depth=1
                                        ; implicit-def: $vgpr4_vgpr5
	s_branch .LBB174_142
.LBB174_198:                            ;   in Loop: Header=BB174_18 Depth=1
                                        ; implicit-def: $vgpr4_vgpr5
	s_branch .LBB174_158
.LBB174_199:                            ;   in Loop: Header=BB174_18 Depth=1
	s_mov_b64 s[30:31], -1
	s_mov_b64 s[6:7], 0
                                        ; implicit-def: $sgpr12_sgpr13
                                        ; implicit-def: $vgpr20
	s_mov_b64 s[50:51], s[30:31]
	s_cbranch_execnz .LBB174_202
	s_branch .LBB174_215
.LBB174_200:                            ;   in Loop: Header=BB174_18 Depth=1
	s_or_b64 exec, exec, s[30:31]
	v_lshrrev_b32_e32 v20, 16, v20
	s_and_b64 s[6:7], s[50:51], exec
.LBB174_201:                            ;   in Loop: Header=BB174_18 Depth=1
	s_or_b64 exec, exec, s[12:13]
	s_mov_b64 s[12:13], -1
	s_mov_b64 s[30:31], 0
	s_mov_b64 s[50:51], s[30:31]
	s_branch .LBB174_215
.LBB174_202:                            ;   in Loop: Header=BB174_18 Depth=1
	v_readlane_b32 s50, v47, 55
	v_readlane_b32 s51, v47, 56
	s_mov_b32 s50, s91
	s_cmp_lg_u64 s[50:51], 0
	v_writelane_b32 v47, s50, 55
	v_writelane_b32 v47, s51, 56
	s_cbranch_scc0 .LBB174_235
; %bb.203:                              ;   in Loop: Header=BB174_18 Depth=1
	v_cvt_f32_u32_e32 v2, s89
	s_sub_u32 s6, 0, s89
	s_subb_u32 s7, 0, 0
	v_mac_f32_e32 v2, 0, v32
	v_rcp_f32_e32 v2, v2
	v_mul_f32_e32 v2, 0x5f7ffffc, v2
	v_mul_f32_e32 v3, 0x2f800000, v2
	v_trunc_f32_e32 v3, v3
	v_mac_f32_e32 v2, 0xcf800000, v3
	v_cvt_u32_f32_e32 v3, v3
	v_cvt_u32_f32_e32 v2, v2
	v_readfirstlane_b32 s10, v3
	v_readfirstlane_b32 s11, v2
	s_mul_i32 s12, s6, s10
	s_mul_hi_u32 s30, s6, s11
	s_mul_i32 s13, s7, s11
	s_add_i32 s12, s30, s12
	s_mul_i32 s31, s6, s11
	s_add_i32 s12, s12, s13
	s_mul_hi_u32 s30, s11, s31
	s_mul_hi_u32 s13, s11, s12
	s_mul_i32 s11, s11, s12
	s_add_u32 s11, s30, s11
	s_addc_u32 s13, 0, s13
	s_mul_hi_u32 s50, s10, s31
	s_mul_i32 s31, s10, s31
	s_add_u32 s11, s11, s31
	s_mul_hi_u32 s30, s10, s12
	s_addc_u32 s11, s13, s50
	s_addc_u32 s13, s30, 0
	s_mul_i32 s12, s10, s12
	s_add_u32 s11, s11, s12
	s_addc_u32 s12, 0, s13
	v_add_co_u32_e32 v2, vcc, s11, v2
	s_cmp_lg_u64 vcc, 0
	s_addc_u32 s10, s10, s12
	v_readfirstlane_b32 s12, v2
	s_mul_i32 s11, s6, s10
	s_mul_hi_u32 s13, s6, s12
	s_add_i32 s11, s13, s11
	s_mul_i32 s7, s7, s12
	s_add_i32 s11, s11, s7
	s_mul_i32 s6, s6, s12
	s_mul_hi_u32 s13, s10, s6
	s_mul_i32 s30, s10, s6
	s_mul_i32 s50, s12, s11
	s_mul_hi_u32 s6, s12, s6
	s_mul_hi_u32 s31, s12, s11
	s_add_u32 s6, s6, s50
	s_addc_u32 s12, 0, s31
	s_add_u32 s6, s6, s30
	s_mul_hi_u32 s7, s10, s11
	s_addc_u32 s6, s12, s13
	s_addc_u32 s7, s7, 0
	s_mul_i32 s11, s10, s11
	s_add_u32 s6, s6, s11
	s_addc_u32 s7, 0, s7
	v_add_co_u32_e32 v2, vcc, s6, v2
	s_cmp_lg_u64 vcc, 0
	s_addc_u32 s6, s10, s7
	v_readlane_b32 s30, v47, 53
	v_readfirstlane_b32 s11, v2
	s_mul_i32 s10, s30, s6
	s_mul_hi_u32 s12, s30, s11
	s_mul_hi_u32 s7, s30, s6
	s_add_u32 s10, s12, s10
	s_addc_u32 s7, 0, s7
	s_mul_hi_u32 s13, s51, s11
	s_mul_i32 s11, s51, s11
	s_add_u32 s10, s10, s11
	s_mul_hi_u32 s12, s51, s6
	s_addc_u32 s7, s7, s13
	s_addc_u32 s10, s12, 0
	s_mul_i32 s6, s51, s6
	s_add_u32 s6, s7, s6
	s_addc_u32 s7, 0, s10
	s_mul_hi_u32 s10, s89, s6
	s_mul_i32 s6, s89, s6
	s_mul_i32 s7, s89, s7
	v_mov_b32_e32 v2, s6
	s_add_i32 s10, s10, s7
	v_sub_co_u32_e32 v2, vcc, s30, v2
	s_cmp_lg_u64 vcc, 0
	s_subb_u32 s6, s51, s10
	v_subrev_co_u32_e32 v3, vcc, s89, v2
	s_cmp_lg_u64 vcc, 0
	s_subb_u32 s7, s6, 0
	v_subrev_co_u32_e32 v6, vcc, s89, v3
	s_cmp_lg_u64 vcc, 0
	s_subb_u32 s10, s7, 0
	v_cmp_le_u32_e32 vcc, s89, v3
	s_cmp_eq_u32 s7, 0
	v_cndmask_b32_e64 v7, 0, -1, vcc
	s_cselect_b64 vcc, -1, 0
	v_cndmask_b32_e32 v7, -1, v7, vcc
	v_mov_b32_e32 v14, s7
	v_mov_b32_e32 v20, s10
	v_cmp_ne_u32_e32 vcc, 0, v7
	v_cndmask_b32_e32 v7, v14, v20, vcc
	v_cndmask_b32_e32 v6, v3, v6, vcc
	v_cmp_le_u32_e32 vcc, s89, v2
	s_cmp_eq_u32 s6, 0
	v_cndmask_b32_e64 v3, 0, -1, vcc
	s_cselect_b64 vcc, -1, 0
	v_cndmask_b32_e32 v3, -1, v3, vcc
	v_mov_b32_e32 v14, s6
	v_cmp_ne_u32_e32 vcc, 0, v3
	v_cndmask_b32_e32 v3, v14, v7, vcc
	v_cndmask_b32_e32 v2, v2, v6, vcc
	s_cbranch_execnz .LBB174_205
.LBB174_204:                            ;   in Loop: Header=BB174_18 Depth=1
	v_cvt_f32_u32_e32 v2, s89
	s_sub_i32 s6, 0, s89
	v_rcp_iflag_f32_e32 v2, v2
	v_mul_f32_e32 v2, 0x4f7ffffe, v2
	v_cvt_u32_f32_e32 v2, v2
	v_mul_lo_u32 v3, s6, v2
	v_mul_hi_u32 v3, v2, v3
	v_add_u32_e32 v2, v2, v3
	v_readlane_b32 s6, v47, 53
	v_mul_hi_u32 v2, s6, v2
	v_mul_lo_u32 v2, v2, s89
	v_sub_u32_e32 v2, s6, v2
	v_subrev_u32_e32 v3, s89, v2
	v_cmp_le_u32_e32 vcc, s89, v2
	v_cndmask_b32_e32 v2, v2, v3, vcc
	v_subrev_u32_e32 v3, s89, v2
	v_cmp_le_u32_e32 vcc, s89, v2
	v_cndmask_b32_e32 v14, v2, v3, vcc
	v_pk_mov_b32 v[2:3], v[14:15], v[14:15] op_sel:[0,1]
.LBB174_205:                            ;   in Loop: Header=BB174_18 Depth=1
	v_readlane_b32 s6, v47, 55
	v_readlane_b32 s7, v47, 56
	;; [unrolled: 1-line block ×3, first 2 shown]
	v_mov_b32_e32 v6, s7
	v_sub_co_u32_e32 v2, vcc, s6, v2
	v_subb_co_u32_e32 v3, vcc, v6, v3, vcc
	v_cmp_gt_u64_e32 vcc, v[2:3], v[0:1]
	s_mov_b64 s[6:7], 0
                                        ; implicit-def: $vgpr20
	s_and_saveexec_b64 s[10:11], vcc
	s_cbranch_execz .LBB174_214
; %bb.206:                              ;   in Loop: Header=BB174_18 Depth=1
	s_mov_b64 s[12:13], 0
	v_pk_mov_b32 v[6:7], v[0:1], v[0:1] op_sel:[0,1]
                                        ; implicit-def: $sgpr30_sgpr31
	s_branch .LBB174_208
.LBB174_207:                            ;   in Loop: Header=BB174_208 Depth=2
	s_or_b64 exec, exec, s[6:7]
	s_waitcnt lgkmcnt(0)
	s_barrier
	s_waitcnt vmcnt(0)
	ds_read_b32 v14, v15 offset:3072
	v_mov_b32_e32 v20, s74
	v_add_co_u32_e64 v6, s[6:7], s89, v6
	v_addc_co_u32_e64 v7, s[6:7], v7, v20, s[6:7]
	s_waitcnt lgkmcnt(0)
	v_cmp_ne_u16_e32 vcc, 0, v14
	v_cmp_ge_u64_e64 s[6:7], v[6:7], v[2:3]
	s_or_b64 s[6:7], s[6:7], vcc
	s_and_b64 s[6:7], exec, s[6:7]
	s_or_b64 s[12:13], s[6:7], s[12:13]
	s_andn2_b64 s[6:7], s[30:31], exec
	s_and_b64 s[30:31], vcc, exec
	s_or_b64 s[30:31], s[6:7], s[30:31]
	s_barrier
	s_andn2_b64 exec, exec, s[12:13]
	s_cbranch_execz .LBB174_213
.LBB174_208:                            ;   Parent Loop BB174_18 Depth=1
                                        ; =>  This Inner Loop Header: Depth=2
	v_cmp_gt_u64_e32 vcc, s[60:61], v[6:7]
	v_mov_b32_e32 v14, 0
	s_and_saveexec_b64 s[50:51], vcc
	s_cbranch_execz .LBB174_210
; %bb.209:                              ;   in Loop: Header=BB174_208 Depth=2
	v_mul_lo_u32 v14, v7, s58
	v_mul_lo_u32 v22, v6, s59
	v_mad_u64_u32 v[20:21], s[6:7], v6, s58, 0
	v_add3_u32 v21, v21, v22, v14
	v_lshlrev_b64 v[20:21], 1, v[20:21]
	v_mov_b32_e32 v14, s88
	v_add_co_u32_e64 v20, s[6:7], s33, v20
	v_addc_co_u32_e64 v21, s[6:7], v14, v21, s[6:7]
	global_load_ushort v14, v[20:21], off
.LBB174_210:                            ;   in Loop: Header=BB174_208 Depth=2
	s_or_b64 exec, exec, s[50:51]
	s_and_saveexec_b64 s[6:7], vcc
	s_cbranch_execz .LBB174_207
; %bb.211:                              ;   in Loop: Header=BB174_208 Depth=2
	s_waitcnt vmcnt(0)
	v_add_u32_sdwa v20, sext(v14), s75 dst_sel:DWORD dst_unused:UNUSED_PAD src0_sel:WORD_0 src1_sel:DWORD
	v_and_b32_e32 v20, v20, v9
	v_cmp_eq_u32_e32 vcc, v20, v8
	s_and_b64 exec, exec, vcc
	s_cbranch_execz .LBB174_207
; %bb.212:                              ;   in Loop: Header=BB174_208 Depth=2
	v_perm_b32 v14, v14, 1, v33
	ds_write_b32 v15, v14 offset:3072
	s_branch .LBB174_207
.LBB174_213:                            ;   in Loop: Header=BB174_18 Depth=1
	s_or_b64 exec, exec, s[12:13]
	v_lshrrev_b32_e32 v20, 16, v14
	s_and_b64 s[6:7], s[30:31], exec
.LBB174_214:                            ;   in Loop: Header=BB174_18 Depth=1
	s_or_b64 exec, exec, s[10:11]
	s_mov_b64 s[50:51], -1
	s_mov_b64 s[30:31], 0
	s_mov_b64 s[12:13], 0
.LBB174_215:                            ;   in Loop: Header=BB174_18 Depth=1
	s_orn2_b64 s[10:11], s[6:7], exec
	s_mov_b64 vcc, s[12:13]
.LBB174_216:                            ;   in Loop: Header=BB174_18 Depth=1
	s_or_b64 exec, exec, s[54:55]
	s_mov_b64 s[6:7], 0
                                        ; implicit-def: $vgpr6
	s_and_saveexec_b64 s[54:55], s[10:11]
	s_cbranch_execz .LBB174_281
; %bb.217:                              ;   in Loop: Header=BB174_18 Depth=1
	v_mov_b32_e32 v2, 1
	s_xor_b64 s[8:9], s[8:9], -1
	s_mov_b64 s[92:93], 0
	v_mov_b32_e32 v3, 0
	v_mov_b32_e32 v6, 1
	s_and_saveexec_b64 s[6:7], s[8:9]
	s_cbranch_execz .LBB174_227
; %bb.218:                              ;   in Loop: Header=BB174_18 Depth=1
	s_mov_b64 s[94:95], vcc
	v_cmp_ge_u64_e32 vcc, s[22:23], v[4:5]
                                        ; implicit-def: $sgpr12
                                        ; implicit-def: $sgpr8_sgpr9
	s_and_saveexec_b64 s[10:11], vcc
	s_xor_b64 s[10:11], exec, s[10:11]
	s_cbranch_execz .LBB174_224
; %bb.219:                              ;   in Loop: Header=BB174_18 Depth=1
	ds_read_b64 v[2:3], v15 offset:5120
	s_waitcnt lgkmcnt(0)
	v_cmp_ne_u64_e32 vcc, 0, v[2:3]
	s_cbranch_vccnz .LBB174_223
; %bb.220:                              ;   in Loop: Header=BB174_18 Depth=1
	s_mov_b64 s[8:9], exec
	v_readlane_b32 s12, v47, 32
	v_readlane_b32 s13, v47, 33
	s_and_b64 s[12:13], s[8:9], s[12:13]
	s_mov_b64 exec, s[12:13]
	s_cbranch_execz .LBB174_222
; %bb.221:                              ;   in Loop: Header=BB174_18 Depth=1
	v_pk_mov_b32 v[2:3], s[22:23], s[22:23] op_sel:[0,1]
	ds_write_b64 v15, v[2:3] offset:5128
.LBB174_222:                            ;   in Loop: Header=BB174_18 Depth=1
	s_or_b64 exec, exec, s[8:9]
	s_waitcnt lgkmcnt(0)
	s_barrier
.LBB174_223:                            ;   in Loop: Header=BB174_18 Depth=1
	v_and_b32_e32 v2, s48, v8
	v_lshl_or_b32 v8, 2, s49, v2
	v_or_b32_e32 v9, s90, v9
	s_mov_b64 s[8:9], 0
	s_mov_b32 s12, 8
.LBB174_224:                            ;   in Loop: Header=BB174_18 Depth=1
	s_or_saveexec_b64 s[10:11], s[10:11]
	v_mov_b32_e32 v6, s12
	s_xor_b64 exec, exec, s[10:11]
; %bb.225:                              ;   in Loop: Header=BB174_18 Depth=1
	v_mov_b32_e32 v2, s23
	v_subrev_co_u32_e32 v4, vcc, s22, v4
	v_subb_co_u32_e32 v5, vcc, v5, v2, vcc
	v_mov_b32_e32 v6, 0
	s_or_b64 s[8:9], s[8:9], exec
; %bb.226:                              ;   in Loop: Header=BB174_18 Depth=1
	s_or_b64 exec, exec, s[10:11]
	s_and_b64 s[92:93], s[8:9], exec
	v_pk_mov_b32 v[2:3], v[4:5], v[4:5] op_sel:[0,1]
	s_mov_b64 vcc, s[94:95]
.LBB174_227:                            ;   in Loop: Header=BB174_18 Depth=1
	s_or_b64 exec, exec, s[6:7]
	s_mov_b64 s[56:57], -1
                                        ; implicit-def: $sgpr6_sgpr7
                                        ; implicit-def: $sgpr12_sgpr13
                                        ; implicit-def: $sgpr10_sgpr11
	s_and_saveexec_b64 s[8:9], s[92:93]
	s_cbranch_execz .LBB174_280
; %bb.228:                              ;   in Loop: Header=BB174_18 Depth=1
	v_writelane_b32 v46, vcc_lo, 1
	s_cmp_eq_u64 s[24:25], 1
	v_writelane_b32 v46, vcc_hi, 2
	s_cselect_b64 s[6:7], -1, 0
	v_cmp_eq_u64_e32 vcc, 1, v[2:3]
	s_mov_b64 s[92:93], -1
	s_and_b64 s[56:57], s[6:7], vcc
                                        ; implicit-def: $sgpr6_sgpr7
                                        ; implicit-def: $sgpr12_sgpr13
                                        ; implicit-def: $sgpr10_sgpr11
	s_mov_b64 s[94:95], exec
	v_writelane_b32 v46, s56, 3
	v_writelane_b32 v46, s57, 4
	s_and_b64 s[56:57], s[94:95], s[56:57]
	s_mov_b64 exec, s[56:57]
	s_cbranch_execz .LBB174_267
; %bb.229:                              ;   in Loop: Header=BB174_18 Depth=1
	ds_read_b64 v[4:5], v15 offset:5120
	s_waitcnt lgkmcnt(0)
	s_barrier
	v_readfirstlane_b32 s10, v4
	v_readfirstlane_b32 s11, v5
	s_mov_b64 s[6:7], exec
	v_readlane_b32 s12, v47, 48
	v_readlane_b32 s13, v47, 49
	s_and_b64 s[12:13], s[6:7], s[12:13]
	s_mov_b64 exec, s[12:13]
	s_cbranch_execz .LBB174_231
; %bb.230:                              ;   in Loop: Header=BB174_18 Depth=1
	ds_write_b16 v29, v15
.LBB174_231:                            ;   in Loop: Header=BB174_18 Depth=1
	s_or_b64 exec, exec, s[6:7]
	v_or_b32_e32 v8, s90, v8
	v_or_b32_e32 v9, s90, v9
	s_cmp_eq_u64 s[10:11], 0
	v_writelane_b32 v46, s94, 5
	s_waitcnt lgkmcnt(0)
	s_barrier
	v_writelane_b32 v46, s95, 6
	s_cbranch_scc1 .LBB174_236
; %bb.232:                              ;   in Loop: Header=BB174_18 Depth=1
	v_readlane_b32 s6, v47, 52
	s_add_u32 s56, s6, s10
	v_readlane_b32 s6, v47, 54
	s_addc_u32 s7, s6, s11
	s_mov_b32 s6, s91
	s_cmp_lg_u64 s[6:7], 0
	s_cbranch_scc0 .LBB174_237
; %bb.233:                              ;   in Loop: Header=BB174_18 Depth=1
	v_cvt_f32_u32_e32 v4, s89
	s_sub_u32 s6, 0, s89
	s_subb_u32 s12, 0, 0
	v_mac_f32_e32 v4, 0, v32
	v_rcp_f32_e32 v4, v4
	v_mul_f32_e32 v4, 0x5f7ffffc, v4
	v_mul_f32_e32 v5, 0x2f800000, v4
	v_trunc_f32_e32 v5, v5
	v_mac_f32_e32 v4, 0xcf800000, v5
	v_cvt_u32_f32_e32 v5, v5
	v_cvt_u32_f32_e32 v4, v4
	v_readfirstlane_b32 s13, v5
	v_readfirstlane_b32 s57, v4
	s_mul_i32 s73, s6, s13
	s_mul_hi_u32 s93, s6, s57
	s_mul_i32 s92, s12, s57
	s_add_i32 s73, s93, s73
	s_mul_i32 s94, s6, s57
	s_add_i32 s73, s73, s92
	s_mul_hi_u32 s93, s57, s94
	s_mul_hi_u32 s92, s57, s73
	s_mul_i32 s57, s57, s73
	s_add_u32 s57, s93, s57
	s_addc_u32 s92, 0, s92
	s_mul_hi_u32 s95, s13, s94
	s_mul_i32 s94, s13, s94
	s_add_u32 s57, s57, s94
	s_mul_hi_u32 s93, s13, s73
	s_addc_u32 s57, s92, s95
	s_addc_u32 s92, s93, 0
	s_mul_i32 s73, s13, s73
	s_add_u32 s57, s57, s73
	s_addc_u32 s73, 0, s92
	v_add_co_u32_e32 v4, vcc, s57, v4
	s_cmp_lg_u64 vcc, 0
	s_addc_u32 s13, s13, s73
	v_readfirstlane_b32 s73, v4
	s_mul_i32 s57, s6, s13
	s_mul_hi_u32 s92, s6, s73
	s_add_i32 s57, s92, s57
	s_mul_i32 s12, s12, s73
	s_add_i32 s57, s57, s12
	s_mul_i32 s6, s6, s73
	s_mul_hi_u32 s92, s13, s6
	s_mul_i32 s93, s13, s6
	s_mul_i32 s95, s73, s57
	s_mul_hi_u32 s6, s73, s6
	s_mul_hi_u32 s94, s73, s57
	s_add_u32 s6, s6, s95
	s_addc_u32 s73, 0, s94
	s_add_u32 s6, s6, s93
	s_mul_hi_u32 s12, s13, s57
	s_addc_u32 s6, s73, s92
	s_addc_u32 s12, s12, 0
	s_mul_i32 s57, s13, s57
	s_add_u32 s6, s6, s57
	s_addc_u32 s12, 0, s12
	v_add_co_u32_e32 v4, vcc, s6, v4
	s_cmp_lg_u64 vcc, 0
	s_addc_u32 s6, s13, s12
	v_readfirstlane_b32 s57, v4
	s_mul_i32 s13, s56, s6
	s_mul_hi_u32 s73, s56, s57
	s_mul_hi_u32 s12, s56, s6
	s_add_u32 s13, s73, s13
	s_addc_u32 s12, 0, s12
	s_mul_hi_u32 s92, s7, s57
	s_mul_i32 s57, s7, s57
	s_add_u32 s13, s13, s57
	s_mul_hi_u32 s73, s7, s6
	s_addc_u32 s12, s12, s92
	s_addc_u32 s13, s73, 0
	s_mul_i32 s6, s7, s6
	s_add_u32 s6, s12, s6
	s_addc_u32 s12, 0, s13
	s_mul_hi_u32 s13, s89, s6
	s_mul_i32 s6, s89, s6
	s_mul_i32 s12, s89, s12
	v_mov_b32_e32 v4, s6
	s_add_i32 s13, s13, s12
	v_sub_co_u32_e32 v4, vcc, s56, v4
	s_cmp_lg_u64 vcc, 0
	s_subb_u32 s6, s7, s13
	v_subrev_co_u32_e32 v5, vcc, s89, v4
	s_cmp_lg_u64 vcc, 0
	s_subb_u32 s12, s6, 0
	v_subrev_co_u32_e32 v6, vcc, s89, v5
	s_cmp_lg_u64 vcc, 0
	s_subb_u32 s13, s12, 0
	v_cmp_le_u32_e32 vcc, s89, v5
	s_cmp_eq_u32 s12, 0
	v_cndmask_b32_e64 v7, 0, -1, vcc
	s_cselect_b64 vcc, -1, 0
	v_cndmask_b32_e32 v7, -1, v7, vcc
	v_mov_b32_e32 v14, s12
	v_mov_b32_e32 v20, s13
	v_cmp_ne_u32_e32 vcc, 0, v7
	v_cndmask_b32_e32 v7, v14, v20, vcc
	v_cndmask_b32_e32 v6, v5, v6, vcc
	v_cmp_le_u32_e32 vcc, s89, v4
	s_cmp_eq_u32 s6, 0
	v_cndmask_b32_e64 v5, 0, -1, vcc
	s_cselect_b64 vcc, -1, 0
	v_cndmask_b32_e32 v5, -1, v5, vcc
	v_mov_b32_e32 v14, s6
	v_cmp_ne_u32_e32 vcc, 0, v5
	v_cndmask_b32_e32 v5, v14, v7, vcc
	v_cndmask_b32_e32 v4, v4, v6, vcc
	s_mov_b64 s[12:13], 0
	s_branch .LBB174_238
.LBB174_234:                            ;   in Loop: Header=BB174_18 Depth=1
                                        ; implicit-def: $vgpr2_vgpr3
	s_branch .LBB174_188
.LBB174_235:                            ;   in Loop: Header=BB174_18 Depth=1
                                        ; implicit-def: $vgpr2_vgpr3
	s_branch .LBB174_204
.LBB174_236:                            ;   in Loop: Header=BB174_18 Depth=1
	s_mov_b64 s[6:7], -1
	s_mov_b64 s[56:57], 0
                                        ; implicit-def: $sgpr10_sgpr11
                                        ; implicit-def: $vgpr20
	s_branch .LBB174_250
.LBB174_237:                            ;   in Loop: Header=BB174_18 Depth=1
	s_mov_b64 s[12:13], -1
                                        ; implicit-def: $vgpr4_vgpr5
.LBB174_238:                            ;   in Loop: Header=BB174_18 Depth=1
	s_andn2_b64 vcc, exec, s[12:13]
	s_cbranch_vccnz .LBB174_240
; %bb.239:                              ;   in Loop: Header=BB174_18 Depth=1
	v_cvt_f32_u32_e32 v4, s89
	s_sub_i32 s6, 0, s89
	v_rcp_iflag_f32_e32 v4, v4
	v_mul_f32_e32 v4, 0x4f7ffffe, v4
	v_cvt_u32_f32_e32 v4, v4
	v_mul_lo_u32 v5, s6, v4
	v_mul_hi_u32 v5, v4, v5
	v_add_u32_e32 v4, v4, v5
	v_mul_hi_u32 v4, s56, v4
	v_mul_lo_u32 v4, v4, s89
	v_sub_u32_e32 v4, s56, v4
	v_subrev_u32_e32 v5, s89, v4
	v_cmp_le_u32_e32 vcc, s89, v4
	v_cndmask_b32_e32 v4, v4, v5, vcc
	v_subrev_u32_e32 v5, s89, v4
	v_cmp_le_u32_e32 vcc, s89, v4
	v_cndmask_b32_e32 v14, v4, v5, vcc
	v_pk_mov_b32 v[4:5], v[14:15], v[14:15] op_sel:[0,1]
.LBB174_240:                            ;   in Loop: Header=BB174_18 Depth=1
	v_mov_b32_e32 v6, s7
	v_sub_co_u32_e32 v4, vcc, s56, v4
	v_subb_co_u32_e32 v5, vcc, v6, v5, vcc
	v_cmp_gt_u64_e32 vcc, v[4:5], v[0:1]
	s_mov_b64 s[56:57], 0
                                        ; implicit-def: $vgpr20
	s_and_saveexec_b64 s[12:13], vcc
	s_cbranch_execz .LBB174_249
; %bb.241:                              ;   in Loop: Header=BB174_18 Depth=1
	v_mov_b32_e32 v14, v28
	v_pk_mov_b32 v[6:7], v[0:1], v[0:1] op_sel:[0,1]
                                        ; implicit-def: $sgpr92_sgpr93
	s_branch .LBB174_243
.LBB174_242:                            ;   in Loop: Header=BB174_243 Depth=2
	s_or_b64 exec, exec, s[6:7]
	s_waitcnt lgkmcnt(0)
	s_barrier
	ds_read_b32 v20, v15 offset:3072
	v_mov_b32_e32 v21, s74
	v_add_co_u32_e64 v6, s[6:7], s89, v6
	v_addc_co_u32_e64 v7, s[6:7], v7, v21, s[6:7]
	s_waitcnt lgkmcnt(0)
	v_cmp_ne_u16_e32 vcc, 0, v20
	v_cmp_ge_u64_e64 s[6:7], v[6:7], v[4:5]
	s_or_b64 s[6:7], s[6:7], vcc
	s_and_b64 s[6:7], exec, s[6:7]
	s_or_b64 s[56:57], s[6:7], s[56:57]
	s_andn2_b64 s[6:7], s[92:93], exec
	s_and_b64 s[92:93], vcc, exec
	v_add_u32_e32 v14, s5, v14
	s_or_b64 s[92:93], s[6:7], s[92:93]
	s_barrier
	s_andn2_b64 exec, exec, s[56:57]
	s_cbranch_execz .LBB174_248
.LBB174_243:                            ;   Parent Loop BB174_18 Depth=1
                                        ; =>  This Inner Loop Header: Depth=2
	v_cmp_gt_u64_e32 vcc, s[10:11], v[6:7]
	v_mov_b32_e32 v20, 0
	s_and_saveexec_b64 s[6:7], vcc
	s_cbranch_execz .LBB174_245
; %bb.244:                              ;   in Loop: Header=BB174_243 Depth=2
	ds_read_u16 v20, v14
.LBB174_245:                            ;   in Loop: Header=BB174_243 Depth=2
	s_or_b64 exec, exec, s[6:7]
	s_and_saveexec_b64 s[6:7], vcc
	s_cbranch_execz .LBB174_242
; %bb.246:                              ;   in Loop: Header=BB174_243 Depth=2
	s_waitcnt lgkmcnt(0)
	v_add_u32_sdwa v21, sext(v20), s75 dst_sel:DWORD dst_unused:UNUSED_PAD src0_sel:WORD_0 src1_sel:DWORD
	v_and_b32_e32 v21, v21, v9
	v_cmp_eq_u32_e32 vcc, v21, v8
	s_and_b64 exec, exec, vcc
	s_cbranch_execz .LBB174_242
; %bb.247:                              ;   in Loop: Header=BB174_243 Depth=2
	v_perm_b32 v20, v20, 1, v33
	ds_write_b32 v15, v20 offset:3072
	s_branch .LBB174_242
.LBB174_248:                            ;   in Loop: Header=BB174_18 Depth=1
	s_or_b64 exec, exec, s[56:57]
	v_lshrrev_b32_e32 v20, 16, v20
	s_and_b64 s[56:57], s[92:93], exec
.LBB174_249:                            ;   in Loop: Header=BB174_18 Depth=1
	s_or_b64 exec, exec, s[12:13]
	s_mov_b64 s[10:11], -1
	s_mov_b64 s[6:7], 0
.LBB174_250:                            ;   in Loop: Header=BB174_18 Depth=1
	s_and_b64 vcc, exec, s[6:7]
	s_mov_b64 s[12:13], s[6:7]
	s_cbranch_vccz .LBB174_266
; %bb.251:                              ;   in Loop: Header=BB174_18 Depth=1
	v_readlane_b32 s92, v47, 55
	v_readlane_b32 s93, v47, 56
	s_mov_b32 s92, s91
	s_cmp_lg_u64 s[92:93], 0
	v_writelane_b32 v47, s92, 55
	v_writelane_b32 v47, s93, 56
	s_cbranch_scc0 .LBB174_253
; %bb.252:                              ;   in Loop: Header=BB174_18 Depth=1
	v_cvt_f32_u32_e32 v4, s89
	s_sub_u32 s6, 0, s89
	s_subb_u32 s7, 0, 0
	v_mac_f32_e32 v4, 0, v32
	v_rcp_f32_e32 v4, v4
	v_mul_f32_e32 v4, 0x5f7ffffc, v4
	v_mul_f32_e32 v5, 0x2f800000, v4
	v_trunc_f32_e32 v5, v5
	v_mac_f32_e32 v4, 0xcf800000, v5
	v_cvt_u32_f32_e32 v5, v5
	v_cvt_u32_f32_e32 v4, v4
	v_readfirstlane_b32 s10, v5
	v_readfirstlane_b32 s11, v4
	s_mul_i32 s12, s6, s10
	s_mul_hi_u32 s56, s6, s11
	s_mul_i32 s13, s7, s11
	s_add_i32 s12, s56, s12
	s_mul_i32 s57, s6, s11
	s_add_i32 s12, s12, s13
	s_mul_hi_u32 s56, s11, s57
	s_mul_hi_u32 s13, s11, s12
	s_mul_i32 s11, s11, s12
	s_add_u32 s11, s56, s11
	s_addc_u32 s13, 0, s13
	s_mul_hi_u32 s73, s10, s57
	s_mul_i32 s57, s10, s57
	s_add_u32 s11, s11, s57
	s_mul_hi_u32 s56, s10, s12
	s_addc_u32 s11, s13, s73
	s_addc_u32 s13, s56, 0
	s_mul_i32 s12, s10, s12
	s_add_u32 s11, s11, s12
	s_addc_u32 s12, 0, s13
	v_add_co_u32_e32 v4, vcc, s11, v4
	s_cmp_lg_u64 vcc, 0
	s_addc_u32 s10, s10, s12
	v_readfirstlane_b32 s12, v4
	s_mul_i32 s11, s6, s10
	s_mul_hi_u32 s13, s6, s12
	s_add_i32 s11, s13, s11
	s_mul_i32 s7, s7, s12
	s_add_i32 s11, s11, s7
	s_mul_i32 s6, s6, s12
	s_mul_hi_u32 s13, s10, s6
	s_mul_i32 s56, s10, s6
	s_mul_i32 s73, s12, s11
	s_mul_hi_u32 s6, s12, s6
	s_mul_hi_u32 s57, s12, s11
	s_add_u32 s6, s6, s73
	s_addc_u32 s12, 0, s57
	s_add_u32 s6, s6, s56
	s_mul_hi_u32 s7, s10, s11
	s_addc_u32 s6, s12, s13
	s_addc_u32 s7, s7, 0
	s_mul_i32 s11, s10, s11
	s_add_u32 s6, s6, s11
	s_addc_u32 s7, 0, s7
	v_add_co_u32_e32 v4, vcc, s6, v4
	s_cmp_lg_u64 vcc, 0
	s_addc_u32 s6, s10, s7
	v_readlane_b32 s56, v47, 53
	v_readfirstlane_b32 s11, v4
	s_mul_i32 s10, s56, s6
	s_mul_hi_u32 s12, s56, s11
	s_mul_hi_u32 s7, s56, s6
	s_add_u32 s10, s12, s10
	s_addc_u32 s7, 0, s7
	s_mul_hi_u32 s13, s93, s11
	s_mul_i32 s11, s93, s11
	s_add_u32 s10, s10, s11
	s_mul_hi_u32 s12, s93, s6
	s_addc_u32 s7, s7, s13
	s_addc_u32 s10, s12, 0
	s_mul_i32 s6, s93, s6
	s_add_u32 s6, s7, s6
	s_addc_u32 s7, 0, s10
	s_mul_hi_u32 s10, s89, s6
	s_mul_i32 s6, s89, s6
	s_mul_i32 s7, s89, s7
	v_mov_b32_e32 v4, s6
	s_add_i32 s10, s10, s7
	v_sub_co_u32_e32 v4, vcc, s56, v4
	s_cmp_lg_u64 vcc, 0
	s_subb_u32 s6, s93, s10
	v_subrev_co_u32_e32 v5, vcc, s89, v4
	s_cmp_lg_u64 vcc, 0
	s_subb_u32 s7, s6, 0
	v_subrev_co_u32_e32 v6, vcc, s89, v5
	s_cmp_lg_u64 vcc, 0
	s_subb_u32 s10, s7, 0
	v_cmp_le_u32_e32 vcc, s89, v5
	s_cmp_eq_u32 s7, 0
	v_cndmask_b32_e64 v7, 0, -1, vcc
	s_cselect_b64 vcc, -1, 0
	v_cndmask_b32_e32 v7, -1, v7, vcc
	v_mov_b32_e32 v14, s7
	v_mov_b32_e32 v20, s10
	v_cmp_ne_u32_e32 vcc, 0, v7
	v_cndmask_b32_e32 v7, v14, v20, vcc
	v_cndmask_b32_e32 v6, v5, v6, vcc
	v_cmp_le_u32_e32 vcc, s89, v4
	s_cmp_eq_u32 s6, 0
	v_cndmask_b32_e64 v5, 0, -1, vcc
	s_cselect_b64 vcc, -1, 0
	v_cndmask_b32_e32 v5, -1, v5, vcc
	v_mov_b32_e32 v14, s6
	v_cmp_ne_u32_e32 vcc, 0, v5
	v_cndmask_b32_e32 v5, v14, v7, vcc
	v_cndmask_b32_e32 v4, v4, v6, vcc
	s_mov_b64 s[6:7], 0
	s_branch .LBB174_254
.LBB174_253:                            ;   in Loop: Header=BB174_18 Depth=1
	s_mov_b64 s[6:7], -1
                                        ; implicit-def: $vgpr4_vgpr5
.LBB174_254:                            ;   in Loop: Header=BB174_18 Depth=1
	s_andn2_b64 vcc, exec, s[6:7]
	s_cbranch_vccnz .LBB174_256
; %bb.255:                              ;   in Loop: Header=BB174_18 Depth=1
	v_cvt_f32_u32_e32 v4, s89
	s_sub_i32 s6, 0, s89
	v_rcp_iflag_f32_e32 v4, v4
	v_mul_f32_e32 v4, 0x4f7ffffe, v4
	v_cvt_u32_f32_e32 v4, v4
	v_mul_lo_u32 v5, s6, v4
	v_mul_hi_u32 v5, v4, v5
	v_add_u32_e32 v4, v4, v5
	v_readlane_b32 s6, v47, 53
	v_mul_hi_u32 v4, s6, v4
	v_mul_lo_u32 v4, v4, s89
	v_sub_u32_e32 v4, s6, v4
	v_subrev_u32_e32 v5, s89, v4
	v_cmp_le_u32_e32 vcc, s89, v4
	v_cndmask_b32_e32 v4, v4, v5, vcc
	v_subrev_u32_e32 v5, s89, v4
	v_cmp_le_u32_e32 vcc, s89, v4
	v_cndmask_b32_e32 v14, v4, v5, vcc
	v_pk_mov_b32 v[4:5], v[14:15], v[14:15] op_sel:[0,1]
.LBB174_256:                            ;   in Loop: Header=BB174_18 Depth=1
	v_readlane_b32 s6, v47, 55
	v_readlane_b32 s7, v47, 56
	;; [unrolled: 1-line block ×3, first 2 shown]
	v_mov_b32_e32 v6, s7
	v_sub_co_u32_e32 v4, vcc, s6, v4
	v_subb_co_u32_e32 v5, vcc, v6, v5, vcc
	v_cmp_gt_u64_e32 vcc, v[4:5], v[0:1]
	s_mov_b64 s[56:57], 0
                                        ; implicit-def: $vgpr20
	s_and_saveexec_b64 s[10:11], vcc
	s_cbranch_execz .LBB174_265
; %bb.257:                              ;   in Loop: Header=BB174_18 Depth=1
	s_mov_b64 s[12:13], 0
	v_pk_mov_b32 v[6:7], v[0:1], v[0:1] op_sel:[0,1]
                                        ; implicit-def: $sgpr56_sgpr57
	s_branch .LBB174_259
.LBB174_258:                            ;   in Loop: Header=BB174_259 Depth=2
	s_or_b64 exec, exec, s[6:7]
	s_waitcnt lgkmcnt(0)
	s_barrier
	s_waitcnt vmcnt(0)
	ds_read_b32 v14, v15 offset:3072
	v_mov_b32_e32 v20, s74
	v_add_co_u32_e64 v6, s[6:7], s89, v6
	v_addc_co_u32_e64 v7, s[6:7], v7, v20, s[6:7]
	s_waitcnt lgkmcnt(0)
	v_cmp_ne_u16_e32 vcc, 0, v14
	v_cmp_ge_u64_e64 s[6:7], v[6:7], v[4:5]
	s_or_b64 s[6:7], s[6:7], vcc
	s_and_b64 s[6:7], exec, s[6:7]
	s_or_b64 s[12:13], s[6:7], s[12:13]
	s_andn2_b64 s[6:7], s[56:57], exec
	s_and_b64 s[56:57], vcc, exec
	s_or_b64 s[56:57], s[6:7], s[56:57]
	s_barrier
	s_andn2_b64 exec, exec, s[12:13]
	s_cbranch_execz .LBB174_264
.LBB174_259:                            ;   Parent Loop BB174_18 Depth=1
                                        ; =>  This Inner Loop Header: Depth=2
	v_cmp_gt_u64_e32 vcc, s[60:61], v[6:7]
	v_mov_b32_e32 v14, 0
	s_and_saveexec_b64 s[92:93], vcc
	s_cbranch_execz .LBB174_261
; %bb.260:                              ;   in Loop: Header=BB174_259 Depth=2
	v_mul_lo_u32 v14, v7, s58
	v_mul_lo_u32 v22, v6, s59
	v_mad_u64_u32 v[20:21], s[6:7], v6, s58, 0
	v_add3_u32 v21, v21, v22, v14
	v_lshlrev_b64 v[20:21], 1, v[20:21]
	v_mov_b32_e32 v14, s88
	v_add_co_u32_e64 v20, s[6:7], s33, v20
	v_addc_co_u32_e64 v21, s[6:7], v14, v21, s[6:7]
	global_load_ushort v14, v[20:21], off
.LBB174_261:                            ;   in Loop: Header=BB174_259 Depth=2
	s_or_b64 exec, exec, s[92:93]
	s_and_saveexec_b64 s[6:7], vcc
	s_cbranch_execz .LBB174_258
; %bb.262:                              ;   in Loop: Header=BB174_259 Depth=2
	s_waitcnt vmcnt(0)
	v_add_u32_sdwa v20, sext(v14), s75 dst_sel:DWORD dst_unused:UNUSED_PAD src0_sel:WORD_0 src1_sel:DWORD
	v_and_b32_e32 v20, v20, v9
	v_cmp_eq_u32_e32 vcc, v20, v8
	s_and_b64 exec, exec, vcc
	s_cbranch_execz .LBB174_258
; %bb.263:                              ;   in Loop: Header=BB174_259 Depth=2
	v_perm_b32 v14, v14, 1, v33
	ds_write_b32 v15, v14 offset:3072
	s_branch .LBB174_258
.LBB174_264:                            ;   in Loop: Header=BB174_18 Depth=1
	s_or_b64 exec, exec, s[12:13]
	v_lshrrev_b32_e32 v20, 16, v14
	s_and_b64 s[56:57], s[56:57], exec
.LBB174_265:                            ;   in Loop: Header=BB174_18 Depth=1
	s_or_b64 exec, exec, s[10:11]
	s_mov_b64 s[12:13], -1
	s_mov_b64 s[6:7], 0
	s_mov_b64 s[10:11], 0
.LBB174_266:                            ;   in Loop: Header=BB174_18 Depth=1
	v_readlane_b32 s94, v46, 5
	s_orn2_b64 s[92:93], s[56:57], exec
	v_readlane_b32 s95, v46, 6
.LBB174_267:                            ;   in Loop: Header=BB174_18 Depth=1
	s_or_b64 exec, exec, s[94:95]
	s_mov_b64 s[94:95], 0
                                        ; implicit-def: $vgpr6
                                        ; implicit-def: $vgpr4_vgpr5
	s_and_saveexec_b64 s[56:57], s[92:93]
	v_readlane_b32 vcc_lo, v46, 1
	v_readlane_b32 vcc_hi, v46, 2
	s_cbranch_execz .LBB174_279
; %bb.268:                              ;   in Loop: Header=BB174_18 Depth=1
	v_readlane_b32 s92, v46, 3
	v_readlane_b32 s93, v46, 4
	v_mov_b32_e32 v4, 1
	s_xor_b64 s[94:95], s[92:93], -1
	v_mov_b32_e32 v6, 1
	v_mov_b32_e32 v5, 0
	s_and_saveexec_b64 s[92:93], s[94:95]
	s_cbranch_execz .LBB174_278
; %bb.269:                              ;   in Loop: Header=BB174_18 Depth=1
	v_cmp_ge_u64_e32 vcc, s[24:25], v[2:3]
                                        ; implicit-def: $sgpr73
	s_and_saveexec_b64 s[94:95], vcc
	s_xor_b64 s[94:95], exec, s[94:95]
	s_cbranch_execz .LBB174_275
; %bb.270:                              ;   in Loop: Header=BB174_18 Depth=1
	ds_read_b64 v[4:5], v15 offset:5120
	s_waitcnt lgkmcnt(0)
	v_cmp_ne_u64_e32 vcc, 0, v[4:5]
	s_cbranch_vccnz .LBB174_274
; %bb.271:                              ;   in Loop: Header=BB174_18 Depth=1
	v_writelane_b32 v46, s8, 7
	v_writelane_b32 v46, s9, 8
	s_mov_b64 s[8:9], exec
	v_writelane_b32 v46, s8, 9
	v_writelane_b32 v46, s9, 10
	v_readlane_b32 vcc_lo, v47, 32
	v_readlane_b32 s8, v46, 9
	v_readlane_b32 vcc_hi, v47, 33
	v_readlane_b32 s9, v46, 10
	s_and_b64 vcc, s[8:9], vcc
	s_mov_b64 exec, vcc
	s_cbranch_execz .LBB174_273
; %bb.272:                              ;   in Loop: Header=BB174_18 Depth=1
	v_pk_mov_b32 v[4:5], s[24:25], s[24:25] op_sel:[0,1]
	ds_write_b64 v15, v[4:5] offset:5128
.LBB174_273:                            ;   in Loop: Header=BB174_18 Depth=1
	v_readlane_b32 vcc_lo, v46, 9
	v_readlane_b32 vcc_hi, v46, 10
	s_or_b64 exec, exec, vcc
	v_readlane_b32 s8, v46, 7
	v_readlane_b32 s9, v46, 8
	s_waitcnt lgkmcnt(0)
	s_barrier
.LBB174_274:                            ;   in Loop: Header=BB174_18 Depth=1
	v_or_b32_e32 v8, s90, v8
	v_or_b32_e32 v9, s90, v9
	s_mov_b32 s73, 8
.LBB174_275:                            ;   in Loop: Header=BB174_18 Depth=1
	s_or_saveexec_b64 s[94:95], s[94:95]
	v_mov_b32_e32 v6, s73
	s_xor_b64 exec, exec, s[94:95]
; %bb.276:                              ;   in Loop: Header=BB174_18 Depth=1
	v_mov_b32_e32 v4, s25
	v_subrev_co_u32_e32 v2, vcc, s24, v2
	v_subb_co_u32_e32 v3, vcc, v3, v4, vcc
	v_mov_b32_e32 v6, 8
; %bb.277:                              ;   in Loop: Header=BB174_18 Depth=1
	s_or_b64 exec, exec, s[94:95]
	v_readlane_b32 vcc_lo, v46, 1
	v_pk_mov_b32 v[4:5], v[2:3], v[2:3] op_sel:[0,1]
	v_readlane_b32 vcc_hi, v46, 2
.LBB174_278:                            ;   in Loop: Header=BB174_18 Depth=1
	s_or_b64 exec, exec, s[92:93]
	s_mov_b64 s[94:95], exec
.LBB174_279:                            ;   in Loop: Header=BB174_18 Depth=1
	s_or_b64 exec, exec, s[56:57]
	s_orn2_b64 s[56:57], s[94:95], exec
	v_pk_mov_b32 v[2:3], v[4:5], v[4:5] op_sel:[0,1]
.LBB174_280:                            ;   in Loop: Header=BB174_18 Depth=1
	s_or_b64 exec, exec, s[8:9]
	s_andn2_b64 s[8:9], s[30:31], exec
	s_and_b64 s[6:7], s[6:7], exec
	s_or_b64 s[30:31], s[8:9], s[6:7]
	s_andn2_b64 s[6:7], s[50:51], exec
	s_and_b64 s[8:9], s[12:13], exec
	s_or_b64 s[50:51], s[6:7], s[8:9]
	s_andn2_b64 s[6:7], vcc, exec
	s_and_b64 s[8:9], s[10:11], exec
	s_or_b64 vcc, s[6:7], s[8:9]
	s_and_b64 s[6:7], s[56:57], exec
	v_pk_mov_b32 v[4:5], v[2:3], v[2:3] op_sel:[0,1]
.LBB174_281:                            ;   in Loop: Header=BB174_18 Depth=1
	s_or_b64 exec, exec, s[54:55]
	s_and_b64 s[12:13], s[30:31], exec
	s_and_b64 s[10:11], s[50:51], exec
	s_and_b64 s[8:9], vcc, exec
	s_orn2_b64 s[6:7], s[6:7], exec
.LBB174_282:                            ;   in Loop: Header=BB174_18 Depth=1
	s_or_b64 exec, exec, s[52:53]
	s_andn2_b64 s[28:29], s[28:29], exec
	s_and_b64 s[12:13], s[12:13], exec
	s_or_b64 s[28:29], s[28:29], s[12:13]
	s_andn2_b64 s[12:13], s[44:45], exec
	s_and_b64 s[10:11], s[10:11], exec
	s_or_b64 s[44:45], s[12:13], s[10:11]
	;; [unrolled: 3-line block ×3, first 2 shown]
	s_and_b64 s[6:7], s[6:7], exec
	v_pk_mov_b32 v[2:3], v[4:5], v[4:5] op_sel:[0,1]
.LBB174_283:                            ;   in Loop: Header=BB174_18 Depth=1
	s_or_b64 exec, exec, s[46:47]
	s_and_b64 s[12:13], s[28:29], exec
	s_and_b64 s[10:11], s[44:45], exec
	;; [unrolled: 1-line block ×3, first 2 shown]
	s_orn2_b64 s[28:29], s[6:7], exec
.LBB174_284:                            ;   in Loop: Header=BB174_18 Depth=1
	s_or_b64 exec, exec, s[26:27]
	s_mov_b64 s[6:7], 0
	s_mov_b64 s[26:27], 0
	s_and_saveexec_b64 s[30:31], s[28:29]
	s_xor_b64 s[28:29], exec, s[30:31]
; %bb.285:                              ;   in Loop: Header=BB174_18 Depth=1
	v_cmp_eq_u32_e32 vcc, 8, v6
	v_cmp_ne_u32_e64 s[6:7], 8, v6
	s_andn2_b64 s[12:13], s[12:13], exec
	s_andn2_b64 s[10:11], s[10:11], exec
	;; [unrolled: 1-line block ×3, first 2 shown]
	s_and_b64 s[26:27], s[6:7], exec
	s_and_b64 s[6:7], vcc, exec
; %bb.286:                              ;   in Loop: Header=BB174_18 Depth=1
	s_or_b64 exec, exec, s[28:29]
	s_andn2_b64 s[20:21], s[20:21], exec
	s_and_b64 s[12:13], s[12:13], exec
	s_or_b64 s[20:21], s[20:21], s[12:13]
	s_andn2_b64 s[12:13], s[36:37], exec
	s_and_b64 s[10:11], s[10:11], exec
	s_or_b64 s[36:37], s[12:13], s[10:11]
	s_andn2_b64 s[10:11], s[34:35], exec
	s_and_b64 s[8:9], s[8:9], exec
	s_or_b64 s[34:35], s[10:11], s[8:9]
	s_and_b64 s[26:27], s[26:27], exec
	s_and_b64 s[28:29], s[6:7], exec
.LBB174_287:                            ;   in Loop: Header=BB174_18 Depth=1
	s_or_b64 exec, exec, s[40:41]
	s_and_b64 vcc, exec, s[38:39]
	s_cbranch_vccz .LBB174_103
.LBB174_288:                            ;   in Loop: Header=BB174_18 Depth=1
	s_cmp_eq_u64 s[24:25], 1
	s_cselect_b64 s[6:7], -1, 0
	s_and_b64 s[8:9], s[6:7], s[14:15]
	s_mov_b64 s[6:7], -1
                                        ; implicit-def: $sgpr14_sgpr15
                                        ; implicit-def: $sgpr38_sgpr39
                                        ; implicit-def: $sgpr20_sgpr21
	s_and_saveexec_b64 s[30:31], s[8:9]
	s_cbranch_execz .LBB174_320
; %bb.289:                              ;   in Loop: Header=BB174_18 Depth=1
	ds_read_b64 v[2:3], v15 offset:5120
	s_waitcnt lgkmcnt(0)
	s_barrier
	v_readfirstlane_b32 s10, v2
	v_readfirstlane_b32 s11, v3
	s_mov_b64 s[6:7], exec
	v_readlane_b32 s12, v47, 48
	v_readlane_b32 s13, v47, 49
	s_and_b64 s[12:13], s[6:7], s[12:13]
	s_mov_b64 exec, s[12:13]
	s_cbranch_execz .LBB174_291
; %bb.290:                              ;   in Loop: Header=BB174_18 Depth=1
	ds_write_b16 v29, v15
.LBB174_291:                            ;   in Loop: Header=BB174_18 Depth=1
	s_or_b64 exec, exec, s[6:7]
	v_or_b32_e32 v35, s90, v35
	v_or_b32_e32 v34, s90, v34
	s_cmp_eq_u64 s[10:11], 0
	s_waitcnt lgkmcnt(0)
	s_barrier
	s_cbranch_scc1 .LBB174_303
; %bb.292:                              ;   in Loop: Header=BB174_18 Depth=1
	v_readlane_b32 s6, v47, 52
	s_add_u32 s14, s6, s10
	v_readlane_b32 s6, v47, 54
	s_addc_u32 s7, s6, s11
	s_mov_b32 s6, s91
	s_cmp_lg_u64 s[6:7], 0
	s_cbranch_scc0 .LBB174_347
; %bb.293:                              ;   in Loop: Header=BB174_18 Depth=1
	v_cvt_f32_u32_e32 v2, s89
	s_sub_u32 s6, 0, s89
	s_subb_u32 s12, 0, 0
	v_mac_f32_e32 v2, 0, v32
	v_rcp_f32_e32 v2, v2
	v_mul_f32_e32 v2, 0x5f7ffffc, v2
	v_mul_f32_e32 v3, 0x2f800000, v2
	v_trunc_f32_e32 v3, v3
	v_mac_f32_e32 v2, 0xcf800000, v3
	v_cvt_u32_f32_e32 v3, v3
	v_cvt_u32_f32_e32 v2, v2
	v_readfirstlane_b32 s13, v3
	v_readfirstlane_b32 s15, v2
	s_mul_i32 s20, s6, s13
	s_mul_hi_u32 s34, s6, s15
	s_mul_i32 s21, s12, s15
	s_add_i32 s20, s34, s20
	s_mul_i32 s35, s6, s15
	s_add_i32 s20, s20, s21
	s_mul_hi_u32 s34, s15, s35
	s_mul_hi_u32 s21, s15, s20
	s_mul_i32 s15, s15, s20
	s_add_u32 s15, s34, s15
	s_addc_u32 s21, 0, s21
	s_mul_hi_u32 s36, s13, s35
	s_mul_i32 s35, s13, s35
	s_add_u32 s15, s15, s35
	s_mul_hi_u32 s34, s13, s20
	s_addc_u32 s15, s21, s36
	s_addc_u32 s21, s34, 0
	s_mul_i32 s20, s13, s20
	s_add_u32 s15, s15, s20
	s_addc_u32 s20, 0, s21
	v_add_co_u32_e32 v2, vcc, s15, v2
	s_cmp_lg_u64 vcc, 0
	s_addc_u32 s13, s13, s20
	v_readfirstlane_b32 s20, v2
	s_mul_i32 s15, s6, s13
	s_mul_hi_u32 s21, s6, s20
	s_add_i32 s15, s21, s15
	s_mul_i32 s12, s12, s20
	s_add_i32 s15, s15, s12
	s_mul_i32 s6, s6, s20
	s_mul_hi_u32 s21, s13, s6
	s_mul_i32 s34, s13, s6
	s_mul_i32 s36, s20, s15
	s_mul_hi_u32 s6, s20, s6
	s_mul_hi_u32 s35, s20, s15
	s_add_u32 s6, s6, s36
	s_addc_u32 s20, 0, s35
	s_add_u32 s6, s6, s34
	s_mul_hi_u32 s12, s13, s15
	s_addc_u32 s6, s20, s21
	s_addc_u32 s12, s12, 0
	s_mul_i32 s15, s13, s15
	s_add_u32 s6, s6, s15
	s_addc_u32 s12, 0, s12
	v_add_co_u32_e32 v2, vcc, s6, v2
	s_cmp_lg_u64 vcc, 0
	s_addc_u32 s6, s13, s12
	v_readfirstlane_b32 s15, v2
	s_mul_i32 s13, s14, s6
	s_mul_hi_u32 s20, s14, s15
	s_mul_hi_u32 s12, s14, s6
	s_add_u32 s13, s20, s13
	s_addc_u32 s12, 0, s12
	s_mul_hi_u32 s21, s7, s15
	s_mul_i32 s15, s7, s15
	s_add_u32 s13, s13, s15
	s_mul_hi_u32 s20, s7, s6
	s_addc_u32 s12, s12, s21
	s_addc_u32 s13, s20, 0
	s_mul_i32 s6, s7, s6
	s_add_u32 s6, s12, s6
	s_addc_u32 s12, 0, s13
	s_mul_hi_u32 s13, s89, s6
	s_mul_i32 s6, s89, s6
	s_mul_i32 s12, s89, s12
	v_mov_b32_e32 v2, s6
	s_add_i32 s13, s13, s12
	v_sub_co_u32_e32 v2, vcc, s14, v2
	s_cmp_lg_u64 vcc, 0
	s_subb_u32 s6, s7, s13
	v_subrev_co_u32_e32 v3, vcc, s89, v2
	s_cmp_lg_u64 vcc, 0
	s_subb_u32 s12, s6, 0
	v_subrev_co_u32_e32 v4, vcc, s89, v3
	s_cmp_lg_u64 vcc, 0
	s_subb_u32 s13, s12, 0
	v_cmp_le_u32_e32 vcc, s89, v3
	s_cmp_eq_u32 s12, 0
	v_cndmask_b32_e64 v5, 0, -1, vcc
	s_cselect_b64 vcc, -1, 0
	v_cndmask_b32_e32 v5, -1, v5, vcc
	v_mov_b32_e32 v6, s12
	v_mov_b32_e32 v7, s13
	v_cmp_ne_u32_e32 vcc, 0, v5
	v_cndmask_b32_e32 v5, v6, v7, vcc
	v_cndmask_b32_e32 v4, v3, v4, vcc
	v_cmp_le_u32_e32 vcc, s89, v2
	s_cmp_eq_u32 s6, 0
	v_cndmask_b32_e64 v3, 0, -1, vcc
	s_cselect_b64 vcc, -1, 0
	v_cndmask_b32_e32 v3, -1, v3, vcc
	v_mov_b32_e32 v6, s6
	v_cmp_ne_u32_e32 vcc, 0, v3
	v_cndmask_b32_e32 v3, v6, v5, vcc
	v_cndmask_b32_e32 v2, v2, v4, vcc
	s_cbranch_execnz .LBB174_295
.LBB174_294:                            ;   in Loop: Header=BB174_18 Depth=1
	v_cvt_f32_u32_e32 v2, s89
	s_sub_i32 s6, 0, s89
	v_rcp_iflag_f32_e32 v2, v2
	v_mul_f32_e32 v2, 0x4f7ffffe, v2
	v_cvt_u32_f32_e32 v2, v2
	v_mul_lo_u32 v3, s6, v2
	v_mul_hi_u32 v3, v2, v3
	v_add_u32_e32 v2, v2, v3
	v_mul_hi_u32 v2, s14, v2
	v_mul_lo_u32 v2, v2, s89
	v_sub_u32_e32 v2, s14, v2
	v_subrev_u32_e32 v3, s89, v2
	v_cmp_le_u32_e32 vcc, s89, v2
	v_cndmask_b32_e32 v2, v2, v3, vcc
	v_subrev_u32_e32 v3, s89, v2
	v_cmp_le_u32_e32 vcc, s89, v2
	v_cndmask_b32_e32 v14, v2, v3, vcc
	v_pk_mov_b32 v[2:3], v[14:15], v[14:15] op_sel:[0,1]
.LBB174_295:                            ;   in Loop: Header=BB174_18 Depth=1
	v_mov_b32_e32 v4, s7
	v_sub_co_u32_e32 v2, vcc, s14, v2
	v_subb_co_u32_e32 v3, vcc, v4, v3, vcc
	v_cmp_gt_u64_e32 vcc, v[2:3], v[0:1]
	s_mov_b64 s[6:7], 0
                                        ; implicit-def: $vgpr36
	s_and_saveexec_b64 s[12:13], vcc
	s_cbranch_execz .LBB174_305
; %bb.296:                              ;   in Loop: Header=BB174_18 Depth=1
	s_mov_b64 s[14:15], 0
	v_mov_b32_e32 v6, v28
	v_pk_mov_b32 v[4:5], v[0:1], v[0:1] op_sel:[0,1]
                                        ; implicit-def: $sgpr20_sgpr21
	s_branch .LBB174_298
.LBB174_297:                            ;   in Loop: Header=BB174_298 Depth=2
	s_or_b64 exec, exec, s[6:7]
	s_waitcnt lgkmcnt(0)
	s_barrier
	ds_read_b32 v7, v15 offset:3072
	v_mov_b32_e32 v8, s74
	v_add_co_u32_e64 v4, s[6:7], s89, v4
	v_addc_co_u32_e64 v5, s[6:7], v5, v8, s[6:7]
	s_waitcnt lgkmcnt(0)
	v_cmp_ne_u16_e32 vcc, 0, v7
	v_cmp_ge_u64_e64 s[6:7], v[4:5], v[2:3]
	s_or_b64 s[6:7], s[6:7], vcc
	s_and_b64 s[6:7], exec, s[6:7]
	s_or_b64 s[14:15], s[6:7], s[14:15]
	s_andn2_b64 s[6:7], s[20:21], exec
	s_and_b64 s[20:21], vcc, exec
	v_add_u32_e32 v6, s5, v6
	s_or_b64 s[20:21], s[6:7], s[20:21]
	s_barrier
	s_andn2_b64 exec, exec, s[14:15]
	s_cbranch_execz .LBB174_304
.LBB174_298:                            ;   Parent Loop BB174_18 Depth=1
                                        ; =>  This Inner Loop Header: Depth=2
	v_cmp_gt_u64_e32 vcc, s[10:11], v[4:5]
	v_mov_b32_e32 v7, 0
	s_and_saveexec_b64 s[6:7], vcc
	s_cbranch_execz .LBB174_300
; %bb.299:                              ;   in Loop: Header=BB174_298 Depth=2
	ds_read_u16 v7, v6
.LBB174_300:                            ;   in Loop: Header=BB174_298 Depth=2
	s_or_b64 exec, exec, s[6:7]
	s_and_saveexec_b64 s[6:7], vcc
	s_cbranch_execz .LBB174_297
; %bb.301:                              ;   in Loop: Header=BB174_298 Depth=2
	s_waitcnt lgkmcnt(0)
	v_add_u32_sdwa v8, sext(v7), s75 dst_sel:DWORD dst_unused:UNUSED_PAD src0_sel:WORD_0 src1_sel:DWORD
	v_and_b32_e32 v8, v8, v34
	v_cmp_eq_u32_e32 vcc, v8, v35
	s_and_b64 exec, exec, vcc
	s_cbranch_execz .LBB174_297
; %bb.302:                              ;   in Loop: Header=BB174_298 Depth=2
	v_perm_b32 v7, v7, 1, v33
	ds_write_b32 v15, v7 offset:3072
	s_branch .LBB174_297
.LBB174_303:                            ;   in Loop: Header=BB174_18 Depth=1
	s_mov_b64 s[14:15], -1
	s_mov_b64 s[6:7], 0
                                        ; implicit-def: $sgpr38_sgpr39
                                        ; implicit-def: $vgpr36
	s_mov_b64 s[20:21], s[14:15]
	s_cbranch_execnz .LBB174_306
	s_branch .LBB174_319
.LBB174_304:                            ;   in Loop: Header=BB174_18 Depth=1
	s_or_b64 exec, exec, s[14:15]
	v_lshrrev_b32_e32 v36, 16, v7
	s_and_b64 s[6:7], s[20:21], exec
.LBB174_305:                            ;   in Loop: Header=BB174_18 Depth=1
	s_or_b64 exec, exec, s[12:13]
	s_mov_b64 s[14:15], 0
	s_mov_b64 s[38:39], -1
	s_mov_b64 s[20:21], s[14:15]
	s_branch .LBB174_319
.LBB174_306:                            ;   in Loop: Header=BB174_18 Depth=1
	v_readlane_b32 s20, v47, 55
	v_readlane_b32 s21, v47, 56
	s_mov_b32 s20, s91
	s_cmp_lg_u64 s[20:21], 0
	v_writelane_b32 v47, s20, 55
	v_writelane_b32 v47, s21, 56
	s_cbranch_scc0 .LBB174_348
; %bb.307:                              ;   in Loop: Header=BB174_18 Depth=1
	v_cvt_f32_u32_e32 v2, s89
	s_sub_u32 s6, 0, s89
	s_subb_u32 s7, 0, 0
	v_mac_f32_e32 v2, 0, v32
	v_rcp_f32_e32 v2, v2
	v_mul_f32_e32 v2, 0x5f7ffffc, v2
	v_mul_f32_e32 v3, 0x2f800000, v2
	v_trunc_f32_e32 v3, v3
	v_mac_f32_e32 v2, 0xcf800000, v3
	v_cvt_u32_f32_e32 v3, v3
	v_cvt_u32_f32_e32 v2, v2
	v_readfirstlane_b32 s10, v3
	v_readfirstlane_b32 s11, v2
	s_mul_i32 s12, s6, s10
	s_mul_hi_u32 s14, s6, s11
	s_mul_i32 s13, s7, s11
	s_add_i32 s12, s14, s12
	s_mul_i32 s15, s6, s11
	s_add_i32 s12, s12, s13
	s_mul_hi_u32 s14, s11, s15
	s_mul_hi_u32 s13, s11, s12
	s_mul_i32 s11, s11, s12
	s_add_u32 s11, s14, s11
	s_addc_u32 s13, 0, s13
	s_mul_hi_u32 s20, s10, s15
	s_mul_i32 s15, s10, s15
	s_add_u32 s11, s11, s15
	s_mul_hi_u32 s14, s10, s12
	s_addc_u32 s11, s13, s20
	s_addc_u32 s13, s14, 0
	s_mul_i32 s12, s10, s12
	s_add_u32 s11, s11, s12
	s_addc_u32 s12, 0, s13
	v_add_co_u32_e32 v2, vcc, s11, v2
	s_cmp_lg_u64 vcc, 0
	s_addc_u32 s10, s10, s12
	v_readfirstlane_b32 s12, v2
	s_mul_i32 s11, s6, s10
	s_mul_hi_u32 s13, s6, s12
	s_add_i32 s11, s13, s11
	s_mul_i32 s7, s7, s12
	s_add_i32 s11, s11, s7
	s_mul_i32 s6, s6, s12
	s_mul_hi_u32 s13, s10, s6
	s_mul_i32 s14, s10, s6
	s_mul_i32 s20, s12, s11
	s_mul_hi_u32 s6, s12, s6
	s_mul_hi_u32 s15, s12, s11
	s_add_u32 s6, s6, s20
	s_addc_u32 s12, 0, s15
	s_add_u32 s6, s6, s14
	s_mul_hi_u32 s7, s10, s11
	s_addc_u32 s6, s12, s13
	s_addc_u32 s7, s7, 0
	s_mul_i32 s11, s10, s11
	s_add_u32 s6, s6, s11
	s_addc_u32 s7, 0, s7
	v_add_co_u32_e32 v2, vcc, s6, v2
	s_cmp_lg_u64 vcc, 0
	s_addc_u32 s6, s10, s7
	v_readlane_b32 s14, v47, 53
	v_readfirstlane_b32 s11, v2
	s_mul_i32 s10, s14, s6
	s_mul_hi_u32 s12, s14, s11
	s_mul_hi_u32 s7, s14, s6
	s_add_u32 s10, s12, s10
	s_addc_u32 s7, 0, s7
	s_mul_hi_u32 s13, s21, s11
	s_mul_i32 s11, s21, s11
	s_add_u32 s10, s10, s11
	s_mul_hi_u32 s12, s21, s6
	s_addc_u32 s7, s7, s13
	s_addc_u32 s10, s12, 0
	s_mul_i32 s6, s21, s6
	s_add_u32 s6, s7, s6
	s_addc_u32 s7, 0, s10
	s_mul_hi_u32 s10, s89, s6
	s_mul_i32 s6, s89, s6
	s_mul_i32 s7, s89, s7
	v_mov_b32_e32 v2, s6
	s_add_i32 s10, s10, s7
	v_sub_co_u32_e32 v2, vcc, s14, v2
	s_cmp_lg_u64 vcc, 0
	s_subb_u32 s6, s21, s10
	v_subrev_co_u32_e32 v3, vcc, s89, v2
	s_cmp_lg_u64 vcc, 0
	s_subb_u32 s7, s6, 0
	v_subrev_co_u32_e32 v4, vcc, s89, v3
	s_cmp_lg_u64 vcc, 0
	s_subb_u32 s10, s7, 0
	v_cmp_le_u32_e32 vcc, s89, v3
	s_cmp_eq_u32 s7, 0
	v_cndmask_b32_e64 v5, 0, -1, vcc
	s_cselect_b64 vcc, -1, 0
	v_cndmask_b32_e32 v5, -1, v5, vcc
	v_mov_b32_e32 v6, s7
	v_mov_b32_e32 v7, s10
	v_cmp_ne_u32_e32 vcc, 0, v5
	v_cndmask_b32_e32 v5, v6, v7, vcc
	v_cndmask_b32_e32 v4, v3, v4, vcc
	v_cmp_le_u32_e32 vcc, s89, v2
	s_cmp_eq_u32 s6, 0
	v_cndmask_b32_e64 v3, 0, -1, vcc
	s_cselect_b64 vcc, -1, 0
	v_cndmask_b32_e32 v3, -1, v3, vcc
	v_mov_b32_e32 v6, s6
	v_cmp_ne_u32_e32 vcc, 0, v3
	v_cndmask_b32_e32 v3, v6, v5, vcc
	v_cndmask_b32_e32 v2, v2, v4, vcc
	s_cbranch_execnz .LBB174_309
.LBB174_308:                            ;   in Loop: Header=BB174_18 Depth=1
	v_cvt_f32_u32_e32 v2, s89
	s_sub_i32 s6, 0, s89
	v_rcp_iflag_f32_e32 v2, v2
	v_mul_f32_e32 v2, 0x4f7ffffe, v2
	v_cvt_u32_f32_e32 v2, v2
	v_mul_lo_u32 v3, s6, v2
	v_mul_hi_u32 v3, v2, v3
	v_add_u32_e32 v2, v2, v3
	v_readlane_b32 s6, v47, 53
	v_mul_hi_u32 v2, s6, v2
	v_mul_lo_u32 v2, v2, s89
	v_sub_u32_e32 v2, s6, v2
	v_subrev_u32_e32 v3, s89, v2
	v_cmp_le_u32_e32 vcc, s89, v2
	v_cndmask_b32_e32 v2, v2, v3, vcc
	v_subrev_u32_e32 v3, s89, v2
	v_cmp_le_u32_e32 vcc, s89, v2
	v_cndmask_b32_e32 v14, v2, v3, vcc
	v_pk_mov_b32 v[2:3], v[14:15], v[14:15] op_sel:[0,1]
.LBB174_309:                            ;   in Loop: Header=BB174_18 Depth=1
	v_readlane_b32 s6, v47, 55
	v_readlane_b32 s7, v47, 56
	;; [unrolled: 1-line block ×3, first 2 shown]
	v_mov_b32_e32 v4, s7
	v_sub_co_u32_e32 v2, vcc, s6, v2
	v_subb_co_u32_e32 v3, vcc, v4, v3, vcc
	v_cmp_gt_u64_e32 vcc, v[2:3], v[0:1]
	s_mov_b64 s[6:7], 0
                                        ; implicit-def: $vgpr36
	s_and_saveexec_b64 s[10:11], vcc
	s_cbranch_execz .LBB174_318
; %bb.310:                              ;   in Loop: Header=BB174_18 Depth=1
	s_mov_b64 s[12:13], 0
	v_pk_mov_b32 v[4:5], v[0:1], v[0:1] op_sel:[0,1]
                                        ; implicit-def: $sgpr14_sgpr15
	s_branch .LBB174_312
.LBB174_311:                            ;   in Loop: Header=BB174_312 Depth=2
	s_or_b64 exec, exec, s[6:7]
	s_waitcnt lgkmcnt(0)
	s_barrier
	s_waitcnt vmcnt(0)
	ds_read_b32 v6, v15 offset:3072
	v_mov_b32_e32 v7, s74
	v_add_co_u32_e64 v4, s[6:7], s89, v4
	v_addc_co_u32_e64 v5, s[6:7], v5, v7, s[6:7]
	s_waitcnt lgkmcnt(0)
	v_cmp_ne_u16_e32 vcc, 0, v6
	v_cmp_ge_u64_e64 s[6:7], v[4:5], v[2:3]
	s_or_b64 s[6:7], s[6:7], vcc
	s_and_b64 s[6:7], exec, s[6:7]
	s_or_b64 s[12:13], s[6:7], s[12:13]
	s_andn2_b64 s[6:7], s[14:15], exec
	s_and_b64 s[14:15], vcc, exec
	s_or_b64 s[14:15], s[6:7], s[14:15]
	s_barrier
	s_andn2_b64 exec, exec, s[12:13]
	s_cbranch_execz .LBB174_317
.LBB174_312:                            ;   Parent Loop BB174_18 Depth=1
                                        ; =>  This Inner Loop Header: Depth=2
	v_cmp_gt_u64_e32 vcc, s[60:61], v[4:5]
	v_mov_b32_e32 v6, 0
	s_and_saveexec_b64 s[20:21], vcc
	s_cbranch_execz .LBB174_314
; %bb.313:                              ;   in Loop: Header=BB174_312 Depth=2
	v_mul_lo_u32 v8, v5, s58
	v_mul_lo_u32 v9, v4, s59
	v_mad_u64_u32 v[6:7], s[6:7], v4, s58, 0
	v_add3_u32 v7, v7, v9, v8
	v_lshlrev_b64 v[6:7], 1, v[6:7]
	v_mov_b32_e32 v8, s88
	v_add_co_u32_e64 v6, s[6:7], s33, v6
	v_addc_co_u32_e64 v7, s[6:7], v8, v7, s[6:7]
	global_load_ushort v6, v[6:7], off
.LBB174_314:                            ;   in Loop: Header=BB174_312 Depth=2
	s_or_b64 exec, exec, s[20:21]
	s_and_saveexec_b64 s[6:7], vcc
	s_cbranch_execz .LBB174_311
; %bb.315:                              ;   in Loop: Header=BB174_312 Depth=2
	s_waitcnt vmcnt(0)
	v_add_u32_sdwa v7, sext(v6), s75 dst_sel:DWORD dst_unused:UNUSED_PAD src0_sel:WORD_0 src1_sel:DWORD
	v_and_b32_e32 v7, v7, v34
	v_cmp_eq_u32_e32 vcc, v7, v35
	s_and_b64 exec, exec, vcc
	s_cbranch_execz .LBB174_311
; %bb.316:                              ;   in Loop: Header=BB174_312 Depth=2
	v_perm_b32 v6, v6, 1, v33
	ds_write_b32 v15, v6 offset:3072
	s_branch .LBB174_311
.LBB174_317:                            ;   in Loop: Header=BB174_18 Depth=1
	s_or_b64 exec, exec, s[12:13]
	v_lshrrev_b32_e32 v36, 16, v6
	s_and_b64 s[6:7], s[14:15], exec
.LBB174_318:                            ;   in Loop: Header=BB174_18 Depth=1
	s_or_b64 exec, exec, s[10:11]
	s_mov_b64 s[38:39], 0
	s_mov_b64 s[14:15], -1
	s_mov_b64 s[20:21], 0
.LBB174_319:                            ;   in Loop: Header=BB174_18 Depth=1
	s_orn2_b64 s[6:7], s[6:7], exec
.LBB174_320:                            ;   in Loop: Header=BB174_18 Depth=1
	s_or_b64 exec, exec, s[30:31]
                                        ; implicit-def: $vgpr6
                                        ; implicit-def: $vgpr2_vgpr3
                                        ; implicit-def: $vgpr8
                                        ; implicit-def: $vgpr9
                                        ; implicit-def: $vgpr20
	s_and_saveexec_b64 s[34:35], s[6:7]
	s_cbranch_execz .LBB174_483
; %bb.321:                              ;   in Loop: Header=BB174_18 Depth=1
	v_mov_b32_e32 v2, 1
	s_xor_b64 s[8:9], s[8:9], -1
	s_mov_b64 s[36:37], 0
	v_mov_b32_e32 v3, 0
	v_mov_b32_e32 v6, 1
	s_and_saveexec_b64 s[6:7], s[8:9]
	s_cbranch_execz .LBB174_331
; %bb.322:                              ;   in Loop: Header=BB174_18 Depth=1
	v_cmp_ge_u64_e32 vcc, s[24:25], v[18:19]
                                        ; implicit-def: $sgpr12
                                        ; implicit-def: $sgpr8_sgpr9
	s_and_saveexec_b64 s[10:11], vcc
	s_xor_b64 s[10:11], exec, s[10:11]
	s_cbranch_execz .LBB174_328
; %bb.323:                              ;   in Loop: Header=BB174_18 Depth=1
	ds_read_b64 v[2:3], v15 offset:5120
	s_waitcnt lgkmcnt(0)
	v_cmp_ne_u64_e32 vcc, 0, v[2:3]
	s_cbranch_vccnz .LBB174_327
; %bb.324:                              ;   in Loop: Header=BB174_18 Depth=1
	s_mov_b64 s[8:9], exec
	v_readlane_b32 s12, v47, 32
	v_readlane_b32 s13, v47, 33
	s_and_b64 s[12:13], s[8:9], s[12:13]
	s_mov_b64 exec, s[12:13]
	s_cbranch_execz .LBB174_326
; %bb.325:                              ;   in Loop: Header=BB174_18 Depth=1
	v_pk_mov_b32 v[2:3], s[24:25], s[24:25] op_sel:[0,1]
	ds_write_b64 v15, v[2:3] offset:5128
.LBB174_326:                            ;   in Loop: Header=BB174_18 Depth=1
	s_or_b64 exec, exec, s[8:9]
	s_waitcnt lgkmcnt(0)
	s_barrier
.LBB174_327:                            ;   in Loop: Header=BB174_18 Depth=1
	v_or_b32_e32 v35, s90, v35
	v_or_b32_e32 v34, s90, v34
	s_mov_b64 s[8:9], 0
	s_mov_b32 s12, 5
.LBB174_328:                            ;   in Loop: Header=BB174_18 Depth=1
	s_or_saveexec_b64 s[10:11], s[10:11]
	v_mov_b32_e32 v6, s12
	s_xor_b64 exec, exec, s[10:11]
; %bb.329:                              ;   in Loop: Header=BB174_18 Depth=1
	v_mov_b32_e32 v2, s25
	v_subrev_co_u32_e32 v18, vcc, s24, v18
	v_subb_co_u32_e32 v19, vcc, v19, v2, vcc
	v_mov_b32_e32 v6, 0
	s_or_b64 s[8:9], s[8:9], exec
; %bb.330:                              ;   in Loop: Header=BB174_18 Depth=1
	s_or_b64 exec, exec, s[10:11]
	s_and_b64 s[36:37], s[8:9], exec
	v_pk_mov_b32 v[2:3], v[18:19], v[18:19] op_sel:[0,1]
.LBB174_331:                            ;   in Loop: Header=BB174_18 Depth=1
	s_or_b64 exec, exec, s[6:7]
	s_mov_b64 s[30:31], -1
                                        ; implicit-def: $sgpr8_sgpr9
                                        ; implicit-def: $sgpr10_sgpr11
                                        ; implicit-def: $sgpr12_sgpr13
	s_and_saveexec_b64 s[6:7], s[36:37]
	s_xor_b64 s[24:25], exec, s[6:7]
	s_cbranch_execz .LBB174_480
; %bb.332:                              ;   in Loop: Header=BB174_18 Depth=1
	s_cmp_eq_u64 s[22:23], 1
	s_cselect_b64 s[6:7], -1, 0
	v_cmp_eq_u64_e32 vcc, 1, v[2:3]
	s_and_b64 s[8:9], s[6:7], vcc
	s_mov_b64 s[10:11], -1
                                        ; implicit-def: $sgpr36_sgpr37
                                        ; implicit-def: $sgpr40_sgpr41
                                        ; implicit-def: $sgpr42_sgpr43
	s_and_saveexec_b64 s[30:31], s[8:9]
	s_cbranch_execz .LBB174_366
; %bb.333:                              ;   in Loop: Header=BB174_18 Depth=1
	ds_read_b64 v[4:5], v15 offset:5120
	s_waitcnt lgkmcnt(0)
	s_barrier
	v_readfirstlane_b32 s10, v4
	v_readfirstlane_b32 s11, v5
	s_mov_b64 s[6:7], exec
	v_readlane_b32 s12, v47, 48
	v_readlane_b32 s13, v47, 49
	s_and_b64 s[12:13], s[6:7], s[12:13]
	s_mov_b64 exec, s[12:13]
	s_cbranch_execz .LBB174_335
; %bb.334:                              ;   in Loop: Header=BB174_18 Depth=1
	ds_write_b16 v29, v15
.LBB174_335:                            ;   in Loop: Header=BB174_18 Depth=1
	s_or_b64 exec, exec, s[6:7]
	v_and_b32_e32 v4, s48, v35
	v_lshl_or_b32 v35, 2, s49, v4
	v_or_b32_e32 v34, s90, v34
	s_cmp_eq_u64 s[10:11], 0
	s_waitcnt lgkmcnt(0)
	s_barrier
	s_cbranch_scc1 .LBB174_349
; %bb.336:                              ;   in Loop: Header=BB174_18 Depth=1
	v_readlane_b32 s6, v47, 52
	s_add_u32 s36, s6, s10
	v_readlane_b32 s6, v47, 54
	s_addc_u32 s7, s6, s11
	s_mov_b32 s6, s91
	s_cmp_lg_u64 s[6:7], 0
	s_cbranch_scc0 .LBB174_393
; %bb.337:                              ;   in Loop: Header=BB174_18 Depth=1
	v_cvt_f32_u32_e32 v4, s89
	s_sub_u32 s6, 0, s89
	s_subb_u32 s12, 0, 0
	v_mac_f32_e32 v4, 0, v32
	v_rcp_f32_e32 v4, v4
	v_mul_f32_e32 v4, 0x5f7ffffc, v4
	v_mul_f32_e32 v5, 0x2f800000, v4
	v_trunc_f32_e32 v5, v5
	v_mac_f32_e32 v4, 0xcf800000, v5
	v_cvt_u32_f32_e32 v5, v5
	v_cvt_u32_f32_e32 v4, v4
	v_readfirstlane_b32 s13, v5
	v_readfirstlane_b32 s37, v4
	s_mul_i32 s40, s6, s13
	s_mul_hi_u32 s42, s6, s37
	s_mul_i32 s41, s12, s37
	s_add_i32 s40, s42, s40
	s_mul_i32 s43, s6, s37
	s_add_i32 s40, s40, s41
	s_mul_hi_u32 s42, s37, s43
	s_mul_hi_u32 s41, s37, s40
	s_mul_i32 s37, s37, s40
	s_add_u32 s37, s42, s37
	s_addc_u32 s41, 0, s41
	s_mul_hi_u32 s44, s13, s43
	s_mul_i32 s43, s13, s43
	s_add_u32 s37, s37, s43
	s_mul_hi_u32 s42, s13, s40
	s_addc_u32 s37, s41, s44
	s_addc_u32 s41, s42, 0
	s_mul_i32 s40, s13, s40
	s_add_u32 s37, s37, s40
	s_addc_u32 s40, 0, s41
	v_add_co_u32_e32 v4, vcc, s37, v4
	s_cmp_lg_u64 vcc, 0
	s_addc_u32 s13, s13, s40
	v_readfirstlane_b32 s40, v4
	s_mul_i32 s37, s6, s13
	s_mul_hi_u32 s41, s6, s40
	s_add_i32 s37, s41, s37
	s_mul_i32 s12, s12, s40
	s_add_i32 s37, s37, s12
	s_mul_i32 s6, s6, s40
	s_mul_hi_u32 s41, s13, s6
	s_mul_i32 s42, s13, s6
	s_mul_i32 s44, s40, s37
	s_mul_hi_u32 s6, s40, s6
	s_mul_hi_u32 s43, s40, s37
	s_add_u32 s6, s6, s44
	s_addc_u32 s40, 0, s43
	s_add_u32 s6, s6, s42
	s_mul_hi_u32 s12, s13, s37
	s_addc_u32 s6, s40, s41
	s_addc_u32 s12, s12, 0
	s_mul_i32 s37, s13, s37
	s_add_u32 s6, s6, s37
	s_addc_u32 s12, 0, s12
	v_add_co_u32_e32 v4, vcc, s6, v4
	s_cmp_lg_u64 vcc, 0
	s_addc_u32 s6, s13, s12
	v_readfirstlane_b32 s37, v4
	s_mul_i32 s13, s36, s6
	s_mul_hi_u32 s40, s36, s37
	s_mul_hi_u32 s12, s36, s6
	s_add_u32 s13, s40, s13
	s_addc_u32 s12, 0, s12
	s_mul_hi_u32 s41, s7, s37
	s_mul_i32 s37, s7, s37
	s_add_u32 s13, s13, s37
	s_mul_hi_u32 s40, s7, s6
	s_addc_u32 s12, s12, s41
	s_addc_u32 s13, s40, 0
	s_mul_i32 s6, s7, s6
	s_add_u32 s6, s12, s6
	s_addc_u32 s12, 0, s13
	s_mul_hi_u32 s13, s89, s6
	s_mul_i32 s6, s89, s6
	s_mul_i32 s12, s89, s12
	v_mov_b32_e32 v4, s6
	s_add_i32 s13, s13, s12
	v_sub_co_u32_e32 v4, vcc, s36, v4
	s_cmp_lg_u64 vcc, 0
	s_subb_u32 s6, s7, s13
	v_subrev_co_u32_e32 v5, vcc, s89, v4
	s_cmp_lg_u64 vcc, 0
	s_subb_u32 s12, s6, 0
	v_subrev_co_u32_e32 v6, vcc, s89, v5
	s_cmp_lg_u64 vcc, 0
	s_subb_u32 s13, s12, 0
	v_cmp_le_u32_e32 vcc, s89, v5
	s_cmp_eq_u32 s12, 0
	v_cndmask_b32_e64 v7, 0, -1, vcc
	s_cselect_b64 vcc, -1, 0
	v_cndmask_b32_e32 v7, -1, v7, vcc
	v_mov_b32_e32 v8, s12
	v_mov_b32_e32 v9, s13
	v_cmp_ne_u32_e32 vcc, 0, v7
	v_cndmask_b32_e32 v7, v8, v9, vcc
	v_cndmask_b32_e32 v6, v5, v6, vcc
	v_cmp_le_u32_e32 vcc, s89, v4
	s_cmp_eq_u32 s6, 0
	v_cndmask_b32_e64 v5, 0, -1, vcc
	s_cselect_b64 vcc, -1, 0
	v_cndmask_b32_e32 v5, -1, v5, vcc
	v_mov_b32_e32 v8, s6
	v_cmp_ne_u32_e32 vcc, 0, v5
	v_cndmask_b32_e32 v5, v8, v7, vcc
	v_cndmask_b32_e32 v4, v4, v6, vcc
	s_cbranch_execnz .LBB174_339
.LBB174_338:                            ;   in Loop: Header=BB174_18 Depth=1
	v_cvt_f32_u32_e32 v4, s89
	s_sub_i32 s6, 0, s89
	v_rcp_iflag_f32_e32 v4, v4
	v_mul_f32_e32 v4, 0x4f7ffffe, v4
	v_cvt_u32_f32_e32 v4, v4
	v_mul_lo_u32 v5, s6, v4
	v_mul_hi_u32 v5, v4, v5
	v_add_u32_e32 v4, v4, v5
	v_mul_hi_u32 v4, s36, v4
	v_mul_lo_u32 v4, v4, s89
	v_sub_u32_e32 v4, s36, v4
	v_subrev_u32_e32 v5, s89, v4
	v_cmp_le_u32_e32 vcc, s89, v4
	v_cndmask_b32_e32 v4, v4, v5, vcc
	v_subrev_u32_e32 v5, s89, v4
	v_cmp_le_u32_e32 vcc, s89, v4
	v_cndmask_b32_e32 v14, v4, v5, vcc
	v_pk_mov_b32 v[4:5], v[14:15], v[14:15] op_sel:[0,1]
.LBB174_339:                            ;   in Loop: Header=BB174_18 Depth=1
	v_mov_b32_e32 v6, s7
	v_sub_co_u32_e32 v4, vcc, s36, v4
	v_subb_co_u32_e32 v5, vcc, v6, v5, vcc
	v_cmp_gt_u64_e32 vcc, v[4:5], v[0:1]
	s_mov_b64 s[6:7], 0
                                        ; implicit-def: $vgpr36
	s_and_saveexec_b64 s[12:13], vcc
	s_cbranch_execz .LBB174_351
; %bb.340:                              ;   in Loop: Header=BB174_18 Depth=1
	s_mov_b64 s[36:37], 0
	v_mov_b32_e32 v8, v28
	v_pk_mov_b32 v[6:7], v[0:1], v[0:1] op_sel:[0,1]
                                        ; implicit-def: $sgpr40_sgpr41
	s_branch .LBB174_342
.LBB174_341:                            ;   in Loop: Header=BB174_342 Depth=2
	s_or_b64 exec, exec, s[6:7]
	s_waitcnt lgkmcnt(0)
	s_barrier
	ds_read_b32 v9, v15 offset:3072
	v_mov_b32_e32 v14, s74
	v_add_co_u32_e64 v6, s[6:7], s89, v6
	v_addc_co_u32_e64 v7, s[6:7], v7, v14, s[6:7]
	s_waitcnt lgkmcnt(0)
	v_cmp_ne_u16_e32 vcc, 0, v9
	v_cmp_ge_u64_e64 s[6:7], v[6:7], v[4:5]
	s_or_b64 s[6:7], s[6:7], vcc
	s_and_b64 s[6:7], exec, s[6:7]
	s_or_b64 s[36:37], s[6:7], s[36:37]
	s_andn2_b64 s[6:7], s[40:41], exec
	s_and_b64 s[40:41], vcc, exec
	v_add_u32_e32 v8, s5, v8
	s_or_b64 s[40:41], s[6:7], s[40:41]
	s_barrier
	s_andn2_b64 exec, exec, s[36:37]
	s_cbranch_execz .LBB174_350
.LBB174_342:                            ;   Parent Loop BB174_18 Depth=1
                                        ; =>  This Inner Loop Header: Depth=2
	v_cmp_gt_u64_e32 vcc, s[10:11], v[6:7]
	v_mov_b32_e32 v9, 0
	s_and_saveexec_b64 s[6:7], vcc
	s_cbranch_execz .LBB174_344
; %bb.343:                              ;   in Loop: Header=BB174_342 Depth=2
	ds_read_u16 v9, v8
.LBB174_344:                            ;   in Loop: Header=BB174_342 Depth=2
	s_or_b64 exec, exec, s[6:7]
	s_and_saveexec_b64 s[6:7], vcc
	s_cbranch_execz .LBB174_341
; %bb.345:                              ;   in Loop: Header=BB174_342 Depth=2
	s_waitcnt lgkmcnt(0)
	v_add_u32_sdwa v14, sext(v9), s75 dst_sel:DWORD dst_unused:UNUSED_PAD src0_sel:WORD_0 src1_sel:DWORD
	v_and_b32_e32 v14, v14, v34
	v_cmp_eq_u32_e32 vcc, v14, v35
	s_and_b64 exec, exec, vcc
	s_cbranch_execz .LBB174_341
; %bb.346:                              ;   in Loop: Header=BB174_342 Depth=2
	v_perm_b32 v9, v9, 1, v33
	ds_write_b32 v15, v9 offset:3072
	s_branch .LBB174_341
.LBB174_347:                            ;   in Loop: Header=BB174_18 Depth=1
                                        ; implicit-def: $vgpr2_vgpr3
	s_branch .LBB174_294
.LBB174_348:                            ;   in Loop: Header=BB174_18 Depth=1
                                        ; implicit-def: $vgpr2_vgpr3
	s_branch .LBB174_308
.LBB174_349:                            ;   in Loop: Header=BB174_18 Depth=1
	s_mov_b64 s[36:37], -1
	s_mov_b64 s[6:7], 0
                                        ; implicit-def: $sgpr40_sgpr41
                                        ; implicit-def: $vgpr36
	s_mov_b64 s[42:43], s[36:37]
	s_cbranch_execnz .LBB174_352
	s_branch .LBB174_365
.LBB174_350:                            ;   in Loop: Header=BB174_18 Depth=1
	s_or_b64 exec, exec, s[36:37]
	v_lshrrev_b32_e32 v36, 16, v9
	s_and_b64 s[6:7], s[40:41], exec
.LBB174_351:                            ;   in Loop: Header=BB174_18 Depth=1
	s_or_b64 exec, exec, s[12:13]
	s_mov_b64 s[36:37], 0
	s_mov_b64 s[40:41], -1
	s_mov_b64 s[42:43], s[36:37]
	s_branch .LBB174_365
.LBB174_352:                            ;   in Loop: Header=BB174_18 Depth=1
	v_readlane_b32 s40, v47, 55
	v_readlane_b32 s41, v47, 56
	s_mov_b32 s40, s91
	s_cmp_lg_u64 s[40:41], 0
	v_writelane_b32 v47, s40, 55
	v_writelane_b32 v47, s41, 56
	s_cbranch_scc0 .LBB174_394
; %bb.353:                              ;   in Loop: Header=BB174_18 Depth=1
	v_cvt_f32_u32_e32 v4, s89
	s_sub_u32 s6, 0, s89
	s_subb_u32 s7, 0, 0
	v_mac_f32_e32 v4, 0, v32
	v_rcp_f32_e32 v4, v4
	v_mul_f32_e32 v4, 0x5f7ffffc, v4
	v_mul_f32_e32 v5, 0x2f800000, v4
	v_trunc_f32_e32 v5, v5
	v_mac_f32_e32 v4, 0xcf800000, v5
	v_cvt_u32_f32_e32 v5, v5
	v_cvt_u32_f32_e32 v4, v4
	v_readfirstlane_b32 s10, v5
	v_readfirstlane_b32 s11, v4
	s_mul_i32 s12, s6, s10
	s_mul_hi_u32 s36, s6, s11
	s_mul_i32 s13, s7, s11
	s_add_i32 s12, s36, s12
	s_mul_i32 s37, s6, s11
	s_add_i32 s12, s12, s13
	s_mul_hi_u32 s36, s11, s37
	s_mul_hi_u32 s13, s11, s12
	s_mul_i32 s11, s11, s12
	s_add_u32 s11, s36, s11
	s_addc_u32 s13, 0, s13
	s_mul_hi_u32 s40, s10, s37
	s_mul_i32 s37, s10, s37
	s_add_u32 s11, s11, s37
	s_mul_hi_u32 s36, s10, s12
	s_addc_u32 s11, s13, s40
	s_addc_u32 s13, s36, 0
	s_mul_i32 s12, s10, s12
	s_add_u32 s11, s11, s12
	s_addc_u32 s12, 0, s13
	v_add_co_u32_e32 v4, vcc, s11, v4
	s_cmp_lg_u64 vcc, 0
	s_addc_u32 s10, s10, s12
	v_readfirstlane_b32 s12, v4
	s_mul_i32 s11, s6, s10
	s_mul_hi_u32 s13, s6, s12
	s_add_i32 s11, s13, s11
	s_mul_i32 s7, s7, s12
	s_add_i32 s11, s11, s7
	s_mul_i32 s6, s6, s12
	s_mul_hi_u32 s13, s10, s6
	s_mul_i32 s36, s10, s6
	s_mul_i32 s40, s12, s11
	s_mul_hi_u32 s6, s12, s6
	s_mul_hi_u32 s37, s12, s11
	s_add_u32 s6, s6, s40
	s_addc_u32 s12, 0, s37
	s_add_u32 s6, s6, s36
	s_mul_hi_u32 s7, s10, s11
	s_addc_u32 s6, s12, s13
	s_addc_u32 s7, s7, 0
	s_mul_i32 s11, s10, s11
	s_add_u32 s6, s6, s11
	s_addc_u32 s7, 0, s7
	v_add_co_u32_e32 v4, vcc, s6, v4
	s_cmp_lg_u64 vcc, 0
	s_addc_u32 s6, s10, s7
	v_readlane_b32 s36, v47, 53
	v_readfirstlane_b32 s11, v4
	s_mul_i32 s10, s36, s6
	s_mul_hi_u32 s12, s36, s11
	s_mul_hi_u32 s7, s36, s6
	s_add_u32 s10, s12, s10
	s_addc_u32 s7, 0, s7
	s_mul_hi_u32 s13, s41, s11
	s_mul_i32 s11, s41, s11
	s_add_u32 s10, s10, s11
	s_mul_hi_u32 s12, s41, s6
	s_addc_u32 s7, s7, s13
	s_addc_u32 s10, s12, 0
	s_mul_i32 s6, s41, s6
	s_add_u32 s6, s7, s6
	s_addc_u32 s7, 0, s10
	s_mul_hi_u32 s10, s89, s6
	s_mul_i32 s6, s89, s6
	s_mul_i32 s7, s89, s7
	v_mov_b32_e32 v4, s6
	s_add_i32 s10, s10, s7
	v_sub_co_u32_e32 v4, vcc, s36, v4
	s_cmp_lg_u64 vcc, 0
	s_subb_u32 s6, s41, s10
	v_subrev_co_u32_e32 v5, vcc, s89, v4
	s_cmp_lg_u64 vcc, 0
	s_subb_u32 s7, s6, 0
	v_subrev_co_u32_e32 v6, vcc, s89, v5
	s_cmp_lg_u64 vcc, 0
	s_subb_u32 s10, s7, 0
	v_cmp_le_u32_e32 vcc, s89, v5
	s_cmp_eq_u32 s7, 0
	v_cndmask_b32_e64 v7, 0, -1, vcc
	s_cselect_b64 vcc, -1, 0
	v_cndmask_b32_e32 v7, -1, v7, vcc
	v_mov_b32_e32 v8, s7
	v_mov_b32_e32 v9, s10
	v_cmp_ne_u32_e32 vcc, 0, v7
	v_cndmask_b32_e32 v7, v8, v9, vcc
	v_cndmask_b32_e32 v6, v5, v6, vcc
	v_cmp_le_u32_e32 vcc, s89, v4
	s_cmp_eq_u32 s6, 0
	v_cndmask_b32_e64 v5, 0, -1, vcc
	s_cselect_b64 vcc, -1, 0
	v_cndmask_b32_e32 v5, -1, v5, vcc
	v_mov_b32_e32 v8, s6
	v_cmp_ne_u32_e32 vcc, 0, v5
	v_cndmask_b32_e32 v5, v8, v7, vcc
	v_cndmask_b32_e32 v4, v4, v6, vcc
	s_cbranch_execnz .LBB174_355
.LBB174_354:                            ;   in Loop: Header=BB174_18 Depth=1
	v_cvt_f32_u32_e32 v4, s89
	s_sub_i32 s6, 0, s89
	v_rcp_iflag_f32_e32 v4, v4
	v_mul_f32_e32 v4, 0x4f7ffffe, v4
	v_cvt_u32_f32_e32 v4, v4
	v_mul_lo_u32 v5, s6, v4
	v_mul_hi_u32 v5, v4, v5
	v_add_u32_e32 v4, v4, v5
	v_readlane_b32 s6, v47, 53
	v_mul_hi_u32 v4, s6, v4
	v_mul_lo_u32 v4, v4, s89
	v_sub_u32_e32 v4, s6, v4
	v_subrev_u32_e32 v5, s89, v4
	v_cmp_le_u32_e32 vcc, s89, v4
	v_cndmask_b32_e32 v4, v4, v5, vcc
	v_subrev_u32_e32 v5, s89, v4
	v_cmp_le_u32_e32 vcc, s89, v4
	v_cndmask_b32_e32 v14, v4, v5, vcc
	v_pk_mov_b32 v[4:5], v[14:15], v[14:15] op_sel:[0,1]
.LBB174_355:                            ;   in Loop: Header=BB174_18 Depth=1
	v_readlane_b32 s6, v47, 55
	v_readlane_b32 s7, v47, 56
	;; [unrolled: 1-line block ×3, first 2 shown]
	v_mov_b32_e32 v6, s7
	v_sub_co_u32_e32 v4, vcc, s6, v4
	v_subb_co_u32_e32 v5, vcc, v6, v5, vcc
	v_cmp_gt_u64_e32 vcc, v[4:5], v[0:1]
	s_mov_b64 s[6:7], 0
                                        ; implicit-def: $vgpr36
	s_and_saveexec_b64 s[10:11], vcc
	s_cbranch_execz .LBB174_364
; %bb.356:                              ;   in Loop: Header=BB174_18 Depth=1
	s_mov_b64 s[12:13], 0
	v_pk_mov_b32 v[6:7], v[0:1], v[0:1] op_sel:[0,1]
                                        ; implicit-def: $sgpr36_sgpr37
	s_branch .LBB174_358
.LBB174_357:                            ;   in Loop: Header=BB174_358 Depth=2
	s_or_b64 exec, exec, s[6:7]
	s_waitcnt lgkmcnt(0)
	s_barrier
	s_waitcnt vmcnt(0)
	ds_read_b32 v8, v15 offset:3072
	v_mov_b32_e32 v9, s74
	v_add_co_u32_e64 v6, s[6:7], s89, v6
	v_addc_co_u32_e64 v7, s[6:7], v7, v9, s[6:7]
	s_waitcnt lgkmcnt(0)
	v_cmp_ne_u16_e32 vcc, 0, v8
	v_cmp_ge_u64_e64 s[6:7], v[6:7], v[4:5]
	s_or_b64 s[6:7], s[6:7], vcc
	s_and_b64 s[6:7], exec, s[6:7]
	s_or_b64 s[12:13], s[6:7], s[12:13]
	s_andn2_b64 s[6:7], s[36:37], exec
	s_and_b64 s[36:37], vcc, exec
	s_or_b64 s[36:37], s[6:7], s[36:37]
	s_barrier
	s_andn2_b64 exec, exec, s[12:13]
	s_cbranch_execz .LBB174_363
.LBB174_358:                            ;   Parent Loop BB174_18 Depth=1
                                        ; =>  This Inner Loop Header: Depth=2
	v_cmp_gt_u64_e32 vcc, s[60:61], v[6:7]
	v_mov_b32_e32 v8, 0
	s_and_saveexec_b64 s[40:41], vcc
	s_cbranch_execz .LBB174_360
; %bb.359:                              ;   in Loop: Header=BB174_358 Depth=2
	v_mul_lo_u32 v14, v7, s58
	v_mul_lo_u32 v18, v6, s59
	v_mad_u64_u32 v[8:9], s[6:7], v6, s58, 0
	v_add3_u32 v9, v9, v18, v14
	v_lshlrev_b64 v[8:9], 1, v[8:9]
	v_mov_b32_e32 v14, s88
	v_add_co_u32_e64 v8, s[6:7], s33, v8
	v_addc_co_u32_e64 v9, s[6:7], v14, v9, s[6:7]
	global_load_ushort v8, v[8:9], off
.LBB174_360:                            ;   in Loop: Header=BB174_358 Depth=2
	s_or_b64 exec, exec, s[40:41]
	s_and_saveexec_b64 s[6:7], vcc
	s_cbranch_execz .LBB174_357
; %bb.361:                              ;   in Loop: Header=BB174_358 Depth=2
	s_waitcnt vmcnt(0)
	v_add_u32_sdwa v9, sext(v8), s75 dst_sel:DWORD dst_unused:UNUSED_PAD src0_sel:WORD_0 src1_sel:DWORD
	v_and_b32_e32 v9, v9, v34
	v_cmp_eq_u32_e32 vcc, v9, v35
	s_and_b64 exec, exec, vcc
	s_cbranch_execz .LBB174_357
; %bb.362:                              ;   in Loop: Header=BB174_358 Depth=2
	v_perm_b32 v8, v8, 1, v33
	ds_write_b32 v15, v8 offset:3072
	s_branch .LBB174_357
.LBB174_363:                            ;   in Loop: Header=BB174_18 Depth=1
	s_or_b64 exec, exec, s[12:13]
	v_lshrrev_b32_e32 v36, 16, v8
	s_and_b64 s[6:7], s[36:37], exec
.LBB174_364:                            ;   in Loop: Header=BB174_18 Depth=1
	s_or_b64 exec, exec, s[10:11]
	s_mov_b64 s[40:41], 0
	s_mov_b64 s[36:37], -1
	s_mov_b64 s[42:43], 0
.LBB174_365:                            ;   in Loop: Header=BB174_18 Depth=1
	s_orn2_b64 s[10:11], s[6:7], exec
.LBB174_366:                            ;   in Loop: Header=BB174_18 Depth=1
	s_or_b64 exec, exec, s[30:31]
	s_mov_b64 s[6:7], 0
                                        ; implicit-def: $vgpr6
	s_and_saveexec_b64 s[44:45], s[10:11]
	s_cbranch_execz .LBB174_479
; %bb.367:                              ;   in Loop: Header=BB174_18 Depth=1
	v_mov_b32_e32 v4, 1
	s_xor_b64 s[8:9], s[8:9], -1
	s_mov_b64 s[30:31], 0
	v_mov_b32_e32 v5, 0
	v_mov_b32_e32 v6, 1
	s_and_saveexec_b64 s[6:7], s[8:9]
	s_cbranch_execz .LBB174_377
; %bb.368:                              ;   in Loop: Header=BB174_18 Depth=1
	v_cmp_ge_u64_e32 vcc, s[22:23], v[2:3]
                                        ; implicit-def: $sgpr12
                                        ; implicit-def: $sgpr8_sgpr9
	s_and_saveexec_b64 s[10:11], vcc
	s_xor_b64 s[10:11], exec, s[10:11]
	s_cbranch_execz .LBB174_374
; %bb.369:                              ;   in Loop: Header=BB174_18 Depth=1
	ds_read_b64 v[4:5], v15 offset:5120
	s_waitcnt lgkmcnt(0)
	v_cmp_ne_u64_e32 vcc, 0, v[4:5]
	s_cbranch_vccnz .LBB174_373
; %bb.370:                              ;   in Loop: Header=BB174_18 Depth=1
	s_mov_b64 s[8:9], exec
	v_readlane_b32 s12, v47, 32
	v_readlane_b32 s13, v47, 33
	s_and_b64 s[12:13], s[8:9], s[12:13]
	s_mov_b64 exec, s[12:13]
	s_cbranch_execz .LBB174_372
; %bb.371:                              ;   in Loop: Header=BB174_18 Depth=1
	v_pk_mov_b32 v[4:5], s[22:23], s[22:23] op_sel:[0,1]
	ds_write_b64 v15, v[4:5] offset:5128
.LBB174_372:                            ;   in Loop: Header=BB174_18 Depth=1
	s_or_b64 exec, exec, s[8:9]
	s_waitcnt lgkmcnt(0)
	s_barrier
.LBB174_373:                            ;   in Loop: Header=BB174_18 Depth=1
	v_and_b32_e32 v4, s48, v35
	v_lshl_or_b32 v35, 2, s49, v4
	v_or_b32_e32 v34, s90, v34
	s_mov_b64 s[8:9], 0
	s_mov_b32 s12, 5
.LBB174_374:                            ;   in Loop: Header=BB174_18 Depth=1
	s_or_saveexec_b64 s[10:11], s[10:11]
	v_mov_b32_e32 v6, s12
	s_xor_b64 exec, exec, s[10:11]
; %bb.375:                              ;   in Loop: Header=BB174_18 Depth=1
	v_mov_b32_e32 v4, s23
	v_subrev_co_u32_e32 v2, vcc, s22, v2
	v_subb_co_u32_e32 v3, vcc, v3, v4, vcc
	v_mov_b32_e32 v6, 0
	s_or_b64 s[8:9], s[8:9], exec
; %bb.376:                              ;   in Loop: Header=BB174_18 Depth=1
	s_or_b64 exec, exec, s[10:11]
	s_and_b64 s[30:31], s[8:9], exec
	v_pk_mov_b32 v[4:5], v[2:3], v[2:3] op_sel:[0,1]
.LBB174_377:                            ;   in Loop: Header=BB174_18 Depth=1
	s_or_b64 exec, exec, s[6:7]
	s_mov_b64 s[6:7], -1
                                        ; implicit-def: $sgpr8_sgpr9
                                        ; implicit-def: $sgpr10_sgpr11
                                        ; implicit-def: $sgpr12_sgpr13
	s_and_saveexec_b64 s[22:23], s[30:31]
	s_cbranch_execz .LBB174_478
; %bb.378:                              ;   in Loop: Header=BB174_18 Depth=1
	s_cmp_eq_u64 s[18:19], 1
	s_cselect_b64 s[6:7], -1, 0
	v_cmp_eq_u64_e32 vcc, 1, v[4:5]
	s_and_b64 s[8:9], s[6:7], vcc
	s_mov_b64 s[10:11], -1
                                        ; implicit-def: $sgpr30_sgpr31
                                        ; implicit-def: $sgpr46_sgpr47
                                        ; implicit-def: $sgpr92_sgpr93
	s_and_saveexec_b64 s[50:51], s[8:9]
	s_cbranch_execz .LBB174_412
; %bb.379:                              ;   in Loop: Header=BB174_18 Depth=1
	ds_read_b64 v[2:3], v15 offset:5120
	s_waitcnt lgkmcnt(0)
	s_barrier
	v_readfirstlane_b32 s10, v2
	v_readfirstlane_b32 s11, v3
	s_mov_b64 s[6:7], exec
	v_readlane_b32 s12, v47, 48
	v_readlane_b32 s13, v47, 49
	s_and_b64 s[12:13], s[6:7], s[12:13]
	s_mov_b64 exec, s[12:13]
	s_cbranch_execz .LBB174_381
; %bb.380:                              ;   in Loop: Header=BB174_18 Depth=1
	ds_write_b16 v29, v15
.LBB174_381:                            ;   in Loop: Header=BB174_18 Depth=1
	s_or_b64 exec, exec, s[6:7]
	v_and_b32_e32 v2, s48, v35
	v_lshl_or_b32 v35, 1, s49, v2
	v_or_b32_e32 v34, s90, v34
	s_cmp_eq_u64 s[10:11], 0
	s_waitcnt lgkmcnt(0)
	s_barrier
	s_cbranch_scc1 .LBB174_395
; %bb.382:                              ;   in Loop: Header=BB174_18 Depth=1
	v_readlane_b32 s6, v47, 52
	s_add_u32 s30, s6, s10
	v_readlane_b32 s6, v47, 54
	s_addc_u32 s7, s6, s11
	s_mov_b32 s6, s91
	s_cmp_lg_u64 s[6:7], 0
	s_cbranch_scc0 .LBB174_430
; %bb.383:                              ;   in Loop: Header=BB174_18 Depth=1
	v_cvt_f32_u32_e32 v2, s89
	s_sub_u32 s6, 0, s89
	s_subb_u32 s12, 0, 0
	v_mac_f32_e32 v2, 0, v32
	v_rcp_f32_e32 v2, v2
	v_mul_f32_e32 v2, 0x5f7ffffc, v2
	v_mul_f32_e32 v3, 0x2f800000, v2
	v_trunc_f32_e32 v3, v3
	v_mac_f32_e32 v2, 0xcf800000, v3
	v_cvt_u32_f32_e32 v3, v3
	v_cvt_u32_f32_e32 v2, v2
	v_readfirstlane_b32 s13, v3
	v_readfirstlane_b32 s31, v2
	s_mul_i32 s46, s6, s13
	s_mul_hi_u32 s52, s6, s31
	s_mul_i32 s47, s12, s31
	s_add_i32 s46, s52, s46
	s_mul_i32 s53, s6, s31
	s_add_i32 s46, s46, s47
	s_mul_hi_u32 s52, s31, s53
	s_mul_hi_u32 s47, s31, s46
	s_mul_i32 s31, s31, s46
	s_add_u32 s31, s52, s31
	s_addc_u32 s47, 0, s47
	s_mul_hi_u32 s54, s13, s53
	s_mul_i32 s53, s13, s53
	s_add_u32 s31, s31, s53
	s_mul_hi_u32 s52, s13, s46
	s_addc_u32 s31, s47, s54
	s_addc_u32 s47, s52, 0
	s_mul_i32 s46, s13, s46
	s_add_u32 s31, s31, s46
	s_addc_u32 s46, 0, s47
	v_add_co_u32_e32 v2, vcc, s31, v2
	s_cmp_lg_u64 vcc, 0
	s_addc_u32 s13, s13, s46
	v_readfirstlane_b32 s46, v2
	s_mul_i32 s31, s6, s13
	s_mul_hi_u32 s47, s6, s46
	s_add_i32 s31, s47, s31
	s_mul_i32 s12, s12, s46
	s_add_i32 s31, s31, s12
	s_mul_i32 s6, s6, s46
	s_mul_hi_u32 s47, s13, s6
	s_mul_i32 s52, s13, s6
	s_mul_i32 s54, s46, s31
	s_mul_hi_u32 s6, s46, s6
	s_mul_hi_u32 s53, s46, s31
	s_add_u32 s6, s6, s54
	s_addc_u32 s46, 0, s53
	s_add_u32 s6, s6, s52
	s_mul_hi_u32 s12, s13, s31
	s_addc_u32 s6, s46, s47
	s_addc_u32 s12, s12, 0
	s_mul_i32 s31, s13, s31
	s_add_u32 s6, s6, s31
	s_addc_u32 s12, 0, s12
	v_add_co_u32_e32 v2, vcc, s6, v2
	s_cmp_lg_u64 vcc, 0
	s_addc_u32 s6, s13, s12
	v_readfirstlane_b32 s31, v2
	s_mul_i32 s13, s30, s6
	s_mul_hi_u32 s46, s30, s31
	s_mul_hi_u32 s12, s30, s6
	s_add_u32 s13, s46, s13
	s_addc_u32 s12, 0, s12
	s_mul_hi_u32 s47, s7, s31
	s_mul_i32 s31, s7, s31
	s_add_u32 s13, s13, s31
	s_mul_hi_u32 s46, s7, s6
	s_addc_u32 s12, s12, s47
	s_addc_u32 s13, s46, 0
	s_mul_i32 s6, s7, s6
	s_add_u32 s6, s12, s6
	s_addc_u32 s12, 0, s13
	s_mul_hi_u32 s13, s89, s6
	s_mul_i32 s6, s89, s6
	s_mul_i32 s12, s89, s12
	v_mov_b32_e32 v2, s6
	s_add_i32 s13, s13, s12
	v_sub_co_u32_e32 v2, vcc, s30, v2
	s_cmp_lg_u64 vcc, 0
	s_subb_u32 s6, s7, s13
	v_subrev_co_u32_e32 v3, vcc, s89, v2
	s_cmp_lg_u64 vcc, 0
	s_subb_u32 s12, s6, 0
	v_subrev_co_u32_e32 v6, vcc, s89, v3
	s_cmp_lg_u64 vcc, 0
	s_subb_u32 s13, s12, 0
	v_cmp_le_u32_e32 vcc, s89, v3
	s_cmp_eq_u32 s12, 0
	v_cndmask_b32_e64 v7, 0, -1, vcc
	s_cselect_b64 vcc, -1, 0
	v_cndmask_b32_e32 v7, -1, v7, vcc
	v_mov_b32_e32 v8, s12
	v_mov_b32_e32 v9, s13
	v_cmp_ne_u32_e32 vcc, 0, v7
	v_cndmask_b32_e32 v7, v8, v9, vcc
	v_cndmask_b32_e32 v6, v3, v6, vcc
	v_cmp_le_u32_e32 vcc, s89, v2
	s_cmp_eq_u32 s6, 0
	v_cndmask_b32_e64 v3, 0, -1, vcc
	s_cselect_b64 vcc, -1, 0
	v_cndmask_b32_e32 v3, -1, v3, vcc
	v_mov_b32_e32 v8, s6
	v_cmp_ne_u32_e32 vcc, 0, v3
	v_cndmask_b32_e32 v3, v8, v7, vcc
	v_cndmask_b32_e32 v2, v2, v6, vcc
	s_cbranch_execnz .LBB174_385
.LBB174_384:                            ;   in Loop: Header=BB174_18 Depth=1
	v_cvt_f32_u32_e32 v2, s89
	s_sub_i32 s6, 0, s89
	v_rcp_iflag_f32_e32 v2, v2
	v_mul_f32_e32 v2, 0x4f7ffffe, v2
	v_cvt_u32_f32_e32 v2, v2
	v_mul_lo_u32 v3, s6, v2
	v_mul_hi_u32 v3, v2, v3
	v_add_u32_e32 v2, v2, v3
	v_mul_hi_u32 v2, s30, v2
	v_mul_lo_u32 v2, v2, s89
	v_sub_u32_e32 v2, s30, v2
	v_subrev_u32_e32 v3, s89, v2
	v_cmp_le_u32_e32 vcc, s89, v2
	v_cndmask_b32_e32 v2, v2, v3, vcc
	v_subrev_u32_e32 v3, s89, v2
	v_cmp_le_u32_e32 vcc, s89, v2
	v_cndmask_b32_e32 v14, v2, v3, vcc
	v_pk_mov_b32 v[2:3], v[14:15], v[14:15] op_sel:[0,1]
.LBB174_385:                            ;   in Loop: Header=BB174_18 Depth=1
	v_mov_b32_e32 v6, s7
	v_sub_co_u32_e32 v2, vcc, s30, v2
	v_subb_co_u32_e32 v3, vcc, v6, v3, vcc
	v_cmp_gt_u64_e32 vcc, v[2:3], v[0:1]
	s_mov_b64 s[6:7], 0
                                        ; implicit-def: $vgpr36
	s_and_saveexec_b64 s[12:13], vcc
	s_cbranch_execz .LBB174_397
; %bb.386:                              ;   in Loop: Header=BB174_18 Depth=1
	s_mov_b64 s[30:31], 0
	v_mov_b32_e32 v8, v28
	v_pk_mov_b32 v[6:7], v[0:1], v[0:1] op_sel:[0,1]
                                        ; implicit-def: $sgpr46_sgpr47
	s_branch .LBB174_388
.LBB174_387:                            ;   in Loop: Header=BB174_388 Depth=2
	s_or_b64 exec, exec, s[6:7]
	s_waitcnt lgkmcnt(0)
	s_barrier
	ds_read_b32 v9, v15 offset:3072
	v_mov_b32_e32 v14, s74
	v_add_co_u32_e64 v6, s[6:7], s89, v6
	v_addc_co_u32_e64 v7, s[6:7], v7, v14, s[6:7]
	s_waitcnt lgkmcnt(0)
	v_cmp_ne_u16_e32 vcc, 0, v9
	v_cmp_ge_u64_e64 s[6:7], v[6:7], v[2:3]
	s_or_b64 s[6:7], s[6:7], vcc
	s_and_b64 s[6:7], exec, s[6:7]
	s_or_b64 s[30:31], s[6:7], s[30:31]
	s_andn2_b64 s[6:7], s[46:47], exec
	s_and_b64 s[46:47], vcc, exec
	v_add_u32_e32 v8, s5, v8
	s_or_b64 s[46:47], s[6:7], s[46:47]
	s_barrier
	s_andn2_b64 exec, exec, s[30:31]
	s_cbranch_execz .LBB174_396
.LBB174_388:                            ;   Parent Loop BB174_18 Depth=1
                                        ; =>  This Inner Loop Header: Depth=2
	v_cmp_gt_u64_e32 vcc, s[10:11], v[6:7]
	v_mov_b32_e32 v9, 0
	s_and_saveexec_b64 s[6:7], vcc
	s_cbranch_execz .LBB174_390
; %bb.389:                              ;   in Loop: Header=BB174_388 Depth=2
	ds_read_u16 v9, v8
.LBB174_390:                            ;   in Loop: Header=BB174_388 Depth=2
	s_or_b64 exec, exec, s[6:7]
	s_and_saveexec_b64 s[6:7], vcc
	s_cbranch_execz .LBB174_387
; %bb.391:                              ;   in Loop: Header=BB174_388 Depth=2
	s_waitcnt lgkmcnt(0)
	v_add_u32_sdwa v14, sext(v9), s75 dst_sel:DWORD dst_unused:UNUSED_PAD src0_sel:WORD_0 src1_sel:DWORD
	v_and_b32_e32 v14, v14, v34
	v_cmp_eq_u32_e32 vcc, v14, v35
	s_and_b64 exec, exec, vcc
	s_cbranch_execz .LBB174_387
; %bb.392:                              ;   in Loop: Header=BB174_388 Depth=2
	v_perm_b32 v9, v9, 1, v33
	ds_write_b32 v15, v9 offset:3072
	s_branch .LBB174_387
.LBB174_393:                            ;   in Loop: Header=BB174_18 Depth=1
                                        ; implicit-def: $vgpr4_vgpr5
	s_branch .LBB174_338
.LBB174_394:                            ;   in Loop: Header=BB174_18 Depth=1
                                        ; implicit-def: $vgpr4_vgpr5
	s_branch .LBB174_354
.LBB174_395:                            ;   in Loop: Header=BB174_18 Depth=1
	s_mov_b64 s[30:31], -1
	s_mov_b64 s[6:7], 0
                                        ; implicit-def: $sgpr46_sgpr47
                                        ; implicit-def: $vgpr36
	s_mov_b64 s[92:93], s[30:31]
	s_cbranch_execnz .LBB174_398
	s_branch .LBB174_411
.LBB174_396:                            ;   in Loop: Header=BB174_18 Depth=1
	s_or_b64 exec, exec, s[30:31]
	v_lshrrev_b32_e32 v36, 16, v9
	s_and_b64 s[6:7], s[46:47], exec
.LBB174_397:                            ;   in Loop: Header=BB174_18 Depth=1
	s_or_b64 exec, exec, s[12:13]
	s_mov_b64 s[30:31], 0
	s_mov_b64 s[46:47], -1
	s_mov_b64 s[92:93], s[30:31]
	s_branch .LBB174_411
.LBB174_398:                            ;   in Loop: Header=BB174_18 Depth=1
	v_readlane_b32 s46, v47, 55
	v_readlane_b32 s47, v47, 56
	s_mov_b32 s46, s91
	s_cmp_lg_u64 s[46:47], 0
	v_writelane_b32 v47, s46, 55
	v_writelane_b32 v47, s47, 56
	s_cbranch_scc0 .LBB174_431
; %bb.399:                              ;   in Loop: Header=BB174_18 Depth=1
	v_cvt_f32_u32_e32 v2, s89
	s_sub_u32 s6, 0, s89
	s_subb_u32 s7, 0, 0
	v_mac_f32_e32 v2, 0, v32
	v_rcp_f32_e32 v2, v2
	v_mul_f32_e32 v2, 0x5f7ffffc, v2
	v_mul_f32_e32 v3, 0x2f800000, v2
	v_trunc_f32_e32 v3, v3
	v_mac_f32_e32 v2, 0xcf800000, v3
	v_cvt_u32_f32_e32 v3, v3
	v_cvt_u32_f32_e32 v2, v2
	v_readfirstlane_b32 s10, v3
	v_readfirstlane_b32 s11, v2
	s_mul_i32 s12, s6, s10
	s_mul_hi_u32 s30, s6, s11
	s_mul_i32 s13, s7, s11
	s_add_i32 s12, s30, s12
	s_mul_i32 s31, s6, s11
	s_add_i32 s12, s12, s13
	s_mul_hi_u32 s30, s11, s31
	s_mul_hi_u32 s13, s11, s12
	s_mul_i32 s11, s11, s12
	s_add_u32 s11, s30, s11
	s_addc_u32 s13, 0, s13
	s_mul_hi_u32 s46, s10, s31
	s_mul_i32 s31, s10, s31
	s_add_u32 s11, s11, s31
	s_mul_hi_u32 s30, s10, s12
	s_addc_u32 s11, s13, s46
	s_addc_u32 s13, s30, 0
	s_mul_i32 s12, s10, s12
	s_add_u32 s11, s11, s12
	s_addc_u32 s12, 0, s13
	v_add_co_u32_e32 v2, vcc, s11, v2
	s_cmp_lg_u64 vcc, 0
	s_addc_u32 s10, s10, s12
	v_readfirstlane_b32 s12, v2
	s_mul_i32 s11, s6, s10
	s_mul_hi_u32 s13, s6, s12
	s_add_i32 s11, s13, s11
	s_mul_i32 s7, s7, s12
	s_add_i32 s11, s11, s7
	s_mul_i32 s6, s6, s12
	s_mul_hi_u32 s13, s10, s6
	s_mul_i32 s30, s10, s6
	s_mul_i32 s46, s12, s11
	s_mul_hi_u32 s6, s12, s6
	s_mul_hi_u32 s31, s12, s11
	s_add_u32 s6, s6, s46
	s_addc_u32 s12, 0, s31
	s_add_u32 s6, s6, s30
	s_mul_hi_u32 s7, s10, s11
	s_addc_u32 s6, s12, s13
	s_addc_u32 s7, s7, 0
	s_mul_i32 s11, s10, s11
	s_add_u32 s6, s6, s11
	s_addc_u32 s7, 0, s7
	v_add_co_u32_e32 v2, vcc, s6, v2
	s_cmp_lg_u64 vcc, 0
	s_addc_u32 s6, s10, s7
	v_readlane_b32 s30, v47, 53
	v_readfirstlane_b32 s11, v2
	s_mul_i32 s10, s30, s6
	s_mul_hi_u32 s12, s30, s11
	s_mul_hi_u32 s7, s30, s6
	s_add_u32 s10, s12, s10
	s_addc_u32 s7, 0, s7
	s_mul_hi_u32 s13, s47, s11
	s_mul_i32 s11, s47, s11
	s_add_u32 s10, s10, s11
	s_mul_hi_u32 s12, s47, s6
	s_addc_u32 s7, s7, s13
	s_addc_u32 s10, s12, 0
	s_mul_i32 s6, s47, s6
	s_add_u32 s6, s7, s6
	s_addc_u32 s7, 0, s10
	s_mul_hi_u32 s10, s89, s6
	s_mul_i32 s6, s89, s6
	s_mul_i32 s7, s89, s7
	v_mov_b32_e32 v2, s6
	s_add_i32 s10, s10, s7
	v_sub_co_u32_e32 v2, vcc, s30, v2
	s_cmp_lg_u64 vcc, 0
	s_subb_u32 s6, s47, s10
	v_subrev_co_u32_e32 v3, vcc, s89, v2
	s_cmp_lg_u64 vcc, 0
	s_subb_u32 s7, s6, 0
	v_subrev_co_u32_e32 v6, vcc, s89, v3
	s_cmp_lg_u64 vcc, 0
	s_subb_u32 s10, s7, 0
	v_cmp_le_u32_e32 vcc, s89, v3
	s_cmp_eq_u32 s7, 0
	v_cndmask_b32_e64 v7, 0, -1, vcc
	s_cselect_b64 vcc, -1, 0
	v_cndmask_b32_e32 v7, -1, v7, vcc
	v_mov_b32_e32 v8, s7
	v_mov_b32_e32 v9, s10
	v_cmp_ne_u32_e32 vcc, 0, v7
	v_cndmask_b32_e32 v7, v8, v9, vcc
	v_cndmask_b32_e32 v6, v3, v6, vcc
	v_cmp_le_u32_e32 vcc, s89, v2
	s_cmp_eq_u32 s6, 0
	v_cndmask_b32_e64 v3, 0, -1, vcc
	s_cselect_b64 vcc, -1, 0
	v_cndmask_b32_e32 v3, -1, v3, vcc
	v_mov_b32_e32 v8, s6
	v_cmp_ne_u32_e32 vcc, 0, v3
	v_cndmask_b32_e32 v3, v8, v7, vcc
	v_cndmask_b32_e32 v2, v2, v6, vcc
	s_cbranch_execnz .LBB174_401
.LBB174_400:                            ;   in Loop: Header=BB174_18 Depth=1
	v_cvt_f32_u32_e32 v2, s89
	s_sub_i32 s6, 0, s89
	v_rcp_iflag_f32_e32 v2, v2
	v_mul_f32_e32 v2, 0x4f7ffffe, v2
	v_cvt_u32_f32_e32 v2, v2
	v_mul_lo_u32 v3, s6, v2
	v_mul_hi_u32 v3, v2, v3
	v_add_u32_e32 v2, v2, v3
	v_readlane_b32 s6, v47, 53
	v_mul_hi_u32 v2, s6, v2
	v_mul_lo_u32 v2, v2, s89
	v_sub_u32_e32 v2, s6, v2
	v_subrev_u32_e32 v3, s89, v2
	v_cmp_le_u32_e32 vcc, s89, v2
	v_cndmask_b32_e32 v2, v2, v3, vcc
	v_subrev_u32_e32 v3, s89, v2
	v_cmp_le_u32_e32 vcc, s89, v2
	v_cndmask_b32_e32 v14, v2, v3, vcc
	v_pk_mov_b32 v[2:3], v[14:15], v[14:15] op_sel:[0,1]
.LBB174_401:                            ;   in Loop: Header=BB174_18 Depth=1
	v_readlane_b32 s6, v47, 55
	v_readlane_b32 s7, v47, 56
	;; [unrolled: 1-line block ×3, first 2 shown]
	v_mov_b32_e32 v6, s7
	v_sub_co_u32_e32 v2, vcc, s6, v2
	v_subb_co_u32_e32 v3, vcc, v6, v3, vcc
	v_cmp_gt_u64_e32 vcc, v[2:3], v[0:1]
	s_mov_b64 s[6:7], 0
                                        ; implicit-def: $vgpr36
	s_and_saveexec_b64 s[10:11], vcc
	s_cbranch_execz .LBB174_410
; %bb.402:                              ;   in Loop: Header=BB174_18 Depth=1
	s_mov_b64 s[12:13], 0
	v_pk_mov_b32 v[6:7], v[0:1], v[0:1] op_sel:[0,1]
                                        ; implicit-def: $sgpr30_sgpr31
	s_branch .LBB174_404
.LBB174_403:                            ;   in Loop: Header=BB174_404 Depth=2
	s_or_b64 exec, exec, s[6:7]
	s_waitcnt lgkmcnt(0)
	s_barrier
	s_waitcnt vmcnt(0)
	ds_read_b32 v8, v15 offset:3072
	v_mov_b32_e32 v9, s74
	v_add_co_u32_e64 v6, s[6:7], s89, v6
	v_addc_co_u32_e64 v7, s[6:7], v7, v9, s[6:7]
	s_waitcnt lgkmcnt(0)
	v_cmp_ne_u16_e32 vcc, 0, v8
	v_cmp_ge_u64_e64 s[6:7], v[6:7], v[2:3]
	s_or_b64 s[6:7], s[6:7], vcc
	s_and_b64 s[6:7], exec, s[6:7]
	s_or_b64 s[12:13], s[6:7], s[12:13]
	s_andn2_b64 s[6:7], s[30:31], exec
	s_and_b64 s[30:31], vcc, exec
	s_or_b64 s[30:31], s[6:7], s[30:31]
	s_barrier
	s_andn2_b64 exec, exec, s[12:13]
	s_cbranch_execz .LBB174_409
.LBB174_404:                            ;   Parent Loop BB174_18 Depth=1
                                        ; =>  This Inner Loop Header: Depth=2
	v_cmp_gt_u64_e32 vcc, s[60:61], v[6:7]
	v_mov_b32_e32 v8, 0
	s_and_saveexec_b64 s[46:47], vcc
	s_cbranch_execz .LBB174_406
; %bb.405:                              ;   in Loop: Header=BB174_404 Depth=2
	v_mul_lo_u32 v14, v7, s58
	v_mul_lo_u32 v18, v6, s59
	v_mad_u64_u32 v[8:9], s[6:7], v6, s58, 0
	v_add3_u32 v9, v9, v18, v14
	v_lshlrev_b64 v[8:9], 1, v[8:9]
	v_mov_b32_e32 v14, s88
	v_add_co_u32_e64 v8, s[6:7], s33, v8
	v_addc_co_u32_e64 v9, s[6:7], v14, v9, s[6:7]
	global_load_ushort v8, v[8:9], off
.LBB174_406:                            ;   in Loop: Header=BB174_404 Depth=2
	s_or_b64 exec, exec, s[46:47]
	s_and_saveexec_b64 s[6:7], vcc
	s_cbranch_execz .LBB174_403
; %bb.407:                              ;   in Loop: Header=BB174_404 Depth=2
	s_waitcnt vmcnt(0)
	v_add_u32_sdwa v9, sext(v8), s75 dst_sel:DWORD dst_unused:UNUSED_PAD src0_sel:WORD_0 src1_sel:DWORD
	v_and_b32_e32 v9, v9, v34
	v_cmp_eq_u32_e32 vcc, v9, v35
	s_and_b64 exec, exec, vcc
	s_cbranch_execz .LBB174_403
; %bb.408:                              ;   in Loop: Header=BB174_404 Depth=2
	v_perm_b32 v8, v8, 1, v33
	ds_write_b32 v15, v8 offset:3072
	s_branch .LBB174_403
.LBB174_409:                            ;   in Loop: Header=BB174_18 Depth=1
	s_or_b64 exec, exec, s[12:13]
	v_lshrrev_b32_e32 v36, 16, v8
	s_and_b64 s[6:7], s[30:31], exec
.LBB174_410:                            ;   in Loop: Header=BB174_18 Depth=1
	s_or_b64 exec, exec, s[10:11]
	s_mov_b64 s[46:47], 0
	s_mov_b64 s[30:31], -1
	s_mov_b64 s[92:93], 0
.LBB174_411:                            ;   in Loop: Header=BB174_18 Depth=1
	s_orn2_b64 s[10:11], s[6:7], exec
.LBB174_412:                            ;   in Loop: Header=BB174_18 Depth=1
	s_or_b64 exec, exec, s[50:51]
	s_mov_b64 s[6:7], 0
                                        ; implicit-def: $vgpr6
	s_and_saveexec_b64 s[50:51], s[10:11]
	s_cbranch_execz .LBB174_477
; %bb.413:                              ;   in Loop: Header=BB174_18 Depth=1
	v_mov_b32_e32 v2, 1
	s_xor_b64 s[8:9], s[8:9], -1
	s_mov_b64 s[52:53], 0
	v_mov_b32_e32 v3, 0
	v_mov_b32_e32 v6, 1
	s_and_saveexec_b64 s[6:7], s[8:9]
	s_cbranch_execz .LBB174_423
; %bb.414:                              ;   in Loop: Header=BB174_18 Depth=1
	v_cmp_ge_u64_e32 vcc, s[18:19], v[4:5]
                                        ; implicit-def: $sgpr12
                                        ; implicit-def: $sgpr8_sgpr9
	s_and_saveexec_b64 s[10:11], vcc
	s_xor_b64 s[10:11], exec, s[10:11]
	s_cbranch_execz .LBB174_420
; %bb.415:                              ;   in Loop: Header=BB174_18 Depth=1
	ds_read_b64 v[2:3], v15 offset:5120
	s_waitcnt lgkmcnt(0)
	v_cmp_ne_u64_e32 vcc, 0, v[2:3]
	s_cbranch_vccnz .LBB174_419
; %bb.416:                              ;   in Loop: Header=BB174_18 Depth=1
	s_mov_b64 s[8:9], exec
	v_readlane_b32 s12, v47, 32
	v_readlane_b32 s13, v47, 33
	s_and_b64 s[12:13], s[8:9], s[12:13]
	s_mov_b64 exec, s[12:13]
	s_cbranch_execz .LBB174_418
; %bb.417:                              ;   in Loop: Header=BB174_18 Depth=1
	v_pk_mov_b32 v[2:3], s[18:19], s[18:19] op_sel:[0,1]
	ds_write_b64 v15, v[2:3] offset:5128
.LBB174_418:                            ;   in Loop: Header=BB174_18 Depth=1
	s_or_b64 exec, exec, s[8:9]
	s_waitcnt lgkmcnt(0)
	s_barrier
.LBB174_419:                            ;   in Loop: Header=BB174_18 Depth=1
	v_and_b32_e32 v2, s48, v35
	v_lshl_or_b32 v35, 1, s49, v2
	v_or_b32_e32 v34, s90, v34
	s_mov_b64 s[8:9], 0
	s_mov_b32 s12, 5
.LBB174_420:                            ;   in Loop: Header=BB174_18 Depth=1
	s_or_saveexec_b64 s[10:11], s[10:11]
	v_mov_b32_e32 v6, s12
	s_xor_b64 exec, exec, s[10:11]
; %bb.421:                              ;   in Loop: Header=BB174_18 Depth=1
	v_mov_b32_e32 v2, s19
	v_subrev_co_u32_e32 v4, vcc, s18, v4
	v_subb_co_u32_e32 v5, vcc, v5, v2, vcc
	v_mov_b32_e32 v6, 0
	s_or_b64 s[8:9], s[8:9], exec
; %bb.422:                              ;   in Loop: Header=BB174_18 Depth=1
	s_or_b64 exec, exec, s[10:11]
	s_and_b64 s[52:53], s[8:9], exec
	v_pk_mov_b32 v[2:3], v[4:5], v[4:5] op_sel:[0,1]
.LBB174_423:                            ;   in Loop: Header=BB174_18 Depth=1
	s_or_b64 exec, exec, s[6:7]
	s_mov_b64 s[8:9], -1
                                        ; implicit-def: $sgpr6_sgpr7
                                        ; implicit-def: $sgpr10_sgpr11
                                        ; implicit-def: $sgpr12_sgpr13
	s_and_saveexec_b64 s[18:19], s[52:53]
	s_cbranch_execz .LBB174_476
; %bb.424:                              ;   in Loop: Header=BB174_18 Depth=1
	s_cmp_eq_u64 s[16:17], 1
	s_cselect_b64 s[6:7], -1, 0
	v_cmp_eq_u64_e32 vcc, 1, v[2:3]
	s_and_b64 s[8:9], s[6:7], vcc
	s_mov_b64 s[54:55], -1
                                        ; implicit-def: $sgpr6_sgpr7
                                        ; implicit-def: $sgpr10_sgpr11
                                        ; implicit-def: $sgpr12_sgpr13
	s_and_saveexec_b64 s[52:53], s[8:9]
	s_cbranch_execz .LBB174_463
; %bb.425:                              ;   in Loop: Header=BB174_18 Depth=1
	ds_read_b64 v[4:5], v15 offset:5120
	s_waitcnt lgkmcnt(0)
	s_barrier
	v_readfirstlane_b32 s10, v4
	v_readfirstlane_b32 s11, v5
	s_mov_b64 s[6:7], exec
	v_readlane_b32 s12, v47, 48
	v_readlane_b32 s13, v47, 49
	s_and_b64 s[12:13], s[6:7], s[12:13]
	s_mov_b64 exec, s[12:13]
	s_cbranch_execz .LBB174_427
; %bb.426:                              ;   in Loop: Header=BB174_18 Depth=1
	ds_write_b16 v29, v15
.LBB174_427:                            ;   in Loop: Header=BB174_18 Depth=1
	s_or_b64 exec, exec, s[6:7]
	v_and_b32_e32 v35, s48, v35
	v_or_b32_e32 v34, s90, v34
	s_cmp_eq_u64 s[10:11], 0
	s_waitcnt lgkmcnt(0)
	s_barrier
	s_cbranch_scc1 .LBB174_432
; %bb.428:                              ;   in Loop: Header=BB174_18 Depth=1
	v_readlane_b32 s6, v47, 52
	s_add_u32 s49, s6, s10
	v_readlane_b32 s6, v47, 54
	s_addc_u32 s7, s6, s11
	s_mov_b32 s6, s91
	s_cmp_lg_u64 s[6:7], 0
	s_cbranch_scc0 .LBB174_433
; %bb.429:                              ;   in Loop: Header=BB174_18 Depth=1
	v_cvt_f32_u32_e32 v4, s89
	s_sub_u32 s6, 0, s89
	s_subb_u32 s12, 0, 0
	v_mac_f32_e32 v4, 0, v32
	v_rcp_f32_e32 v4, v4
	v_mul_f32_e32 v4, 0x5f7ffffc, v4
	v_mul_f32_e32 v5, 0x2f800000, v4
	v_trunc_f32_e32 v5, v5
	v_mac_f32_e32 v4, 0xcf800000, v5
	v_cvt_u32_f32_e32 v5, v5
	v_cvt_u32_f32_e32 v4, v4
	v_readfirstlane_b32 s13, v5
	v_readfirstlane_b32 s54, v4
	s_mul_i32 s55, s6, s13
	s_mul_hi_u32 s57, s6, s54
	s_mul_i32 s56, s12, s54
	s_add_i32 s55, s57, s55
	s_mul_i32 s73, s6, s54
	s_add_i32 s55, s55, s56
	s_mul_hi_u32 s57, s54, s73
	s_mul_hi_u32 s56, s54, s55
	s_mul_i32 s54, s54, s55
	s_add_u32 s54, s57, s54
	s_addc_u32 s56, 0, s56
	s_mul_hi_u32 s94, s13, s73
	s_mul_i32 s73, s13, s73
	s_add_u32 s54, s54, s73
	s_mul_hi_u32 s57, s13, s55
	s_addc_u32 s54, s56, s94
	s_addc_u32 s56, s57, 0
	s_mul_i32 s55, s13, s55
	s_add_u32 s54, s54, s55
	s_addc_u32 s55, 0, s56
	v_add_co_u32_e32 v4, vcc, s54, v4
	s_cmp_lg_u64 vcc, 0
	s_addc_u32 s13, s13, s55
	v_readfirstlane_b32 s55, v4
	s_mul_i32 s54, s6, s13
	s_mul_hi_u32 s56, s6, s55
	s_add_i32 s54, s56, s54
	s_mul_i32 s12, s12, s55
	s_add_i32 s54, s54, s12
	s_mul_i32 s6, s6, s55
	s_mul_hi_u32 s56, s13, s6
	s_mul_i32 s57, s13, s6
	s_mul_i32 s94, s55, s54
	s_mul_hi_u32 s6, s55, s6
	s_mul_hi_u32 s73, s55, s54
	s_add_u32 s6, s6, s94
	s_addc_u32 s55, 0, s73
	s_add_u32 s6, s6, s57
	s_mul_hi_u32 s12, s13, s54
	s_addc_u32 s6, s55, s56
	s_addc_u32 s12, s12, 0
	s_mul_i32 s54, s13, s54
	s_add_u32 s6, s6, s54
	s_addc_u32 s12, 0, s12
	v_add_co_u32_e32 v4, vcc, s6, v4
	s_cmp_lg_u64 vcc, 0
	s_addc_u32 s6, s13, s12
	v_readfirstlane_b32 s54, v4
	s_mul_i32 s13, s49, s6
	s_mul_hi_u32 s55, s49, s54
	s_mul_hi_u32 s12, s49, s6
	s_add_u32 s13, s55, s13
	s_addc_u32 s12, 0, s12
	s_mul_hi_u32 s56, s7, s54
	s_mul_i32 s54, s7, s54
	s_add_u32 s13, s13, s54
	s_mul_hi_u32 s55, s7, s6
	s_addc_u32 s12, s12, s56
	s_addc_u32 s13, s55, 0
	s_mul_i32 s6, s7, s6
	s_add_u32 s6, s12, s6
	s_addc_u32 s12, 0, s13
	s_mul_hi_u32 s13, s89, s6
	s_mul_i32 s6, s89, s6
	s_mul_i32 s12, s89, s12
	v_mov_b32_e32 v4, s6
	s_add_i32 s13, s13, s12
	v_sub_co_u32_e32 v4, vcc, s49, v4
	s_cmp_lg_u64 vcc, 0
	s_subb_u32 s6, s7, s13
	v_subrev_co_u32_e32 v5, vcc, s89, v4
	s_cmp_lg_u64 vcc, 0
	s_subb_u32 s12, s6, 0
	v_subrev_co_u32_e32 v6, vcc, s89, v5
	s_cmp_lg_u64 vcc, 0
	s_subb_u32 s13, s12, 0
	v_cmp_le_u32_e32 vcc, s89, v5
	s_cmp_eq_u32 s12, 0
	v_cndmask_b32_e64 v7, 0, -1, vcc
	s_cselect_b64 vcc, -1, 0
	v_cndmask_b32_e32 v7, -1, v7, vcc
	v_mov_b32_e32 v8, s12
	v_mov_b32_e32 v9, s13
	v_cmp_ne_u32_e32 vcc, 0, v7
	v_cndmask_b32_e32 v7, v8, v9, vcc
	v_cndmask_b32_e32 v6, v5, v6, vcc
	v_cmp_le_u32_e32 vcc, s89, v4
	s_cmp_eq_u32 s6, 0
	v_cndmask_b32_e64 v5, 0, -1, vcc
	s_cselect_b64 vcc, -1, 0
	v_cndmask_b32_e32 v5, -1, v5, vcc
	v_mov_b32_e32 v8, s6
	v_cmp_ne_u32_e32 vcc, 0, v5
	v_cndmask_b32_e32 v5, v8, v7, vcc
	v_cndmask_b32_e32 v4, v4, v6, vcc
	s_mov_b64 s[12:13], 0
	s_branch .LBB174_434
.LBB174_430:                            ;   in Loop: Header=BB174_18 Depth=1
                                        ; implicit-def: $vgpr2_vgpr3
	s_branch .LBB174_384
.LBB174_431:                            ;   in Loop: Header=BB174_18 Depth=1
                                        ; implicit-def: $vgpr2_vgpr3
	s_branch .LBB174_400
.LBB174_432:                            ;   in Loop: Header=BB174_18 Depth=1
	s_mov_b64 s[6:7], -1
	s_mov_b64 s[54:55], 0
                                        ; implicit-def: $sgpr10_sgpr11
                                        ; implicit-def: $vgpr36
	s_branch .LBB174_446
.LBB174_433:                            ;   in Loop: Header=BB174_18 Depth=1
	s_mov_b64 s[12:13], -1
                                        ; implicit-def: $vgpr4_vgpr5
.LBB174_434:                            ;   in Loop: Header=BB174_18 Depth=1
	s_andn2_b64 vcc, exec, s[12:13]
	s_cbranch_vccnz .LBB174_436
; %bb.435:                              ;   in Loop: Header=BB174_18 Depth=1
	v_cvt_f32_u32_e32 v4, s89
	s_sub_i32 s6, 0, s89
	v_rcp_iflag_f32_e32 v4, v4
	v_mul_f32_e32 v4, 0x4f7ffffe, v4
	v_cvt_u32_f32_e32 v4, v4
	v_mul_lo_u32 v5, s6, v4
	v_mul_hi_u32 v5, v4, v5
	v_add_u32_e32 v4, v4, v5
	v_mul_hi_u32 v4, s49, v4
	v_mul_lo_u32 v4, v4, s89
	v_sub_u32_e32 v4, s49, v4
	v_subrev_u32_e32 v5, s89, v4
	v_cmp_le_u32_e32 vcc, s89, v4
	v_cndmask_b32_e32 v4, v4, v5, vcc
	v_subrev_u32_e32 v5, s89, v4
	v_cmp_le_u32_e32 vcc, s89, v4
	v_cndmask_b32_e32 v14, v4, v5, vcc
	v_pk_mov_b32 v[4:5], v[14:15], v[14:15] op_sel:[0,1]
.LBB174_436:                            ;   in Loop: Header=BB174_18 Depth=1
	v_mov_b32_e32 v6, s7
	v_sub_co_u32_e32 v4, vcc, s49, v4
	v_subb_co_u32_e32 v5, vcc, v6, v5, vcc
	v_cmp_gt_u64_e32 vcc, v[4:5], v[0:1]
	s_mov_b64 s[54:55], 0
                                        ; implicit-def: $vgpr36
	s_and_saveexec_b64 s[12:13], vcc
	s_cbranch_execz .LBB174_445
; %bb.437:                              ;   in Loop: Header=BB174_18 Depth=1
	v_mov_b32_e32 v8, v28
	v_pk_mov_b32 v[6:7], v[0:1], v[0:1] op_sel:[0,1]
                                        ; implicit-def: $sgpr56_sgpr57
	s_branch .LBB174_439
.LBB174_438:                            ;   in Loop: Header=BB174_439 Depth=2
	s_or_b64 exec, exec, s[6:7]
	s_waitcnt lgkmcnt(0)
	s_barrier
	ds_read_b32 v9, v15 offset:3072
	v_mov_b32_e32 v14, s74
	v_add_co_u32_e64 v6, s[6:7], s89, v6
	v_addc_co_u32_e64 v7, s[6:7], v7, v14, s[6:7]
	s_waitcnt lgkmcnt(0)
	v_cmp_ne_u16_e32 vcc, 0, v9
	v_cmp_ge_u64_e64 s[6:7], v[6:7], v[4:5]
	s_or_b64 s[6:7], s[6:7], vcc
	s_and_b64 s[6:7], exec, s[6:7]
	s_or_b64 s[54:55], s[6:7], s[54:55]
	s_andn2_b64 s[6:7], s[56:57], exec
	s_and_b64 s[56:57], vcc, exec
	v_add_u32_e32 v8, s5, v8
	s_or_b64 s[56:57], s[6:7], s[56:57]
	s_barrier
	s_andn2_b64 exec, exec, s[54:55]
	s_cbranch_execz .LBB174_444
.LBB174_439:                            ;   Parent Loop BB174_18 Depth=1
                                        ; =>  This Inner Loop Header: Depth=2
	v_cmp_gt_u64_e32 vcc, s[10:11], v[6:7]
	v_mov_b32_e32 v9, 0
	s_and_saveexec_b64 s[6:7], vcc
	s_cbranch_execz .LBB174_441
; %bb.440:                              ;   in Loop: Header=BB174_439 Depth=2
	ds_read_u16 v9, v8
.LBB174_441:                            ;   in Loop: Header=BB174_439 Depth=2
	s_or_b64 exec, exec, s[6:7]
	s_and_saveexec_b64 s[6:7], vcc
	s_cbranch_execz .LBB174_438
; %bb.442:                              ;   in Loop: Header=BB174_439 Depth=2
	s_waitcnt lgkmcnt(0)
	v_add_u32_sdwa v14, sext(v9), s75 dst_sel:DWORD dst_unused:UNUSED_PAD src0_sel:WORD_0 src1_sel:DWORD
	v_and_b32_e32 v14, v14, v34
	v_cmp_eq_u32_e32 vcc, v14, v35
	s_and_b64 exec, exec, vcc
	s_cbranch_execz .LBB174_438
; %bb.443:                              ;   in Loop: Header=BB174_439 Depth=2
	v_perm_b32 v9, v9, 1, v33
	ds_write_b32 v15, v9 offset:3072
	s_branch .LBB174_438
.LBB174_444:                            ;   in Loop: Header=BB174_18 Depth=1
	s_or_b64 exec, exec, s[54:55]
	v_lshrrev_b32_e32 v36, 16, v9
	s_and_b64 s[54:55], s[56:57], exec
.LBB174_445:                            ;   in Loop: Header=BB174_18 Depth=1
	s_or_b64 exec, exec, s[12:13]
	s_mov_b64 s[6:7], 0
	s_mov_b64 s[10:11], -1
.LBB174_446:                            ;   in Loop: Header=BB174_18 Depth=1
	s_and_b64 vcc, exec, s[6:7]
	s_mov_b64 s[12:13], s[6:7]
	s_cbranch_vccz .LBB174_462
; %bb.447:                              ;   in Loop: Header=BB174_18 Depth=1
	v_readlane_b32 s56, v47, 55
	v_readlane_b32 s57, v47, 56
	s_mov_b32 s56, s91
	s_cmp_lg_u64 s[56:57], 0
	v_writelane_b32 v47, s56, 55
	v_writelane_b32 v47, s57, 56
	s_cbranch_scc0 .LBB174_449
; %bb.448:                              ;   in Loop: Header=BB174_18 Depth=1
	v_cvt_f32_u32_e32 v4, s89
	s_sub_u32 s6, 0, s89
	s_subb_u32 s7, 0, 0
	v_mac_f32_e32 v4, 0, v32
	v_rcp_f32_e32 v4, v4
	v_mul_f32_e32 v4, 0x5f7ffffc, v4
	v_mul_f32_e32 v5, 0x2f800000, v4
	v_trunc_f32_e32 v5, v5
	v_mac_f32_e32 v4, 0xcf800000, v5
	v_cvt_u32_f32_e32 v5, v5
	v_cvt_u32_f32_e32 v4, v4
	v_readfirstlane_b32 s10, v5
	v_readfirstlane_b32 s11, v4
	s_mul_i32 s12, s6, s10
	s_mul_hi_u32 s49, s6, s11
	s_mul_i32 s13, s7, s11
	s_add_i32 s12, s49, s12
	s_mul_i32 s54, s6, s11
	s_add_i32 s12, s12, s13
	s_mul_hi_u32 s49, s11, s54
	s_mul_hi_u32 s13, s11, s12
	s_mul_i32 s11, s11, s12
	s_add_u32 s11, s49, s11
	s_addc_u32 s13, 0, s13
	s_mul_hi_u32 s55, s10, s54
	s_mul_i32 s54, s10, s54
	s_add_u32 s11, s11, s54
	s_mul_hi_u32 s49, s10, s12
	s_addc_u32 s11, s13, s55
	s_addc_u32 s13, s49, 0
	s_mul_i32 s12, s10, s12
	s_add_u32 s11, s11, s12
	s_addc_u32 s12, 0, s13
	v_add_co_u32_e32 v4, vcc, s11, v4
	s_cmp_lg_u64 vcc, 0
	s_addc_u32 s10, s10, s12
	v_readfirstlane_b32 s12, v4
	s_mul_i32 s11, s6, s10
	s_mul_hi_u32 s13, s6, s12
	s_add_i32 s11, s13, s11
	s_mul_i32 s7, s7, s12
	s_add_i32 s11, s11, s7
	s_mul_i32 s6, s6, s12
	s_mul_hi_u32 s13, s10, s6
	s_mul_i32 s49, s10, s6
	s_mul_i32 s55, s12, s11
	s_mul_hi_u32 s6, s12, s6
	s_mul_hi_u32 s54, s12, s11
	s_add_u32 s6, s6, s55
	s_addc_u32 s12, 0, s54
	s_add_u32 s6, s6, s49
	s_mul_hi_u32 s7, s10, s11
	s_addc_u32 s6, s12, s13
	s_addc_u32 s7, s7, 0
	s_mul_i32 s11, s10, s11
	s_add_u32 s6, s6, s11
	s_addc_u32 s7, 0, s7
	v_add_co_u32_e32 v4, vcc, s6, v4
	s_cmp_lg_u64 vcc, 0
	s_addc_u32 s6, s10, s7
	v_readlane_b32 s49, v47, 53
	v_readfirstlane_b32 s11, v4
	s_mul_i32 s10, s49, s6
	s_mul_hi_u32 s12, s49, s11
	s_mul_hi_u32 s7, s49, s6
	s_add_u32 s10, s12, s10
	s_addc_u32 s7, 0, s7
	s_mul_hi_u32 s13, s57, s11
	s_mul_i32 s11, s57, s11
	s_add_u32 s10, s10, s11
	s_mul_hi_u32 s12, s57, s6
	s_addc_u32 s7, s7, s13
	s_addc_u32 s10, s12, 0
	s_mul_i32 s6, s57, s6
	s_add_u32 s6, s7, s6
	s_addc_u32 s7, 0, s10
	s_mul_hi_u32 s10, s89, s6
	s_mul_i32 s6, s89, s6
	s_mul_i32 s7, s89, s7
	v_mov_b32_e32 v4, s6
	s_add_i32 s10, s10, s7
	v_sub_co_u32_e32 v4, vcc, s49, v4
	s_cmp_lg_u64 vcc, 0
	s_subb_u32 s6, s57, s10
	v_subrev_co_u32_e32 v5, vcc, s89, v4
	s_cmp_lg_u64 vcc, 0
	s_subb_u32 s7, s6, 0
	v_subrev_co_u32_e32 v6, vcc, s89, v5
	s_cmp_lg_u64 vcc, 0
	s_subb_u32 s10, s7, 0
	v_cmp_le_u32_e32 vcc, s89, v5
	s_cmp_eq_u32 s7, 0
	v_cndmask_b32_e64 v7, 0, -1, vcc
	s_cselect_b64 vcc, -1, 0
	v_cndmask_b32_e32 v7, -1, v7, vcc
	v_mov_b32_e32 v8, s7
	v_mov_b32_e32 v9, s10
	v_cmp_ne_u32_e32 vcc, 0, v7
	v_cndmask_b32_e32 v7, v8, v9, vcc
	v_cndmask_b32_e32 v6, v5, v6, vcc
	v_cmp_le_u32_e32 vcc, s89, v4
	s_cmp_eq_u32 s6, 0
	v_cndmask_b32_e64 v5, 0, -1, vcc
	s_cselect_b64 vcc, -1, 0
	v_cndmask_b32_e32 v5, -1, v5, vcc
	v_mov_b32_e32 v8, s6
	v_cmp_ne_u32_e32 vcc, 0, v5
	v_cndmask_b32_e32 v5, v8, v7, vcc
	v_cndmask_b32_e32 v4, v4, v6, vcc
	s_mov_b64 s[6:7], 0
	s_branch .LBB174_450
.LBB174_449:                            ;   in Loop: Header=BB174_18 Depth=1
	s_mov_b64 s[6:7], -1
                                        ; implicit-def: $vgpr4_vgpr5
.LBB174_450:                            ;   in Loop: Header=BB174_18 Depth=1
	s_andn2_b64 vcc, exec, s[6:7]
	s_cbranch_vccnz .LBB174_452
; %bb.451:                              ;   in Loop: Header=BB174_18 Depth=1
	v_cvt_f32_u32_e32 v4, s89
	s_sub_i32 s6, 0, s89
	v_rcp_iflag_f32_e32 v4, v4
	v_mul_f32_e32 v4, 0x4f7ffffe, v4
	v_cvt_u32_f32_e32 v4, v4
	v_mul_lo_u32 v5, s6, v4
	v_mul_hi_u32 v5, v4, v5
	v_add_u32_e32 v4, v4, v5
	v_readlane_b32 s6, v47, 53
	v_mul_hi_u32 v4, s6, v4
	v_mul_lo_u32 v4, v4, s89
	v_sub_u32_e32 v4, s6, v4
	v_subrev_u32_e32 v5, s89, v4
	v_cmp_le_u32_e32 vcc, s89, v4
	v_cndmask_b32_e32 v4, v4, v5, vcc
	v_subrev_u32_e32 v5, s89, v4
	v_cmp_le_u32_e32 vcc, s89, v4
	v_cndmask_b32_e32 v14, v4, v5, vcc
	v_pk_mov_b32 v[4:5], v[14:15], v[14:15] op_sel:[0,1]
.LBB174_452:                            ;   in Loop: Header=BB174_18 Depth=1
	v_readlane_b32 s6, v47, 55
	v_readlane_b32 s7, v47, 56
	v_readlane_b32 s6, v47, 53
	v_mov_b32_e32 v6, s7
	v_sub_co_u32_e32 v4, vcc, s6, v4
	v_subb_co_u32_e32 v5, vcc, v6, v5, vcc
	v_cmp_gt_u64_e32 vcc, v[4:5], v[0:1]
	s_mov_b64 s[54:55], 0
                                        ; implicit-def: $vgpr36
	s_and_saveexec_b64 s[10:11], vcc
	s_cbranch_execz .LBB174_461
; %bb.453:                              ;   in Loop: Header=BB174_18 Depth=1
	s_mov_b64 s[12:13], 0
	v_pk_mov_b32 v[6:7], v[0:1], v[0:1] op_sel:[0,1]
                                        ; implicit-def: $sgpr54_sgpr55
	s_branch .LBB174_455
.LBB174_454:                            ;   in Loop: Header=BB174_455 Depth=2
	s_or_b64 exec, exec, s[6:7]
	s_waitcnt lgkmcnt(0)
	s_barrier
	s_waitcnt vmcnt(0)
	ds_read_b32 v8, v15 offset:3072
	v_mov_b32_e32 v9, s74
	v_add_co_u32_e64 v6, s[6:7], s89, v6
	v_addc_co_u32_e64 v7, s[6:7], v7, v9, s[6:7]
	s_waitcnt lgkmcnt(0)
	v_cmp_ne_u16_e32 vcc, 0, v8
	v_cmp_ge_u64_e64 s[6:7], v[6:7], v[4:5]
	s_or_b64 s[6:7], s[6:7], vcc
	s_and_b64 s[6:7], exec, s[6:7]
	s_or_b64 s[12:13], s[6:7], s[12:13]
	s_andn2_b64 s[6:7], s[54:55], exec
	s_and_b64 s[54:55], vcc, exec
	s_or_b64 s[54:55], s[6:7], s[54:55]
	s_barrier
	s_andn2_b64 exec, exec, s[12:13]
	s_cbranch_execz .LBB174_460
.LBB174_455:                            ;   Parent Loop BB174_18 Depth=1
                                        ; =>  This Inner Loop Header: Depth=2
	v_cmp_gt_u64_e32 vcc, s[60:61], v[6:7]
	v_mov_b32_e32 v8, 0
	s_and_saveexec_b64 s[56:57], vcc
	s_cbranch_execz .LBB174_457
; %bb.456:                              ;   in Loop: Header=BB174_455 Depth=2
	v_mul_lo_u32 v14, v7, s58
	v_mul_lo_u32 v18, v6, s59
	v_mad_u64_u32 v[8:9], s[6:7], v6, s58, 0
	v_add3_u32 v9, v9, v18, v14
	v_lshlrev_b64 v[8:9], 1, v[8:9]
	v_mov_b32_e32 v14, s88
	v_add_co_u32_e64 v8, s[6:7], s33, v8
	v_addc_co_u32_e64 v9, s[6:7], v14, v9, s[6:7]
	global_load_ushort v8, v[8:9], off
.LBB174_457:                            ;   in Loop: Header=BB174_455 Depth=2
	s_or_b64 exec, exec, s[56:57]
	s_and_saveexec_b64 s[6:7], vcc
	s_cbranch_execz .LBB174_454
; %bb.458:                              ;   in Loop: Header=BB174_455 Depth=2
	s_waitcnt vmcnt(0)
	v_add_u32_sdwa v9, sext(v8), s75 dst_sel:DWORD dst_unused:UNUSED_PAD src0_sel:WORD_0 src1_sel:DWORD
	v_and_b32_e32 v9, v9, v34
	v_cmp_eq_u32_e32 vcc, v9, v35
	s_and_b64 exec, exec, vcc
	s_cbranch_execz .LBB174_454
; %bb.459:                              ;   in Loop: Header=BB174_455 Depth=2
	v_perm_b32 v8, v8, 1, v33
	ds_write_b32 v15, v8 offset:3072
	s_branch .LBB174_454
.LBB174_460:                            ;   in Loop: Header=BB174_18 Depth=1
	s_or_b64 exec, exec, s[12:13]
	v_lshrrev_b32_e32 v36, 16, v8
	s_and_b64 s[54:55], s[54:55], exec
.LBB174_461:                            ;   in Loop: Header=BB174_18 Depth=1
	s_or_b64 exec, exec, s[10:11]
	s_mov_b64 s[10:11], 0
	s_mov_b64 s[6:7], -1
	s_mov_b64 s[12:13], 0
.LBB174_462:                            ;   in Loop: Header=BB174_18 Depth=1
	s_orn2_b64 s[54:55], s[54:55], exec
.LBB174_463:                            ;   in Loop: Header=BB174_18 Depth=1
	s_or_b64 exec, exec, s[52:53]
	s_mov_b64 s[56:57], 0
                                        ; implicit-def: $vgpr6
                                        ; implicit-def: $vgpr4_vgpr5
	s_and_saveexec_b64 s[52:53], s[54:55]
	s_cbranch_execz .LBB174_475
; %bb.464:                              ;   in Loop: Header=BB174_18 Depth=1
	v_mov_b32_e32 v4, 1
	s_xor_b64 s[54:55], s[8:9], -1
	v_mov_b32_e32 v6, 1
	v_mov_b32_e32 v5, 0
	s_and_saveexec_b64 s[8:9], s[54:55]
	s_cbranch_execz .LBB174_474
; %bb.465:                              ;   in Loop: Header=BB174_18 Depth=1
	v_cmp_ge_u64_e32 vcc, s[16:17], v[2:3]
                                        ; implicit-def: $sgpr49
	s_and_saveexec_b64 s[54:55], vcc
	s_xor_b64 s[54:55], exec, s[54:55]
	s_cbranch_execz .LBB174_471
; %bb.466:                              ;   in Loop: Header=BB174_18 Depth=1
	ds_read_b64 v[4:5], v15 offset:5120
	s_waitcnt lgkmcnt(0)
	v_cmp_ne_u64_e32 vcc, 0, v[4:5]
	s_cbranch_vccnz .LBB174_470
; %bb.467:                              ;   in Loop: Header=BB174_18 Depth=1
	s_mov_b64 s[56:57], exec
	v_readlane_b32 s94, v47, 32
	v_readlane_b32 s95, v47, 33
	s_and_b64 s[94:95], s[56:57], s[94:95]
	s_mov_b64 exec, s[94:95]
	s_cbranch_execz .LBB174_469
; %bb.468:                              ;   in Loop: Header=BB174_18 Depth=1
	v_pk_mov_b32 v[4:5], s[16:17], s[16:17] op_sel:[0,1]
	ds_write_b64 v15, v[4:5] offset:5128
.LBB174_469:                            ;   in Loop: Header=BB174_18 Depth=1
	s_or_b64 exec, exec, s[56:57]
	s_waitcnt lgkmcnt(0)
	s_barrier
.LBB174_470:                            ;   in Loop: Header=BB174_18 Depth=1
	v_and_b32_e32 v35, s48, v35
	v_or_b32_e32 v34, s90, v34
	s_mov_b32 s49, 5
.LBB174_471:                            ;   in Loop: Header=BB174_18 Depth=1
	s_or_saveexec_b64 s[54:55], s[54:55]
	v_mov_b32_e32 v6, s49
	s_xor_b64 exec, exec, s[54:55]
; %bb.472:                              ;   in Loop: Header=BB174_18 Depth=1
	v_mov_b32_e32 v4, s17
	v_subrev_co_u32_e32 v2, vcc, s16, v2
	v_subb_co_u32_e32 v3, vcc, v3, v4, vcc
	v_mov_b32_e32 v6, 5
; %bb.473:                              ;   in Loop: Header=BB174_18 Depth=1
	s_or_b64 exec, exec, s[54:55]
	v_pk_mov_b32 v[4:5], v[2:3], v[2:3] op_sel:[0,1]
.LBB174_474:                            ;   in Loop: Header=BB174_18 Depth=1
	s_or_b64 exec, exec, s[8:9]
	s_mov_b64 s[56:57], exec
.LBB174_475:                            ;   in Loop: Header=BB174_18 Depth=1
	s_or_b64 exec, exec, s[52:53]
	s_orn2_b64 s[8:9], s[56:57], exec
	v_pk_mov_b32 v[2:3], v[4:5], v[4:5] op_sel:[0,1]
.LBB174_476:                            ;   in Loop: Header=BB174_18 Depth=1
	s_or_b64 exec, exec, s[18:19]
	s_andn2_b64 s[16:17], s[30:31], exec
	s_and_b64 s[6:7], s[6:7], exec
	s_or_b64 s[30:31], s[16:17], s[6:7]
	s_andn2_b64 s[6:7], s[46:47], exec
	s_and_b64 s[10:11], s[10:11], exec
	s_or_b64 s[46:47], s[6:7], s[10:11]
	;; [unrolled: 3-line block ×3, first 2 shown]
	s_and_b64 s[6:7], s[8:9], exec
	v_pk_mov_b32 v[4:5], v[2:3], v[2:3] op_sel:[0,1]
.LBB174_477:                            ;   in Loop: Header=BB174_18 Depth=1
	s_or_b64 exec, exec, s[50:51]
	s_and_b64 s[12:13], s[30:31], exec
	s_and_b64 s[10:11], s[46:47], exec
	;; [unrolled: 1-line block ×3, first 2 shown]
	s_orn2_b64 s[6:7], s[6:7], exec
.LBB174_478:                            ;   in Loop: Header=BB174_18 Depth=1
	s_or_b64 exec, exec, s[22:23]
	s_andn2_b64 s[16:17], s[36:37], exec
	s_and_b64 s[12:13], s[12:13], exec
	s_or_b64 s[36:37], s[16:17], s[12:13]
	s_andn2_b64 s[12:13], s[40:41], exec
	s_and_b64 s[10:11], s[10:11], exec
	s_or_b64 s[40:41], s[12:13], s[10:11]
	;; [unrolled: 3-line block ×3, first 2 shown]
	s_and_b64 s[6:7], s[6:7], exec
	v_pk_mov_b32 v[2:3], v[4:5], v[4:5] op_sel:[0,1]
.LBB174_479:                            ;   in Loop: Header=BB174_18 Depth=1
	s_or_b64 exec, exec, s[44:45]
	s_and_b64 s[12:13], s[36:37], exec
	s_and_b64 s[10:11], s[40:41], exec
	;; [unrolled: 1-line block ×3, first 2 shown]
	s_orn2_b64 s[30:31], s[6:7], exec
.LBB174_480:                            ;   in Loop: Header=BB174_18 Depth=1
	s_or_b64 exec, exec, s[24:25]
	s_mov_b64 s[6:7], s[28:29]
	s_mov_b64 s[16:17], s[26:27]
	s_and_saveexec_b64 s[18:19], s[30:31]
; %bb.481:                              ;   in Loop: Header=BB174_18 Depth=1
	v_cmp_ne_u32_e64 s[6:7], 5, v6
	v_cmp_eq_u32_e32 vcc, 5, v6
	s_andn2_b64 s[16:17], s[26:27], exec
	s_and_b64 s[6:7], s[6:7], exec
	s_or_b64 s[16:17], s[16:17], s[6:7]
	s_andn2_b64 s[6:7], s[28:29], exec
	s_and_b64 s[22:23], vcc, exec
	s_andn2_b64 s[12:13], s[12:13], exec
	s_andn2_b64 s[10:11], s[10:11], exec
	;; [unrolled: 1-line block ×3, first 2 shown]
	s_or_b64 s[6:7], s[6:7], s[22:23]
; %bb.482:                              ;   in Loop: Header=BB174_18 Depth=1
	s_or_b64 exec, exec, s[18:19]
	s_andn2_b64 s[14:15], s[14:15], exec
	s_and_b64 s[12:13], s[12:13], exec
	s_or_b64 s[14:15], s[14:15], s[12:13]
	s_andn2_b64 s[12:13], s[38:39], exec
	s_and_b64 s[10:11], s[10:11], exec
	s_or_b64 s[38:39], s[12:13], s[10:11]
	;; [unrolled: 3-line block ×5, first 2 shown]
	v_mov_b32_e32 v8, v35
	v_mov_b32_e32 v9, v34
	;; [unrolled: 1-line block ×3, first 2 shown]
.LBB174_483:                            ;   in Loop: Header=BB174_18 Depth=1
	s_or_b64 exec, exec, s[34:35]
	s_mov_b64 s[36:37], s[20:21]
	s_mov_b64 s[34:35], s[20:21]
	s_and_saveexec_b64 s[6:7], s[28:29]
.LBB174_484:                            ;   in Loop: Header=BB174_18 Depth=1
	v_mov_b32_e32 v6, 0
	s_andn2_b64 s[20:21], s[20:21], exec
	s_andn2_b64 s[14:15], s[14:15], exec
	;; [unrolled: 1-line block ×5, first 2 shown]
	s_or_b64 s[26:27], s[26:27], exec
.LBB174_485:                            ;   in Loop: Header=BB174_18 Depth=1
	s_or_b64 exec, exec, s[6:7]
	s_andn2_b64 s[6:7], s[78:79], exec
	s_and_b64 s[10:11], s[20:21], exec
	s_or_b64 s[78:79], s[6:7], s[10:11]
	s_andn2_b64 s[6:7], s[76:77], exec
	s_and_b64 s[10:11], s[14:15], exec
	s_or_b64 s[76:77], s[6:7], s[10:11]
	;; [unrolled: 3-line block ×4, first 2 shown]
	s_andn2_b64 s[6:7], s[70:71], exec
	s_and_b64 s[10:11], s[34:35], exec
	s_mov_b64 s[8:9], -1
	s_or_b64 s[70:71], s[6:7], s[10:11]
                                        ; implicit-def: $vgpr34
                                        ; implicit-def: $vgpr35
                                        ; implicit-def: $vgpr18_vgpr19
                                        ; implicit-def: $vgpr36
	s_and_saveexec_b64 s[6:7], s[26:27]
	s_xor_b64 s[6:7], exec, s[6:7]
	s_cbranch_execz .LBB174_17
; %bb.486:                              ;   in Loop: Header=BB174_18 Depth=1
	v_cmp_eq_u32_e32 vcc, 0, v6
	s_mov_b64 s[10:11], -1
	s_and_saveexec_b64 s[12:13], vcc
	s_cbranch_execz .LBB174_16
; %bb.487:                              ;   in Loop: Header=BB174_18 Depth=1
	v_readlane_b32 s8, v46, 0
	s_xor_b32 s8, s8, 1
	s_add_i32 s14, s72, -2
	s_cmp_eq_u32 s72, 0
	v_writelane_b32 v46, s8, 0
	s_cselect_b64 s[8:9], -1, 0
	s_xor_b64 s[10:11], exec, -1
	s_orn2_b64 s[8:9], s[8:9], exec
	s_mov_b32 s72, s14
	s_branch .LBB174_16
.LBB174_488:
	s_or_b64 exec, exec, s[82:83]
	s_xor_b64 s[4:5], s[68:69], -1
	s_xor_b64 s[14:15], s[66:67], -1
	;; [unrolled: 1-line block ×5, first 2 shown]
	s_mov_b64 s[8:9], 0
	s_and_saveexec_b64 s[10:11], s[6:7]
	s_xor_b64 s[6:7], exec, s[10:11]
	s_cbranch_execnz .LBB174_493
; %bb.489:
	s_andn2_saveexec_b64 s[0:1], s[6:7]
	s_cbranch_execnz .LBB174_512
.LBB174_490:
	s_or_b64 exec, exec, s[0:1]
	s_and_saveexec_b64 s[0:1], s[8:9]
.LBB174_491:
	; divergent unreachable
.LBB174_492:
	s_endpgm
.LBB174_493:
	s_mov_b64 s[10:11], 0
	s_and_saveexec_b64 s[8:9], s[12:13]
	s_xor_b64 s[8:9], exec, s[8:9]
	s_cbranch_execz .LBB174_510
; %bb.494:
	s_mov_b64 s[12:13], 0
	s_and_saveexec_b64 s[10:11], s[14:15]
	s_xor_b64 s[10:11], exec, s[10:11]
	s_cbranch_execz .LBB174_508
; %bb.495:
	;; [unrolled: 5-line block ×3, first 2 shown]
	s_and_saveexec_b64 s[4:5], s[2:3]
	s_xor_b64 s[2:3], exec, s[4:5]
; %bb.497:
	v_xor_b32_e32 v20, 0xffff8000, v8
; %bb.498:
	s_or_b64 exec, exec, s[2:3]
	s_mov_b64 s[2:3], exec
	v_readlane_b32 s4, v47, 32
	v_readlane_b32 s5, v47, 33
	;; [unrolled: 1-line block ×4, first 2 shown]
	s_and_b64 s[4:5], s[2:3], s[4:5]
	v_readlane_b32 s25, v47, 37
	v_readlane_b32 s20, v47, 34
	;; [unrolled: 1-line block ×4, first 2 shown]
	s_mov_b64 exec, s[4:5]
	s_cbranch_execz .LBB174_500
; %bb.499:
	v_mov_b32_e32 v2, 0
	v_mov_b32_e32 v3, v2
	ds_write_b64 v2, v[2:3] offset:5136
.LBB174_500:
	s_or_b64 exec, exec, s[2:3]
	v_mov_b32_e32 v16, 0
	s_waitcnt lgkmcnt(0)
	s_barrier
	s_mov_b64 s[2:3], exec
	v_readlane_b32 s4, v47, 46
	v_readlane_b32 s5, v47, 47
	s_and_b64 s[4:5], s[2:3], s[4:5]
	s_mov_b64 exec, s[4:5]
	s_cbranch_execz .LBB174_502
; %bb.501:
	global_load_ushort v16, v[12:13], off
.LBB174_502:
	s_or_b64 exec, exec, s[2:3]
	v_readlane_b32 s40, v47, 24
	s_add_u32 s2, s60, 63
	v_readlane_b32 s42, v47, 26
	v_readlane_b32 s43, v47, 27
	;; [unrolled: 1-line block ×3, first 2 shown]
	s_addc_u32 s15, s61, 0
	s_and_b32 s14, s2, 0xffffffc0
	s_mul_i32 s2, s34, s43
	s_mul_hi_u32 s3, s34, s42
	s_add_i32 s3, s3, s2
	s_mul_i32 s2, s34, s42
	v_readlane_b32 s16, v47, 10
	s_sub_u32 s2, s20, s2
	v_readlane_b32 s17, v47, 11
	s_subb_u32 s3, 0, s3
	s_mul_i32 s4, s2, s17
	s_mul_hi_u32 s5, s2, s16
	s_add_i32 s4, s5, s4
	s_mul_i32 s3, s3, s16
	s_add_i32 s3, s4, s3
	v_readlane_b32 s28, v47, 4
	v_readlane_b32 s4, v47, 0
	v_readlane_b32 s29, v47, 5
	v_readlane_b32 s5, v47, 1
	s_mov_b32 s18, s4
	s_mul_i32 s4, s4, s29
	s_mul_hi_u32 s5, s18, s28
	s_add_i32 s5, s5, s4
	s_mul_i32 s4, s18, s28
	v_readlane_b32 s22, v47, 2
	v_readlane_b32 s44, v47, 18
	v_readlane_b32 s23, v47, 3
	s_sub_u32 s4, s22, s4
	v_readlane_b32 s46, v47, 20
	v_readlane_b32 s47, v47, 21
	s_mul_i32 s2, s2, s16
	s_subb_u32 s5, s23, s5
	s_mul_i32 s16, s4, s47
	s_mul_hi_u32 s17, s4, s46
	v_readlane_b32 s45, v47, 19
	s_add_i32 s16, s17, s16
	s_mul_i32 s5, s5, s46
	v_readlane_b32 s30, v47, 6
	v_readlane_b32 s31, v47, 7
	s_add_i32 s5, s16, s5
	s_mul_i32 s16, s18, s45
	s_mul_hi_u32 s17, s18, s44
	s_add_i32 s17, s17, s16
	s_mul_i32 s16, s18, s44
	s_mul_i32 s18, s22, s31
	s_mul_hi_u32 s19, s22, s30
	s_add_i32 s19, s19, s18
	s_mul_i32 s18, s22, s30
	v_readlane_b32 s22, v47, 16
	s_sub_u32 s18, s20, s18
	v_readlane_b32 s23, v47, 17
	s_subb_u32 s19, 0, s19
	s_mul_i32 s20, s18, s23
	s_mul_hi_u32 s21, s18, s22
	s_add_i32 s20, s21, s20
	s_mul_i32 s19, s19, s22
	s_add_i32 s19, s20, s19
	v_readlane_b32 s20, v47, 8
	v_readlane_b32 s41, v47, 25
	;; [unrolled: 1-line block ×3, first 2 shown]
	s_mov_b32 s26, s20
	s_mul_i32 s20, s20, s41
	s_mul_hi_u32 s21, s26, s40
	s_add_i32 s21, s21, s20
	s_mul_i32 s20, s26, s40
	v_readlane_b32 s28, v47, 12
	v_readlane_b32 s35, v47, 23
	s_sub_u32 s20, s34, s20
	v_readlane_b32 s30, v47, 14
	v_readlane_b32 s31, v47, 15
	s_mul_i32 s18, s18, s22
	s_subb_u32 s21, s35, s21
	s_mul_i32 s22, s20, s31
	s_mul_hi_u32 s23, s20, s30
	v_readlane_b32 s29, v47, 13
	s_add_i32 s22, s23, s22
	s_mul_i32 s21, s21, s30
	s_add_i32 s21, s22, s21
	s_mul_i32 s22, s26, s29
	s_mul_hi_u32 s23, s26, s28
	s_add_i32 s23, s23, s22
	s_mul_i32 s22, s26, s28
	s_lshl_b64 s[16:17], s[16:17], 1
	v_readlane_b32 s26, v47, 30
	s_mul_i32 s4, s4, s46
	v_readlane_b32 s27, v47, 31
	s_add_u32 s16, s26, s16
	s_addc_u32 s17, s27, s17
	s_lshl_b64 s[4:5], s[4:5], 1
	s_add_u32 s16, s16, s4
	s_addc_u32 s17, s17, s5
	s_lshl_b64 s[4:5], s[18:19], 1
	;; [unrolled: 3-line block ×3, first 2 shown]
	v_readlane_b32 s16, v47, 28
	s_mul_i32 s20, s20, s30
	v_readlane_b32 s17, v47, 29
	s_add_u32 s16, s16, s4
	s_addc_u32 s17, s17, s5
	s_lshl_b64 s[4:5], s[20:21], 3
	s_add_u32 s4, s16, s4
	s_addc_u32 s5, s17, s5
	s_load_dwordx2 s[16:17], s[24:25], 0x368
	s_load_dwordx2 s[18:19], s[24:25], 0x510
	s_lshl_b64 s[2:3], s[2:3], 3
	s_add_u32 s48, s4, s2
	s_addc_u32 s49, s5, s3
	v_cmp_gt_u64_e32 vcc, s[14:15], v[0:1]
	s_mov_b64 s[22:23], -1
	s_mov_b64 s[2:3], 0
	s_mov_b64 s[4:5], 0
	s_and_saveexec_b64 s[20:21], vcc
	s_cbranch_execnz .LBB174_513
; %bb.503:
	s_or_b64 exec, exec, s[20:21]
	s_and_saveexec_b64 s[20:21], s[22:23]
	s_cbranch_execnz .LBB174_528
.LBB174_504:
	s_or_b64 exec, exec, s[20:21]
	s_and_saveexec_b64 s[0:1], s[4:5]
	s_xor_b64 s[0:1], exec, s[0:1]
	s_cbranch_execnz .LBB174_550
.LBB174_505:
	s_or_b64 exec, exec, s[0:1]
	s_and_b64 s[14:15], s[2:3], exec
.LBB174_506:
	s_andn2_saveexec_b64 s[0:1], s[12:13]
	s_cbranch_execnz .LBB174_553
.LBB174_507:
	s_or_b64 exec, exec, s[0:1]
	s_and_b64 s[12:13], s[14:15], exec
.LBB174_508:
	s_andn2_saveexec_b64 s[0:1], s[10:11]
	s_cbranch_execnz .LBB174_552
.LBB174_509:
	s_or_b64 exec, exec, s[0:1]
	s_and_b64 s[10:11], s[12:13], exec
.LBB174_510:
	s_andn2_saveexec_b64 s[0:1], s[8:9]
	s_cbranch_execnz .LBB174_551
.LBB174_511:
	s_or_b64 exec, exec, s[0:1]
	s_and_b64 s[8:9], s[10:11], exec
	s_andn2_saveexec_b64 s[0:1], s[6:7]
	s_cbranch_execz .LBB174_490
.LBB174_512:
	s_or_b64 s[8:9], s[8:9], exec
	s_trap 2
	s_or_b64 exec, exec, s[0:1]
	s_and_saveexec_b64 s[0:1], s[8:9]
	s_cbranch_execnz .LBB174_491
	s_branch .LBB174_492
.LBB174_513:
	s_mov_b32 s36, 0x8000
	v_add_u32_sdwa v17, sext(v20), s36 dst_sel:DWORD dst_unused:UNUSED_PAD src0_sel:WORD_0 src1_sel:DWORD
	s_mov_b64 s[22:23], 0
	v_mov_b32_e32 v18, s74
	v_mov_b32_e32 v3, 0
	v_pk_mov_b32 v[8:9], v[0:1], v[0:1] op_sel:[0,1]
                                        ; implicit-def: $sgpr24_sgpr25
                                        ; implicit-def: $vgpr6_vgpr7
	s_branch .LBB174_515
.LBB174_514:                            ;   in Loop: Header=BB174_515 Depth=1
	s_or_b64 exec, exec, s[26:27]
	s_xor_b64 s[26:27], s[30:31], -1
	s_and_b64 s[4:5], exec, s[4:5]
	s_or_b64 s[22:23], s[4:5], s[22:23]
	s_andn2_b64 s[4:5], s[24:25], exec
	s_and_b64 s[24:25], s[26:27], exec
	s_or_b64 s[24:25], s[4:5], s[24:25]
	v_mov_b32_e32 v16, v19
	v_pk_mov_b32 v[8:9], v[4:5], v[4:5] op_sel:[0,1]
	s_andn2_b64 exec, exec, s[22:23]
	s_cbranch_execz .LBB174_527
.LBB174_515:                            ; =>This Inner Loop Header: Depth=1
	v_add_co_u32_e32 v4, vcc, s89, v8
	v_addc_co_u32_e32 v5, vcc, v9, v18, vcc
	v_cmp_gt_u64_e32 vcc, s[60:61], v[4:5]
	v_mov_b32_e32 v19, 0
	s_and_saveexec_b64 s[4:5], vcc
	s_cbranch_execz .LBB174_517
; %bb.516:                              ;   in Loop: Header=BB174_515 Depth=1
	v_mul_lo_u32 v2, v5, s58
	v_mul_lo_u32 v19, v4, s59
	v_mad_u64_u32 v[14:15], s[26:27], v4, s58, 0
	v_add3_u32 v15, v15, v19, v2
	v_lshlrev_b64 v[14:15], 1, v[14:15]
	v_mov_b32_e32 v2, s88
	v_add_co_u32_e32 v14, vcc, s33, v14
	v_addc_co_u32_e32 v15, vcc, v2, v15, vcc
	global_load_ushort v19, v[14:15], off
.LBB174_517:                            ;   in Loop: Header=BB174_515 Depth=1
	s_or_b64 exec, exec, s[4:5]
	s_waitcnt vmcnt(0)
	v_add_u32_sdwa v2, sext(v16), s36 dst_sel:DWORD dst_unused:UNUSED_PAD src0_sel:WORD_0 src1_sel:DWORD
	v_cmp_gt_u32_e64 s[4:5], v2, v17
	v_cndmask_b32_e64 v14, 0, 1, s[4:5]
	v_cmp_lt_u32_e64 s[4:5], v2, v17
	v_cndmask_b32_e64 v2, 0, 1, s[4:5]
	v_cndmask_b32_e64 v2, v2, v14, s[38:39]
	v_and_b32_e32 v2, 1, v2
	v_cmp_gt_u64_e32 vcc, s[60:61], v[8:9]
	v_cmp_eq_u32_e64 s[4:5], 1, v2
	s_and_b64 s[28:29], vcc, s[4:5]
	v_cndmask_b32_e64 v2, 0, 1, s[28:29]
	v_cmp_ne_u32_e32 vcc, 0, v2
	s_cmp_lg_u64 vcc, 0
	s_cselect_b64 s[4:5], -1, 0
	s_and_b64 s[4:5], s[0:1], s[4:5]
	s_and_saveexec_b64 s[26:27], s[4:5]
	s_cbranch_execz .LBB174_521
; %bb.518:                              ;   in Loop: Header=BB174_515 Depth=1
	s_mov_b64 s[34:35], exec
	v_mbcnt_lo_u32_b32 v2, s34, 0
	v_mbcnt_hi_u32_b32 v14, s35, v2
	s_bcnt1_i32_b64 s37, vcc
	v_cmp_eq_u32_e64 s[4:5], 0, v14
                                        ; implicit-def: $vgpr6_vgpr7
	s_and_saveexec_b64 s[30:31], s[4:5]
	s_cbranch_execz .LBB174_520
; %bb.519:                              ;   in Loop: Header=BB174_515 Depth=1
	s_bcnt1_i32_b64 s4, s[34:35]
	s_mul_i32 s4, s37, s4
	v_mov_b32_e32 v2, s4
	s_waitcnt lgkmcnt(0)
	ds_add_rtn_u64 v[6:7], v3, v[2:3] offset:5136
.LBB174_520:                            ;   in Loop: Header=BB174_515 Depth=1
	s_or_b64 exec, exec, s[30:31]
	s_waitcnt lgkmcnt(0)
	v_readfirstlane_b32 s4, v7
	v_readfirstlane_b32 s5, v6
	v_mov_b32_e32 v6, s5
	v_mov_b32_e32 v7, s4
	v_mad_u64_u32 v[6:7], s[4:5], s37, v14, v[6:7]
.LBB174_521:                            ;   in Loop: Header=BB174_515 Depth=1
	s_or_b64 exec, exec, s[26:27]
	s_waitcnt lgkmcnt(0)
	ds_bpermute_b32 v6, v24, v6
	ds_bpermute_b32 v7, v24, v7
	s_mov_b64 s[4:5], -1
	s_mov_b64 s[34:35], -1
                                        ; implicit-def: $sgpr30_sgpr31
	s_and_saveexec_b64 s[26:27], s[28:29]
	s_cbranch_execz .LBB174_525
; %bb.522:                              ;   in Loop: Header=BB174_515 Depth=1
	v_and_b32_e32 v14, vcc_lo, v10
	v_and_b32_e32 v2, vcc_hi, v11
	v_bcnt_u32_b32 v14, v14, 0
	v_bcnt_u32_b32 v2, v2, v14
	s_waitcnt lgkmcnt(0)
	v_add_co_u32_e32 v14, vcc, v6, v2
	v_addc_co_u32_e32 v15, vcc, 0, v7, vcc
	v_cmp_gt_u64_e32 vcc, s[62:63], v[14:15]
	s_mov_b64 s[28:29], 0
	s_and_saveexec_b64 s[30:31], vcc
	s_cbranch_execz .LBB174_524
; %bb.523:                              ;   in Loop: Header=BB174_515 Depth=1
	v_mul_lo_u32 v2, v15, s16
	v_mul_lo_u32 v21, v14, s17
	v_mad_u64_u32 v[22:23], s[34:35], v14, s16, 0
	v_add3_u32 v23, v23, v21, v2
	v_mul_lo_u32 v2, v15, s18
	v_mul_lo_u32 v21, v14, s19
	v_mad_u64_u32 v[14:15], s[34:35], v14, s18, 0
	v_lshlrev_b64 v[22:23], 1, v[22:23]
	v_add3_u32 v15, v15, v21, v2
	v_mov_b32_e32 v2, s47
	v_add_co_u32_e32 v22, vcc, s46, v22
	v_addc_co_u32_e32 v23, vcc, v2, v23, vcc
	v_lshlrev_b64 v[14:15], 3, v[14:15]
	v_mov_b32_e32 v2, s49
	v_add_co_u32_e32 v14, vcc, s48, v14
	s_mov_b64 s[28:29], exec
	v_addc_co_u32_e32 v15, vcc, v2, v15, vcc
	global_store_short v[22:23], v16, off
	global_store_dwordx2 v[14:15], v[8:9], off
.LBB174_524:                            ;   in Loop: Header=BB174_515 Depth=1
	s_or_b64 exec, exec, s[30:31]
	s_mov_b64 s[30:31], -1
	s_orn2_b64 s[34:35], s[28:29], exec
.LBB174_525:                            ;   in Loop: Header=BB174_515 Depth=1
	s_or_b64 exec, exec, s[26:27]
	s_and_saveexec_b64 s[26:27], s[34:35]
	s_cbranch_execz .LBB174_514
; %bb.526:                              ;   in Loop: Header=BB174_515 Depth=1
	v_cmp_le_u64_e32 vcc, s[14:15], v[4:5]
	s_andn2_b64 s[30:31], s[30:31], exec
	s_orn2_b64 s[4:5], vcc, exec
	s_branch .LBB174_514
.LBB174_527:
	s_or_b64 exec, exec, s[22:23]
	s_mov_b64 s[4:5], exec
	s_orn2_b64 s[22:23], s[24:25], exec
	s_or_b64 exec, exec, s[20:21]
	s_and_saveexec_b64 s[20:21], s[22:23]
	s_cbranch_execz .LBB174_504
.LBB174_528:
	v_mov_b32_e32 v3, 0
	v_mov_b32_e32 v8, 0
	s_waitcnt lgkmcnt(0)
	s_barrier
	s_mov_b64 s[2:3], exec
	v_readlane_b32 s22, v47, 46
	v_readlane_b32 s23, v47, 47
	s_and_b64 s[22:23], s[2:3], s[22:23]
	s_mov_b64 exec, s[22:23]
	s_cbranch_execz .LBB174_530
; %bb.529:
	global_load_ushort v8, v[12:13], off
.LBB174_530:
	s_or_b64 exec, exec, s[2:3]
	s_mov_b64 s[24:25], 0
                                        ; implicit-def: $sgpr22_sgpr23
                                        ; implicit-def: $sgpr26_sgpr27
                                        ; implicit-def: $sgpr28_sgpr29
                                        ; implicit-def: $vgpr4_vgpr5
	s_branch .LBB174_533
.LBB174_531:                            ;   in Loop: Header=BB174_533 Depth=1
	s_or_b64 exec, exec, s[36:37]
	s_andn2_b64 s[28:29], s[28:29], exec
	s_and_b64 s[34:35], s[40:41], exec
	s_andn2_b64 s[26:27], s[26:27], exec
	s_and_b64 s[2:3], s[2:3], exec
	s_or_b64 s[28:29], s[28:29], s[34:35]
	s_or_b64 s[26:27], s[26:27], s[2:3]
	v_pk_mov_b32 v[0:1], v[6:7], v[6:7] op_sel:[0,1]
.LBB174_532:                            ;   in Loop: Header=BB174_533 Depth=1
	s_or_b64 exec, exec, s[30:31]
	s_xor_b64 s[2:3], s[28:29], -1
	s_and_b64 s[30:31], exec, s[26:27]
	s_or_b64 s[24:25], s[30:31], s[24:25]
	s_andn2_b64 s[22:23], s[22:23], exec
	s_and_b64 s[2:3], s[2:3], exec
	s_or_b64 s[22:23], s[22:23], s[2:3]
	s_andn2_b64 exec, exec, s[24:25]
	s_cbranch_execz .LBB174_548
.LBB174_533:                            ; =>This Inner Loop Header: Depth=1
	v_cmp_gt_u64_e32 vcc, s[14:15], v[0:1]
	s_or_b64 s[28:29], s[28:29], exec
	s_or_b64 s[26:27], s[26:27], exec
	s_and_saveexec_b64 s[30:31], vcc
	s_cbranch_execz .LBB174_532
; %bb.534:                              ;   in Loop: Header=BB174_533 Depth=1
	v_mov_b32_e32 v2, s74
	v_add_co_u32_e32 v6, vcc, s89, v0
	v_addc_co_u32_e32 v7, vcc, v1, v2, vcc
	v_cmp_gt_u64_e32 vcc, s[60:61], v[6:7]
	v_mov_b32_e32 v12, 0
	s_and_saveexec_b64 s[2:3], vcc
	s_cbranch_execz .LBB174_536
; %bb.535:                              ;   in Loop: Header=BB174_533 Depth=1
	v_mul_lo_u32 v2, v7, s58
	v_mul_lo_u32 v9, v6, s59
	v_mad_u64_u32 v[12:13], s[34:35], v6, s58, 0
	v_add3_u32 v13, v13, v9, v2
	v_lshlrev_b64 v[12:13], 1, v[12:13]
	v_mov_b32_e32 v2, s88
	v_add_co_u32_e32 v12, vcc, s33, v12
	v_addc_co_u32_e32 v13, vcc, v2, v13, vcc
	global_load_ushort v12, v[12:13], off
.LBB174_536:                            ;   in Loop: Header=BB174_533 Depth=1
	s_or_b64 exec, exec, s[2:3]
	v_cmp_gt_u64_e32 vcc, s[60:61], v[0:1]
	s_waitcnt vmcnt(0)
	v_cmp_eq_u16_e64 s[2:3], v8, v20
	s_and_b64 s[36:37], vcc, s[2:3]
	v_cndmask_b32_e64 v2, 0, 1, s[36:37]
	v_cmp_ne_u32_e32 vcc, 0, v2
	s_cmp_lg_u64 vcc, 0
	s_cselect_b64 s[2:3], -1, 0
	s_and_b64 s[2:3], s[0:1], s[2:3]
	s_and_saveexec_b64 s[34:35], s[2:3]
	s_cbranch_execz .LBB174_540
; %bb.537:                              ;   in Loop: Header=BB174_533 Depth=1
	s_mov_b64 s[40:41], exec
	v_mbcnt_lo_u32_b32 v2, s40, 0
	v_mbcnt_hi_u32_b32 v9, s41, v2
	s_bcnt1_i32_b64 s42, vcc
	v_cmp_eq_u32_e64 s[2:3], 0, v9
                                        ; implicit-def: $vgpr4_vgpr5
	s_and_saveexec_b64 s[38:39], s[2:3]
	s_cbranch_execz .LBB174_539
; %bb.538:                              ;   in Loop: Header=BB174_533 Depth=1
	s_bcnt1_i32_b64 s2, s[40:41]
	s_mul_i32 s2, s42, s2
	v_mov_b32_e32 v2, s2
	ds_add_rtn_u64 v[4:5], v3, v[2:3] offset:5136
.LBB174_539:                            ;   in Loop: Header=BB174_533 Depth=1
	s_or_b64 exec, exec, s[38:39]
	s_waitcnt lgkmcnt(0)
	v_readfirstlane_b32 s2, v5
	v_readfirstlane_b32 s3, v4
	v_mov_b32_e32 v4, s3
	v_mov_b32_e32 v5, s2
	v_mad_u64_u32 v[4:5], s[2:3], s42, v9, v[4:5]
.LBB174_540:                            ;   in Loop: Header=BB174_533 Depth=1
	s_or_b64 exec, exec, s[34:35]
	ds_bpermute_b32 v4, v24, v4
	ds_bpermute_b32 v5, v24, v5
	s_cmp_eq_u64 vcc, 0
	s_cselect_b64 s[34:35], -1, 0
	s_mov_b64 s[38:39], -1
	s_mov_b64 s[40:41], -1
	s_waitcnt lgkmcnt(0)
	v_cmp_gt_u64_e64 s[2:3], s[62:63], v[4:5]
	s_or_b64 s[34:35], s[34:35], s[2:3]
	v_cndmask_b32_e64 v8, v8, v12, s[34:35]
	s_and_b64 s[42:43], s[36:37], s[34:35]
	s_mov_b64 s[2:3], -1
	s_and_saveexec_b64 s[36:37], s[42:43]
	s_cbranch_execz .LBB174_546
; %bb.541:                              ;   in Loop: Header=BB174_533 Depth=1
	v_and_b32_e32 v8, vcc_lo, v10
	v_and_b32_e32 v2, vcc_hi, v11
	v_bcnt_u32_b32 v8, v8, 0
	v_bcnt_u32_b32 v2, v2, v8
	v_mov_b32_e32 v9, s63
	v_sub_co_u32_e32 v8, vcc, s62, v4
	v_subb_co_u32_e32 v9, vcc, v9, v5, vcc
	v_cmp_le_u64_e64 s[38:39], v[8:9], v[2:3]
	v_cmp_gt_u64_e32 vcc, v[8:9], v[2:3]
	s_mov_b64 s[42:43], -1
	s_and_saveexec_b64 s[40:41], vcc
	s_cbranch_execz .LBB174_545
; %bb.542:                              ;   in Loop: Header=BB174_533 Depth=1
	v_add_co_u32_e32 v8, vcc, v4, v2
	v_addc_co_u32_e32 v9, vcc, 0, v5, vcc
	v_cmp_gt_u64_e32 vcc, s[62:63], v[8:9]
	s_mov_b64 s[44:45], s[38:39]
	s_and_saveexec_b64 s[42:43], vcc
	s_cbranch_execz .LBB174_544
; %bb.543:                              ;   in Loop: Header=BB174_533 Depth=1
	v_mul_lo_u32 v2, v9, s16
	v_mul_lo_u32 v13, v8, s17
	v_mad_u64_u32 v[14:15], s[44:45], v8, s16, 0
	v_add3_u32 v15, v15, v13, v2
	v_mul_lo_u32 v2, v9, s18
	v_mul_lo_u32 v13, v8, s19
	v_mad_u64_u32 v[8:9], s[44:45], v8, s18, 0
	v_lshlrev_b64 v[14:15], 1, v[14:15]
	v_add3_u32 v9, v9, v13, v2
	v_mov_b32_e32 v2, s47
	v_add_co_u32_e32 v14, vcc, s46, v14
	v_addc_co_u32_e32 v15, vcc, v2, v15, vcc
	v_lshlrev_b64 v[8:9], 3, v[8:9]
	v_mov_b32_e32 v2, s49
	v_add_co_u32_e32 v8, vcc, s48, v8
	v_addc_co_u32_e32 v9, vcc, v2, v9, vcc
	s_or_b64 s[44:45], s[38:39], exec
	global_store_short v[14:15], v20, off
	global_store_dwordx2 v[8:9], v[0:1], off
.LBB174_544:                            ;   in Loop: Header=BB174_533 Depth=1
	s_or_b64 exec, exec, s[42:43]
	s_andn2_b64 s[38:39], s[38:39], exec
	s_and_b64 s[44:45], s[44:45], exec
	s_xor_b64 s[42:43], exec, -1
	s_or_b64 s[38:39], s[38:39], s[44:45]
.LBB174_545:                            ;   in Loop: Header=BB174_533 Depth=1
	s_or_b64 exec, exec, s[40:41]
	s_orn2_b64 s[40:41], s[42:43], exec
	s_or_b64 s[34:35], s[34:35], exec
	s_orn2_b64 s[38:39], s[38:39], exec
	v_mov_b32_e32 v8, v12
.LBB174_546:                            ;   in Loop: Header=BB174_533 Depth=1
	s_or_b64 exec, exec, s[36:37]
	s_and_saveexec_b64 s[36:37], s[38:39]
	s_cbranch_execz .LBB174_531
; %bb.547:                              ;   in Loop: Header=BB174_533 Depth=1
	s_xor_b64 s[2:3], s[34:35], -1
	s_or_b64 s[40:41], s[40:41], exec
	s_orn2_b64 s[2:3], s[2:3], exec
	s_branch .LBB174_531
.LBB174_548:
	s_or_b64 exec, exec, s[24:25]
	s_mov_b64 s[0:1], 0
	s_and_saveexec_b64 s[2:3], s[22:23]
	s_xor_b64 s[2:3], exec, s[2:3]
	s_cbranch_execnz .LBB174_554
.LBB174_549:
	s_or_b64 exec, exec, s[2:3]
	s_and_b64 s[2:3], s[0:1], exec
	s_andn2_b64 s[4:5], s[4:5], exec
	s_or_b64 exec, exec, s[20:21]
	s_and_saveexec_b64 s[0:1], s[4:5]
	s_xor_b64 s[0:1], exec, s[0:1]
	s_cbranch_execz .LBB174_505
.LBB174_550:
	s_or_b64 s[2:3], s[2:3], exec
	s_trap 2
	s_branch .LBB174_505
.LBB174_551:
	s_or_b64 s[10:11], s[10:11], exec
	s_trap 2
	s_branch .LBB174_511
.LBB174_552:
	s_or_b64 s[12:13], s[12:13], exec
	s_trap 2
	s_branch .LBB174_509
.LBB174_553:
	s_trap 2
	s_or_b64 s[14:15], s[14:15], exec
	s_branch .LBB174_507
.LBB174_554:
	s_mov_b64 s[0:1], exec
	s_trap 2
	s_branch .LBB174_549
	.section	.rodata,"a",@progbits
	.p2align	6, 0x0
	.amdhsa_kernel _ZN2at6native6sbtopk10gatherTopKIsmLi3ELb0EEEvNS_4cuda6detail10TensorInfoIKT_T0_EES8_S8_bS8_S8_NS5_IS6_S8_EES8_NS5_IlS8_EES8_PS6_
		.amdhsa_group_segment_fixed_size 5152
		.amdhsa_private_segment_fixed_size 0
		.amdhsa_kernarg_size 1568
		.amdhsa_user_sgpr_count 6
		.amdhsa_user_sgpr_private_segment_buffer 1
		.amdhsa_user_sgpr_dispatch_ptr 0
		.amdhsa_user_sgpr_queue_ptr 0
		.amdhsa_user_sgpr_kernarg_segment_ptr 1
		.amdhsa_user_sgpr_dispatch_id 0
		.amdhsa_user_sgpr_flat_scratch_init 0
		.amdhsa_user_sgpr_kernarg_preload_length 0
		.amdhsa_user_sgpr_kernarg_preload_offset 0
		.amdhsa_user_sgpr_private_segment_size 0
		.amdhsa_uses_dynamic_stack 0
		.amdhsa_system_sgpr_private_segment_wavefront_offset 0
		.amdhsa_system_sgpr_workgroup_id_x 1
		.amdhsa_system_sgpr_workgroup_id_y 1
		.amdhsa_system_sgpr_workgroup_id_z 1
		.amdhsa_system_sgpr_workgroup_info 0
		.amdhsa_system_vgpr_workitem_id 0
		.amdhsa_next_free_vgpr 48
		.amdhsa_next_free_sgpr 96
		.amdhsa_accum_offset 48
		.amdhsa_reserve_vcc 1
		.amdhsa_reserve_flat_scratch 0
		.amdhsa_float_round_mode_32 0
		.amdhsa_float_round_mode_16_64 0
		.amdhsa_float_denorm_mode_32 3
		.amdhsa_float_denorm_mode_16_64 3
		.amdhsa_dx10_clamp 1
		.amdhsa_ieee_mode 1
		.amdhsa_fp16_overflow 0
		.amdhsa_tg_split 0
		.amdhsa_exception_fp_ieee_invalid_op 0
		.amdhsa_exception_fp_denorm_src 0
		.amdhsa_exception_fp_ieee_div_zero 0
		.amdhsa_exception_fp_ieee_overflow 0
		.amdhsa_exception_fp_ieee_underflow 0
		.amdhsa_exception_fp_ieee_inexact 0
		.amdhsa_exception_int_div_zero 0
	.end_amdhsa_kernel
	.section	.text._ZN2at6native6sbtopk10gatherTopKIsmLi3ELb0EEEvNS_4cuda6detail10TensorInfoIKT_T0_EES8_S8_bS8_S8_NS5_IS6_S8_EES8_NS5_IlS8_EES8_PS6_,"axG",@progbits,_ZN2at6native6sbtopk10gatherTopKIsmLi3ELb0EEEvNS_4cuda6detail10TensorInfoIKT_T0_EES8_S8_bS8_S8_NS5_IS6_S8_EES8_NS5_IlS8_EES8_PS6_,comdat
.Lfunc_end174:
	.size	_ZN2at6native6sbtopk10gatherTopKIsmLi3ELb0EEEvNS_4cuda6detail10TensorInfoIKT_T0_EES8_S8_bS8_S8_NS5_IS6_S8_EES8_NS5_IlS8_EES8_PS6_, .Lfunc_end174-_ZN2at6native6sbtopk10gatherTopKIsmLi3ELb0EEEvNS_4cuda6detail10TensorInfoIKT_T0_EES8_S8_bS8_S8_NS5_IS6_S8_EES8_NS5_IlS8_EES8_PS6_
                                        ; -- End function
	.section	.AMDGPU.csdata,"",@progbits
; Kernel info:
; codeLenInByte = 28172
; NumSgprs: 100
; NumVgprs: 48
; NumAgprs: 0
; TotalNumVgprs: 48
; ScratchSize: 0
; MemoryBound: 0
; FloatMode: 240
; IeeeMode: 1
; LDSByteSize: 5152 bytes/workgroup (compile time only)
; SGPRBlocks: 12
; VGPRBlocks: 5
; NumSGPRsForWavesPerEU: 100
; NumVGPRsForWavesPerEU: 48
; AccumOffset: 48
; Occupancy: 8
; WaveLimiterHint : 1
; COMPUTE_PGM_RSRC2:SCRATCH_EN: 0
; COMPUTE_PGM_RSRC2:USER_SGPR: 6
; COMPUTE_PGM_RSRC2:TRAP_HANDLER: 0
; COMPUTE_PGM_RSRC2:TGID_X_EN: 1
; COMPUTE_PGM_RSRC2:TGID_Y_EN: 1
; COMPUTE_PGM_RSRC2:TGID_Z_EN: 1
; COMPUTE_PGM_RSRC2:TIDIG_COMP_CNT: 0
; COMPUTE_PGM_RSRC3_GFX90A:ACCUM_OFFSET: 11
; COMPUTE_PGM_RSRC3_GFX90A:TG_SPLIT: 0
	.section	.text._ZN2at6native6mbtopk23computeBlockDigitCountsIsmjLin1EEEvNS_4cuda6detail10TensorInfoIKT_T0_EEjPjjS8_iijT1_PSB_Ps,"axG",@progbits,_ZN2at6native6mbtopk23computeBlockDigitCountsIsmjLin1EEEvNS_4cuda6detail10TensorInfoIKT_T0_EEjPjjS8_iijT1_PSB_Ps,comdat
	.protected	_ZN2at6native6mbtopk23computeBlockDigitCountsIsmjLin1EEEvNS_4cuda6detail10TensorInfoIKT_T0_EEjPjjS8_iijT1_PSB_Ps ; -- Begin function _ZN2at6native6mbtopk23computeBlockDigitCountsIsmjLin1EEEvNS_4cuda6detail10TensorInfoIKT_T0_EEjPjjS8_iijT1_PSB_Ps
	.globl	_ZN2at6native6mbtopk23computeBlockDigitCountsIsmjLin1EEEvNS_4cuda6detail10TensorInfoIKT_T0_EEjPjjS8_iijT1_PSB_Ps
	.p2align	8
	.type	_ZN2at6native6mbtopk23computeBlockDigitCountsIsmjLin1EEEvNS_4cuda6detail10TensorInfoIKT_T0_EEjPjjS8_iijT1_PSB_Ps,@function
_ZN2at6native6mbtopk23computeBlockDigitCountsIsmjLin1EEEvNS_4cuda6detail10TensorInfoIKT_T0_EEjPjjS8_iijT1_PSB_Ps: ; @_ZN2at6native6mbtopk23computeBlockDigitCountsIsmjLin1EEEvNS_4cuda6detail10TensorInfoIKT_T0_EEjPjjS8_iijT1_PSB_Ps
; %bb.0:
	s_load_dwordx4 s[12:15], s[4:5], 0x1c0
	s_load_dword s2, s[4:5], 0x1b0
	s_load_dwordx2 s[0:1], s[4:5], 0x1e0
	s_mov_b32 s9, 0
	s_waitcnt lgkmcnt(0)
	v_cvt_f32_u32_e32 v1, s14
	s_sub_i32 s3, 0, s14
	s_mul_i32 s1, s1, s8
	s_add_i32 s1, s1, s7
	v_rcp_iflag_f32_e32 v1, v1
	s_mul_i32 s26, s1, s0
	s_add_i32 s26, s26, s6
	v_mul_f32_e32 v1, 0x4f7ffffe, v1
	v_cvt_u32_f32_e32 v1, v1
	v_readfirstlane_b32 s0, v1
	s_mul_i32 s3, s3, s0
	s_mul_hi_u32 s1, s0, s3
	s_add_i32 s0, s0, s1
	s_mul_hi_u32 s0, s26, s0
	s_mul_i32 s1, s0, s14
	s_sub_i32 s1, s26, s1
	s_add_i32 s3, s0, 1
	s_sub_i32 s6, s1, s14
	s_cmp_ge_u32 s1, s14
	s_cselect_b32 s0, s3, s0
	s_cselect_b32 s1, s6, s1
	s_add_i32 s3, s0, 1
	s_cmp_ge_u32 s1, s14
	s_cselect_b32 s8, s3, s0
	s_cmp_ge_u32 s8, s2
	s_cbranch_scc1 .LBB175_32
; %bb.1:
	s_load_dwordx4 s[0:3], s[4:5], 0x1d0
	s_load_dword s16, s[4:5], 0x198
	s_lshl_b64 s[6:7], s[8:9], 2
	s_mov_b64 s[20:21], s[8:9]
	s_waitcnt lgkmcnt(0)
	s_add_u32 s10, s0, s6
	s_addc_u32 s11, s1, s7
	s_cmp_lt_i32 s16, 2
	s_mov_b64 s[6:7], 0
	s_cbranch_scc1 .LBB175_9
; %bb.2:
	s_add_i32 s9, s16, 1
	s_add_i32 s0, s16, -1
	s_mov_b32 s16, 0
	s_mov_b32 s1, s16
	s_lshl_b64 s[0:1], s[0:1], 3
	s_add_u32 s0, s0, s4
	s_addc_u32 s1, s1, s5
	s_add_u32 s18, s0, 8
	s_addc_u32 s19, s1, 0
.LBB175_3:                              ; =>This Inner Loop Header: Depth=1
	s_load_dwordx2 s[22:23], s[18:19], 0x0
	s_waitcnt lgkmcnt(0)
	s_or_b64 s[0:1], s[20:21], s[22:23]
	s_mov_b32 s17, s1
	s_cmp_lg_u64 s[16:17], 0
	s_cbranch_scc0 .LBB175_8
; %bb.4:                                ;   in Loop: Header=BB175_3 Depth=1
	v_cvt_f32_u32_e32 v1, s22
	v_cvt_f32_u32_e32 v2, s23
	s_sub_u32 s0, 0, s22
	s_subb_u32 s1, 0, s23
	v_mac_f32_e32 v1, 0x4f800000, v2
	v_rcp_f32_e32 v1, v1
	v_mul_f32_e32 v1, 0x5f7ffffc, v1
	v_mul_f32_e32 v2, 0x2f800000, v1
	v_trunc_f32_e32 v2, v2
	v_mac_f32_e32 v1, 0xcf800000, v2
	v_cvt_u32_f32_e32 v2, v2
	v_cvt_u32_f32_e32 v1, v1
	v_readfirstlane_b32 s17, v2
	v_readfirstlane_b32 s24, v1
	s_mul_i32 s25, s0, s17
	s_mul_hi_u32 s28, s0, s24
	s_mul_i32 s27, s1, s24
	s_add_i32 s25, s28, s25
	s_mul_i32 s29, s0, s24
	s_add_i32 s25, s25, s27
	s_mul_hi_u32 s27, s24, s25
	s_mul_i32 s28, s24, s25
	s_mul_hi_u32 s24, s24, s29
	s_add_u32 s24, s24, s28
	s_addc_u32 s27, 0, s27
	s_mul_hi_u32 s30, s17, s29
	s_mul_i32 s29, s17, s29
	s_add_u32 s24, s24, s29
	s_mul_hi_u32 s28, s17, s25
	s_addc_u32 s24, s27, s30
	s_addc_u32 s27, s28, 0
	s_mul_i32 s25, s17, s25
	s_add_u32 s24, s24, s25
	s_addc_u32 s25, 0, s27
	v_add_co_u32_e32 v1, vcc, s24, v1
	s_cmp_lg_u64 vcc, 0
	s_addc_u32 s17, s17, s25
	v_readfirstlane_b32 s25, v1
	s_mul_i32 s24, s0, s17
	s_mul_hi_u32 s27, s0, s25
	s_add_i32 s24, s27, s24
	s_mul_i32 s1, s1, s25
	s_add_i32 s24, s24, s1
	s_mul_i32 s0, s0, s25
	s_mul_hi_u32 s27, s17, s0
	s_mul_i32 s28, s17, s0
	s_mul_i32 s30, s25, s24
	s_mul_hi_u32 s0, s25, s0
	s_mul_hi_u32 s29, s25, s24
	s_add_u32 s0, s0, s30
	s_addc_u32 s25, 0, s29
	s_add_u32 s0, s0, s28
	s_mul_hi_u32 s1, s17, s24
	s_addc_u32 s0, s25, s27
	s_addc_u32 s1, s1, 0
	s_mul_i32 s24, s17, s24
	s_add_u32 s0, s0, s24
	s_addc_u32 s1, 0, s1
	v_add_co_u32_e32 v1, vcc, s0, v1
	s_cmp_lg_u64 vcc, 0
	s_addc_u32 s0, s17, s1
	v_readfirstlane_b32 s24, v1
	s_mul_i32 s17, s20, s0
	s_mul_hi_u32 s25, s20, s24
	s_mul_hi_u32 s1, s20, s0
	s_add_u32 s17, s25, s17
	s_addc_u32 s1, 0, s1
	s_mul_hi_u32 s27, s21, s24
	s_mul_i32 s24, s21, s24
	s_add_u32 s17, s17, s24
	s_mul_hi_u32 s25, s21, s0
	s_addc_u32 s1, s1, s27
	s_addc_u32 s17, s25, 0
	s_mul_i32 s0, s21, s0
	s_add_u32 s24, s1, s0
	s_addc_u32 s17, 0, s17
	s_mul_i32 s0, s22, s17
	s_mul_hi_u32 s1, s22, s24
	s_add_i32 s0, s1, s0
	s_mul_i32 s1, s23, s24
	s_add_i32 s25, s0, s1
	s_mul_i32 s1, s22, s24
	v_mov_b32_e32 v1, s1
	s_sub_i32 s0, s21, s25
	v_sub_co_u32_e32 v1, vcc, s20, v1
	s_cmp_lg_u64 vcc, 0
	s_subb_u32 s27, s0, s23
	v_subrev_co_u32_e64 v2, s[0:1], s22, v1
	s_cmp_lg_u64 s[0:1], 0
	s_subb_u32 s0, s27, 0
	s_cmp_ge_u32 s0, s23
	v_readfirstlane_b32 s27, v2
	s_cselect_b32 s1, -1, 0
	s_cmp_ge_u32 s27, s22
	s_cselect_b32 s27, -1, 0
	s_cmp_eq_u32 s0, s23
	s_cselect_b32 s0, s27, s1
	s_add_u32 s1, s24, 1
	s_addc_u32 s27, s17, 0
	s_add_u32 s28, s24, 2
	s_addc_u32 s29, s17, 0
	s_cmp_lg_u32 s0, 0
	s_cselect_b32 s0, s28, s1
	s_cselect_b32 s1, s29, s27
	s_cmp_lg_u64 vcc, 0
	s_subb_u32 s25, s21, s25
	s_cmp_ge_u32 s25, s23
	v_readfirstlane_b32 s28, v1
	s_cselect_b32 s27, -1, 0
	s_cmp_ge_u32 s28, s22
	s_cselect_b32 s28, -1, 0
	s_cmp_eq_u32 s25, s23
	s_cselect_b32 s25, s28, s27
	s_cmp_lg_u32 s25, 0
	s_cselect_b32 s1, s1, s17
	s_cselect_b32 s0, s0, s24
	s_cbranch_execnz .LBB175_6
.LBB175_5:                              ;   in Loop: Header=BB175_3 Depth=1
	v_cvt_f32_u32_e32 v1, s22
	s_sub_i32 s0, 0, s22
	v_rcp_iflag_f32_e32 v1, v1
	v_mul_f32_e32 v1, 0x4f7ffffe, v1
	v_cvt_u32_f32_e32 v1, v1
	v_readfirstlane_b32 s1, v1
	s_mul_i32 s0, s0, s1
	s_mul_hi_u32 s0, s1, s0
	s_add_i32 s1, s1, s0
	s_mul_hi_u32 s0, s20, s1
	s_mul_i32 s17, s0, s22
	s_sub_i32 s17, s20, s17
	s_add_i32 s1, s0, 1
	s_sub_i32 s24, s17, s22
	s_cmp_ge_u32 s17, s22
	s_cselect_b32 s0, s1, s0
	s_cselect_b32 s17, s24, s17
	s_add_i32 s1, s0, 1
	s_cmp_ge_u32 s17, s22
	s_cselect_b32 s0, s1, s0
	s_mov_b32 s1, s16
.LBB175_6:                              ;   in Loop: Header=BB175_3 Depth=1
	s_mul_i32 s17, s0, s23
	s_mul_hi_u32 s23, s0, s22
	s_load_dwordx2 s[24:25], s[18:19], 0xc8
	s_add_i32 s17, s23, s17
	s_mul_i32 s23, s1, s22
	s_add_i32 s17, s17, s23
	s_mul_i32 s22, s0, s22
	s_sub_u32 s20, s20, s22
	s_subb_u32 s17, s21, s17
	s_waitcnt lgkmcnt(0)
	s_mul_i32 s17, s24, s17
	s_mul_hi_u32 s21, s24, s20
	s_add_i32 s17, s21, s17
	s_mul_i32 s21, s25, s20
	s_add_i32 s17, s17, s21
	s_mul_i32 s20, s24, s20
	s_add_u32 s6, s20, s6
	s_addc_u32 s7, s17, s7
	s_add_i32 s9, s9, -1
	s_add_u32 s18, s18, -8
	s_addc_u32 s19, s19, -1
	s_cmp_gt_u32 s9, 2
	s_cbranch_scc0 .LBB175_10
; %bb.7:                                ;   in Loop: Header=BB175_3 Depth=1
	s_mov_b64 s[20:21], s[0:1]
	s_branch .LBB175_3
.LBB175_8:                              ;   in Loop: Header=BB175_3 Depth=1
                                        ; implicit-def: $sgpr0_sgpr1
	s_branch .LBB175_5
.LBB175_9:
	s_mov_b64 s[0:1], s[20:21]
.LBB175_10:
	s_load_dword s16, s[10:11], 0x0
	s_movk_i32 s9, 0x100
	v_cmp_gt_u32_e32 vcc, s9, v0
	v_lshlrev_b32_e32 v1, 2, v0
	s_and_saveexec_b64 s[10:11], vcc
	s_cbranch_execz .LBB175_12
; %bb.11:
	v_mov_b32_e32 v2, 0
	ds_write_b32 v1, v2
.LBB175_12:
	s_or_b64 exec, exec, s[10:11]
	s_load_dword s10, s[4:5], 0x1a0
	s_mul_i32 s8, s8, s14
	s_sub_i32 s8, s26, s8
	s_add_i32 s9, s8, 1
	s_mul_i32 s8, s13, s8
	s_lshl_b32 s17, s8, 8
	s_waitcnt lgkmcnt(0)
	s_sub_i32 s8, s10, s17
	s_add_u32 s8, s8, 0xff
	s_addc_u32 s11, 0, 0
	v_mov_b32_e32 v2, s8
	v_alignbit_b32 v2, s11, v2, 8
	s_cmp_lt_u32 s9, s14
	v_readfirstlane_b32 s8, v2
	s_cselect_b32 s11, s13, s8
	s_cmp_lt_i32 s11, 1
	s_mov_b32 s14, 0
	s_barrier
	s_cbranch_scc1 .LBB175_28
; %bb.13:
	s_load_dwordx2 s[18:19], s[4:5], 0xd0
	s_load_dwordx2 s[8:9], s[4:5], 0x1b8
	;; [unrolled: 1-line block ×3, first 2 shown]
	v_add_u32_e32 v2, s17, v0
	s_waitcnt lgkmcnt(0)
	s_mul_i32 s1, s18, s1
	s_mul_hi_u32 s4, s18, s0
	s_mul_i32 s5, s19, s0
	s_add_i32 s1, s4, s1
	s_add_i32 s1, s1, s5
	s_mul_i32 s0, s18, s0
	s_lshl_b64 s[0:1], s[0:1], 1
	s_add_u32 s4, s20, s0
	s_addc_u32 s5, s21, s1
	s_lshl_b64 s[0:1], s[6:7], 1
	s_add_u32 s7, s4, s0
	s_addc_u32 s13, s5, s1
	s_and_b32 s6, s12, 0xff
	s_cmp_eq_u32 s11, 1
	s_cbranch_scc1 .LBB175_23
; %bb.14:
	s_and_b32 s12, s11, 0x7ffffffe
	v_mov_b32_e32 v3, 1
	v_mov_b32_e32 v4, v2
	s_branch .LBB175_16
.LBB175_15:                             ;   in Loop: Header=BB175_16 Depth=1
	s_or_b64 exec, exec, s[4:5]
	s_add_i32 s14, s14, 2
	s_cmp_eq_u32 s12, s14
	v_add_u32_e32 v4, 0x200, v4
	s_cbranch_scc1 .LBB175_22
.LBB175_16:                             ; =>This Inner Loop Header: Depth=1
	v_cmp_gt_u32_e64 s[0:1], s10, v4
	s_and_saveexec_b64 s[4:5], s[0:1]
	s_cbranch_execz .LBB175_19
; %bb.17:                               ;   in Loop: Header=BB175_16 Depth=1
	v_mad_u64_u32 v[6:7], s[0:1], v4, s8, 0
	v_mov_b32_e32 v8, v7
	v_mad_u64_u32 v[8:9], s[0:1], v4, s9, v[8:9]
	v_mov_b32_e32 v7, v8
	v_lshlrev_b64 v[6:7], 1, v[6:7]
	v_mov_b32_e32 v5, s13
	v_add_co_u32_e64 v6, s[0:1], s7, v6
	v_addc_co_u32_e64 v7, s[0:1], v5, v7, s[0:1]
	global_load_sshort v5, v[6:7], off
	s_waitcnt vmcnt(0)
	v_add_u32_e32 v5, 0x8000, v5
	v_xor_b32_e32 v6, s16, v5
	v_and_b32_e32 v6, s15, v6
	v_cmp_eq_u32_e64 s[0:1], 0, v6
	s_and_b64 exec, exec, s[0:1]
	s_cbranch_execz .LBB175_19
; %bb.18:                               ;   in Loop: Header=BB175_16 Depth=1
	v_bfe_u32 v5, v5, s6, 8
	v_lshlrev_b32_e32 v5, 2, v5
	ds_add_u32 v5, v3
.LBB175_19:                             ;   in Loop: Header=BB175_16 Depth=1
	s_or_b64 exec, exec, s[4:5]
	v_add_u32_e32 v5, 0x100, v4
	v_cmp_gt_u32_e64 s[0:1], s10, v5
	s_and_saveexec_b64 s[4:5], s[0:1]
	s_cbranch_execz .LBB175_15
; %bb.20:                               ;   in Loop: Header=BB175_16 Depth=1
	v_mad_u64_u32 v[6:7], s[0:1], v5, s8, 0
	v_mov_b32_e32 v8, v7
	v_mad_u64_u32 v[8:9], s[0:1], v5, s9, v[8:9]
	v_mov_b32_e32 v7, v8
	v_lshlrev_b64 v[6:7], 1, v[6:7]
	v_mov_b32_e32 v5, s13
	v_add_co_u32_e64 v6, s[0:1], s7, v6
	v_addc_co_u32_e64 v7, s[0:1], v5, v7, s[0:1]
	global_load_sshort v5, v[6:7], off
	s_waitcnt vmcnt(0)
	v_add_u32_e32 v5, 0x8000, v5
	v_xor_b32_e32 v6, s16, v5
	v_and_b32_e32 v6, s15, v6
	v_cmp_eq_u32_e64 s[0:1], 0, v6
	s_and_b64 exec, exec, s[0:1]
	s_cbranch_execz .LBB175_15
; %bb.21:                               ;   in Loop: Header=BB175_16 Depth=1
	v_bfe_u32 v5, v5, s6, 8
	v_lshlrev_b32_e32 v5, 2, v5
	ds_add_u32 v5, v3
	s_branch .LBB175_15
.LBB175_22:
	s_lshl_b32 s14, s12, 8
.LBB175_23:
	s_bitcmp0_b32 s11, 0
	s_cbranch_scc1 .LBB175_28
; %bb.24:
	v_add_u32_e32 v2, s14, v2
	v_cmp_gt_u32_e64 s[0:1], s10, v2
	s_and_saveexec_b64 s[4:5], s[0:1]
	s_cbranch_execz .LBB175_27
; %bb.25:
	v_mad_u64_u32 v[4:5], s[0:1], v2, s8, 0
	v_mov_b32_e32 v6, v5
	v_mad_u64_u32 v[2:3], s[0:1], v2, s9, v[6:7]
	v_mov_b32_e32 v5, v2
	v_lshlrev_b64 v[2:3], 1, v[4:5]
	v_mov_b32_e32 v4, s13
	v_add_co_u32_e64 v2, s[0:1], s7, v2
	v_addc_co_u32_e64 v3, s[0:1], v4, v3, s[0:1]
	global_load_sshort v2, v[2:3], off
	s_waitcnt vmcnt(0)
	v_add_u32_e32 v2, 0x8000, v2
	v_xor_b32_e32 v3, s16, v2
	v_and_b32_e32 v3, s15, v3
	v_cmp_eq_u32_e64 s[0:1], 0, v3
	s_and_b64 exec, exec, s[0:1]
	s_cbranch_execz .LBB175_27
; %bb.26:
	v_bfe_u32 v2, v2, s6, 8
	v_lshlrev_b32_e32 v2, 2, v2
	v_mov_b32_e32 v3, 1
	ds_add_u32 v2, v3
.LBB175_27:
	s_or_b64 exec, exec, s[4:5]
.LBB175_28:
	v_mov_b32_e32 v2, 0
	s_waitcnt lgkmcnt(0)
	s_barrier
	s_and_saveexec_b64 s[0:1], vcc
	s_cbranch_execz .LBB175_30
; %bb.29:
	ds_read_b32 v2, v1
.LBB175_30:
	s_or_b64 exec, exec, s[0:1]
	s_and_saveexec_b64 s[0:1], vcc
	s_cbranch_execz .LBB175_32
; %bb.31:
	v_lshl_or_b32 v0, s26, 8, v0
	v_mov_b32_e32 v1, 0
	v_lshlrev_b64 v[0:1], 1, v[0:1]
	v_mov_b32_e32 v3, s3
	v_add_co_u32_e32 v0, vcc, s2, v0
	v_addc_co_u32_e32 v1, vcc, v3, v1, vcc
	s_waitcnt lgkmcnt(0)
	global_store_short v[0:1], v2, off
.LBB175_32:
	s_endpgm
	.section	.rodata,"a",@progbits
	.p2align	6, 0x0
	.amdhsa_kernel _ZN2at6native6mbtopk23computeBlockDigitCountsIsmjLin1EEEvNS_4cuda6detail10TensorInfoIKT_T0_EEjPjjS8_iijT1_PSB_Ps
		.amdhsa_group_segment_fixed_size 1024
		.amdhsa_private_segment_fixed_size 0
		.amdhsa_kernarg_size 736
		.amdhsa_user_sgpr_count 6
		.amdhsa_user_sgpr_private_segment_buffer 1
		.amdhsa_user_sgpr_dispatch_ptr 0
		.amdhsa_user_sgpr_queue_ptr 0
		.amdhsa_user_sgpr_kernarg_segment_ptr 1
		.amdhsa_user_sgpr_dispatch_id 0
		.amdhsa_user_sgpr_flat_scratch_init 0
		.amdhsa_user_sgpr_kernarg_preload_length 0
		.amdhsa_user_sgpr_kernarg_preload_offset 0
		.amdhsa_user_sgpr_private_segment_size 0
		.amdhsa_uses_dynamic_stack 0
		.amdhsa_system_sgpr_private_segment_wavefront_offset 0
		.amdhsa_system_sgpr_workgroup_id_x 1
		.amdhsa_system_sgpr_workgroup_id_y 1
		.amdhsa_system_sgpr_workgroup_id_z 1
		.amdhsa_system_sgpr_workgroup_info 0
		.amdhsa_system_vgpr_workitem_id 0
		.amdhsa_next_free_vgpr 10
		.amdhsa_next_free_sgpr 31
		.amdhsa_accum_offset 12
		.amdhsa_reserve_vcc 1
		.amdhsa_reserve_flat_scratch 0
		.amdhsa_float_round_mode_32 0
		.amdhsa_float_round_mode_16_64 0
		.amdhsa_float_denorm_mode_32 3
		.amdhsa_float_denorm_mode_16_64 3
		.amdhsa_dx10_clamp 1
		.amdhsa_ieee_mode 1
		.amdhsa_fp16_overflow 0
		.amdhsa_tg_split 0
		.amdhsa_exception_fp_ieee_invalid_op 0
		.amdhsa_exception_fp_denorm_src 0
		.amdhsa_exception_fp_ieee_div_zero 0
		.amdhsa_exception_fp_ieee_overflow 0
		.amdhsa_exception_fp_ieee_underflow 0
		.amdhsa_exception_fp_ieee_inexact 0
		.amdhsa_exception_int_div_zero 0
	.end_amdhsa_kernel
	.section	.text._ZN2at6native6mbtopk23computeBlockDigitCountsIsmjLin1EEEvNS_4cuda6detail10TensorInfoIKT_T0_EEjPjjS8_iijT1_PSB_Ps,"axG",@progbits,_ZN2at6native6mbtopk23computeBlockDigitCountsIsmjLin1EEEvNS_4cuda6detail10TensorInfoIKT_T0_EEjPjjS8_iijT1_PSB_Ps,comdat
.Lfunc_end175:
	.size	_ZN2at6native6mbtopk23computeBlockDigitCountsIsmjLin1EEEvNS_4cuda6detail10TensorInfoIKT_T0_EEjPjjS8_iijT1_PSB_Ps, .Lfunc_end175-_ZN2at6native6mbtopk23computeBlockDigitCountsIsmjLin1EEEvNS_4cuda6detail10TensorInfoIKT_T0_EEjPjjS8_iijT1_PSB_Ps
                                        ; -- End function
	.section	.AMDGPU.csdata,"",@progbits
; Kernel info:
; codeLenInByte = 1736
; NumSgprs: 35
; NumVgprs: 10
; NumAgprs: 0
; TotalNumVgprs: 10
; ScratchSize: 0
; MemoryBound: 0
; FloatMode: 240
; IeeeMode: 1
; LDSByteSize: 1024 bytes/workgroup (compile time only)
; SGPRBlocks: 4
; VGPRBlocks: 1
; NumSGPRsForWavesPerEU: 35
; NumVGPRsForWavesPerEU: 10
; AccumOffset: 12
; Occupancy: 8
; WaveLimiterHint : 0
; COMPUTE_PGM_RSRC2:SCRATCH_EN: 0
; COMPUTE_PGM_RSRC2:USER_SGPR: 6
; COMPUTE_PGM_RSRC2:TRAP_HANDLER: 0
; COMPUTE_PGM_RSRC2:TGID_X_EN: 1
; COMPUTE_PGM_RSRC2:TGID_Y_EN: 1
; COMPUTE_PGM_RSRC2:TGID_Z_EN: 1
; COMPUTE_PGM_RSRC2:TIDIG_COMP_CNT: 0
; COMPUTE_PGM_RSRC3_GFX90A:ACCUM_OFFSET: 2
; COMPUTE_PGM_RSRC3_GFX90A:TG_SPLIT: 0
	.section	.text._ZN2at6native6mbtopk10gatherTopKIsmLin1EEEvNS_4cuda6detail10TensorInfoIKT_T0_EES8_S8_bjS8_NS5_IS6_S8_EES8_NS5_IlS8_EES8_jjPS6_PjSD_j,"axG",@progbits,_ZN2at6native6mbtopk10gatherTopKIsmLin1EEEvNS_4cuda6detail10TensorInfoIKT_T0_EES8_S8_bjS8_NS5_IS6_S8_EES8_NS5_IlS8_EES8_jjPS6_PjSD_j,comdat
	.protected	_ZN2at6native6mbtopk10gatherTopKIsmLin1EEEvNS_4cuda6detail10TensorInfoIKT_T0_EES8_S8_bjS8_NS5_IS6_S8_EES8_NS5_IlS8_EES8_jjPS6_PjSD_j ; -- Begin function _ZN2at6native6mbtopk10gatherTopKIsmLin1EEEvNS_4cuda6detail10TensorInfoIKT_T0_EES8_S8_bjS8_NS5_IS6_S8_EES8_NS5_IlS8_EES8_jjPS6_PjSD_j
	.globl	_ZN2at6native6mbtopk10gatherTopKIsmLin1EEEvNS_4cuda6detail10TensorInfoIKT_T0_EES8_S8_bjS8_NS5_IS6_S8_EES8_NS5_IlS8_EES8_jjPS6_PjSD_j
	.p2align	8
	.type	_ZN2at6native6mbtopk10gatherTopKIsmLin1EEEvNS_4cuda6detail10TensorInfoIKT_T0_EES8_S8_bjS8_NS5_IS6_S8_EES8_NS5_IlS8_EES8_jjPS6_PjSD_j,@function
_ZN2at6native6mbtopk10gatherTopKIsmLin1EEEvNS_4cuda6detail10TensorInfoIKT_T0_EES8_S8_bjS8_NS5_IS6_S8_EES8_NS5_IlS8_EES8_jjPS6_PjSD_j: ; @_ZN2at6native6mbtopk10gatherTopKIsmLin1EEEvNS_4cuda6detail10TensorInfoIKT_T0_EES8_S8_bjS8_NS5_IS6_S8_EES8_NS5_IlS8_EES8_jjPS6_PjSD_j
; %bb.0:
	s_load_dwordx2 s[0:1], s[4:5], 0x538
	s_load_dword s2, s[4:5], 0x530
	s_waitcnt lgkmcnt(0)
	s_mul_i32 s1, s1, s8
	s_add_i32 s1, s1, s7
	s_mul_i32 s0, s1, s0
	s_add_i32 s0, s0, s6
	s_cmp_ge_u32 s0, s2
	s_cbranch_scc1 .LBB176_67
; %bb.1:
	s_load_dwordx2 s[20:21], s[4:5], 0x510
	s_load_dwordx4 s[8:11], s[4:5], 0x1a0
	s_mov_b32 s3, 0
	s_waitcnt lgkmcnt(0)
	v_cvt_f32_u32_e32 v1, s21
	s_sub_i32 s2, 0, s21
	s_lshl_b32 s1, s20, 8
	v_rcp_iflag_f32_e32 v1, v1
	v_mul_f32_e32 v1, 0x4f7ffffe, v1
	v_cvt_u32_f32_e32 v1, v1
	v_readfirstlane_b32 s6, v1
	s_mul_i32 s2, s2, s6
	s_mul_hi_u32 s2, s6, s2
	s_add_i32 s6, s6, s2
	s_mul_hi_u32 s2, s0, s6
	s_mul_i32 s6, s2, s21
	s_sub_i32 s6, s0, s6
	s_add_i32 s7, s2, 1
	s_sub_i32 s12, s6, s21
	s_cmp_ge_u32 s6, s21
	s_cselect_b32 s2, s7, s2
	s_cselect_b32 s6, s12, s6
	s_add_i32 s7, s2, 1
	s_cmp_ge_u32 s6, s21
	s_cselect_b32 s2, s7, s2
	s_mul_i32 s22, s2, s21
	s_sub_i32 s54, s0, s22
	s_add_i32 s0, s54, 1
	s_cmp_lt_u32 s0, s21
	s_mul_i32 s33, s54, s1
	s_cbranch_scc1 .LBB176_3
; %bb.2:
	s_sub_u32 s0, s8, s33
	s_subb_u32 s1, s9, 0
	s_add_u32 s0, s0, 0xff
	s_addc_u32 s1, s1, 0
	s_ashr_i32 s6, s1, 31
	s_lshr_b32 s6, s6, 24
	s_add_u32 s0, s0, s6
	s_addc_u32 s1, s1, 0
	v_mov_b32_e32 v1, s0
	v_alignbit_b32 v1, s1, v1, 8
	v_readfirstlane_b32 s20, v1
.LBB176_3:
	s_load_dword s0, s[4:5], 0x198
	s_mov_b64 s[6:7], 0
	s_mov_b64 s[24:25], s[2:3]
	s_waitcnt lgkmcnt(0)
	s_cmp_lt_i32 s0, 2
	s_cbranch_scc1 .LBB176_11
; %bb.4:
	s_mov_b32 s12, 0
	s_add_i32 s23, s0, 1
	s_add_i32 s0, s0, -1
	s_mov_b32 s1, s12
	s_lshl_b64 s[0:1], s[0:1], 3
	s_add_u32 s0, s0, s4
	s_addc_u32 s1, s1, s5
	s_add_u32 s14, s0, 8
	s_addc_u32 s15, s1, 0
	s_mov_b64 s[16:17], s[2:3]
.LBB176_5:                              ; =>This Inner Loop Header: Depth=1
	s_load_dwordx2 s[18:19], s[14:15], 0x0
	s_waitcnt lgkmcnt(0)
	s_or_b64 s[0:1], s[16:17], s[18:19]
	s_mov_b32 s13, s1
	s_cmp_lg_u64 s[12:13], 0
	s_cbranch_scc0 .LBB176_10
; %bb.6:                                ;   in Loop: Header=BB176_5 Depth=1
	v_cvt_f32_u32_e32 v1, s18
	v_cvt_f32_u32_e32 v2, s19
	s_sub_u32 s0, 0, s18
	s_subb_u32 s1, 0, s19
	v_mac_f32_e32 v1, 0x4f800000, v2
	v_rcp_f32_e32 v1, v1
	v_mul_f32_e32 v1, 0x5f7ffffc, v1
	v_mul_f32_e32 v2, 0x2f800000, v1
	v_trunc_f32_e32 v2, v2
	v_mac_f32_e32 v1, 0xcf800000, v2
	v_cvt_u32_f32_e32 v2, v2
	v_cvt_u32_f32_e32 v1, v1
	v_readfirstlane_b32 s13, v2
	v_readfirstlane_b32 s24, v1
	s_mul_i32 s25, s0, s13
	s_mul_hi_u32 s27, s0, s24
	s_mul_i32 s26, s1, s24
	s_add_i32 s25, s27, s25
	s_mul_i32 s28, s0, s24
	s_add_i32 s25, s25, s26
	s_mul_hi_u32 s26, s24, s25
	s_mul_i32 s27, s24, s25
	s_mul_hi_u32 s24, s24, s28
	s_add_u32 s24, s24, s27
	s_addc_u32 s26, 0, s26
	s_mul_hi_u32 s29, s13, s28
	s_mul_i32 s28, s13, s28
	s_add_u32 s24, s24, s28
	s_mul_hi_u32 s27, s13, s25
	s_addc_u32 s24, s26, s29
	s_addc_u32 s26, s27, 0
	s_mul_i32 s25, s13, s25
	s_add_u32 s24, s24, s25
	s_addc_u32 s25, 0, s26
	v_add_co_u32_e32 v1, vcc, s24, v1
	s_cmp_lg_u64 vcc, 0
	s_addc_u32 s13, s13, s25
	v_readfirstlane_b32 s25, v1
	s_mul_i32 s24, s0, s13
	s_mul_hi_u32 s26, s0, s25
	s_add_i32 s24, s26, s24
	s_mul_i32 s1, s1, s25
	s_add_i32 s24, s24, s1
	s_mul_i32 s0, s0, s25
	s_mul_hi_u32 s26, s13, s0
	s_mul_i32 s27, s13, s0
	s_mul_i32 s29, s25, s24
	s_mul_hi_u32 s0, s25, s0
	s_mul_hi_u32 s28, s25, s24
	s_add_u32 s0, s0, s29
	s_addc_u32 s25, 0, s28
	s_add_u32 s0, s0, s27
	s_mul_hi_u32 s1, s13, s24
	s_addc_u32 s0, s25, s26
	s_addc_u32 s1, s1, 0
	s_mul_i32 s24, s13, s24
	s_add_u32 s0, s0, s24
	s_addc_u32 s1, 0, s1
	v_add_co_u32_e32 v1, vcc, s0, v1
	s_cmp_lg_u64 vcc, 0
	s_addc_u32 s0, s13, s1
	v_readfirstlane_b32 s24, v1
	s_mul_i32 s13, s16, s0
	s_mul_hi_u32 s25, s16, s24
	s_mul_hi_u32 s1, s16, s0
	s_add_u32 s13, s25, s13
	s_addc_u32 s1, 0, s1
	s_mul_hi_u32 s26, s17, s24
	s_mul_i32 s24, s17, s24
	s_add_u32 s13, s13, s24
	s_mul_hi_u32 s25, s17, s0
	s_addc_u32 s1, s1, s26
	s_addc_u32 s13, s25, 0
	s_mul_i32 s0, s17, s0
	s_add_u32 s24, s1, s0
	s_addc_u32 s13, 0, s13
	s_mul_i32 s0, s18, s13
	s_mul_hi_u32 s1, s18, s24
	s_add_i32 s0, s1, s0
	s_mul_i32 s1, s19, s24
	s_add_i32 s25, s0, s1
	s_mul_i32 s1, s18, s24
	v_mov_b32_e32 v1, s1
	s_sub_i32 s0, s17, s25
	v_sub_co_u32_e32 v1, vcc, s16, v1
	s_cmp_lg_u64 vcc, 0
	s_subb_u32 s26, s0, s19
	v_subrev_co_u32_e64 v2, s[0:1], s18, v1
	s_cmp_lg_u64 s[0:1], 0
	s_subb_u32 s0, s26, 0
	s_cmp_ge_u32 s0, s19
	v_readfirstlane_b32 s26, v2
	s_cselect_b32 s1, -1, 0
	s_cmp_ge_u32 s26, s18
	s_cselect_b32 s26, -1, 0
	s_cmp_eq_u32 s0, s19
	s_cselect_b32 s0, s26, s1
	s_add_u32 s1, s24, 1
	s_addc_u32 s26, s13, 0
	s_add_u32 s27, s24, 2
	s_addc_u32 s28, s13, 0
	s_cmp_lg_u32 s0, 0
	s_cselect_b32 s0, s27, s1
	s_cselect_b32 s1, s28, s26
	s_cmp_lg_u64 vcc, 0
	s_subb_u32 s25, s17, s25
	s_cmp_ge_u32 s25, s19
	v_readfirstlane_b32 s27, v1
	s_cselect_b32 s26, -1, 0
	s_cmp_ge_u32 s27, s18
	s_cselect_b32 s27, -1, 0
	s_cmp_eq_u32 s25, s19
	s_cselect_b32 s25, s27, s26
	s_cmp_lg_u32 s25, 0
	s_cselect_b32 s25, s1, s13
	s_cselect_b32 s24, s0, s24
	s_cbranch_execnz .LBB176_8
.LBB176_7:                              ;   in Loop: Header=BB176_5 Depth=1
	v_cvt_f32_u32_e32 v1, s18
	s_sub_i32 s0, 0, s18
	s_mov_b32 s25, s12
	v_rcp_iflag_f32_e32 v1, v1
	v_mul_f32_e32 v1, 0x4f7ffffe, v1
	v_cvt_u32_f32_e32 v1, v1
	v_readfirstlane_b32 s1, v1
	s_mul_i32 s0, s0, s1
	s_mul_hi_u32 s0, s1, s0
	s_add_i32 s1, s1, s0
	s_mul_hi_u32 s0, s16, s1
	s_mul_i32 s13, s0, s18
	s_sub_i32 s13, s16, s13
	s_add_i32 s1, s0, 1
	s_sub_i32 s24, s13, s18
	s_cmp_ge_u32 s13, s18
	s_cselect_b32 s0, s1, s0
	s_cselect_b32 s13, s24, s13
	s_add_i32 s1, s0, 1
	s_cmp_ge_u32 s13, s18
	s_cselect_b32 s24, s1, s0
.LBB176_8:                              ;   in Loop: Header=BB176_5 Depth=1
	s_mul_i32 s0, s24, s19
	s_mul_hi_u32 s1, s24, s18
	s_add_i32 s13, s1, s0
	s_load_dwordx2 s[0:1], s[14:15], 0xc8
	s_mul_i32 s19, s25, s18
	s_add_i32 s13, s13, s19
	s_mul_i32 s18, s24, s18
	s_sub_u32 s16, s16, s18
	s_subb_u32 s13, s17, s13
	s_waitcnt lgkmcnt(0)
	s_mul_i32 s13, s0, s13
	s_mul_hi_u32 s17, s0, s16
	s_add_i32 s13, s17, s13
	s_mul_i32 s1, s1, s16
	s_add_i32 s13, s13, s1
	s_mul_i32 s0, s0, s16
	s_add_u32 s6, s0, s6
	s_addc_u32 s7, s13, s7
	s_add_i32 s23, s23, -1
	s_add_u32 s14, s14, -8
	s_addc_u32 s15, s15, -1
	s_cmp_gt_u32 s23, 2
	s_cbranch_scc0 .LBB176_11
; %bb.9:                                ;   in Loop: Header=BB176_5 Depth=1
	s_mov_b64 s[16:17], s[24:25]
	s_branch .LBB176_5
.LBB176_10:                             ;   in Loop: Header=BB176_5 Depth=1
                                        ; implicit-def: $sgpr24_sgpr25
	s_branch .LBB176_7
.LBB176_11:
	s_load_dword s0, s[4:5], 0x358
	s_load_dwordx2 s[28:29], s[4:5], 0xd0
	s_add_u32 s12, s4, 0x1c0
	s_addc_u32 s13, s5, 0
	s_mov_b64 s[26:27], 0
	s_waitcnt lgkmcnt(0)
	s_cmp_lt_i32 s0, 2
	s_mov_b64 s[30:31], s[2:3]
	s_cbranch_scc1 .LBB176_19
; %bb.12:
	s_mov_b32 s14, 0
	s_add_i32 s23, s0, 1
	s_add_i32 s0, s0, -1
	s_mov_b32 s1, s14
	s_lshl_b64 s[0:1], s[0:1], 3
	s_add_u32 s0, s0, s12
	s_addc_u32 s1, s1, s13
	s_add_u32 s16, s0, 8
	s_addc_u32 s17, s1, 0
	s_mov_b64 s[18:19], s[2:3]
.LBB176_13:                             ; =>This Inner Loop Header: Depth=1
	s_load_dwordx2 s[34:35], s[16:17], 0x0
	s_waitcnt lgkmcnt(0)
	s_or_b64 s[0:1], s[18:19], s[34:35]
	s_mov_b32 s15, s1
	s_cmp_lg_u64 s[14:15], 0
	s_cbranch_scc0 .LBB176_18
; %bb.14:                               ;   in Loop: Header=BB176_13 Depth=1
	v_cvt_f32_u32_e32 v1, s34
	v_cvt_f32_u32_e32 v2, s35
	s_sub_u32 s0, 0, s34
	s_subb_u32 s1, 0, s35
	v_mac_f32_e32 v1, 0x4f800000, v2
	v_rcp_f32_e32 v1, v1
	v_mul_f32_e32 v1, 0x5f7ffffc, v1
	v_mul_f32_e32 v2, 0x2f800000, v1
	v_trunc_f32_e32 v2, v2
	v_mac_f32_e32 v1, 0xcf800000, v2
	v_cvt_u32_f32_e32 v2, v2
	v_cvt_u32_f32_e32 v1, v1
	v_readfirstlane_b32 s15, v2
	v_readfirstlane_b32 s30, v1
	s_mul_i32 s31, s0, s15
	s_mul_hi_u32 s37, s0, s30
	s_mul_i32 s36, s1, s30
	s_add_i32 s31, s37, s31
	s_mul_i32 s38, s0, s30
	s_add_i32 s31, s31, s36
	s_mul_hi_u32 s36, s30, s31
	s_mul_i32 s37, s30, s31
	s_mul_hi_u32 s30, s30, s38
	s_add_u32 s30, s30, s37
	s_addc_u32 s36, 0, s36
	s_mul_hi_u32 s39, s15, s38
	s_mul_i32 s38, s15, s38
	s_add_u32 s30, s30, s38
	s_mul_hi_u32 s37, s15, s31
	s_addc_u32 s30, s36, s39
	s_addc_u32 s36, s37, 0
	s_mul_i32 s31, s15, s31
	s_add_u32 s30, s30, s31
	s_addc_u32 s31, 0, s36
	v_add_co_u32_e32 v1, vcc, s30, v1
	s_cmp_lg_u64 vcc, 0
	s_addc_u32 s15, s15, s31
	v_readfirstlane_b32 s31, v1
	s_mul_i32 s30, s0, s15
	s_mul_hi_u32 s36, s0, s31
	s_add_i32 s30, s36, s30
	s_mul_i32 s1, s1, s31
	s_add_i32 s30, s30, s1
	s_mul_i32 s0, s0, s31
	s_mul_hi_u32 s36, s15, s0
	s_mul_i32 s37, s15, s0
	s_mul_i32 s39, s31, s30
	s_mul_hi_u32 s0, s31, s0
	s_mul_hi_u32 s38, s31, s30
	s_add_u32 s0, s0, s39
	s_addc_u32 s31, 0, s38
	s_add_u32 s0, s0, s37
	s_mul_hi_u32 s1, s15, s30
	s_addc_u32 s0, s31, s36
	s_addc_u32 s1, s1, 0
	s_mul_i32 s30, s15, s30
	s_add_u32 s0, s0, s30
	s_addc_u32 s1, 0, s1
	v_add_co_u32_e32 v1, vcc, s0, v1
	s_cmp_lg_u64 vcc, 0
	s_addc_u32 s0, s15, s1
	v_readfirstlane_b32 s30, v1
	s_mul_i32 s15, s18, s0
	s_mul_hi_u32 s31, s18, s30
	s_mul_hi_u32 s1, s18, s0
	s_add_u32 s15, s31, s15
	s_addc_u32 s1, 0, s1
	s_mul_hi_u32 s36, s19, s30
	s_mul_i32 s30, s19, s30
	s_add_u32 s15, s15, s30
	s_mul_hi_u32 s31, s19, s0
	s_addc_u32 s1, s1, s36
	s_addc_u32 s15, s31, 0
	s_mul_i32 s0, s19, s0
	s_add_u32 s30, s1, s0
	s_addc_u32 s15, 0, s15
	s_mul_i32 s0, s34, s15
	s_mul_hi_u32 s1, s34, s30
	s_add_i32 s0, s1, s0
	s_mul_i32 s1, s35, s30
	s_add_i32 s31, s0, s1
	s_mul_i32 s1, s34, s30
	v_mov_b32_e32 v1, s1
	s_sub_i32 s0, s19, s31
	v_sub_co_u32_e32 v1, vcc, s18, v1
	s_cmp_lg_u64 vcc, 0
	s_subb_u32 s36, s0, s35
	v_subrev_co_u32_e64 v2, s[0:1], s34, v1
	s_cmp_lg_u64 s[0:1], 0
	s_subb_u32 s0, s36, 0
	s_cmp_ge_u32 s0, s35
	v_readfirstlane_b32 s36, v2
	s_cselect_b32 s1, -1, 0
	s_cmp_ge_u32 s36, s34
	s_cselect_b32 s36, -1, 0
	s_cmp_eq_u32 s0, s35
	s_cselect_b32 s0, s36, s1
	s_add_u32 s1, s30, 1
	s_addc_u32 s36, s15, 0
	s_add_u32 s37, s30, 2
	s_addc_u32 s38, s15, 0
	s_cmp_lg_u32 s0, 0
	s_cselect_b32 s0, s37, s1
	s_cselect_b32 s1, s38, s36
	s_cmp_lg_u64 vcc, 0
	s_subb_u32 s31, s19, s31
	s_cmp_ge_u32 s31, s35
	v_readfirstlane_b32 s37, v1
	s_cselect_b32 s36, -1, 0
	s_cmp_ge_u32 s37, s34
	s_cselect_b32 s37, -1, 0
	s_cmp_eq_u32 s31, s35
	s_cselect_b32 s31, s37, s36
	s_cmp_lg_u32 s31, 0
	s_cselect_b32 s31, s1, s15
	s_cselect_b32 s30, s0, s30
	s_cbranch_execnz .LBB176_16
.LBB176_15:                             ;   in Loop: Header=BB176_13 Depth=1
	v_cvt_f32_u32_e32 v1, s34
	s_sub_i32 s0, 0, s34
	s_mov_b32 s31, s14
	v_rcp_iflag_f32_e32 v1, v1
	v_mul_f32_e32 v1, 0x4f7ffffe, v1
	v_cvt_u32_f32_e32 v1, v1
	v_readfirstlane_b32 s1, v1
	s_mul_i32 s0, s0, s1
	s_mul_hi_u32 s0, s1, s0
	s_add_i32 s1, s1, s0
	s_mul_hi_u32 s0, s18, s1
	s_mul_i32 s15, s0, s34
	s_sub_i32 s15, s18, s15
	s_add_i32 s1, s0, 1
	s_sub_i32 s30, s15, s34
	s_cmp_ge_u32 s15, s34
	s_cselect_b32 s0, s1, s0
	s_cselect_b32 s15, s30, s15
	s_add_i32 s1, s0, 1
	s_cmp_ge_u32 s15, s34
	s_cselect_b32 s30, s1, s0
.LBB176_16:                             ;   in Loop: Header=BB176_13 Depth=1
	s_mul_i32 s0, s30, s35
	s_mul_hi_u32 s1, s30, s34
	s_add_i32 s15, s1, s0
	s_load_dwordx2 s[0:1], s[16:17], 0xc8
	s_mul_i32 s35, s31, s34
	s_add_i32 s15, s15, s35
	s_mul_i32 s34, s30, s34
	s_sub_u32 s18, s18, s34
	s_subb_u32 s15, s19, s15
	s_waitcnt lgkmcnt(0)
	s_mul_i32 s15, s0, s15
	s_mul_hi_u32 s19, s0, s18
	s_add_i32 s15, s19, s15
	s_mul_i32 s1, s1, s18
	s_add_i32 s15, s15, s1
	s_mul_i32 s0, s0, s18
	s_add_u32 s26, s0, s26
	s_addc_u32 s27, s15, s27
	s_add_i32 s23, s23, -1
	s_add_u32 s16, s16, -8
	s_addc_u32 s17, s17, -1
	s_cmp_gt_u32 s23, 2
	s_cbranch_scc0 .LBB176_19
; %bb.17:                               ;   in Loop: Header=BB176_13 Depth=1
	s_mov_b64 s[18:19], s[30:31]
	s_branch .LBB176_13
.LBB176_18:                             ;   in Loop: Header=BB176_13 Depth=1
                                        ; implicit-def: $sgpr30_sgpr31
	s_branch .LBB176_15
.LBB176_19:
	s_load_dword s14, s[4:5], 0x500
	s_load_dwordx2 s[36:37], s[12:13], 0xd0
	s_add_u32 s0, s4, 0x368
	s_addc_u32 s1, s5, 0
	s_mov_b64 s[34:35], 0
	s_waitcnt lgkmcnt(0)
	s_cmp_lt_i32 s14, 2
	s_cbranch_scc1 .LBB176_27
; %bb.20:
	s_mov_b32 s12, 0
	s_add_i32 s23, s14, 1
	s_add_i32 s14, s14, -1
	s_mov_b32 s15, s12
	s_lshl_b64 s[14:15], s[14:15], 3
	s_add_u32 s0, s14, s0
	s_addc_u32 s1, s15, s1
	s_add_u32 s14, s0, 8
	s_addc_u32 s15, s1, 0
	s_mov_b64 s[16:17], s[2:3]
.LBB176_21:                             ; =>This Inner Loop Header: Depth=1
	s_load_dwordx2 s[18:19], s[14:15], 0x0
	s_waitcnt lgkmcnt(0)
	s_or_b64 s[0:1], s[16:17], s[18:19]
	s_mov_b32 s13, s1
	s_cmp_lg_u64 s[12:13], 0
	s_cbranch_scc0 .LBB176_26
; %bb.22:                               ;   in Loop: Header=BB176_21 Depth=1
	v_cvt_f32_u32_e32 v1, s18
	v_cvt_f32_u32_e32 v2, s19
	s_sub_u32 s0, 0, s18
	s_subb_u32 s1, 0, s19
	v_mac_f32_e32 v1, 0x4f800000, v2
	v_rcp_f32_e32 v1, v1
	v_mul_f32_e32 v1, 0x5f7ffffc, v1
	v_mul_f32_e32 v2, 0x2f800000, v1
	v_trunc_f32_e32 v2, v2
	v_mac_f32_e32 v1, 0xcf800000, v2
	v_cvt_u32_f32_e32 v2, v2
	v_cvt_u32_f32_e32 v1, v1
	v_readfirstlane_b32 s13, v2
	v_readfirstlane_b32 s38, v1
	s_mul_i32 s39, s0, s13
	s_mul_hi_u32 s41, s0, s38
	s_mul_i32 s40, s1, s38
	s_add_i32 s39, s41, s39
	s_mul_i32 s42, s0, s38
	s_add_i32 s39, s39, s40
	s_mul_hi_u32 s40, s38, s39
	s_mul_i32 s41, s38, s39
	s_mul_hi_u32 s38, s38, s42
	s_add_u32 s38, s38, s41
	s_addc_u32 s40, 0, s40
	s_mul_hi_u32 s43, s13, s42
	s_mul_i32 s42, s13, s42
	s_add_u32 s38, s38, s42
	s_mul_hi_u32 s41, s13, s39
	s_addc_u32 s38, s40, s43
	s_addc_u32 s40, s41, 0
	s_mul_i32 s39, s13, s39
	s_add_u32 s38, s38, s39
	s_addc_u32 s39, 0, s40
	v_add_co_u32_e32 v1, vcc, s38, v1
	s_cmp_lg_u64 vcc, 0
	s_addc_u32 s13, s13, s39
	v_readfirstlane_b32 s39, v1
	s_mul_i32 s38, s0, s13
	s_mul_hi_u32 s40, s0, s39
	s_add_i32 s38, s40, s38
	s_mul_i32 s1, s1, s39
	s_add_i32 s38, s38, s1
	s_mul_i32 s0, s0, s39
	s_mul_hi_u32 s40, s13, s0
	s_mul_i32 s41, s13, s0
	s_mul_i32 s43, s39, s38
	s_mul_hi_u32 s0, s39, s0
	s_mul_hi_u32 s42, s39, s38
	s_add_u32 s0, s0, s43
	s_addc_u32 s39, 0, s42
	s_add_u32 s0, s0, s41
	s_mul_hi_u32 s1, s13, s38
	s_addc_u32 s0, s39, s40
	s_addc_u32 s1, s1, 0
	s_mul_i32 s38, s13, s38
	s_add_u32 s0, s0, s38
	s_addc_u32 s1, 0, s1
	v_add_co_u32_e32 v1, vcc, s0, v1
	s_cmp_lg_u64 vcc, 0
	s_addc_u32 s0, s13, s1
	v_readfirstlane_b32 s38, v1
	s_mul_i32 s13, s16, s0
	s_mul_hi_u32 s39, s16, s38
	s_mul_hi_u32 s1, s16, s0
	s_add_u32 s13, s39, s13
	s_addc_u32 s1, 0, s1
	s_mul_hi_u32 s40, s17, s38
	s_mul_i32 s38, s17, s38
	s_add_u32 s13, s13, s38
	s_mul_hi_u32 s39, s17, s0
	s_addc_u32 s1, s1, s40
	s_addc_u32 s13, s39, 0
	s_mul_i32 s0, s17, s0
	s_add_u32 s38, s1, s0
	s_addc_u32 s13, 0, s13
	s_mul_i32 s0, s18, s13
	s_mul_hi_u32 s1, s18, s38
	s_add_i32 s0, s1, s0
	s_mul_i32 s1, s19, s38
	s_add_i32 s39, s0, s1
	s_mul_i32 s1, s18, s38
	v_mov_b32_e32 v1, s1
	s_sub_i32 s0, s17, s39
	v_sub_co_u32_e32 v1, vcc, s16, v1
	s_cmp_lg_u64 vcc, 0
	s_subb_u32 s40, s0, s19
	v_subrev_co_u32_e64 v2, s[0:1], s18, v1
	s_cmp_lg_u64 s[0:1], 0
	s_subb_u32 s0, s40, 0
	s_cmp_ge_u32 s0, s19
	v_readfirstlane_b32 s40, v2
	s_cselect_b32 s1, -1, 0
	s_cmp_ge_u32 s40, s18
	s_cselect_b32 s40, -1, 0
	s_cmp_eq_u32 s0, s19
	s_cselect_b32 s0, s40, s1
	s_add_u32 s1, s38, 1
	s_addc_u32 s40, s13, 0
	s_add_u32 s41, s38, 2
	s_addc_u32 s42, s13, 0
	s_cmp_lg_u32 s0, 0
	s_cselect_b32 s0, s41, s1
	s_cselect_b32 s1, s42, s40
	s_cmp_lg_u64 vcc, 0
	s_subb_u32 s39, s17, s39
	s_cmp_ge_u32 s39, s19
	v_readfirstlane_b32 s41, v1
	s_cselect_b32 s40, -1, 0
	s_cmp_ge_u32 s41, s18
	s_cselect_b32 s41, -1, 0
	s_cmp_eq_u32 s39, s19
	s_cselect_b32 s39, s41, s40
	s_cmp_lg_u32 s39, 0
	s_cselect_b32 s39, s1, s13
	s_cselect_b32 s38, s0, s38
	s_cbranch_execnz .LBB176_24
.LBB176_23:                             ;   in Loop: Header=BB176_21 Depth=1
	v_cvt_f32_u32_e32 v1, s18
	s_sub_i32 s0, 0, s18
	s_mov_b32 s39, s12
	v_rcp_iflag_f32_e32 v1, v1
	v_mul_f32_e32 v1, 0x4f7ffffe, v1
	v_cvt_u32_f32_e32 v1, v1
	v_readfirstlane_b32 s1, v1
	s_mul_i32 s0, s0, s1
	s_mul_hi_u32 s0, s1, s0
	s_add_i32 s1, s1, s0
	s_mul_hi_u32 s0, s16, s1
	s_mul_i32 s13, s0, s18
	s_sub_i32 s13, s16, s13
	s_add_i32 s1, s0, 1
	s_sub_i32 s38, s13, s18
	s_cmp_ge_u32 s13, s18
	s_cselect_b32 s0, s1, s0
	s_cselect_b32 s13, s38, s13
	s_add_i32 s1, s0, 1
	s_cmp_ge_u32 s13, s18
	s_cselect_b32 s38, s1, s0
.LBB176_24:                             ;   in Loop: Header=BB176_21 Depth=1
	s_mul_i32 s0, s38, s19
	s_mul_hi_u32 s1, s38, s18
	s_add_i32 s13, s1, s0
	s_load_dwordx2 s[0:1], s[14:15], 0xc8
	s_mul_i32 s19, s39, s18
	s_add_i32 s13, s13, s19
	s_mul_i32 s18, s38, s18
	s_sub_u32 s16, s16, s18
	s_subb_u32 s13, s17, s13
	s_waitcnt lgkmcnt(0)
	s_mul_i32 s13, s0, s13
	s_mul_hi_u32 s17, s0, s16
	s_add_i32 s13, s17, s13
	s_mul_i32 s1, s1, s16
	s_add_i32 s13, s13, s1
	s_mul_i32 s0, s0, s16
	s_add_u32 s34, s0, s34
	s_addc_u32 s35, s13, s35
	s_add_i32 s23, s23, -1
	s_add_u32 s14, s14, -8
	s_addc_u32 s15, s15, -1
	s_cmp_gt_u32 s23, 2
	s_cbranch_scc0 .LBB176_28
; %bb.25:                               ;   in Loop: Header=BB176_21 Depth=1
	s_mov_b64 s[16:17], s[38:39]
	s_branch .LBB176_21
.LBB176_26:                             ;   in Loop: Header=BB176_21 Depth=1
                                        ; implicit-def: $sgpr38_sgpr39
	s_branch .LBB176_23
.LBB176_27:
	s_mov_b64 s[38:39], s[2:3]
.LBB176_28:
	s_load_dwordx4 s[12:15], s[4:5], 0x518
	s_lshl_b64 s[0:1], s[2:3], 1
	v_mov_b32_e32 v1, 0
	s_mov_b32 s23, 0
	v_cmp_eq_u32_e64 s[2:3], 0, v0
	s_waitcnt lgkmcnt(0)
	s_add_u32 s0, s12, s0
	s_addc_u32 s1, s13, s1
	global_load_ushort v5, v1, s[0:1]
	s_load_dwordx2 s[42:43], s[4:5], 0x0
	s_load_dwordx2 s[40:41], s[4:5], 0x1c0
	;; [unrolled: 1-line block ×4, first 2 shown]
	v_cmp_ne_u32_e64 s[0:1], 0, v0
	s_and_saveexec_b64 s[46:47], s[2:3]
	s_cbranch_execz .LBB176_44
; %bb.29:
	s_load_dwordx2 s[48:49], s[4:5], 0x528
	s_lshl_b64 s[50:51], s[22:23], 2
	s_add_u32 s16, s14, s50
	s_addc_u32 s17, s15, s51
	s_mov_b32 s22, 0
	s_waitcnt lgkmcnt(0)
	s_add_u32 s18, s48, s50
	s_addc_u32 s19, s49, s51
	s_mov_b32 s55, 0
	s_cmp_lt_u32 s21, 4
	s_cbranch_scc1 .LBB176_41
; %bb.30:
	s_mov_b32 s56, 0
.LBB176_31:                             ; =>This Inner Loop Header: Depth=1
	s_add_u32 s16, s14, s50
	s_addc_u32 s17, s15, s51
	s_load_dwordx4 s[16:19], s[16:17], 0x0
	s_add_u32 s52, s48, s50
	s_addc_u32 s53, s49, s51
	s_cmp_ge_u32 s56, s54
	s_cbranch_scc0 .LBB176_38
; %bb.32:                               ;   in Loop: Header=BB176_31 Depth=1
	s_add_i32 s57, s56, 1
	s_cmp_ge_u32 s57, s54
	s_cbranch_scc0 .LBB176_39
.LBB176_33:                             ;   in Loop: Header=BB176_31 Depth=1
	s_add_i32 s57, s57, 1
	s_cmp_ge_u32 s57, s54
	s_cbranch_scc0 .LBB176_40
.LBB176_34:                             ;   in Loop: Header=BB176_31 Depth=1
	s_add_i32 s57, s57, 1
	s_cmp_ge_u32 s57, s54
	s_cbranch_scc1 .LBB176_36
.LBB176_35:                             ;   in Loop: Header=BB176_31 Depth=1
	s_load_dword s52, s[52:53], 0xc
	s_waitcnt lgkmcnt(0)
	s_add_i32 s23, s23, s19
	s_add_i32 s22, s52, s22
.LBB176_36:                             ;   in Loop: Header=BB176_31 Depth=1
	s_waitcnt lgkmcnt(0)
	s_add_i32 s16, s16, s55
	s_add_i32 s16, s16, s17
	;; [unrolled: 1-line block ×4, first 2 shown]
	s_add_u32 s14, s14, 16
	s_addc_u32 s15, s15, 0
	s_add_u32 s48, s48, 16
	s_addc_u32 s49, s49, 0
	s_add_i32 s53, s57, 4
	s_add_u32 s18, s48, s50
	s_addc_u32 s19, s49, s51
	s_add_u32 s16, s14, s50
	s_addc_u32 s17, s15, s51
	s_add_i32 s52, s57, 1
	s_cmp_ge_u32 s53, s21
	s_cbranch_scc1 .LBB176_42
; %bb.37:                               ;   in Loop: Header=BB176_31 Depth=1
	s_mov_b32 s56, s52
	s_branch .LBB176_31
.LBB176_38:                             ;   in Loop: Header=BB176_31 Depth=1
	s_load_dword s57, s[52:53], 0x0
	s_waitcnt lgkmcnt(0)
	s_add_i32 s23, s16, s23
	s_add_i32 s22, s57, s22
	;; [unrolled: 1-line block ×3, first 2 shown]
	s_cmp_ge_u32 s57, s54
	s_cbranch_scc1 .LBB176_33
.LBB176_39:                             ;   in Loop: Header=BB176_31 Depth=1
	s_load_dword s58, s[52:53], 0x4
	s_waitcnt lgkmcnt(0)
	s_add_i32 s23, s23, s17
	s_add_i32 s22, s58, s22
	;; [unrolled: 1-line block ×3, first 2 shown]
	s_cmp_ge_u32 s57, s54
	s_cbranch_scc1 .LBB176_34
.LBB176_40:                             ;   in Loop: Header=BB176_31 Depth=1
	s_load_dword s58, s[52:53], 0x8
	s_waitcnt lgkmcnt(0)
	s_add_i32 s23, s23, s18
	s_add_i32 s22, s58, s22
	;; [unrolled: 1-line block ×3, first 2 shown]
	s_cmp_ge_u32 s57, s54
	s_cbranch_scc0 .LBB176_35
	s_branch .LBB176_36
.LBB176_41:
	s_mov_b32 s14, 0
	s_cmp_ge_u32 s14, s21
	s_cbranch_scc0 .LBB176_65
	s_branch .LBB176_43
.LBB176_42:
	s_add_i32 s14, s56, 4
	s_cmp_ge_u32 s14, s21
	s_cbranch_scc0 .LBB176_65
.LBB176_43:
	v_mov_b32_e32 v2, s22
	v_mov_b32_e32 v3, s55
	;; [unrolled: 1-line block ×4, first 2 shown]
	ds_write_b96 v1, v[2:4] offset:1056
.LBB176_44:
	s_or_b64 exec, exec, s[46:47]
	s_cmp_eq_u32 s20, 0
	s_waitcnt lgkmcnt(0)
	s_barrier
	s_cbranch_scc1 .LBB176_67
; %bb.45:
	s_mul_i32 s16, s28, s25
	s_mul_hi_u32 s17, s28, s24
	s_mul_i32 s14, s36, s31
	s_mul_hi_u32 s15, s36, s30
	s_add_i32 s16, s17, s16
	s_mul_i32 s17, s29, s24
	s_mul_i32 s18, s44, s39
	s_mul_hi_u32 s19, s44, s38
	s_add_i32 s14, s15, s14
	s_mul_i32 s15, s37, s30
	s_add_i32 s17, s16, s17
	s_mul_i32 s16, s28, s24
	;; [unrolled: 2-line block ×3, first 2 shown]
	s_add_i32 s15, s14, s15
	s_add_i32 s19, s18, s19
	s_lshl_b64 s[16:17], s[16:17], 1
	s_add_u32 s16, s42, s16
	s_addc_u32 s17, s43, s17
	s_lshl_b64 s[6:7], s[6:7], 1
	s_mul_i32 s14, s36, s30
	s_add_u32 s21, s16, s6
	s_addc_u32 s22, s17, s7
	s_lshl_b64 s[6:7], s[14:15], 1
	s_add_u32 s14, s40, s6
	v_mov_b32_e32 v1, 0
	s_addc_u32 s15, s41, s7
	s_lshl_b64 s[6:7], s[26:27], 1
	ds_read_b96 v[2:4], v1 offset:1056
	s_mul_i32 s18, s44, s38
	s_add_u32 s23, s14, s6
	s_addc_u32 s24, s15, s7
	s_lshl_b64 s[6:7], s[18:19], 3
	s_add_u32 s12, s12, s6
	s_addc_u32 s13, s13, s7
	s_lshl_b64 s[6:7], s[34:35], 3
	s_add_u32 s25, s12, s6
	s_load_dword s6, s[4:5], 0x1b0
	s_waitcnt lgkmcnt(0)
	v_add_u32_e32 v2, v2, v3
	v_lshrrev_b32_e32 v3, 5, v0
	s_addc_u32 s26, s13, s7
	s_load_dwordx2 s[12:13], s[4:5], 0x1b8
	s_load_dwordx2 s[14:15], s[4:5], 0x360
	;; [unrolled: 1-line block ×3, first 2 shown]
	v_add_lshl_u32 v9, v3, v0, 2
	v_lshlrev_b32_e32 v3, 2, v0
	v_lshrrev_b32_e32 v6, 3, v0
	v_add_lshl_u32 v10, v6, v3, 2
	v_add_u32_e32 v3, -1, v0
	v_lshrrev_b32_e32 v6, 5, v3
	v_add_lshl_u32 v11, v6, v3, 2
	v_mbcnt_lo_u32_b32 v3, -1, 0
	s_mov_b32 s27, 0x8000
	s_bitcmp1_b32 s6, 0
	v_mbcnt_hi_u32_b32 v12, -1, v3
	s_waitcnt vmcnt(0)
	v_add_u32_sdwa v8, sext(v5), s27 dst_sel:DWORD dst_unused:UNUSED_PAD src0_sel:WORD_0 src1_sel:DWORD
	s_cselect_b64 s[4:5], -1, 0
	v_cmp_gt_u32_e64 s[6:7], 64, v0
	v_add_u32_e32 v0, s33, v0
	v_and_b32_e32 v13, 15, v12
	v_bfe_i32 v14, v12, 4, 1
	v_add_u32_e32 v15, -1, v12
	v_and_b32_e32 v16, 64, v12
                                        ; implicit-def: $vgpr17
	s_branch .LBB176_48
.LBB176_46:                             ;   in Loop: Header=BB176_48 Depth=1
	s_or_b64 exec, exec, s[18:19]
	v_add_u32_e32 v2, v3, v2
.LBB176_47:                             ;   in Loop: Header=BB176_48 Depth=1
	s_add_i32 s20, s20, -1
	v_add_u32_e32 v4, v18, v4
	s_cmp_lg_u32 s20, 0
	v_add_u32_e32 v0, 0x100, v0
	s_cbranch_scc0 .LBB176_67
.LBB176_48:                             ; =>This Inner Loop Header: Depth=1
	v_cmp_gt_u64_e32 vcc, s[8:9], v[0:1]
	v_mov_b32_e32 v3, v1
	v_mov_b32_e32 v6, v1
	s_and_saveexec_b64 s[18:19], vcc
	s_cbranch_execz .LBB176_50
; %bb.49:                               ;   in Loop: Header=BB176_48 Depth=1
	s_waitcnt lgkmcnt(0)
	v_mad_u64_u32 v[6:7], s[28:29], v0, s12, 0
	v_mov_b32_e32 v18, v7
	v_mad_u64_u32 v[18:19], s[28:29], v0, s13, v[18:19]
	v_mov_b32_e32 v7, v18
	v_lshlrev_b64 v[6:7], 1, v[6:7]
	v_mov_b32_e32 v3, s22
	v_add_co_u32_e32 v6, vcc, s21, v6
	v_addc_co_u32_e32 v7, vcc, v3, v7, vcc
	global_load_ushort v17, v[6:7], off
	s_waitcnt vmcnt(0)
	v_add_u32_sdwa v3, sext(v17), s27 dst_sel:DWORD dst_unused:UNUSED_PAD src0_sel:WORD_0 src1_sel:DWORD
	v_cmp_gt_u32_e32 vcc, v3, v8
	v_cndmask_b32_e64 v6, 0, 1, vcc
	v_cmp_lt_u32_e32 vcc, v3, v8
	v_cndmask_b32_e64 v3, 0, 1, vcc
	v_cndmask_b32_e64 v3, v3, v6, s[4:5]
	v_cmp_eq_u16_e32 vcc, v17, v5
	v_and_b32_e32 v3, 1, v3
	v_cndmask_b32_e64 v6, 0, 1, vcc
.LBB176_50:                             ;   in Loop: Header=BB176_48 Depth=1
	s_or_b64 exec, exec, s[18:19]
	ds_write_b32 v9, v3
	s_waitcnt lgkmcnt(0)
	s_barrier
	s_and_saveexec_b64 s[18:19], s[6:7]
	s_cbranch_execz .LBB176_52
; %bb.51:                               ;   in Loop: Header=BB176_48 Depth=1
	ds_read2_b32 v[18:19], v10 offset1:1
	ds_read2_b32 v[20:21], v10 offset0:2 offset1:3
	v_cmp_ne_u32_e32 vcc, 0, v13
	; wave barrier
	s_waitcnt lgkmcnt(1)
	v_add_u32_e32 v7, v19, v18
	s_waitcnt lgkmcnt(0)
	v_add3_u32 v7, v7, v20, v21
	s_nop 1
	v_mov_b32_dpp v19, v7 row_shr:1 row_mask:0xf bank_mask:0xf
	v_cndmask_b32_e32 v19, 0, v19, vcc
	v_add_u32_e32 v7, v19, v7
	v_cmp_lt_u32_e32 vcc, 1, v13
	s_nop 0
	v_mov_b32_dpp v19, v7 row_shr:2 row_mask:0xf bank_mask:0xf
	v_cndmask_b32_e32 v19, 0, v19, vcc
	v_add_u32_e32 v7, v7, v19
	v_cmp_lt_u32_e32 vcc, 3, v13
	;; [unrolled: 5-line block ×4, first 2 shown]
	s_nop 0
	v_mov_b32_dpp v19, v7 row_bcast:15 row_mask:0xf bank_mask:0xf
	v_and_b32_e32 v19, v14, v19
	v_add_u32_e32 v7, v7, v19
	s_nop 1
	v_mov_b32_dpp v19, v7 row_bcast:31 row_mask:0xf bank_mask:0xf
	v_cndmask_b32_e32 v19, 0, v19, vcc
	v_cmp_lt_i32_e32 vcc, v15, v16
	v_add_u32_e32 v7, v7, v19
	v_cndmask_b32_e32 v19, v15, v12, vcc
	v_lshlrev_b32_e32 v19, 2, v19
	ds_bpermute_b32 v7, v19, v7
	s_waitcnt lgkmcnt(0)
	v_add_u32_e32 v7, v7, v18
	v_cndmask_b32_e64 v7, v7, v3, s[2:3]
	ds_write_b32 v10, v7
	; wave barrier
	ds_read2_b32 v[18:19], v10 offset0:1 offset1:2
	ds_read_b32 v20, v10 offset:12
	s_waitcnt lgkmcnt(1)
	v_add_u32_e32 v7, v18, v7
	v_add_u32_e32 v18, v19, v7
	ds_write2_b32 v10, v7, v18 offset0:1 offset1:2
	s_waitcnt lgkmcnt(1)
	v_add_u32_e32 v7, v20, v18
	ds_write_b32 v10, v7 offset:12
.LBB176_52:                             ;   in Loop: Header=BB176_48 Depth=1
	s_or_b64 exec, exec, s[18:19]
	v_mov_b32_e32 v7, 0
	s_waitcnt lgkmcnt(0)
	s_barrier
	s_and_saveexec_b64 s[18:19], s[0:1]
	s_cbranch_execz .LBB176_54
; %bb.53:                               ;   in Loop: Header=BB176_48 Depth=1
	ds_read_b32 v7, v11
.LBB176_54:                             ;   in Loop: Header=BB176_48 Depth=1
	s_or_b64 exec, exec, s[18:19]
	ds_read_b32 v18, v1 offset:1048
	v_cmp_ne_u32_e32 vcc, 0, v3
	s_waitcnt lgkmcnt(0)
	s_barrier
	s_and_saveexec_b64 s[18:19], vcc
	s_cbranch_execz .LBB176_56
; %bb.55:                               ;   in Loop: Header=BB176_48 Depth=1
	v_add_u32_e32 v3, v7, v4
	v_mad_u64_u32 v[20:21], s[28:29], v3, s14, 0
	v_mov_b32_e32 v22, v21
	v_mad_u64_u32 v[22:23], s[28:29], v3, s15, v[22:23]
	v_mov_b32_e32 v21, v22
	v_lshlrev_b64 v[20:21], 1, v[20:21]
	v_mov_b32_e32 v7, s24
	v_add_co_u32_e32 v20, vcc, s23, v20
	v_addc_co_u32_e32 v21, vcc, v7, v21, vcc
	global_store_short v[20:21], v17, off
	v_mad_u64_u32 v[20:21], s[28:29], v3, s16, 0
	v_mov_b32_e32 v22, v21
	v_mad_u64_u32 v[22:23], s[28:29], v3, s17, v[22:23]
	v_mov_b32_e32 v21, v22
	v_lshlrev_b64 v[20:21], 3, v[20:21]
	v_mov_b32_e32 v3, s26
	v_add_co_u32_e32 v20, vcc, s25, v20
	v_addc_co_u32_e32 v21, vcc, v3, v21, vcc
	global_store_dwordx2 v[20:21], v[0:1], off
.LBB176_56:                             ;   in Loop: Header=BB176_48 Depth=1
	s_or_b64 exec, exec, s[18:19]
	v_mov_b32_e32 v3, v1
	v_cmp_le_u64_e32 vcc, s[10:11], v[2:3]
	s_cbranch_vccnz .LBB176_47
; %bb.57:                               ;   in Loop: Header=BB176_48 Depth=1
	ds_write_b32 v9, v6
	s_waitcnt lgkmcnt(0)
	s_barrier
	s_and_saveexec_b64 s[18:19], s[6:7]
	s_cbranch_execz .LBB176_59
; %bb.58:                               ;   in Loop: Header=BB176_48 Depth=1
	ds_read2_b32 v[20:21], v10 offset1:1
	ds_read2_b32 v[22:23], v10 offset0:2 offset1:3
	v_cmp_ne_u32_e32 vcc, 0, v13
	; wave barrier
	s_waitcnt lgkmcnt(1)
	v_add_u32_e32 v3, v21, v20
	s_waitcnt lgkmcnt(0)
	v_add3_u32 v3, v3, v22, v23
	s_nop 1
	v_mov_b32_dpp v7, v3 row_shr:1 row_mask:0xf bank_mask:0xf
	v_cndmask_b32_e32 v7, 0, v7, vcc
	v_add_u32_e32 v3, v7, v3
	v_cmp_lt_u32_e32 vcc, 1, v13
	s_nop 0
	v_mov_b32_dpp v7, v3 row_shr:2 row_mask:0xf bank_mask:0xf
	v_cndmask_b32_e32 v7, 0, v7, vcc
	v_add_u32_e32 v3, v3, v7
	v_cmp_lt_u32_e32 vcc, 3, v13
	;; [unrolled: 5-line block ×4, first 2 shown]
	s_nop 0
	v_mov_b32_dpp v7, v3 row_bcast:15 row_mask:0xf bank_mask:0xf
	v_and_b32_e32 v7, v14, v7
	v_add_u32_e32 v3, v3, v7
	s_nop 1
	v_mov_b32_dpp v7, v3 row_bcast:31 row_mask:0xf bank_mask:0xf
	v_cndmask_b32_e32 v7, 0, v7, vcc
	v_cmp_lt_i32_e32 vcc, v15, v16
	v_add_u32_e32 v3, v3, v7
	v_cndmask_b32_e32 v7, v15, v12, vcc
	v_lshlrev_b32_e32 v7, 2, v7
	ds_bpermute_b32 v3, v7, v3
	s_waitcnt lgkmcnt(0)
	v_add_u32_e32 v3, v3, v20
	v_cndmask_b32_e64 v3, v3, v6, s[2:3]
	ds_write_b32 v10, v3
	; wave barrier
	ds_read2_b32 v[20:21], v10 offset0:1 offset1:2
	ds_read_b32 v7, v10 offset:12
	s_waitcnt lgkmcnt(1)
	v_add_u32_e32 v3, v20, v3
	v_add_u32_e32 v19, v21, v3
	ds_write2_b32 v10, v3, v19 offset0:1 offset1:2
	s_waitcnt lgkmcnt(1)
	v_add_u32_e32 v3, v7, v19
	ds_write_b32 v10, v3 offset:12
.LBB176_59:                             ;   in Loop: Header=BB176_48 Depth=1
	s_or_b64 exec, exec, s[18:19]
	v_mov_b32_e32 v7, 0
	s_waitcnt lgkmcnt(0)
	s_barrier
	s_and_saveexec_b64 s[18:19], s[0:1]
	s_cbranch_execz .LBB176_61
; %bb.60:                               ;   in Loop: Header=BB176_48 Depth=1
	ds_read_b32 v7, v11
.LBB176_61:                             ;   in Loop: Header=BB176_48 Depth=1
	s_or_b64 exec, exec, s[18:19]
	ds_read_b32 v3, v1 offset:1048
	v_cmp_ne_u32_e32 vcc, 0, v6
	s_waitcnt lgkmcnt(0)
	s_barrier
	s_and_saveexec_b64 s[18:19], vcc
	s_cbranch_execz .LBB176_46
; %bb.62:                               ;   in Loop: Header=BB176_48 Depth=1
	v_add_u32_e32 v6, v7, v2
	v_mov_b32_e32 v7, v1
	v_cmp_gt_u64_e32 vcc, s[10:11], v[6:7]
	s_and_b64 exec, exec, vcc
	s_cbranch_execz .LBB176_46
; %bb.63:                               ;   in Loop: Header=BB176_48 Depth=1
	v_mad_u64_u32 v[20:21], s[28:29], v6, s14, 0
	v_mov_b32_e32 v22, v21
	v_mad_u64_u32 v[22:23], s[28:29], v6, s15, v[22:23]
	v_mov_b32_e32 v21, v22
	v_lshlrev_b64 v[20:21], 1, v[20:21]
	v_mov_b32_e32 v7, s24
	v_add_co_u32_e32 v20, vcc, s23, v20
	v_addc_co_u32_e32 v21, vcc, v7, v21, vcc
	global_store_short v[20:21], v17, off
	v_mad_u64_u32 v[20:21], s[28:29], v6, s16, 0
	v_mov_b32_e32 v22, v21
	v_mad_u64_u32 v[6:7], s[28:29], v6, s17, v[22:23]
	v_mov_b32_e32 v21, v6
	v_lshlrev_b64 v[6:7], 3, v[20:21]
	v_mov_b32_e32 v19, s26
	v_add_co_u32_e32 v6, vcc, s25, v6
	v_addc_co_u32_e32 v7, vcc, v19, v7, vcc
	global_store_dwordx2 v[6:7], v[0:1], off
	s_branch .LBB176_46
.LBB176_64:                             ;   in Loop: Header=BB176_65 Depth=1
	s_add_u32 s16, s16, 4
	s_addc_u32 s17, s17, 0
	s_waitcnt lgkmcnt(0)
	s_add_i32 s55, s15, s55
	s_add_u32 s18, s18, 4
	s_addc_u32 s19, s19, 0
	s_add_i32 s14, s14, 1
	s_cmp_lt_u32 s14, s21
	s_cbranch_scc0 .LBB176_43
.LBB176_65:                             ; =>This Inner Loop Header: Depth=1
	s_load_dword s15, s[16:17], 0x0
	s_cmp_ge_u32 s14, s54
	s_cbranch_scc1 .LBB176_64
; %bb.66:                               ;   in Loop: Header=BB176_65 Depth=1
	s_load_dword s48, s[18:19], 0x0
	s_waitcnt lgkmcnt(0)
	s_add_i32 s23, s15, s23
	s_add_i32 s22, s48, s22
	s_branch .LBB176_64
.LBB176_67:
	s_endpgm
	.section	.rodata,"a",@progbits
	.p2align	6, 0x0
	.amdhsa_kernel _ZN2at6native6mbtopk10gatherTopKIsmLin1EEEvNS_4cuda6detail10TensorInfoIKT_T0_EES8_S8_bjS8_NS5_IS6_S8_EES8_NS5_IlS8_EES8_jjPS6_PjSD_j
		.amdhsa_group_segment_fixed_size 1068
		.amdhsa_private_segment_fixed_size 0
		.amdhsa_kernarg_size 1592
		.amdhsa_user_sgpr_count 6
		.amdhsa_user_sgpr_private_segment_buffer 1
		.amdhsa_user_sgpr_dispatch_ptr 0
		.amdhsa_user_sgpr_queue_ptr 0
		.amdhsa_user_sgpr_kernarg_segment_ptr 1
		.amdhsa_user_sgpr_dispatch_id 0
		.amdhsa_user_sgpr_flat_scratch_init 0
		.amdhsa_user_sgpr_kernarg_preload_length 0
		.amdhsa_user_sgpr_kernarg_preload_offset 0
		.amdhsa_user_sgpr_private_segment_size 0
		.amdhsa_uses_dynamic_stack 0
		.amdhsa_system_sgpr_private_segment_wavefront_offset 0
		.amdhsa_system_sgpr_workgroup_id_x 1
		.amdhsa_system_sgpr_workgroup_id_y 1
		.amdhsa_system_sgpr_workgroup_id_z 1
		.amdhsa_system_sgpr_workgroup_info 0
		.amdhsa_system_vgpr_workitem_id 0
		.amdhsa_next_free_vgpr 24
		.amdhsa_next_free_sgpr 59
		.amdhsa_accum_offset 24
		.amdhsa_reserve_vcc 1
		.amdhsa_reserve_flat_scratch 0
		.amdhsa_float_round_mode_32 0
		.amdhsa_float_round_mode_16_64 0
		.amdhsa_float_denorm_mode_32 3
		.amdhsa_float_denorm_mode_16_64 3
		.amdhsa_dx10_clamp 1
		.amdhsa_ieee_mode 1
		.amdhsa_fp16_overflow 0
		.amdhsa_tg_split 0
		.amdhsa_exception_fp_ieee_invalid_op 0
		.amdhsa_exception_fp_denorm_src 0
		.amdhsa_exception_fp_ieee_div_zero 0
		.amdhsa_exception_fp_ieee_overflow 0
		.amdhsa_exception_fp_ieee_underflow 0
		.amdhsa_exception_fp_ieee_inexact 0
		.amdhsa_exception_int_div_zero 0
	.end_amdhsa_kernel
	.section	.text._ZN2at6native6mbtopk10gatherTopKIsmLin1EEEvNS_4cuda6detail10TensorInfoIKT_T0_EES8_S8_bjS8_NS5_IS6_S8_EES8_NS5_IlS8_EES8_jjPS6_PjSD_j,"axG",@progbits,_ZN2at6native6mbtopk10gatherTopKIsmLin1EEEvNS_4cuda6detail10TensorInfoIKT_T0_EES8_S8_bjS8_NS5_IS6_S8_EES8_NS5_IlS8_EES8_jjPS6_PjSD_j,comdat
.Lfunc_end176:
	.size	_ZN2at6native6mbtopk10gatherTopKIsmLin1EEEvNS_4cuda6detail10TensorInfoIKT_T0_EES8_S8_bjS8_NS5_IS6_S8_EES8_NS5_IlS8_EES8_jjPS6_PjSD_j, .Lfunc_end176-_ZN2at6native6mbtopk10gatherTopKIsmLin1EEEvNS_4cuda6detail10TensorInfoIKT_T0_EES8_S8_bjS8_NS5_IS6_S8_EES8_NS5_IlS8_EES8_jjPS6_PjSD_j
                                        ; -- End function
	.section	.AMDGPU.csdata,"",@progbits
; Kernel info:
; codeLenInByte = 4640
; NumSgprs: 63
; NumVgprs: 24
; NumAgprs: 0
; TotalNumVgprs: 24
; ScratchSize: 0
; MemoryBound: 0
; FloatMode: 240
; IeeeMode: 1
; LDSByteSize: 1068 bytes/workgroup (compile time only)
; SGPRBlocks: 7
; VGPRBlocks: 2
; NumSGPRsForWavesPerEU: 63
; NumVGPRsForWavesPerEU: 24
; AccumOffset: 24
; Occupancy: 8
; WaveLimiterHint : 1
; COMPUTE_PGM_RSRC2:SCRATCH_EN: 0
; COMPUTE_PGM_RSRC2:USER_SGPR: 6
; COMPUTE_PGM_RSRC2:TRAP_HANDLER: 0
; COMPUTE_PGM_RSRC2:TGID_X_EN: 1
; COMPUTE_PGM_RSRC2:TGID_Y_EN: 1
; COMPUTE_PGM_RSRC2:TGID_Z_EN: 1
; COMPUTE_PGM_RSRC2:TIDIG_COMP_CNT: 0
; COMPUTE_PGM_RSRC3_GFX90A:ACCUM_OFFSET: 5
; COMPUTE_PGM_RSRC3_GFX90A:TG_SPLIT: 0
	.section	.text._ZN2at6native6sbtopk10gatherTopKIsmLin1ELb0EEEvNS_4cuda6detail10TensorInfoIKT_T0_EES8_S8_bS8_S8_NS5_IS6_S8_EES8_NS5_IlS8_EES8_PS6_,"axG",@progbits,_ZN2at6native6sbtopk10gatherTopKIsmLin1ELb0EEEvNS_4cuda6detail10TensorInfoIKT_T0_EES8_S8_bS8_S8_NS5_IS6_S8_EES8_NS5_IlS8_EES8_PS6_,comdat
	.protected	_ZN2at6native6sbtopk10gatherTopKIsmLin1ELb0EEEvNS_4cuda6detail10TensorInfoIKT_T0_EES8_S8_bS8_S8_NS5_IS6_S8_EES8_NS5_IlS8_EES8_PS6_ ; -- Begin function _ZN2at6native6sbtopk10gatherTopKIsmLin1ELb0EEEvNS_4cuda6detail10TensorInfoIKT_T0_EES8_S8_bS8_S8_NS5_IS6_S8_EES8_NS5_IlS8_EES8_PS6_
	.globl	_ZN2at6native6sbtopk10gatherTopKIsmLin1ELb0EEEvNS_4cuda6detail10TensorInfoIKT_T0_EES8_S8_bS8_S8_NS5_IS6_S8_EES8_NS5_IlS8_EES8_PS6_
	.p2align	8
	.type	_ZN2at6native6sbtopk10gatherTopKIsmLin1ELb0EEEvNS_4cuda6detail10TensorInfoIKT_T0_EES8_S8_bS8_S8_NS5_IS6_S8_EES8_NS5_IlS8_EES8_PS6_,@function
_ZN2at6native6sbtopk10gatherTopKIsmLin1ELb0EEEvNS_4cuda6detail10TensorInfoIKT_T0_EES8_S8_bS8_S8_NS5_IS6_S8_EES8_NS5_IlS8_EES8_PS6_: ; @_ZN2at6native6sbtopk10gatherTopKIsmLin1ELb0EEEvNS_4cuda6detail10TensorInfoIKT_T0_EES8_S8_bS8_S8_NS5_IS6_S8_EES8_NS5_IlS8_EES8_PS6_
; %bb.0:
	s_load_dwordx4 s[56:59], s[4:5], 0x1b8
	s_load_dwordx2 s[34:35], s[4:5], 0x520
	s_add_u32 s2, s4, 0x520
	s_addc_u32 s3, s5, 0
	s_mov_b32 s11, 0
	s_waitcnt lgkmcnt(0)
	v_mov_b32_e32 v2, s56
	s_mul_i32 s0, s35, s8
	s_add_i32 s0, s0, s7
	s_mul_i32 s0, s0, s34
	v_mov_b32_e32 v3, s57
	s_add_i32 s10, s0, s6
	v_cmp_ge_u64_e32 vcc, s[10:11], v[2:3]
	s_cbranch_vccnz .LBB177_505
; %bb.1:
	s_load_dword s0, s[4:5], 0x198
	s_mov_b64 s[8:9], 0
	s_mov_b64 s[12:13], s[10:11]
	s_waitcnt lgkmcnt(0)
	s_cmp_lt_i32 s0, 2
	s_cbranch_scc1 .LBB177_9
; %bb.2:
	s_mov_b32 s14, 0
	s_add_i32 s25, s0, 1
	s_add_i32 s0, s0, -1
	s_mov_b32 s1, s14
	s_lshl_b64 s[0:1], s[0:1], 3
	s_add_u32 s0, s0, s4
	s_addc_u32 s1, s1, s5
	s_add_u32 s16, s0, 8
	s_addc_u32 s17, s1, 0
	s_mov_b64 s[18:19], s[10:11]
.LBB177_3:                              ; =>This Inner Loop Header: Depth=1
	s_load_dwordx2 s[20:21], s[16:17], 0x0
	s_waitcnt lgkmcnt(0)
	s_or_b64 s[0:1], s[18:19], s[20:21]
	s_mov_b32 s15, s1
	s_cmp_lg_u64 s[14:15], 0
	s_cbranch_scc0 .LBB177_8
; %bb.4:                                ;   in Loop: Header=BB177_3 Depth=1
	v_cvt_f32_u32_e32 v1, s20
	v_cvt_f32_u32_e32 v2, s21
	s_sub_u32 s0, 0, s20
	s_subb_u32 s1, 0, s21
	v_mac_f32_e32 v1, 0x4f800000, v2
	v_rcp_f32_e32 v1, v1
	v_mul_f32_e32 v1, 0x5f7ffffc, v1
	v_mul_f32_e32 v2, 0x2f800000, v1
	v_trunc_f32_e32 v2, v2
	v_mac_f32_e32 v1, 0xcf800000, v2
	v_cvt_u32_f32_e32 v2, v2
	v_cvt_u32_f32_e32 v1, v1
	v_readfirstlane_b32 s7, v2
	v_readfirstlane_b32 s12, v1
	s_mul_i32 s13, s0, s7
	s_mul_hi_u32 s22, s0, s12
	s_mul_i32 s15, s1, s12
	s_add_i32 s13, s22, s13
	s_mul_i32 s23, s0, s12
	s_add_i32 s13, s13, s15
	s_mul_hi_u32 s15, s12, s13
	s_mul_i32 s22, s12, s13
	s_mul_hi_u32 s12, s12, s23
	s_add_u32 s12, s12, s22
	s_addc_u32 s15, 0, s15
	s_mul_hi_u32 s24, s7, s23
	s_mul_i32 s23, s7, s23
	s_add_u32 s12, s12, s23
	s_mul_hi_u32 s22, s7, s13
	s_addc_u32 s12, s15, s24
	s_addc_u32 s15, s22, 0
	s_mul_i32 s13, s7, s13
	s_add_u32 s12, s12, s13
	s_addc_u32 s13, 0, s15
	v_add_co_u32_e32 v1, vcc, s12, v1
	s_cmp_lg_u64 vcc, 0
	s_addc_u32 s7, s7, s13
	v_readfirstlane_b32 s13, v1
	s_mul_i32 s12, s0, s7
	s_mul_hi_u32 s15, s0, s13
	s_add_i32 s12, s15, s12
	s_mul_i32 s1, s1, s13
	s_add_i32 s12, s12, s1
	s_mul_i32 s0, s0, s13
	s_mul_hi_u32 s15, s7, s0
	s_mul_i32 s22, s7, s0
	s_mul_i32 s24, s13, s12
	s_mul_hi_u32 s0, s13, s0
	s_mul_hi_u32 s23, s13, s12
	s_add_u32 s0, s0, s24
	s_addc_u32 s13, 0, s23
	s_add_u32 s0, s0, s22
	s_mul_hi_u32 s1, s7, s12
	s_addc_u32 s0, s13, s15
	s_addc_u32 s1, s1, 0
	s_mul_i32 s12, s7, s12
	s_add_u32 s0, s0, s12
	s_addc_u32 s1, 0, s1
	v_add_co_u32_e32 v1, vcc, s0, v1
	s_cmp_lg_u64 vcc, 0
	s_addc_u32 s0, s7, s1
	v_readfirstlane_b32 s12, v1
	s_mul_i32 s7, s18, s0
	s_mul_hi_u32 s13, s18, s12
	s_mul_hi_u32 s1, s18, s0
	s_add_u32 s7, s13, s7
	s_addc_u32 s1, 0, s1
	s_mul_hi_u32 s15, s19, s12
	s_mul_i32 s12, s19, s12
	s_add_u32 s7, s7, s12
	s_mul_hi_u32 s13, s19, s0
	s_addc_u32 s1, s1, s15
	s_addc_u32 s7, s13, 0
	s_mul_i32 s0, s19, s0
	s_add_u32 s12, s1, s0
	s_addc_u32 s7, 0, s7
	s_mul_i32 s0, s20, s7
	s_mul_hi_u32 s1, s20, s12
	s_add_i32 s0, s1, s0
	s_mul_i32 s1, s21, s12
	s_add_i32 s13, s0, s1
	s_mul_i32 s1, s20, s12
	v_mov_b32_e32 v1, s1
	s_sub_i32 s0, s19, s13
	v_sub_co_u32_e32 v1, vcc, s18, v1
	s_cmp_lg_u64 vcc, 0
	s_subb_u32 s15, s0, s21
	v_subrev_co_u32_e64 v2, s[0:1], s20, v1
	s_cmp_lg_u64 s[0:1], 0
	s_subb_u32 s0, s15, 0
	s_cmp_ge_u32 s0, s21
	v_readfirstlane_b32 s15, v2
	s_cselect_b32 s1, -1, 0
	s_cmp_ge_u32 s15, s20
	s_cselect_b32 s15, -1, 0
	s_cmp_eq_u32 s0, s21
	s_cselect_b32 s0, s15, s1
	s_add_u32 s1, s12, 1
	s_addc_u32 s15, s7, 0
	s_add_u32 s22, s12, 2
	s_addc_u32 s23, s7, 0
	s_cmp_lg_u32 s0, 0
	s_cselect_b32 s0, s22, s1
	s_cselect_b32 s1, s23, s15
	s_cmp_lg_u64 vcc, 0
	s_subb_u32 s13, s19, s13
	s_cmp_ge_u32 s13, s21
	v_readfirstlane_b32 s22, v1
	s_cselect_b32 s15, -1, 0
	s_cmp_ge_u32 s22, s20
	s_cselect_b32 s22, -1, 0
	s_cmp_eq_u32 s13, s21
	s_cselect_b32 s13, s22, s15
	s_cmp_lg_u32 s13, 0
	s_cselect_b32 s13, s1, s7
	s_cselect_b32 s12, s0, s12
	s_cbranch_execnz .LBB177_6
.LBB177_5:                              ;   in Loop: Header=BB177_3 Depth=1
	v_cvt_f32_u32_e32 v1, s20
	s_sub_i32 s0, 0, s20
	s_mov_b32 s13, s14
	v_rcp_iflag_f32_e32 v1, v1
	v_mul_f32_e32 v1, 0x4f7ffffe, v1
	v_cvt_u32_f32_e32 v1, v1
	v_readfirstlane_b32 s1, v1
	s_mul_i32 s0, s0, s1
	s_mul_hi_u32 s0, s1, s0
	s_add_i32 s1, s1, s0
	s_mul_hi_u32 s0, s18, s1
	s_mul_i32 s7, s0, s20
	s_sub_i32 s7, s18, s7
	s_add_i32 s1, s0, 1
	s_sub_i32 s12, s7, s20
	s_cmp_ge_u32 s7, s20
	s_cselect_b32 s0, s1, s0
	s_cselect_b32 s7, s12, s7
	s_add_i32 s1, s0, 1
	s_cmp_ge_u32 s7, s20
	s_cselect_b32 s12, s1, s0
.LBB177_6:                              ;   in Loop: Header=BB177_3 Depth=1
	s_mul_i32 s0, s12, s21
	s_mul_hi_u32 s1, s12, s20
	s_add_i32 s7, s1, s0
	s_load_dwordx2 s[0:1], s[16:17], 0xc8
	s_mul_i32 s15, s13, s20
	s_add_i32 s7, s7, s15
	s_mul_i32 s15, s12, s20
	s_sub_u32 s15, s18, s15
	s_subb_u32 s7, s19, s7
	s_waitcnt lgkmcnt(0)
	s_mul_i32 s7, s0, s7
	s_mul_hi_u32 s18, s0, s15
	s_add_i32 s7, s18, s7
	s_mul_i32 s1, s1, s15
	s_add_i32 s7, s7, s1
	s_mul_i32 s0, s0, s15
	s_add_u32 s8, s0, s8
	s_addc_u32 s9, s7, s9
	s_add_i32 s25, s25, -1
	s_add_u32 s16, s16, -8
	s_addc_u32 s17, s17, -1
	s_cmp_gt_u32 s25, 2
	s_cbranch_scc0 .LBB177_9
; %bb.7:                                ;   in Loop: Header=BB177_3 Depth=1
	s_mov_b64 s[18:19], s[12:13]
	s_branch .LBB177_3
.LBB177_8:                              ;   in Loop: Header=BB177_3 Depth=1
                                        ; implicit-def: $sgpr12_sgpr13
	s_branch .LBB177_5
.LBB177_9:
	s_load_dword s0, s[4:5], 0x360
	s_load_dwordx2 s[14:15], s[4:5], 0xd0
	s_add_u32 s16, s4, 0x1c8
	s_addc_u32 s17, s5, 0
	s_mov_b64 s[56:57], 0
	s_waitcnt lgkmcnt(0)
	s_cmp_lt_i32 s0, 2
	s_mov_b64 s[28:29], s[10:11]
	s_cbranch_scc1 .LBB177_17
; %bb.10:
	s_mov_b32 s18, 0
	s_add_i32 s31, s0, 1
	s_add_i32 s0, s0, -1
	s_mov_b32 s1, s18
	s_lshl_b64 s[0:1], s[0:1], 3
	s_add_u32 s0, s0, s16
	s_addc_u32 s1, s1, s17
	s_add_u32 s20, s0, 8
	s_addc_u32 s21, s1, 0
	s_mov_b64 s[22:23], s[10:11]
.LBB177_11:                             ; =>This Inner Loop Header: Depth=1
	s_load_dwordx2 s[24:25], s[20:21], 0x0
	s_waitcnt lgkmcnt(0)
	s_or_b64 s[0:1], s[22:23], s[24:25]
	s_mov_b32 s19, s1
	s_cmp_lg_u64 s[18:19], 0
	s_cbranch_scc0 .LBB177_16
; %bb.12:                               ;   in Loop: Header=BB177_11 Depth=1
	v_cvt_f32_u32_e32 v1, s24
	v_cvt_f32_u32_e32 v2, s25
	s_sub_u32 s0, 0, s24
	s_subb_u32 s1, 0, s25
	v_mac_f32_e32 v1, 0x4f800000, v2
	v_rcp_f32_e32 v1, v1
	v_mul_f32_e32 v1, 0x5f7ffffc, v1
	v_mul_f32_e32 v2, 0x2f800000, v1
	v_trunc_f32_e32 v2, v2
	v_mac_f32_e32 v1, 0xcf800000, v2
	v_cvt_u32_f32_e32 v2, v2
	v_cvt_u32_f32_e32 v1, v1
	v_readfirstlane_b32 s7, v2
	v_readfirstlane_b32 s19, v1
	s_mul_i32 s26, s0, s7
	s_mul_hi_u32 s28, s0, s19
	s_mul_i32 s27, s1, s19
	s_add_i32 s26, s28, s26
	s_mul_i32 s29, s0, s19
	s_add_i32 s26, s26, s27
	s_mul_hi_u32 s27, s19, s26
	s_mul_i32 s28, s19, s26
	s_mul_hi_u32 s19, s19, s29
	s_add_u32 s19, s19, s28
	s_addc_u32 s27, 0, s27
	s_mul_hi_u32 s30, s7, s29
	s_mul_i32 s29, s7, s29
	s_add_u32 s19, s19, s29
	s_mul_hi_u32 s28, s7, s26
	s_addc_u32 s19, s27, s30
	s_addc_u32 s27, s28, 0
	s_mul_i32 s26, s7, s26
	s_add_u32 s19, s19, s26
	s_addc_u32 s26, 0, s27
	v_add_co_u32_e32 v1, vcc, s19, v1
	s_cmp_lg_u64 vcc, 0
	s_addc_u32 s7, s7, s26
	v_readfirstlane_b32 s26, v1
	s_mul_i32 s19, s0, s7
	s_mul_hi_u32 s27, s0, s26
	s_add_i32 s19, s27, s19
	s_mul_i32 s1, s1, s26
	s_add_i32 s19, s19, s1
	s_mul_i32 s0, s0, s26
	s_mul_hi_u32 s27, s7, s0
	s_mul_i32 s28, s7, s0
	s_mul_i32 s30, s26, s19
	s_mul_hi_u32 s0, s26, s0
	s_mul_hi_u32 s29, s26, s19
	s_add_u32 s0, s0, s30
	s_addc_u32 s26, 0, s29
	s_add_u32 s0, s0, s28
	s_mul_hi_u32 s1, s7, s19
	s_addc_u32 s0, s26, s27
	s_addc_u32 s1, s1, 0
	s_mul_i32 s19, s7, s19
	s_add_u32 s0, s0, s19
	s_addc_u32 s1, 0, s1
	v_add_co_u32_e32 v1, vcc, s0, v1
	s_cmp_lg_u64 vcc, 0
	s_addc_u32 s0, s7, s1
	v_readfirstlane_b32 s19, v1
	s_mul_i32 s7, s22, s0
	s_mul_hi_u32 s26, s22, s19
	s_mul_hi_u32 s1, s22, s0
	s_add_u32 s7, s26, s7
	s_addc_u32 s1, 0, s1
	s_mul_hi_u32 s27, s23, s19
	s_mul_i32 s19, s23, s19
	s_add_u32 s7, s7, s19
	s_mul_hi_u32 s26, s23, s0
	s_addc_u32 s1, s1, s27
	s_addc_u32 s7, s26, 0
	s_mul_i32 s0, s23, s0
	s_add_u32 s19, s1, s0
	s_addc_u32 s7, 0, s7
	s_mul_i32 s0, s24, s7
	s_mul_hi_u32 s1, s24, s19
	s_add_i32 s0, s1, s0
	s_mul_i32 s1, s25, s19
	s_add_i32 s26, s0, s1
	s_mul_i32 s1, s24, s19
	v_mov_b32_e32 v1, s1
	s_sub_i32 s0, s23, s26
	v_sub_co_u32_e32 v1, vcc, s22, v1
	s_cmp_lg_u64 vcc, 0
	s_subb_u32 s27, s0, s25
	v_subrev_co_u32_e64 v2, s[0:1], s24, v1
	s_cmp_lg_u64 s[0:1], 0
	s_subb_u32 s0, s27, 0
	s_cmp_ge_u32 s0, s25
	v_readfirstlane_b32 s27, v2
	s_cselect_b32 s1, -1, 0
	s_cmp_ge_u32 s27, s24
	s_cselect_b32 s27, -1, 0
	s_cmp_eq_u32 s0, s25
	s_cselect_b32 s0, s27, s1
	s_add_u32 s1, s19, 1
	s_addc_u32 s27, s7, 0
	s_add_u32 s28, s19, 2
	s_addc_u32 s29, s7, 0
	s_cmp_lg_u32 s0, 0
	s_cselect_b32 s0, s28, s1
	s_cselect_b32 s1, s29, s27
	s_cmp_lg_u64 vcc, 0
	s_subb_u32 s26, s23, s26
	s_cmp_ge_u32 s26, s25
	v_readfirstlane_b32 s28, v1
	s_cselect_b32 s27, -1, 0
	s_cmp_ge_u32 s28, s24
	s_cselect_b32 s28, -1, 0
	s_cmp_eq_u32 s26, s25
	s_cselect_b32 s26, s28, s27
	s_cmp_lg_u32 s26, 0
	s_cselect_b32 s29, s1, s7
	s_cselect_b32 s28, s0, s19
	s_cbranch_execnz .LBB177_14
.LBB177_13:                             ;   in Loop: Header=BB177_11 Depth=1
	v_cvt_f32_u32_e32 v1, s24
	s_sub_i32 s0, 0, s24
	s_mov_b32 s29, s18
	v_rcp_iflag_f32_e32 v1, v1
	v_mul_f32_e32 v1, 0x4f7ffffe, v1
	v_cvt_u32_f32_e32 v1, v1
	v_readfirstlane_b32 s1, v1
	s_mul_i32 s0, s0, s1
	s_mul_hi_u32 s0, s1, s0
	s_add_i32 s1, s1, s0
	s_mul_hi_u32 s0, s22, s1
	s_mul_i32 s7, s0, s24
	s_sub_i32 s7, s22, s7
	s_add_i32 s1, s0, 1
	s_sub_i32 s19, s7, s24
	s_cmp_ge_u32 s7, s24
	s_cselect_b32 s0, s1, s0
	s_cselect_b32 s7, s19, s7
	s_add_i32 s1, s0, 1
	s_cmp_ge_u32 s7, s24
	s_cselect_b32 s28, s1, s0
.LBB177_14:                             ;   in Loop: Header=BB177_11 Depth=1
	s_mul_i32 s0, s28, s25
	s_mul_hi_u32 s1, s28, s24
	s_add_i32 s7, s1, s0
	s_load_dwordx2 s[0:1], s[20:21], 0xc8
	s_mul_i32 s19, s29, s24
	s_add_i32 s7, s7, s19
	s_mul_i32 s19, s28, s24
	s_sub_u32 s19, s22, s19
	s_subb_u32 s7, s23, s7
	s_waitcnt lgkmcnt(0)
	s_mul_i32 s7, s0, s7
	s_mul_hi_u32 s22, s0, s19
	s_add_i32 s7, s22, s7
	s_mul_i32 s1, s1, s19
	s_add_i32 s7, s7, s1
	s_mul_i32 s0, s0, s19
	s_add_u32 s56, s0, s56
	s_addc_u32 s57, s7, s57
	s_add_i32 s31, s31, -1
	s_add_u32 s20, s20, -8
	s_addc_u32 s21, s21, -1
	s_cmp_gt_u32 s31, 2
	s_cbranch_scc0 .LBB177_17
; %bb.15:                               ;   in Loop: Header=BB177_11 Depth=1
	s_mov_b64 s[22:23], s[28:29]
	s_branch .LBB177_11
.LBB177_16:                             ;   in Loop: Header=BB177_11 Depth=1
                                        ; implicit-def: $sgpr28_sgpr29
	s_branch .LBB177_13
.LBB177_17:
	s_load_dword s7, s[4:5], 0x508
	s_load_dwordx2 s[0:1], s[16:17], 0xd0
                                        ; implicit-def: $vgpr56 : SGPR spill to VGPR lane
	s_mov_b64 s[74:75], 0
                                        ; kill: killed $sgpr16 killed $sgpr17
	s_waitcnt lgkmcnt(0)
	v_writelane_b32 v56, s0, 0
	v_writelane_b32 v56, s1, 1
	s_add_u32 s0, s4, 0x370
	s_addc_u32 s1, s5, 0
	s_cmp_lt_i32 s7, 2
	s_cbranch_scc1 .LBB177_25
; %bb.18:
	s_mov_b32 s16, 0
	s_add_i32 s18, s7, -1
	s_mov_b32 s19, s16
	s_add_i32 s27, s7, 1
	s_lshl_b64 s[18:19], s[18:19], 3
	s_add_u32 s0, s18, s0
	s_addc_u32 s1, s19, s1
	s_add_u32 s18, s0, 8
	s_addc_u32 s19, s1, 0
.LBB177_19:                             ; =>This Inner Loop Header: Depth=1
	s_load_dwordx2 s[20:21], s[18:19], 0x0
	s_waitcnt lgkmcnt(0)
	s_or_b64 s[0:1], s[10:11], s[20:21]
	s_mov_b32 s17, s1
	s_cmp_lg_u64 s[16:17], 0
	s_cbranch_scc0 .LBB177_24
; %bb.20:                               ;   in Loop: Header=BB177_19 Depth=1
	v_cvt_f32_u32_e32 v1, s20
	v_cvt_f32_u32_e32 v2, s21
	s_sub_u32 s0, 0, s20
	s_subb_u32 s1, 0, s21
	v_mac_f32_e32 v1, 0x4f800000, v2
	v_rcp_f32_e32 v1, v1
	v_mul_f32_e32 v1, 0x5f7ffffc, v1
	v_mul_f32_e32 v2, 0x2f800000, v1
	v_trunc_f32_e32 v2, v2
	v_mac_f32_e32 v1, 0xcf800000, v2
	v_cvt_u32_f32_e32 v2, v2
	v_cvt_u32_f32_e32 v1, v1
	v_readfirstlane_b32 s7, v2
	v_readfirstlane_b32 s17, v1
	s_mul_i32 s22, s0, s7
	s_mul_hi_u32 s24, s0, s17
	s_mul_i32 s23, s1, s17
	s_add_i32 s22, s24, s22
	s_mul_i32 s25, s0, s17
	s_add_i32 s22, s22, s23
	s_mul_hi_u32 s23, s17, s22
	s_mul_i32 s24, s17, s22
	s_mul_hi_u32 s17, s17, s25
	s_add_u32 s17, s17, s24
	s_addc_u32 s23, 0, s23
	s_mul_hi_u32 s26, s7, s25
	s_mul_i32 s25, s7, s25
	s_add_u32 s17, s17, s25
	s_mul_hi_u32 s24, s7, s22
	s_addc_u32 s17, s23, s26
	s_addc_u32 s23, s24, 0
	s_mul_i32 s22, s7, s22
	s_add_u32 s17, s17, s22
	s_addc_u32 s22, 0, s23
	v_add_co_u32_e32 v1, vcc, s17, v1
	s_cmp_lg_u64 vcc, 0
	s_addc_u32 s7, s7, s22
	v_readfirstlane_b32 s22, v1
	s_mul_i32 s17, s0, s7
	s_mul_hi_u32 s23, s0, s22
	s_add_i32 s17, s23, s17
	s_mul_i32 s1, s1, s22
	s_add_i32 s17, s17, s1
	s_mul_i32 s0, s0, s22
	s_mul_hi_u32 s23, s7, s0
	s_mul_i32 s24, s7, s0
	s_mul_i32 s26, s22, s17
	s_mul_hi_u32 s0, s22, s0
	s_mul_hi_u32 s25, s22, s17
	s_add_u32 s0, s0, s26
	s_addc_u32 s22, 0, s25
	s_add_u32 s0, s0, s24
	s_mul_hi_u32 s1, s7, s17
	s_addc_u32 s0, s22, s23
	s_addc_u32 s1, s1, 0
	s_mul_i32 s17, s7, s17
	s_add_u32 s0, s0, s17
	s_addc_u32 s1, 0, s1
	v_add_co_u32_e32 v1, vcc, s0, v1
	s_cmp_lg_u64 vcc, 0
	s_addc_u32 s0, s7, s1
	v_readfirstlane_b32 s17, v1
	s_mul_i32 s7, s10, s0
	s_mul_hi_u32 s22, s10, s17
	s_mul_hi_u32 s1, s10, s0
	s_add_u32 s7, s22, s7
	s_addc_u32 s1, 0, s1
	s_mul_hi_u32 s23, s11, s17
	s_mul_i32 s17, s11, s17
	s_add_u32 s7, s7, s17
	s_mul_hi_u32 s22, s11, s0
	s_addc_u32 s1, s1, s23
	s_addc_u32 s7, s22, 0
	s_mul_i32 s0, s11, s0
	s_add_u32 s17, s1, s0
	s_addc_u32 s7, 0, s7
	s_mul_i32 s0, s20, s7
	s_mul_hi_u32 s1, s20, s17
	s_add_i32 s0, s1, s0
	s_mul_i32 s1, s21, s17
	s_add_i32 s22, s0, s1
	s_mul_i32 s1, s20, s17
	v_mov_b32_e32 v1, s1
	s_sub_i32 s0, s11, s22
	v_sub_co_u32_e32 v1, vcc, s10, v1
	s_cmp_lg_u64 vcc, 0
	s_subb_u32 s23, s0, s21
	v_subrev_co_u32_e64 v2, s[0:1], s20, v1
	s_cmp_lg_u64 s[0:1], 0
	s_subb_u32 s0, s23, 0
	s_cmp_ge_u32 s0, s21
	v_readfirstlane_b32 s23, v2
	s_cselect_b32 s1, -1, 0
	s_cmp_ge_u32 s23, s20
	s_cselect_b32 s23, -1, 0
	s_cmp_eq_u32 s0, s21
	s_cselect_b32 s0, s23, s1
	s_add_u32 s1, s17, 1
	s_addc_u32 s23, s7, 0
	s_add_u32 s24, s17, 2
	s_addc_u32 s25, s7, 0
	s_cmp_lg_u32 s0, 0
	s_cselect_b32 s0, s24, s1
	s_cselect_b32 s1, s25, s23
	s_cmp_lg_u64 vcc, 0
	s_subb_u32 s22, s11, s22
	s_cmp_ge_u32 s22, s21
	v_readfirstlane_b32 s24, v1
	s_cselect_b32 s23, -1, 0
	s_cmp_ge_u32 s24, s20
	s_cselect_b32 s24, -1, 0
	s_cmp_eq_u32 s22, s21
	s_cselect_b32 s22, s24, s23
	s_cmp_lg_u32 s22, 0
	s_cselect_b32 s79, s1, s7
	s_cselect_b32 s78, s0, s17
	s_cbranch_execnz .LBB177_22
.LBB177_21:                             ;   in Loop: Header=BB177_19 Depth=1
	v_cvt_f32_u32_e32 v1, s20
	s_sub_i32 s0, 0, s20
	s_mov_b32 s79, s16
	v_rcp_iflag_f32_e32 v1, v1
	v_mul_f32_e32 v1, 0x4f7ffffe, v1
	v_cvt_u32_f32_e32 v1, v1
	v_readfirstlane_b32 s1, v1
	s_mul_i32 s0, s0, s1
	s_mul_hi_u32 s0, s1, s0
	s_add_i32 s1, s1, s0
	s_mul_hi_u32 s0, s10, s1
	s_mul_i32 s7, s0, s20
	s_sub_i32 s7, s10, s7
	s_add_i32 s1, s0, 1
	s_sub_i32 s17, s7, s20
	s_cmp_ge_u32 s7, s20
	s_cselect_b32 s0, s1, s0
	s_cselect_b32 s7, s17, s7
	s_add_i32 s1, s0, 1
	s_cmp_ge_u32 s7, s20
	s_cselect_b32 s78, s1, s0
.LBB177_22:                             ;   in Loop: Header=BB177_19 Depth=1
	s_mul_i32 s0, s78, s21
	s_mul_hi_u32 s1, s78, s20
	s_add_i32 s7, s1, s0
	s_load_dwordx2 s[0:1], s[18:19], 0xc8
	s_mul_i32 s17, s79, s20
	s_add_i32 s7, s7, s17
	s_mul_i32 s17, s78, s20
	s_sub_u32 s10, s10, s17
	s_subb_u32 s7, s11, s7
	s_waitcnt lgkmcnt(0)
	s_mul_i32 s7, s0, s7
	s_mul_hi_u32 s11, s0, s10
	s_add_i32 s7, s11, s7
	s_mul_i32 s1, s1, s10
	s_add_i32 s7, s7, s1
	s_mul_i32 s0, s0, s10
	s_add_u32 s74, s0, s74
	s_addc_u32 s75, s7, s75
	s_add_i32 s27, s27, -1
	s_add_u32 s18, s18, -8
	s_addc_u32 s19, s19, -1
	s_cmp_gt_u32 s27, 2
	s_cbranch_scc0 .LBB177_26
; %bb.23:                               ;   in Loop: Header=BB177_19 Depth=1
	s_mov_b64 s[10:11], s[78:79]
	s_branch .LBB177_19
.LBB177_24:                             ;   in Loop: Header=BB177_19 Depth=1
                                        ; implicit-def: $sgpr78_sgpr79
	s_branch .LBB177_21
.LBB177_25:
	s_mov_b64 s[78:79], s[10:11]
.LBB177_26:
	s_load_dwordx4 s[60:63], s[4:5], 0x1a0
	s_load_dwordx2 s[16:17], s[4:5], 0x0
	s_load_dwordx2 s[0:1], s[4:5], 0x1c8
	v_writelane_b32 v56, s28, 2
	v_writelane_b32 v56, s29, 3
	s_mov_b32 s87, 0
	v_cmp_eq_u32_e64 s[10:11], 0, v0
	s_waitcnt lgkmcnt(0)
	v_writelane_b32 v56, s0, 4
	v_writelane_b32 v56, s1, 5
	s_load_dwordx2 s[0:1], s[4:5], 0x440
	s_waitcnt lgkmcnt(0)
	v_writelane_b32 v56, s0, 6
	v_writelane_b32 v56, s1, 7
	s_load_dwordx2 s[0:1], s[4:5], 0x370
	s_waitcnt lgkmcnt(0)
	v_writelane_b32 v56, s0, 8
	v_writelane_b32 v56, s1, 9
	s_mov_b64 s[0:1], exec
	v_writelane_b32 v56, s10, 10
	v_writelane_b32 v56, s11, 11
	s_and_b64 s[10:11], s[0:1], s[10:11]
	s_mov_b64 exec, s[10:11]
	s_cbranch_execz .LBB177_28
; %bb.27:
	v_mov_b32_e32 v2, 0
	v_mov_b32_e32 v4, s60
	;; [unrolled: 1-line block ×4, first 2 shown]
	ds_write_b32 v2, v2 offset:5144
	ds_write_b128 v2, v[2:5] offset:5120
.LBB177_28:
	s_or_b64 exec, exec, s[0:1]
	s_mul_i32 s0, s14, s13
	s_mul_hi_u32 s1, s14, s12
	s_add_i32 s0, s1, s0
	s_mul_i32 s1, s15, s12
	s_add_i32 s1, s0, s1
	s_mul_i32 s0, s14, s12
	v_writelane_b32 v56, s4, 12
	s_lshl_b64 s[14:15], s[0:1], 1
	s_lshl_b64 s[72:73], s[8:9], 1
	v_writelane_b32 v56, s5, 13
	s_load_dword s5, s[4:5], 0x1b0
	s_add_u32 s0, s16, s14
	s_addc_u32 s1, s17, s15
	s_add_u32 s93, s0, s72
	s_addc_u32 s12, s1, s73
	s_waitcnt lgkmcnt(0)
	s_bitcmp1_b32 s5, 0
	s_cselect_b64 s[4:5], -1, 0
	v_writelane_b32 v56, s4, 14
	v_mbcnt_lo_u32_b32 v1, -1, 0
	v_writelane_b32 v56, s5, 15
	s_xor_b64 s[4:5], s[4:5], -1
	v_mbcnt_hi_u32_b32 v43, -1, v1
	v_writelane_b32 v56, s4, 16
	v_cmp_gt_u32_e32 vcc, 64, v0
	v_cmp_gt_i32_e64 s[10:11], 4, v43
	v_writelane_b32 v56, s5, 17
	s_and_b64 s[4:5], vcc, s[10:11]
	v_mov_b32_e32 v2, 0x600
	v_writelane_b32 v56, s4, 18
	v_mov_b32_e32 v3, 0
	v_mov_b32_e32 v15, 0
	v_writelane_b32 v56, s5, 19
	v_cmp_gt_u64_e64 s[4:5], s[60:61], v[2:3]
	v_writelane_b32 v56, s4, 20
	v_mov_b32_e32 v1, v15
	v_writelane_b32 v56, s5, 21
	v_cmp_gt_u64_e64 s[4:5], s[60:61], v[0:1]
	v_writelane_b32 v56, s4, 22
	v_writelane_b32 v56, s5, 23
	v_cmp_gt_u32_e64 s[4:5], 2, v0
	v_writelane_b32 v56, s4, 24
	s_barrier
	v_writelane_b32 v56, s5, 25
	s_load_dword s5, s[2:3], 0xc
	v_mad_u64_u32 v[4:5], s[8:9], v0, s58, 0
	v_mov_b32_e32 v2, v5
	v_mad_u64_u32 v[2:3], s[8:9], v0, s59, v[2:3]
	s_waitcnt lgkmcnt(0)
	s_and_b32 s33, s5, 0xffff
	s_bfe_u32 s7, s5, 0xa0006
	v_cmp_gt_u16_e64 s[4:5], s5, 63
	v_writelane_b32 v56, s4, 26
	v_writelane_b32 v56, s5, 27
	s_add_u32 s4, s33, -1
	s_addc_u32 s5, 0, -1
	v_writelane_b32 v56, s4, 28
	s_add_u32 s4, s4, s60
	v_writelane_b32 v56, s4, 29
	v_writelane_b32 v56, s5, 30
	s_addc_u32 s5, s5, s61
	v_writelane_b32 v56, s4, 31
	s_cmp_lt_u32 s6, s34
	v_writelane_b32 v56, s5, 32
	s_cselect_b32 s4, 12, 18
	s_add_u32 s2, s2, s4
	s_addc_u32 s3, s3, 0
	v_writelane_b32 v56, s2, 33
	v_writelane_b32 v56, s3, 34
	s_add_i32 s2, s7, -1
	s_bfe_u32 s3, s33, 0x30006
	s_cmp_gt_u32 s2, 6
	s_cselect_b64 s[4:5], -1, 0
	v_writelane_b32 v56, s4, 35
	s_and_b32 s13, s7, 0x3f8
	v_writelane_b32 v56, s5, 36
	s_cmp_lg_u32 s3, 0
	v_writelane_b32 v56, s3, 37
	s_cselect_b64 s[2:3], -1, 0
	v_writelane_b32 v56, s2, 38
	v_mov_b32_e32 v5, v2
	v_writelane_b32 v56, s3, 39
	s_add_u32 s2, s14, s72
	v_lshlrev_b64 v[2:3], 1, v[4:5]
	s_addc_u32 s3, s15, s73
	v_mov_b32_e32 v6, s12
	v_add_co_u32_e32 v12, vcc, s93, v2
	s_add_u32 s2, s16, s2
	v_addc_co_u32_e32 v13, vcc, v6, v3, vcc
	v_lshrrev_b32_e32 v6, 4, v0
	s_addc_u32 s3, s17, s3
	v_and_b32_e32 v44, 60, v6
	v_lshlrev_b32_e32 v6, 2, v43
	v_writelane_b32 v56, s2, 40
	v_and_b32_e32 v42, 0x100, v6
	v_lshlrev_b64 v[6:7], v43, -1
	v_writelane_b32 v56, s3, 41
	s_lshl_b64 s[2:3], s[58:59], 1
	v_lshlrev_b32_e32 v47, 3, v0
	v_not_b32_e32 v11, v7
	v_not_b32_e32 v10, v6
	v_writelane_b32 v56, s2, 42
	v_or_b32_e32 v9, 6, v47
	v_pk_mov_b32 v[6:7], s[0:1], s[0:1] op_sel:[0,1]
	v_writelane_b32 v56, s3, 43
	v_mad_u64_u32 v[18:19], s[2:3], s58, v9, v[6:7]
	v_mov_b32_e32 v8, v19
	v_mad_u64_u32 v[8:9], s[2:3], s59, v9, v[8:9]
	s_lshl_b64 s[2:3], s[58:59], 3
	v_writelane_b32 v56, s2, 44
	v_or_b32_e32 v9, 4, v47
	v_writelane_b32 v56, s3, 45
	v_mad_u64_u32 v[20:21], s[2:3], s58, v9, v[6:7]
	v_mov_b32_e32 v19, v8
	v_mov_b32_e32 v8, v21
	v_mad_u64_u32 v[8:9], s[2:3], s59, v9, v[8:9]
	v_mov_b32_e32 v21, v8
	v_or_b32_e32 v8, 2, v47
	v_mad_u64_u32 v[22:23], s[2:3], s58, v8, v[6:7]
	v_mov_b32_e32 v6, v23
	v_lshlrev_b64 v[4:5], 3, v[4:5]
	s_lshl_b32 s10, s33, 1
	v_mad_u64_u32 v[6:7], s[2:3], s59, v8, v[6:7]
	v_add_co_u32_e32 v24, vcc, s0, v4
	s_add_u32 s0, s16, s72
	v_mov_b32_e32 v23, v6
	v_mov_b32_e32 v6, s1
	v_writelane_b32 v56, s16, 46
	s_addc_u32 s1, s17, s73
	v_writelane_b32 v56, s17, 47
	s_add_u32 s0, s0, s14
	v_addc_co_u32_e32 v25, vcc, v6, v5, vcc
	v_mov_b32_e32 v4, 0xc00
	v_writelane_b32 v56, s14, 48
	s_addc_u32 s1, s1, s15
	v_lshl_or_b32 v48, v43, 3, v4
	v_mov_b32_e32 v4, s1
	v_add_co_u32_e32 v26, vcc, s0, v2
	s_mul_i32 s0, s59, s33
	s_mul_hi_u32 s1, s58, s33
	s_add_i32 s1, s1, s0
	s_mul_i32 s0, s58, s33
	v_lshlrev_b32_e32 v45, 1, v0
	v_writelane_b32 v56, s15, 49
	s_lshl_b64 s[64:65], s[0:1], 1
	s_mov_b32 s0, 14
	v_cmp_eq_u32_e64 s[68:69], 0, v43
	v_lshlrev_b32_e32 v16, 2, v0
	v_mov_b32_e32 v17, v15
	v_add_u32_e32 v46, 0xc00, v45
	s_mov_b32 s92, s87
	v_addc_co_u32_e32 v27, vcc, v4, v3, vcc
	v_writelane_b32 v56, s0, 50
	s_mov_b64 s[70:71], 0
	v_pk_mov_b32 v[28:29], s[62:63], s[62:63] op_sel:[0,1]
	s_mov_b32 s11, 0x8000
	v_mov_b32_e32 v49, 0x4f800000
	v_mov_b32_e32 v50, 0x5040100
	;; [unrolled: 1-line block ×5, first 2 shown]
	s_mov_b32 s0, 0
                                        ; implicit-def: $sgpr90_sgpr91
	v_writelane_b32 v56, s0, 51
                                        ; implicit-def: $sgpr0_sgpr1
                                        ; kill: killed $sgpr0_sgpr1
                                        ; implicit-def: $sgpr30_sgpr31
                                        ; implicit-def: $sgpr8_sgpr9
                                        ; implicit-def: $sgpr84_sgpr85
                                        ; implicit-def: $sgpr24_sgpr25
                                        ; implicit-def: $sgpr28_sgpr29
                                        ; implicit-def: $sgpr26_sgpr27
                                        ; implicit-def: $sgpr34_sgpr35
                                        ; implicit-def: $sgpr36_sgpr37
	s_branch .LBB177_31
.LBB177_29:                             ;   in Loop: Header=BB177_31 Depth=1
	s_or_b64 exec, exec, s[14:15]
	s_andn2_b64 s[4:5], s[36:37], exec
	s_and_b64 s[6:7], s[6:7], exec
	s_or_b64 s[36:37], s[4:5], s[6:7]
	s_andn2_b64 s[34:35], s[34:35], exec
	s_andn2_b64 s[26:27], s[26:27], exec
	;; [unrolled: 1-line block ×4, first 2 shown]
	s_orn2_b64 s[2:3], s[2:3], exec
	v_mov_b32_e32 v51, v31
	v_mov_b32_e32 v52, v30
	v_pk_mov_b32 v[28:29], v[2:3], v[2:3] op_sel:[0,1]
	v_mov_b32_e32 v53, v32
.LBB177_30:                             ;   in Loop: Header=BB177_31 Depth=1
	s_or_b64 exec, exec, s[0:1]
	s_and_b64 s[0:1], exec, s[2:3]
	s_or_b64 s[70:71], s[0:1], s[70:71]
	s_andn2_b64 s[0:1], s[84:85], exec
	s_and_b64 s[2:3], s[36:37], exec
	s_or_b64 s[84:85], s[0:1], s[2:3]
	s_andn2_b64 s[0:1], s[8:9], exec
	s_and_b64 s[2:3], s[34:35], exec
	;; [unrolled: 3-line block ×3, first 2 shown]
	s_or_b64 s[30:31], s[0:1], s[2:3]
	v_readlane_b32 s0, v56, 52
	v_readlane_b32 s1, v56, 53
	s_andn2_b64 s[0:1], s[0:1], exec
	s_and_b64 s[2:3], s[28:29], exec
	s_or_b64 s[0:1], s[0:1], s[2:3]
	v_writelane_b32 v56, s0, 52
	v_writelane_b32 v56, s1, 53
	s_andn2_b64 s[0:1], s[90:91], exec
	s_and_b64 s[2:3], s[24:25], exec
	s_or_b64 s[90:91], s[0:1], s[2:3]
	s_andn2_b64 exec, exec, s[70:71]
	s_cbranch_execz .LBB177_501
.LBB177_31:                             ; =>This Loop Header: Depth=1
                                        ;     Child Loop BB177_36 Depth 2
                                        ;     Child Loop BB177_51 Depth 2
	;; [unrolled: 1-line block ×24, first 2 shown]
	ds_read_b128 v[2:5], v15 offset:5120
	s_waitcnt lgkmcnt(0)
	v_readfirstlane_b32 s3, v3
	v_readfirstlane_b32 s2, v2
	s_cmp_lg_u64 s[2:3], 0
	s_cbranch_scc1 .LBB177_58
; %bb.32:                               ;   in Loop: Header=BB177_31 Depth=1
	v_readlane_b32 s0, v56, 20
	v_readlane_b32 s1, v56, 21
	s_and_b64 vcc, exec, s[0:1]
	s_cbranch_vccz .LBB177_44
; %bb.33:                               ;   in Loop: Header=BB177_31 Depth=1
	s_mov_b64 s[0:1], 0x601
	v_cmp_gt_u64_e32 vcc, s[0:1], v[4:5]
	s_mov_b64 s[2:3], 0
	s_mov_b64 s[0:1], 0
	s_cbranch_vccz .LBB177_45
; %bb.34:                               ;   in Loop: Header=BB177_31 Depth=1
	v_readlane_b32 s0, v56, 33
	v_readlane_b32 s1, v56, 34
	s_nop 4
	global_load_ushort v6, v15, s[0:1]
	global_load_ushort v7, v[12:13], off
	v_readlane_b32 s0, v56, 40
	v_readlane_b32 s1, v56, 41
	v_pk_mov_b32 v[2:3], s[0:1], s[0:1] op_sel:[0,1]
	v_readlane_b32 s16, v56, 42
	v_readlane_b32 s17, v56, 43
	s_mov_b64 s[0:1], 0
	s_waitcnt vmcnt(1)
	v_readfirstlane_b32 s4, v6
	s_and_b32 s4, 0xffff, s4
	v_add_u32_e32 v5, s4, v0
	v_mad_u64_u32 v[2:3], s[6:7], s16, v5, v[2:3]
	v_mov_b32_e32 v4, v3
	s_mul_i32 s5, s17, s4
	s_mul_hi_u32 s14, s16, s4
	v_mad_u64_u32 v[4:5], s[6:7], s17, v5, v[4:5]
	s_mul_i32 s4, s16, s4
	s_add_i32 s5, s14, s5
	v_mov_b32_e32 v3, v4
	v_pk_mov_b32 v[4:5], v[0:1], v[0:1] op_sel:[0,1]
	s_branch .LBB177_36
.LBB177_35:                             ;   in Loop: Header=BB177_36 Depth=2
	s_or_b64 exec, exec, s[6:7]
	v_mov_b32_e32 v7, s5
	v_add_co_u32_e32 v2, vcc, s4, v2
	v_addc_co_u32_e32 v3, vcc, v3, v7, vcc
	v_mov_b32_e32 v7, v8
	s_andn2_b64 exec, exec, s[0:1]
	s_cbranch_execz .LBB177_117
.LBB177_36:                             ;   Parent Loop BB177_31 Depth=1
                                        ; =>  This Inner Loop Header: Depth=2
	v_add_co_u32_sdwa v4, vcc, v4, v6 dst_sel:DWORD dst_unused:UNUSED_PAD src0_sel:DWORD src1_sel:WORD_0
	v_addc_co_u32_e32 v5, vcc, 0, v5, vcc
	v_cmp_gt_u64_e64 s[6:7], s[60:61], v[4:5]
	v_cmp_le_u64_e32 vcc, s[60:61], v[4:5]
	s_waitcnt lgkmcnt(0)
	v_mov_b32_e32 v9, 0
	v_mov_b32_e32 v8, 0
	s_and_saveexec_b64 s[14:15], s[6:7]
	s_cbranch_execz .LBB177_38
; %bb.37:                               ;   in Loop: Header=BB177_36 Depth=2
	global_load_ushort v8, v[2:3], off
.LBB177_38:                             ;   in Loop: Header=BB177_36 Depth=2
	s_or_b64 exec, exec, s[14:15]
	s_waitcnt vmcnt(0)
	v_add_u32_sdwa v14, sext(v7), s11 dst_sel:DWORD dst_unused:UNUSED_PAD src0_sel:WORD_0 src1_sel:DWORD
	v_and_b32_e32 v14, v14, v51
	v_cmp_eq_u32_e64 s[14:15], v14, v52
	s_cmp_lg_u64 s[14:15], 0
	s_cselect_b64 s[6:7], -1, 0
	s_and_b64 s[6:7], s[68:69], s[6:7]
	s_and_saveexec_b64 s[16:17], s[6:7]
	s_cbranch_execz .LBB177_42
; %bb.39:                               ;   in Loop: Header=BB177_36 Depth=2
	s_mov_b64 s[20:21], exec
	v_mbcnt_lo_u32_b32 v9, s20, 0
	v_mbcnt_hi_u32_b32 v9, s21, v9
	s_bcnt1_i32_b64 s22, s[14:15]
	v_cmp_eq_u32_e64 s[6:7], 0, v9
                                        ; implicit-def: $vgpr14
	s_and_saveexec_b64 s[18:19], s[6:7]
	s_cbranch_execz .LBB177_41
; %bb.40:                               ;   in Loop: Header=BB177_36 Depth=2
	s_bcnt1_i32_b64 s6, s[20:21]
	s_mul_i32 s6, s22, s6
	v_mov_b32_e32 v14, s6
	ds_add_rtn_u32 v14, v15, v14 offset:5144
.LBB177_41:                             ;   in Loop: Header=BB177_36 Depth=2
	s_or_b64 exec, exec, s[18:19]
	s_waitcnt lgkmcnt(0)
	v_readfirstlane_b32 s6, v14
	v_mov_b32_e32 v14, s6
	v_mad_u32_u24 v9, s22, v9, v14
.LBB177_42:                             ;   in Loop: Header=BB177_36 Depth=2
	s_or_b64 exec, exec, s[16:17]
	ds_bpermute_b32 v9, v42, v9
	s_and_b64 s[6:7], exec, vcc
	s_or_b64 s[0:1], s[6:7], s[0:1]
	s_and_saveexec_b64 s[6:7], s[14:15]
	s_cbranch_execz .LBB177_35
; %bb.43:                               ;   in Loop: Header=BB177_36 Depth=2
	v_and_b32_e32 v30, s14, v10
	v_and_b32_e32 v14, s15, v11
	v_bcnt_u32_b32 v30, v30, 0
	v_bcnt_u32_b32 v14, v14, v30
	v_lshlrev_b32_e32 v14, 1, v14
	s_waitcnt lgkmcnt(0)
	v_lshl_add_u32 v9, v9, 1, v14
	ds_write_b16 v9, v7
	s_branch .LBB177_35
.LBB177_44:                             ;   in Loop: Header=BB177_31 Depth=1
	s_mov_b64 s[2:3], -1
	s_mov_b64 s[0:1], 0
.LBB177_45:                             ;   in Loop: Header=BB177_31 Depth=1
	s_and_b64 vcc, exec, s[2:3]
	s_cbranch_vccz .LBB177_56
.LBB177_46:                             ;   in Loop: Header=BB177_31 Depth=1
	v_mov_b32_e32 v6, 0
	s_mov_b64 s[0:1], exec
	v_readlane_b32 s2, v56, 22
	v_readlane_b32 s3, v56, 23
	s_and_b64 s[2:3], s[0:1], s[2:3]
	s_mov_b64 exec, s[2:3]
	s_cbranch_execz .LBB177_48
; %bb.47:                               ;   in Loop: Header=BB177_31 Depth=1
	global_load_ushort v6, v[12:13], off
.LBB177_48:                             ;   in Loop: Header=BB177_31 Depth=1
	s_or_b64 exec, exec, s[0:1]
	s_mov_b64 s[0:1], exec
	v_readlane_b32 s2, v56, 22
	v_readlane_b32 s3, v56, 23
	s_and_b64 s[2:3], s[0:1], s[2:3]
	s_mov_b64 exec, s[2:3]
	s_cbranch_execz .LBB177_53
; %bb.49:                               ;   in Loop: Header=BB177_31 Depth=1
	v_readlane_b32 s2, v56, 33
	v_readlane_b32 s3, v56, 34
	;; [unrolled: 1-line block ×4, first 2 shown]
	v_mov_b32_e32 v8, v45
	s_nop 1
	global_load_ushort v7, v15, s[2:3]
	v_readlane_b32 s2, v56, 40
	v_readlane_b32 s3, v56, 41
	v_pk_mov_b32 v[2:3], s[2:3], s[2:3] op_sel:[0,1]
	s_mov_b64 s[2:3], 0
	s_waitcnt vmcnt(0)
	v_readfirstlane_b32 s4, v7
	s_and_b32 s5, 0xffff, s4
	v_add_u32_e32 v5, s5, v0
	v_mad_u64_u32 v[2:3], s[6:7], s16, v5, v[2:3]
	v_mov_b32_e32 v4, v3
	s_mul_i32 s14, s17, s5
	s_mul_hi_u32 s15, s16, s5
	v_mad_u64_u32 v[4:5], s[6:7], s17, v5, v[4:5]
	s_lshl_b32 s4, s5, 1
	s_mul_i32 s5, s16, s5
	s_add_i32 s16, s15, s14
	v_mov_b32_e32 v3, v4
	v_pk_mov_b32 v[4:5], v[0:1], v[0:1] op_sel:[0,1]
	s_branch .LBB177_51
.LBB177_50:                             ;   in Loop: Header=BB177_51 Depth=2
	s_or_b64 exec, exec, s[14:15]
	s_and_b64 s[6:7], exec, vcc
	ds_write_b16 v8, v6
	v_mov_b32_e32 v6, s16
	v_add_co_u32_e32 v2, vcc, s5, v2
	s_or_b64 s[2:3], s[6:7], s[2:3]
	v_add_u32_e32 v8, s4, v8
	v_addc_co_u32_e32 v3, vcc, v3, v6, vcc
	s_waitcnt vmcnt(0)
	v_mov_b32_e32 v6, v9
	s_andn2_b64 exec, exec, s[2:3]
	s_cbranch_execz .LBB177_53
.LBB177_51:                             ;   Parent Loop BB177_31 Depth=1
                                        ; =>  This Inner Loop Header: Depth=2
	v_add_co_u32_sdwa v4, vcc, v4, v7 dst_sel:DWORD dst_unused:UNUSED_PAD src0_sel:DWORD src1_sel:WORD_0
	v_addc_co_u32_e32 v5, vcc, 0, v5, vcc
	v_cmp_gt_u64_e64 s[6:7], s[60:61], v[4:5]
	v_cmp_le_u64_e32 vcc, s[60:61], v[4:5]
	v_mov_b32_e32 v9, 0
	s_and_saveexec_b64 s[14:15], s[6:7]
	s_cbranch_execz .LBB177_50
; %bb.52:                               ;   in Loop: Header=BB177_51 Depth=2
	global_load_ushort v9, v[2:3], off
	s_branch .LBB177_50
.LBB177_53:                             ;   in Loop: Header=BB177_31 Depth=1
	s_or_b64 exec, exec, s[0:1]
	s_waitcnt lgkmcnt(0)
	s_barrier
	s_mov_b64 s[0:1], exec
	v_readlane_b32 s2, v56, 10
	v_readlane_b32 s3, v56, 11
	s_and_b64 s[2:3], s[0:1], s[2:3]
	s_mov_b64 exec, s[2:3]
	s_cbranch_execz .LBB177_55
; %bb.54:                               ;   in Loop: Header=BB177_31 Depth=1
	v_pk_mov_b32 v[2:3], s[60:61], s[60:61] op_sel:[0,1]
	ds_write_b64 v15, v[2:3] offset:5120
.LBB177_55:                             ;   in Loop: Header=BB177_31 Depth=1
	s_or_b64 exec, exec, s[0:1]
	s_mov_b64 s[0:1], -1
	s_waitcnt lgkmcnt(0)
	s_barrier
                                        ; implicit-def: $sgpr2_sgpr3
.LBB177_56:                             ;   in Loop: Header=BB177_31 Depth=1
	s_and_b64 vcc, exec, s[0:1]
	s_cbranch_vccz .LBB177_58
; %bb.57:                               ;   in Loop: Header=BB177_31 Depth=1
	ds_read_b64 v[2:3], v15 offset:5120
	s_waitcnt lgkmcnt(0)
	v_readfirstlane_b32 s2, v2
.LBB177_58:                             ;   in Loop: Header=BB177_31 Depth=1
	v_writelane_b32 v56, s24, 54
	v_writelane_b32 v56, s25, 55
	;; [unrolled: 1-line block ×8, first 2 shown]
	s_cmp_lt_i32 s2, 1
	v_writelane_b32 v56, s36, 62
	v_writelane_b32 v56, s37, 63
	s_cbranch_scc0 .LBB177_73
; %bb.59:                               ;   in Loop: Header=BB177_31 Depth=1
	v_readlane_b32 s0, v56, 33
	v_readlane_b32 s1, v56, 34
	s_nop 4
	global_load_ushort v2, v15, s[0:1]
	s_mov_b32 s0, s87
	s_waitcnt vmcnt(0)
	v_readfirstlane_b32 s1, v2
	s_and_b32 s3, s1, 0xffff
	s_lshl_b32 s86, s3, 2
	s_mov_b32 s1, s61
	s_cmp_lg_u64 s[0:1], 0
	s_cbranch_scc0 .LBB177_93
; %bb.60:                               ;   in Loop: Header=BB177_31 Depth=1
	v_cvt_f32_u32_e32 v2, s86
	s_sub_u32 s0, 0, s86
	s_subb_u32 s1, 0, 0
	v_mac_f32_e32 v2, 0, v49
	v_rcp_f32_e32 v2, v2
	v_mul_f32_e32 v2, 0x5f7ffffc, v2
	v_mul_f32_e32 v3, 0x2f800000, v2
	v_trunc_f32_e32 v3, v3
	v_mac_f32_e32 v2, 0xcf800000, v3
	v_cvt_u32_f32_e32 v3, v3
	v_cvt_u32_f32_e32 v2, v2
	v_readfirstlane_b32 s4, v3
	v_readfirstlane_b32 s5, v2
	s_mul_i32 s6, s0, s4
	s_mul_hi_u32 s14, s0, s5
	s_mul_i32 s7, s1, s5
	s_add_i32 s6, s14, s6
	s_mul_i32 s15, s0, s5
	s_add_i32 s6, s6, s7
	s_mul_hi_u32 s14, s5, s15
	s_mul_hi_u32 s7, s5, s6
	s_mul_i32 s5, s5, s6
	s_add_u32 s5, s14, s5
	s_addc_u32 s7, 0, s7
	s_mul_hi_u32 s16, s4, s15
	s_mul_i32 s15, s4, s15
	s_add_u32 s5, s5, s15
	s_mul_hi_u32 s14, s4, s6
	s_addc_u32 s5, s7, s16
	s_addc_u32 s7, s14, 0
	s_mul_i32 s6, s4, s6
	s_add_u32 s5, s5, s6
	s_addc_u32 s6, 0, s7
	v_add_co_u32_e32 v2, vcc, s5, v2
	s_cmp_lg_u64 vcc, 0
	s_addc_u32 s4, s4, s6
	v_readfirstlane_b32 s6, v2
	s_mul_i32 s5, s0, s4
	s_mul_hi_u32 s7, s0, s6
	s_add_i32 s5, s7, s5
	s_mul_i32 s1, s1, s6
	s_add_i32 s5, s5, s1
	s_mul_i32 s0, s0, s6
	s_mul_hi_u32 s7, s4, s0
	s_mul_i32 s14, s4, s0
	s_mul_i32 s16, s6, s5
	s_mul_hi_u32 s0, s6, s0
	s_mul_hi_u32 s15, s6, s5
	s_add_u32 s0, s0, s16
	s_addc_u32 s6, 0, s15
	s_add_u32 s0, s0, s14
	s_mul_hi_u32 s1, s4, s5
	s_addc_u32 s0, s6, s7
	s_addc_u32 s1, s1, 0
	s_mul_i32 s5, s4, s5
	s_add_u32 s0, s0, s5
	s_addc_u32 s1, 0, s1
	v_add_co_u32_e32 v2, vcc, s0, v2
	s_cmp_lg_u64 vcc, 0
	s_addc_u32 s0, s4, s1
	v_readfirstlane_b32 s5, v2
	s_mul_i32 s4, s60, s0
	s_mul_hi_u32 s6, s60, s5
	s_mul_hi_u32 s1, s60, s0
	s_add_u32 s4, s6, s4
	s_addc_u32 s1, 0, s1
	s_mul_hi_u32 s7, s61, s5
	s_mul_i32 s5, s61, s5
	s_add_u32 s4, s4, s5
	s_mul_hi_u32 s6, s61, s0
	s_addc_u32 s1, s1, s7
	s_addc_u32 s4, s6, 0
	s_mul_i32 s0, s61, s0
	s_add_u32 s0, s1, s0
	s_addc_u32 s1, 0, s4
	s_mul_hi_u32 s4, s86, s0
	s_mul_i32 s0, s86, s0
	s_mul_i32 s1, s86, s1
	v_mov_b32_e32 v2, s0
	s_add_i32 s4, s4, s1
	v_sub_co_u32_e32 v2, vcc, s60, v2
	s_cmp_lg_u64 vcc, 0
	s_subb_u32 s0, s61, s4
	v_subrev_co_u32_e32 v3, vcc, s86, v2
	s_cmp_lg_u64 vcc, 0
	s_subb_u32 s1, s0, 0
	v_subrev_co_u32_e32 v4, vcc, s86, v3
	s_cmp_lg_u64 vcc, 0
	s_subb_u32 s4, s1, 0
	v_cmp_le_u32_e32 vcc, s86, v3
	s_cmp_eq_u32 s1, 0
	v_cndmask_b32_e64 v5, 0, -1, vcc
	s_cselect_b64 vcc, -1, 0
	v_cndmask_b32_e32 v5, -1, v5, vcc
	v_mov_b32_e32 v6, s1
	v_mov_b32_e32 v7, s4
	v_cmp_ne_u32_e32 vcc, 0, v5
	v_cndmask_b32_e32 v5, v6, v7, vcc
	v_cndmask_b32_e32 v4, v3, v4, vcc
	v_cmp_le_u32_e32 vcc, s86, v2
	s_cmp_eq_u32 s0, 0
	v_cndmask_b32_e64 v3, 0, -1, vcc
	s_cselect_b64 vcc, -1, 0
	v_cndmask_b32_e32 v3, -1, v3, vcc
	v_mov_b32_e32 v6, s0
	v_cmp_ne_u32_e32 vcc, 0, v3
	v_cndmask_b32_e32 v3, v6, v5, vcc
	v_cndmask_b32_e32 v2, v2, v4, vcc
	s_mov_b64 s[76:77], s[90:91]
	s_cbranch_execnz .LBB177_62
.LBB177_61:                             ;   in Loop: Header=BB177_31 Depth=1
	v_cvt_f32_u32_e32 v2, s86
	s_sub_i32 s0, 0, s86
	v_rcp_iflag_f32_e32 v2, v2
	v_mul_f32_e32 v2, 0x4f7ffffe, v2
	v_cvt_u32_f32_e32 v2, v2
	v_mul_lo_u32 v3, s0, v2
	v_mul_hi_u32 v3, v2, v3
	v_add_u32_e32 v2, v2, v3
	v_mul_hi_u32 v2, s60, v2
	v_mul_lo_u32 v2, v2, s86
	v_sub_u32_e32 v2, s60, v2
	v_subrev_u32_e32 v3, s86, v2
	v_cmp_le_u32_e32 vcc, s86, v2
	v_cndmask_b32_e32 v2, v2, v3, vcc
	v_subrev_u32_e32 v3, s86, v2
	v_cmp_le_u32_e32 vcc, s86, v2
	v_cndmask_b32_e32 v14, v2, v3, vcc
	v_pk_mov_b32 v[2:3], v[14:15], v[14:15] op_sel:[0,1]
.LBB177_62:                             ;   in Loop: Header=BB177_31 Depth=1
	v_mov_b32_e32 v4, s61
	v_sub_co_u32_e32 v30, vcc, s60, v2
	v_subb_co_u32_e32 v31, vcc, v4, v3, vcc
	v_pk_mov_b32 v[2:3], 0, 0
	v_cmp_gt_u64_e32 vcc, v[30:31], v[16:17]
	s_mov_b64 s[90:91], 0
	v_pk_mov_b32 v[4:5], v[2:3], v[2:3] op_sel:[0,1]
	v_pk_mov_b32 v[6:7], v[2:3], v[2:3] op_sel:[0,1]
	;; [unrolled: 1-line block ×3, first 2 shown]
	s_and_saveexec_b64 s[88:89], vcc
	s_cbranch_execz .LBB177_66
; %bb.63:                               ;   in Loop: Header=BB177_31 Depth=1
	v_readlane_b32 s4, v56, 44
	v_readlane_b32 s0, v56, 50
	;; [unrolled: 1-line block ×3, first 2 shown]
	s_mov_b64 s[82:83], s[68:69]
	s_and_b32 s68, s0, 0xfe
	s_mul_i32 s0, s5, s3
	s_mul_hi_u32 s1, s4, s3
	s_add_i32 s69, s1, s0
	s_mul_i32 s4, s4, s3
	v_pk_mov_b32 v[32:33], v[24:25], v[24:25] op_sel:[0,1]
	v_pk_mov_b32 v[34:35], v[22:23], v[22:23] op_sel:[0,1]
	;; [unrolled: 1-line block ×4, first 2 shown]
	s_mov_b64 s[80:81], 0
	s_mov_b64 s[94:95], 0
	;; [unrolled: 1-line block ×4, first 2 shown]
	v_pk_mov_b32 v[40:41], v[16:17], v[16:17] op_sel:[0,1]
.LBB177_64:                             ;   Parent Loop BB177_31 Depth=1
                                        ; =>  This Inner Loop Header: Depth=2
	v_mov_b32_e32 v7, s73
	v_add_co_u32_e32 v2, vcc, s72, v34
	v_add_co_u32_e64 v8, s[22:23], s72, v32
	v_add_co_u32_e64 v4, s[14:15], s72, v36
	;; [unrolled: 1-line block ×3, first 2 shown]
	v_addc_co_u32_e64 v9, s[22:23], v33, v7, s[22:23]
	v_addc_co_u32_e32 v3, vcc, v35, v7, vcc
	v_addc_co_u32_e64 v5, vcc, v37, v7, s[14:15]
	v_addc_co_u32_e64 v7, vcc, v39, v7, s[16:17]
	global_load_sshort v8, v[8:9], off
	s_nop 0
	global_load_sshort v2, v[2:3], off
	s_nop 0
	;; [unrolled: 2-line block ×3, first 2 shown]
	global_load_sshort v4, v[6:7], off
	v_mov_b32_e32 v14, s69
	v_add_co_u32_e64 v38, s[6:7], s4, v38
	v_add_co_u32_e64 v34, s[20:21], s4, v34
	;; [unrolled: 1-line block ×4, first 2 shown]
	v_addc_co_u32_e64 v39, vcc, v39, v14, s[6:7]
	v_addc_co_u32_e64 v35, vcc, v35, v14, s[20:21]
	v_addc_co_u32_e64 v41, s[26:27], 0, v41, s[26:27]
	v_addc_co_u32_e64 v37, vcc, v37, v14, s[18:19]
	v_add_co_u32_e64 v32, s[24:25], s4, v32
	v_addc_co_u32_e64 v33, vcc, v33, v14, s[24:25]
	v_cmp_ge_u64_e32 vcc, v[40:41], v[30:31]
	s_waitcnt vmcnt(3)
	v_add_u32_e32 v5, 0x8000, v8
	s_waitcnt vmcnt(2)
	v_add_u32_e32 v2, 0x8000, v2
	v_and_b32_e32 v6, v5, v51
	v_bfe_u32 v5, v5, s68, 2
	s_waitcnt vmcnt(1)
	v_add_u32_e32 v3, 0x8000, v3
	v_and_b32_e32 v7, v2, v51
	v_bfe_u32 v2, v2, s68, 2
	v_cmp_eq_u32_e64 s[20:21], v6, v52
	v_cmp_eq_u32_e64 s[6:7], 0, v5
	s_waitcnt vmcnt(0)
	v_add_u32_e32 v4, 0x8000, v4
	v_and_b32_e32 v8, v3, v51
	v_bfe_u32 v3, v3, s68, 2
	v_cmp_eq_u32_e64 s[18:19], v7, v52
	v_cmp_eq_u32_e64 s[34:35], 0, v2
	s_and_b64 s[6:7], s[20:21], s[6:7]
	v_and_b32_e32 v9, v4, v51
	v_bfe_u32 v4, v4, s68, 2
	v_cmp_eq_u32_e64 s[16:17], v8, v52
	v_cmp_eq_u32_e64 s[36:37], 0, v3
	;; [unrolled: 1-line block ×5, first 2 shown]
	v_cndmask_b32_e64 v2, 0, 1, s[6:7]
	s_and_b64 s[6:7], s[18:19], s[34:35]
	v_cmp_eq_u32_e64 s[14:15], v9, v52
	v_cmp_eq_u32_e64 s[38:39], 0, v4
	;; [unrolled: 1-line block ×5, first 2 shown]
	v_cndmask_b32_e64 v3, 0, 1, s[6:7]
	s_and_b64 s[6:7], s[16:17], s[36:37]
	v_cmp_eq_u32_e64 s[46:47], 1, v4
	v_cmp_eq_u32_e64 s[54:55], 2, v4
	;; [unrolled: 1-line block ×3, first 2 shown]
	v_cndmask_b32_e64 v4, 0, 1, s[6:7]
	s_and_b64 s[6:7], s[14:15], s[38:39]
	v_cmp_eq_u32_e64 s[40:41], 1, v5
	v_cmp_eq_u32_e64 s[48:49], 2, v5
	;; [unrolled: 1-line block ×3, first 2 shown]
	v_cndmask_b32_e64 v5, 0, 1, s[6:7]
	v_cmp_ne_u32_e64 s[6:7], 0, v2
	v_cmp_ne_u32_e64 s[34:35], 0, v3
	v_cmp_ne_u32_e64 s[36:37], 0, v4
	v_cmp_ne_u32_e64 s[38:39], 0, v5
	s_bcnt1_i32_b64 s5, s[6:7]
	s_bcnt1_i32_b64 s6, s[34:35]
	s_bcnt1_i32_b64 s7, s[36:37]
	s_bcnt1_i32_b64 s34, s[38:39]
	s_add_u32 s5, s5, s66
	s_addc_u32 s35, 0, s67
	s_add_u32 s5, s5, s6
	s_addc_u32 s6, s35, 0
	s_add_u32 s5, s5, s7
	s_addc_u32 s6, s6, 0
	s_add_u32 s66, s5, s34
	s_addc_u32 s67, s6, 0
	s_and_b64 s[6:7], s[20:21], s[40:41]
	v_cndmask_b32_e64 v4, 0, 1, s[6:7]
	s_and_b64 s[6:7], s[18:19], s[42:43]
	v_cndmask_b32_e64 v5, 0, 1, s[6:7]
	s_and_b64 s[6:7], s[16:17], s[44:45]
	v_cndmask_b32_e64 v6, 0, 1, s[6:7]
	s_and_b64 s[6:7], s[14:15], s[46:47]
	v_cndmask_b32_e64 v7, 0, 1, s[6:7]
	v_cmp_ne_u32_e64 s[6:7], 0, v4
	v_cmp_ne_u32_e64 s[34:35], 0, v5
	v_cmp_ne_u32_e64 s[36:37], 0, v6
	v_cmp_ne_u32_e64 s[38:39], 0, v7
	s_bcnt1_i32_b64 s5, s[6:7]
	s_bcnt1_i32_b64 s6, s[34:35]
	s_bcnt1_i32_b64 s7, s[36:37]
	s_bcnt1_i32_b64 s34, s[38:39]
	s_add_u32 s0, s5, s0
	s_addc_u32 s1, 0, s1
	s_add_u32 s0, s0, s6
	s_addc_u32 s1, s1, 0
	s_add_u32 s0, s0, s7
	s_addc_u32 s1, s1, 0
	s_add_u32 s0, s0, s34
	s_addc_u32 s1, s1, 0
	s_and_b64 s[6:7], s[20:21], s[48:49]
	v_cndmask_b32_e64 v6, 0, 1, s[6:7]
	s_and_b64 s[6:7], s[18:19], s[50:51]
	v_cndmask_b32_e64 v7, 0, 1, s[6:7]
	s_and_b64 s[6:7], s[16:17], s[52:53]
	v_cndmask_b32_e64 v8, 0, 1, s[6:7]
	s_and_b64 s[6:7], s[14:15], s[54:55]
	v_cndmask_b32_e64 v9, 0, 1, s[6:7]
	v_cmp_ne_u32_e64 s[6:7], 0, v6
	v_cmp_ne_u32_e64 s[34:35], 0, v7
	v_cmp_ne_u32_e64 s[36:37], 0, v8
	v_cmp_ne_u32_e64 s[38:39], 0, v9
	s_bcnt1_i32_b64 s5, s[6:7]
	s_bcnt1_i32_b64 s6, s[34:35]
	s_bcnt1_i32_b64 s7, s[36:37]
	s_bcnt1_i32_b64 s34, s[38:39]
	s_add_u32 s5, s5, s94
	s_addc_u32 s35, 0, s95
	s_add_u32 s5, s5, s6
	s_addc_u32 s6, s35, 0
	s_add_u32 s5, s5, s7
	s_addc_u32 s6, s6, 0
	s_add_u32 s94, s5, s34
	s_addc_u32 s95, s6, 0
	s_and_b64 s[6:7], s[20:21], s[28:29]
	v_cndmask_b32_e64 v8, 0, 1, s[6:7]
	s_and_b64 s[6:7], s[18:19], s[26:27]
	v_cndmask_b32_e64 v9, 0, 1, s[6:7]
	s_and_b64 s[6:7], s[16:17], s[24:25]
	v_cndmask_b32_e64 v14, 0, 1, s[6:7]
	s_and_b64 s[6:7], s[14:15], s[22:23]
	v_cndmask_b32_e64 v54, 0, 1, s[6:7]
	v_cmp_ne_u32_e64 s[6:7], 0, v8
	v_cmp_ne_u32_e64 s[14:15], 0, v9
	;; [unrolled: 1-line block ×4, first 2 shown]
	s_bcnt1_i32_b64 s5, s[6:7]
	s_bcnt1_i32_b64 s6, s[14:15]
	;; [unrolled: 1-line block ×4, first 2 shown]
	s_add_u32 s5, s5, s80
	s_addc_u32 s15, 0, s81
	s_add_u32 s5, s5, s6
	s_addc_u32 s6, s15, 0
	;; [unrolled: 2-line block ×4, first 2 shown]
	v_pk_mov_b32 v[2:3], s[66:67], s[66:67] op_sel:[0,1]
	v_pk_mov_b32 v[4:5], s[0:1], s[0:1] op_sel:[0,1]
	;; [unrolled: 1-line block ×3, first 2 shown]
	s_or_b64 s[90:91], vcc, s[90:91]
	v_pk_mov_b32 v[8:9], s[80:81], s[80:81] op_sel:[0,1]
	s_andn2_b64 exec, exec, s[90:91]
	s_cbranch_execnz .LBB177_64
; %bb.65:                               ;   in Loop: Header=BB177_31 Depth=1
	s_or_b64 exec, exec, s[90:91]
	s_mov_b64 s[68:69], s[82:83]
.LBB177_66:                             ;   in Loop: Header=BB177_31 Depth=1
	s_or_b64 exec, exec, s[88:89]
	v_add_co_u32_e32 v30, vcc, v30, v0
	v_addc_co_u32_e32 v31, vcc, 0, v31, vcc
	v_cmp_gt_u64_e32 vcc, s[60:61], v[30:31]
	v_mov_b32_e32 v14, 0
	s_and_saveexec_b64 s[0:1], vcc
	s_mov_b64 s[90:91], s[76:77]
	s_cbranch_execz .LBB177_68
; %bb.67:                               ;   in Loop: Header=BB177_31 Depth=1
	v_mul_lo_u32 v14, v31, s58
	v_mul_lo_u32 v34, v30, s59
	v_mad_u64_u32 v[32:33], s[4:5], v30, s58, 0
	v_add3_u32 v33, v33, v34, v14
	v_lshlrev_b64 v[32:33], 1, v[32:33]
	v_mov_b32_e32 v14, s12
	v_add_co_u32_e64 v32, s[6:7], s93, v32
	v_addc_co_u32_e64 v33, s[6:7], v14, v33, s[6:7]
	global_load_ushort v14, v[32:33], off
.LBB177_68:                             ;   in Loop: Header=BB177_31 Depth=1
	s_or_b64 exec, exec, s[0:1]
	s_and_saveexec_b64 s[0:1], vcc
	s_cbranch_execz .LBB177_75
; %bb.69:                               ;   in Loop: Header=BB177_31 Depth=1
	v_readlane_b32 s4, v56, 50
	s_and_b32 s4, s4, 0xfe
	s_mov_b64 s[14:15], 0
	s_branch .LBB177_71
.LBB177_70:                             ;   in Loop: Header=BB177_71 Depth=2
	s_or_b64 exec, exec, s[16:17]
	s_waitcnt vmcnt(0)
	v_add_u32_sdwa v14, sext(v14), s11 dst_sel:DWORD dst_unused:UNUSED_PAD src0_sel:WORD_0 src1_sel:DWORD
	s_and_b64 s[6:7], exec, vcc
	v_and_b32_e32 v33, v14, v51
	v_bfe_u32 v14, v14, s4, 2
	s_or_b64 s[14:15], s[6:7], s[14:15]
	v_cmp_eq_u32_e32 vcc, v33, v52
	v_cmp_eq_u32_e64 s[6:7], 0, v14
	s_and_b64 s[6:7], vcc, s[6:7]
	v_cndmask_b32_e64 v33, 0, 1, s[6:7]
	v_cmp_ne_u32_e64 s[6:7], 0, v33
	s_bcnt1_i32_b64 s5, s[6:7]
	v_add_co_u32_e64 v2, s[6:7], s5, v2
	v_addc_co_u32_e64 v3, s[6:7], 0, v3, s[6:7]
	v_cmp_eq_u32_e64 s[6:7], 1, v14
	s_and_b64 s[6:7], vcc, s[6:7]
	v_cndmask_b32_e64 v33, 0, 1, s[6:7]
	v_cmp_ne_u32_e64 s[6:7], 0, v33
	s_bcnt1_i32_b64 s5, s[6:7]
	v_add_co_u32_e64 v4, s[6:7], s5, v4
	v_addc_co_u32_e64 v5, s[6:7], 0, v5, s[6:7]
	;; [unrolled: 7-line block ×3, first 2 shown]
	v_cmp_eq_u32_e64 s[6:7], 3, v14
	s_and_b64 s[6:7], vcc, s[6:7]
	v_cndmask_b32_e64 v14, 0, 1, s[6:7]
	v_cmp_ne_u32_e32 vcc, 0, v14
	s_bcnt1_i32_b64 s5, vcc
	v_add_co_u32_e32 v8, vcc, s5, v8
	v_addc_co_u32_e32 v9, vcc, 0, v9, vcc
	v_mov_b32_e32 v14, v32
	s_andn2_b64 exec, exec, s[14:15]
	s_cbranch_execz .LBB177_74
.LBB177_71:                             ;   Parent Loop BB177_31 Depth=1
                                        ; =>  This Inner Loop Header: Depth=2
	v_mov_b32_e32 v32, s87
	v_add_co_u32_e32 v30, vcc, s3, v30
	v_addc_co_u32_e32 v31, vcc, v31, v32, vcc
	v_cmp_gt_u64_e64 s[6:7], s[60:61], v[30:31]
	v_cmp_le_u64_e32 vcc, s[60:61], v[30:31]
	v_mov_b32_e32 v32, 0
	s_and_saveexec_b64 s[16:17], s[6:7]
	s_cbranch_execz .LBB177_70
; %bb.72:                               ;   in Loop: Header=BB177_71 Depth=2
	v_mul_lo_u32 v34, v31, s58
	v_mul_lo_u32 v35, v30, s59
	v_mad_u64_u32 v[32:33], s[6:7], v30, s58, 0
	v_add3_u32 v33, v33, v35, v34
	v_lshlrev_b64 v[32:33], 1, v[32:33]
	v_mov_b32_e32 v34, s12
	v_add_co_u32_e64 v32, s[6:7], s93, v32
	v_addc_co_u32_e64 v33, s[6:7], v34, v33, s[6:7]
	global_load_ushort v32, v[32:33], off
	s_branch .LBB177_70
.LBB177_73:                             ;   in Loop: Header=BB177_31 Depth=1
                                        ; implicit-def: $vgpr8_vgpr9
                                        ; implicit-def: $vgpr4_vgpr5
	s_cbranch_execnz .LBB177_76
	s_branch .LBB177_85
.LBB177_74:                             ;   in Loop: Header=BB177_31 Depth=1
	s_or_b64 exec, exec, s[14:15]
.LBB177_75:                             ;   in Loop: Header=BB177_31 Depth=1
	s_or_b64 exec, exec, s[0:1]
	s_branch .LBB177_85
.LBB177_76:                             ;   in Loop: Header=BB177_31 Depth=1
	v_readlane_b32 s0, v56, 33
	v_readlane_b32 s1, v56, 34
	s_nop 4
	global_load_ushort v8, v15, s[0:1]
	s_waitcnt vmcnt(0)
	v_readfirstlane_b32 s0, v8
	s_and_b32 s0, 0xffff, s0
	s_lshl_b32 s3, s0, 2
	v_cvt_f32_u32_e32 v2, s3
	s_sub_i32 s4, 0, s3
	s_mov_b64 s[0:1], 0
	v_and_b32_e32 v32, 0xffff, v8
	v_rcp_iflag_f32_e32 v6, v2
	v_pk_mov_b32 v[2:3], 0, 0
	v_pk_mov_b32 v[4:5], v[2:3], v[2:3] op_sel:[0,1]
	v_mul_f32_e32 v6, 0x4f7ffffe, v6
	v_cvt_u32_f32_e32 v9, v6
	v_pk_mov_b32 v[6:7], v[2:3], v[2:3] op_sel:[0,1]
	v_readfirstlane_b32 s5, v9
	s_mul_i32 s4, s4, s5
	s_mul_hi_u32 s4, s5, s4
	s_add_i32 s5, s5, s4
	s_mul_hi_u32 s4, s2, s5
	s_mul_i32 s4, s4, s3
	s_sub_i32 s4, s2, s4
	s_sub_i32 s5, s4, s3
	s_cmp_ge_u32 s4, s3
	s_cselect_b32 s4, s5, s4
	s_sub_i32 s5, s4, s3
	s_cmp_ge_u32 s4, s3
	s_cselect_b32 s4, s5, s4
	s_sub_i32 s86, s2, s4
	v_cmp_gt_u32_e32 vcc, s86, v16
	v_pk_mov_b32 v[8:9], v[2:3], v[2:3] op_sel:[0,1]
	s_and_saveexec_b64 s[66:67], vcc
	s_cbranch_execz .LBB177_80
; %bb.77:                               ;   in Loop: Header=BB177_31 Depth=1
	v_readlane_b32 s4, v56, 50
	s_mov_b64 s[76:77], s[90:91]
	s_and_b32 s4, s4, 0xfe
	v_lshlrev_b32_e32 v14, 3, v32
	v_mov_b32_e32 v33, v47
	s_mov_b64 s[80:81], 0
	s_mov_b64 s[88:89], 0
	;; [unrolled: 1-line block ×4, first 2 shown]
	v_pk_mov_b32 v[30:31], v[16:17], v[16:17] op_sel:[0,1]
.LBB177_78:                             ;   Parent Loop BB177_31 Depth=1
                                        ; =>  This Inner Loop Header: Depth=2
	ds_read_b64 v[2:3], v33
	v_add_co_u32_e32 v30, vcc, s3, v30
	v_addc_co_u32_e32 v31, vcc, 0, v31, vcc
	s_waitcnt lgkmcnt(0)
	v_add_u32_sdwa v4, sext(v2), s11 dst_sel:DWORD dst_unused:UNUSED_PAD src0_sel:WORD_0 src1_sel:DWORD
	v_add_u32_sdwa v2, sext(v2), s11 dst_sel:DWORD dst_unused:UNUSED_PAD src0_sel:WORD_1 src1_sel:DWORD
	v_and_b32_e32 v6, v4, v51
	v_bfe_u32 v4, v4, s4, 2
	v_add_u32_sdwa v5, sext(v3), s11 dst_sel:DWORD dst_unused:UNUSED_PAD src0_sel:WORD_0 src1_sel:DWORD
	v_and_b32_e32 v7, v2, v51
	v_bfe_u32 v2, v2, s4, 2
	v_cmp_eq_u32_e64 s[20:21], v6, v52
	v_cmp_eq_u32_e64 s[6:7], 0, v4
	v_add_u32_sdwa v3, sext(v3), s11 dst_sel:DWORD dst_unused:UNUSED_PAD src0_sel:WORD_1 src1_sel:DWORD
	v_and_b32_e32 v8, v5, v51
	v_bfe_u32 v5, v5, s4, 2
	v_cmp_eq_u32_e64 s[18:19], v7, v52
	v_cmp_eq_u32_e64 s[34:35], 0, v2
	s_and_b64 s[6:7], s[20:21], s[6:7]
	v_and_b32_e32 v9, v3, v51
	v_bfe_u32 v3, v3, s4, 2
	v_cmp_eq_u32_e64 s[16:17], v8, v52
	v_cmp_eq_u32_e64 s[36:37], 0, v5
	;; [unrolled: 1-line block ×5, first 2 shown]
	v_cndmask_b32_e64 v2, 0, 1, s[6:7]
	s_and_b64 s[6:7], s[18:19], s[34:35]
	v_cmp_eq_u32_e64 s[14:15], v9, v52
	v_cmp_eq_u32_e64 s[38:39], 0, v3
	;; [unrolled: 1-line block ×5, first 2 shown]
	v_cndmask_b32_e64 v3, 0, 1, s[6:7]
	s_and_b64 s[6:7], s[16:17], s[36:37]
	v_cmp_eq_u32_e64 s[40:41], 1, v4
	v_cmp_eq_u32_e64 s[48:49], 2, v4
	;; [unrolled: 1-line block ×3, first 2 shown]
	v_cndmask_b32_e64 v4, 0, 1, s[6:7]
	s_and_b64 s[6:7], s[14:15], s[38:39]
	v_cmp_eq_u32_e64 s[44:45], 1, v5
	v_cmp_eq_u32_e64 s[52:53], 2, v5
	;; [unrolled: 1-line block ×3, first 2 shown]
	v_cndmask_b32_e64 v5, 0, 1, s[6:7]
	v_cmp_ne_u32_e64 s[6:7], 0, v2
	v_cmp_ne_u32_e64 s[34:35], 0, v3
	v_cmp_ne_u32_e64 s[36:37], 0, v4
	v_cmp_ne_u32_e64 s[38:39], 0, v5
	s_bcnt1_i32_b64 s5, s[6:7]
	s_bcnt1_i32_b64 s6, s[34:35]
	s_bcnt1_i32_b64 s7, s[36:37]
	s_bcnt1_i32_b64 s34, s[38:39]
	s_add_u32 s5, s5, s94
	s_addc_u32 s35, 0, s95
	s_add_u32 s5, s5, s6
	s_addc_u32 s6, s35, 0
	s_add_u32 s5, s5, s7
	s_addc_u32 s6, s6, 0
	s_add_u32 s94, s5, s34
	s_addc_u32 s95, s6, 0
	s_and_b64 s[6:7], s[20:21], s[40:41]
	v_cndmask_b32_e64 v4, 0, 1, s[6:7]
	s_and_b64 s[6:7], s[18:19], s[42:43]
	v_cndmask_b32_e64 v5, 0, 1, s[6:7]
	s_and_b64 s[6:7], s[16:17], s[44:45]
	v_cndmask_b32_e64 v6, 0, 1, s[6:7]
	s_and_b64 s[6:7], s[14:15], s[46:47]
	v_cndmask_b32_e64 v7, 0, 1, s[6:7]
	v_cmp_ne_u32_e64 s[6:7], 0, v4
	v_cmp_ne_u32_e64 s[34:35], 0, v5
	v_cmp_ne_u32_e64 s[36:37], 0, v6
	v_cmp_ne_u32_e64 s[38:39], 0, v7
	s_bcnt1_i32_b64 s5, s[6:7]
	s_bcnt1_i32_b64 s6, s[34:35]
	s_bcnt1_i32_b64 s7, s[36:37]
	s_bcnt1_i32_b64 s34, s[38:39]
	s_add_u32 s5, s5, s90
	s_addc_u32 s35, 0, s91
	s_add_u32 s5, s5, s6
	s_addc_u32 s6, s35, 0
	s_add_u32 s5, s5, s7
	s_addc_u32 s6, s6, 0
	s_add_u32 s90, s5, s34
	s_addc_u32 s91, s6, 0
	s_and_b64 s[6:7], s[20:21], s[48:49]
	v_cndmask_b32_e64 v6, 0, 1, s[6:7]
	s_and_b64 s[6:7], s[18:19], s[50:51]
	v_cndmask_b32_e64 v7, 0, 1, s[6:7]
	s_and_b64 s[6:7], s[16:17], s[52:53]
	v_cndmask_b32_e64 v8, 0, 1, s[6:7]
	s_and_b64 s[6:7], s[14:15], s[54:55]
	;; [unrolled: 24-line block ×3, first 2 shown]
	v_cndmask_b32_e64 v35, 0, 1, s[6:7]
	v_cmp_ne_u32_e64 s[6:7], 0, v8
	v_cmp_ne_u32_e64 s[14:15], 0, v9
	;; [unrolled: 1-line block ×4, first 2 shown]
	s_bcnt1_i32_b64 s5, s[6:7]
	s_bcnt1_i32_b64 s6, s[14:15]
	;; [unrolled: 1-line block ×4, first 2 shown]
	s_add_u32 s5, s5, s80
	s_addc_u32 s15, 0, s81
	s_add_u32 s5, s5, s6
	s_addc_u32 s6, s15, 0
	;; [unrolled: 2-line block ×3, first 2 shown]
	s_add_u32 s80, s5, s14
	v_cmp_le_u64_e32 vcc, s[86:87], v[30:31]
	s_addc_u32 s81, s6, 0
	v_add_u32_e32 v33, v33, v14
	v_pk_mov_b32 v[2:3], s[94:95], s[94:95] op_sel:[0,1]
	v_pk_mov_b32 v[4:5], s[90:91], s[90:91] op_sel:[0,1]
	v_pk_mov_b32 v[6:7], s[88:89], s[88:89] op_sel:[0,1]
	s_or_b64 s[0:1], vcc, s[0:1]
	v_pk_mov_b32 v[8:9], s[80:81], s[80:81] op_sel:[0,1]
	s_andn2_b64 exec, exec, s[0:1]
	s_cbranch_execnz .LBB177_78
; %bb.79:                               ;   in Loop: Header=BB177_31 Depth=1
	s_or_b64 exec, exec, s[0:1]
	s_mov_b64 s[90:91], s[76:77]
.LBB177_80:                             ;   in Loop: Header=BB177_31 Depth=1
	s_or_b64 exec, exec, s[66:67]
	v_add_u32_e32 v14, s86, v0
	v_cmp_gt_u32_e32 vcc, s2, v14
	s_and_saveexec_b64 s[0:1], vcc
	s_cbranch_execz .LBB177_84
; %bb.81:                               ;   in Loop: Header=BB177_31 Depth=1
	s_and_b32 s86, s2, 0x7fffffff
	v_readlane_b32 s2, v56, 50
	s_and_b32 s4, s2, 0xfe
	v_lshlrev_b32_e32 v33, 1, v14
	v_lshlrev_b32_e32 v34, 1, v32
	s_mov_b64 s[2:3], 0
	v_pk_mov_b32 v[30:31], v[14:15], v[14:15] op_sel:[0,1]
.LBB177_82:                             ;   Parent Loop BB177_31 Depth=1
                                        ; =>  This Inner Loop Header: Depth=2
	ds_read_i16 v14, v33
	v_add_co_u32_e32 v30, vcc, v30, v32
	v_addc_co_u32_e32 v31, vcc, 0, v31, vcc
	s_waitcnt lgkmcnt(0)
	v_add_u32_e32 v14, 0x8000, v14
	v_and_b32_e32 v35, v14, v51
	v_bfe_u32 v14, v14, s4, 2
	v_cmp_eq_u32_e64 s[6:7], v35, v52
	v_cmp_eq_u32_e64 s[14:15], 0, v14
	v_cmp_eq_u32_e64 s[16:17], 1, v14
	s_and_b64 s[14:15], s[6:7], s[14:15]
	v_cmp_eq_u32_e64 s[18:19], 2, v14
	v_cmp_eq_u32_e64 s[20:21], 3, v14
	v_cndmask_b32_e64 v14, 0, 1, s[14:15]
	s_and_b64 s[14:15], s[6:7], s[16:17]
	v_cndmask_b32_e64 v35, 0, 1, s[14:15]
	s_and_b64 s[14:15], s[6:7], s[18:19]
	s_and_b64 s[6:7], s[6:7], s[20:21]
	v_cndmask_b32_e64 v36, 0, 1, s[14:15]
	v_cndmask_b32_e64 v37, 0, 1, s[6:7]
	v_cmp_ne_u32_e64 s[6:7], 0, v14
	v_cmp_ne_u32_e64 s[14:15], 0, v35
	;; [unrolled: 1-line block ×4, first 2 shown]
	v_cmp_le_u64_e32 vcc, s[86:87], v[30:31]
	s_bcnt1_i32_b64 s5, s[6:7]
	s_bcnt1_i32_b64 s6, s[14:15]
	;; [unrolled: 1-line block ×4, first 2 shown]
	s_or_b64 s[2:3], vcc, s[2:3]
	v_add_co_u32_e32 v2, vcc, s5, v2
	v_addc_co_u32_e32 v3, vcc, 0, v3, vcc
	v_add_co_u32_e32 v4, vcc, s6, v4
	v_addc_co_u32_e32 v5, vcc, 0, v5, vcc
	;; [unrolled: 2-line block ×3, first 2 shown]
	v_add_co_u32_e32 v8, vcc, s14, v8
	v_add_u32_e32 v33, v33, v34
	v_addc_co_u32_e32 v9, vcc, 0, v9, vcc
	s_andn2_b64 exec, exec, s[2:3]
	s_cbranch_execnz .LBB177_82
; %bb.83:                               ;   in Loop: Header=BB177_31 Depth=1
	s_or_b64 exec, exec, s[2:3]
.LBB177_84:                             ;   in Loop: Header=BB177_31 Depth=1
	s_or_b64 exec, exec, s[0:1]
.LBB177_85:                             ;   in Loop: Header=BB177_31 Depth=1
	v_readlane_b32 s0, v56, 51
	s_lshl_b32 s2, s0, 6
	s_and_saveexec_b64 s[0:1], s[68:69]
	s_cbranch_execz .LBB177_87
; %bb.86:                               ;   in Loop: Header=BB177_31 Depth=1
	s_waitcnt vmcnt(0)
	v_or_b32_e32 v14, s2, v44
	v_lshlrev_b32_e32 v14, 3, v14
	ds_write_b128 v14, v[2:5] offset:3072
	ds_write_b128 v14, v[6:9] offset:3088
.LBB177_87:                             ;   in Loop: Header=BB177_31 Depth=1
	s_or_b64 exec, exec, s[0:1]
	s_waitcnt lgkmcnt(0)
	s_barrier
	s_mov_b64 s[0:1], exec
	v_readlane_b32 s4, v56, 18
	v_readlane_b32 s5, v56, 19
	s_and_b64 s[4:5], s[0:1], s[4:5]
	s_mov_b64 exec, s[4:5]
	s_cbranch_execz .LBB177_99
; %bb.88:                               ;   in Loop: Header=BB177_31 Depth=1
	v_readlane_b32 s4, v56, 26
	v_readlane_b32 s5, v56, 27
	s_andn2_b64 vcc, exec, s[4:5]
	v_pk_mov_b32 v[2:3], 0, 0
	s_cbranch_vccnz .LBB177_98
; %bb.89:                               ;   in Loop: Header=BB177_31 Depth=1
	v_readlane_b32 s4, v56, 35
	v_readlane_b32 s5, v56, 36
	s_andn2_b64 vcc, exec, s[4:5]
	s_cbranch_vccnz .LBB177_94
; %bb.90:                               ;   in Loop: Header=BB177_31 Depth=1
	v_readlane_b32 s3, v56, 51
	v_lshl_add_u32 v4, s3, 9, v48
	s_mov_b32 s3, 0
	v_pk_mov_b32 v[2:3], 0, 0
.LBB177_91:                             ;   Parent Loop BB177_31 Depth=1
                                        ; =>  This Inner Loop Header: Depth=2
	s_waitcnt vmcnt(0)
	ds_read2_b64 v[6:9], v4 offset1:4
	ds_read2_b64 v[30:33], v4 offset0:8 offset1:12
	ds_read2_b64 v[34:37], v4 offset0:16 offset1:20
	;; [unrolled: 1-line block ×3, first 2 shown]
	s_add_i32 s3, s3, 8
	s_waitcnt lgkmcnt(3)
	v_add_co_u32_e32 v2, vcc, v6, v2
	v_addc_co_u32_e32 v3, vcc, v7, v3, vcc
	v_add_co_u32_e32 v2, vcc, v8, v2
	v_addc_co_u32_e32 v3, vcc, v9, v3, vcc
	s_waitcnt lgkmcnt(2)
	v_add_co_u32_e32 v2, vcc, v30, v2
	v_addc_co_u32_e32 v3, vcc, v31, v3, vcc
	v_add_co_u32_e32 v2, vcc, v32, v2
	v_addc_co_u32_e32 v3, vcc, v33, v3, vcc
	;; [unrolled: 5-line block ×3, first 2 shown]
	s_waitcnt lgkmcnt(0)
	v_add_co_u32_e32 v2, vcc, v38, v2
	v_addc_co_u32_e32 v3, vcc, v39, v3, vcc
	v_add_co_u32_e32 v2, vcc, v40, v2
	v_add_u32_e32 v4, 0x100, v4
	s_cmp_eq_u32 s13, s3
	v_addc_co_u32_e32 v3, vcc, v41, v3, vcc
	s_cbranch_scc0 .LBB177_91
; %bb.92:                               ;   in Loop: Header=BB177_31 Depth=1
	s_mov_b32 s3, s13
	s_branch .LBB177_95
.LBB177_93:                             ;   in Loop: Header=BB177_31 Depth=1
                                        ; implicit-def: $vgpr2_vgpr3
	s_mov_b64 s[76:77], s[90:91]
	s_branch .LBB177_61
.LBB177_94:                             ;   in Loop: Header=BB177_31 Depth=1
	s_mov_b32 s3, 0
	v_pk_mov_b32 v[2:3], 0, 0
.LBB177_95:                             ;   in Loop: Header=BB177_31 Depth=1
	v_readlane_b32 s4, v56, 38
	v_readlane_b32 s5, v56, 39
	s_andn2_b64 vcc, exec, s[4:5]
	s_cbranch_vccnz .LBB177_98
; %bb.96:                               ;   in Loop: Header=BB177_31 Depth=1
	v_readlane_b32 s4, v56, 51
	s_lshl_b32 s4, s4, 9
	s_lshl_b32 s3, s3, 5
	s_add_i32 s4, s4, s3
	v_add_u32_e32 v4, s4, v48
	v_readlane_b32 s3, v56, 37
.LBB177_97:                             ;   Parent Loop BB177_31 Depth=1
                                        ; =>  This Inner Loop Header: Depth=2
	s_waitcnt vmcnt(0)
	ds_read_b64 v[6:7], v4
	s_add_i32 s3, s3, -1
	v_add_u32_e32 v4, 32, v4
	s_cmp_lg_u32 s3, 0
	s_waitcnt lgkmcnt(0)
	v_add_co_u32_e32 v2, vcc, v6, v2
	v_addc_co_u32_e32 v3, vcc, v7, v3, vcc
	s_cbranch_scc1 .LBB177_97
.LBB177_98:                             ;   in Loop: Header=BB177_31 Depth=1
	v_add_lshl_u32 v4, s2, v43, 3
	ds_write_b64 v4, v[2:3] offset:3072
.LBB177_99:                             ;   in Loop: Header=BB177_31 Depth=1
	s_or_b64 exec, exec, s[0:1]
	s_lshl_b32 s0, s2, 3
	s_waitcnt vmcnt(0)
	v_mov_b32_e32 v6, s0
	s_waitcnt lgkmcnt(0)
	s_barrier
	ds_read_b128 v[2:5], v6 offset:3072
	ds_read_b128 v[6:9], v6 offset:3088
	v_readlane_b32 s0, v56, 50
	s_and_b32 s95, s0, 0xfe
	v_readlane_b32 s0, v56, 16
	s_lshl_b32 s86, 3, s95
	v_readlane_b32 s1, v56, 17
	s_waitcnt lgkmcnt(1)
	v_readfirstlane_b32 s17, v3
	v_readfirstlane_b32 s16, v2
	;; [unrolled: 1-line block ×4, first 2 shown]
	s_waitcnt lgkmcnt(0)
	v_readfirstlane_b32 s23, v7
	v_readfirstlane_b32 s22, v6
	v_readfirstlane_b32 s25, v9
	v_readfirstlane_b32 s24, v8
	s_not_b32 s94, s86
	s_andn2_b64 vcc, exec, s[0:1]
	v_cmp_eq_u64_e64 s[14:15], 1, v[28:29]
	s_cbranch_vccnz .LBB177_115
; %bb.100:                              ;   in Loop: Header=BB177_31 Depth=1
	s_cmp_eq_u64 s[16:17], 1
	s_cselect_b64 s[0:1], -1, 0
	s_and_b64 s[2:3], s[0:1], s[14:15]
	s_mov_b64 s[0:1], -1
	v_mov_b32_e32 v30, v52
	v_mov_b32_e32 v31, v51
	;; [unrolled: 1-line block ×3, first 2 shown]
                                        ; implicit-def: $sgpr20_sgpr21
                                        ; implicit-def: $sgpr36_sgpr37
                                        ; implicit-def: $sgpr34_sgpr35
	s_and_saveexec_b64 s[26:27], s[2:3]
	s_cbranch_execz .LBB177_137
; %bb.101:                              ;   in Loop: Header=BB177_31 Depth=1
	ds_read_b64 v[2:3], v15 offset:5120
	s_waitcnt lgkmcnt(0)
	s_barrier
	v_readfirstlane_b32 s0, v2
	v_readfirstlane_b32 s1, v3
	s_mov_b64 s[6:7], exec
	v_readlane_b32 s4, v56, 24
	v_readlane_b32 s5, v56, 25
	s_and_b64 s[4:5], s[6:7], s[4:5]
	s_mov_b64 exec, s[4:5]
	s_cbranch_execz .LBB177_103
; %bb.102:                              ;   in Loop: Header=BB177_31 Depth=1
	ds_write_b16 v46, v15
.LBB177_103:                            ;   in Loop: Header=BB177_31 Depth=1
	s_or_b64 exec, exec, s[6:7]
	v_and_b32_e32 v30, s94, v52
	v_or_b32_e32 v31, s86, v51
	s_cmp_eq_u64 s[0:1], 0
	s_waitcnt lgkmcnt(0)
	s_barrier
	s_cbranch_scc1 .LBB177_120
; %bb.104:                              ;   in Loop: Header=BB177_31 Depth=1
	v_readlane_b32 s4, v56, 28
	s_add_u32 s4, s4, s0
	v_readlane_b32 s5, v56, 30
	s_addc_u32 s7, s5, s1
	s_mov_b32 s6, s87
	s_cmp_lg_u64 s[6:7], 0
	s_cbranch_scc0 .LBB177_164
; %bb.105:                              ;   in Loop: Header=BB177_31 Depth=1
	v_cvt_f32_u32_e32 v2, s33
	s_sub_u32 s5, 0, s33
	s_subb_u32 s6, 0, 0
	v_mac_f32_e32 v2, 0, v49
	v_rcp_f32_e32 v2, v2
	v_mul_f32_e32 v2, 0x5f7ffffc, v2
	v_mul_f32_e32 v3, 0x2f800000, v2
	v_trunc_f32_e32 v3, v3
	v_mac_f32_e32 v2, 0xcf800000, v3
	v_cvt_u32_f32_e32 v3, v3
	v_cvt_u32_f32_e32 v2, v2
	v_readfirstlane_b32 s20, v3
	v_readfirstlane_b32 s21, v2
	s_mul_i32 s28, s5, s20
	s_mul_hi_u32 s34, s5, s21
	s_mul_i32 s29, s6, s21
	s_add_i32 s28, s34, s28
	s_mul_i32 s35, s5, s21
	s_add_i32 s28, s28, s29
	s_mul_hi_u32 s34, s21, s35
	s_mul_hi_u32 s29, s21, s28
	s_mul_i32 s21, s21, s28
	s_add_u32 s21, s34, s21
	s_addc_u32 s29, 0, s29
	s_mul_hi_u32 s36, s20, s35
	s_mul_i32 s35, s20, s35
	s_add_u32 s21, s21, s35
	s_mul_hi_u32 s34, s20, s28
	s_addc_u32 s21, s29, s36
	s_addc_u32 s29, s34, 0
	s_mul_i32 s28, s20, s28
	s_add_u32 s21, s21, s28
	s_addc_u32 s28, 0, s29
	v_add_co_u32_e32 v2, vcc, s21, v2
	s_cmp_lg_u64 vcc, 0
	s_addc_u32 s20, s20, s28
	v_readfirstlane_b32 s28, v2
	s_mul_i32 s21, s5, s20
	s_mul_hi_u32 s29, s5, s28
	s_add_i32 s21, s29, s21
	s_mul_i32 s6, s6, s28
	s_add_i32 s21, s21, s6
	s_mul_i32 s5, s5, s28
	s_mul_hi_u32 s29, s20, s5
	s_mul_i32 s34, s20, s5
	s_mul_i32 s36, s28, s21
	s_mul_hi_u32 s5, s28, s5
	s_mul_hi_u32 s35, s28, s21
	s_add_u32 s5, s5, s36
	s_addc_u32 s28, 0, s35
	s_add_u32 s5, s5, s34
	s_mul_hi_u32 s6, s20, s21
	s_addc_u32 s5, s28, s29
	s_addc_u32 s6, s6, 0
	s_mul_i32 s21, s20, s21
	s_add_u32 s5, s5, s21
	s_addc_u32 s6, 0, s6
	v_add_co_u32_e32 v2, vcc, s5, v2
	s_cmp_lg_u64 vcc, 0
	s_addc_u32 s5, s20, s6
	v_readfirstlane_b32 s21, v2
	s_mul_i32 s20, s4, s5
	s_mul_hi_u32 s28, s4, s21
	s_mul_hi_u32 s6, s4, s5
	s_add_u32 s20, s28, s20
	s_addc_u32 s6, 0, s6
	s_mul_hi_u32 s29, s7, s21
	s_mul_i32 s21, s7, s21
	s_add_u32 s20, s20, s21
	s_mul_hi_u32 s28, s7, s5
	s_addc_u32 s6, s6, s29
	s_addc_u32 s20, s28, 0
	s_mul_i32 s5, s7, s5
	s_add_u32 s5, s6, s5
	s_addc_u32 s6, 0, s20
	s_mul_hi_u32 s20, s33, s5
	s_mul_i32 s5, s33, s5
	s_mul_i32 s6, s33, s6
	v_mov_b32_e32 v2, s5
	s_add_i32 s20, s20, s6
	v_sub_co_u32_e32 v2, vcc, s4, v2
	s_cmp_lg_u64 vcc, 0
	s_subb_u32 s5, s7, s20
	v_subrev_co_u32_e32 v3, vcc, s33, v2
	s_cmp_lg_u64 vcc, 0
	s_subb_u32 s6, s5, 0
	v_subrev_co_u32_e32 v4, vcc, s33, v3
	s_cmp_lg_u64 vcc, 0
	s_subb_u32 s20, s6, 0
	v_cmp_le_u32_e32 vcc, s33, v3
	s_cmp_eq_u32 s6, 0
	v_cndmask_b32_e64 v5, 0, -1, vcc
	s_cselect_b64 vcc, -1, 0
	v_cndmask_b32_e32 v5, -1, v5, vcc
	v_mov_b32_e32 v6, s6
	v_mov_b32_e32 v7, s20
	v_cmp_ne_u32_e32 vcc, 0, v5
	v_cndmask_b32_e32 v5, v6, v7, vcc
	v_cndmask_b32_e32 v4, v3, v4, vcc
	v_cmp_le_u32_e32 vcc, s33, v2
	s_cmp_eq_u32 s5, 0
	v_cndmask_b32_e64 v3, 0, -1, vcc
	s_cselect_b64 vcc, -1, 0
	v_cndmask_b32_e32 v3, -1, v3, vcc
	v_mov_b32_e32 v6, s5
	v_cmp_ne_u32_e32 vcc, 0, v3
	v_cndmask_b32_e32 v3, v6, v5, vcc
	v_cndmask_b32_e32 v2, v2, v4, vcc
	s_cbranch_execnz .LBB177_107
.LBB177_106:                            ;   in Loop: Header=BB177_31 Depth=1
	v_cvt_f32_u32_e32 v2, s33
	s_sub_i32 s5, 0, s33
	v_rcp_iflag_f32_e32 v2, v2
	v_mul_f32_e32 v2, 0x4f7ffffe, v2
	v_cvt_u32_f32_e32 v2, v2
	v_mul_lo_u32 v3, s5, v2
	v_mul_hi_u32 v3, v2, v3
	v_add_u32_e32 v2, v2, v3
	v_mul_hi_u32 v2, s4, v2
	v_mul_lo_u32 v2, v2, s33
	v_sub_u32_e32 v2, s4, v2
	v_subrev_u32_e32 v3, s33, v2
	v_cmp_le_u32_e32 vcc, s33, v2
	v_cndmask_b32_e32 v2, v2, v3, vcc
	v_subrev_u32_e32 v3, s33, v2
	v_cmp_le_u32_e32 vcc, s33, v2
	v_cndmask_b32_e32 v14, v2, v3, vcc
	v_pk_mov_b32 v[2:3], v[14:15], v[14:15] op_sel:[0,1]
.LBB177_107:                            ;   in Loop: Header=BB177_31 Depth=1
	v_mov_b32_e32 v4, s7
	v_sub_co_u32_e32 v2, vcc, s4, v2
	v_subb_co_u32_e32 v3, vcc, v4, v3, vcc
	v_cmp_gt_u64_e32 vcc, v[2:3], v[0:1]
	s_mov_b64 s[6:7], 0
                                        ; implicit-def: $vgpr32
	s_and_saveexec_b64 s[20:21], vcc
	s_cbranch_execz .LBB177_122
; %bb.108:                              ;   in Loop: Header=BB177_31 Depth=1
	s_mov_b64 s[28:29], 0
	v_mov_b32_e32 v6, v45
	v_pk_mov_b32 v[4:5], v[0:1], v[0:1] op_sel:[0,1]
                                        ; implicit-def: $sgpr34_sgpr35
	s_branch .LBB177_110
.LBB177_109:                            ;   in Loop: Header=BB177_110 Depth=2
	s_or_b64 exec, exec, s[6:7]
	s_waitcnt lgkmcnt(0)
	s_barrier
	ds_read_b32 v7, v15 offset:3072
	v_mov_b32_e32 v8, s92
	v_add_co_u32_e64 v4, s[6:7], s33, v4
	v_addc_co_u32_e64 v5, s[6:7], v5, v8, s[6:7]
	s_waitcnt lgkmcnt(0)
	v_cmp_ne_u16_e32 vcc, 0, v7
	v_cmp_ge_u64_e64 s[6:7], v[4:5], v[2:3]
	s_or_b64 s[4:5], s[6:7], vcc
	s_and_b64 s[4:5], exec, s[4:5]
	s_or_b64 s[28:29], s[4:5], s[28:29]
	s_andn2_b64 s[4:5], s[34:35], exec
	s_and_b64 s[6:7], vcc, exec
	v_add_u32_e32 v6, s10, v6
	s_or_b64 s[34:35], s[4:5], s[6:7]
	s_barrier
	s_andn2_b64 exec, exec, s[28:29]
	s_cbranch_execz .LBB177_121
.LBB177_110:                            ;   Parent Loop BB177_31 Depth=1
                                        ; =>  This Inner Loop Header: Depth=2
	v_cmp_gt_u64_e32 vcc, s[0:1], v[4:5]
	v_mov_b32_e32 v7, 0
	s_and_saveexec_b64 s[6:7], vcc
	s_cbranch_execz .LBB177_112
; %bb.111:                              ;   in Loop: Header=BB177_110 Depth=2
	ds_read_u16 v7, v6
.LBB177_112:                            ;   in Loop: Header=BB177_110 Depth=2
	s_or_b64 exec, exec, s[6:7]
	s_and_saveexec_b64 s[6:7], vcc
	s_cbranch_execz .LBB177_109
; %bb.113:                              ;   in Loop: Header=BB177_110 Depth=2
	s_waitcnt lgkmcnt(0)
	v_add_u32_sdwa v8, sext(v7), s11 dst_sel:DWORD dst_unused:UNUSED_PAD src0_sel:WORD_0 src1_sel:DWORD
	v_and_b32_e32 v8, v8, v31
	v_cmp_eq_u32_e32 vcc, v8, v30
	s_and_b64 exec, exec, vcc
	s_cbranch_execz .LBB177_109
; %bb.114:                              ;   in Loop: Header=BB177_110 Depth=2
	v_perm_b32 v7, v7, 1, v50
	ds_write_b32 v15, v7 offset:3072
	s_branch .LBB177_109
.LBB177_115:                            ;   in Loop: Header=BB177_31 Depth=1
	s_mov_b64 s[28:29], 0
	s_mov_b64 s[26:27], 0
                                        ; implicit-def: $sgpr34_sgpr35
                                        ; implicit-def: $sgpr36_sgpr37
                                        ; implicit-def: $sgpr20_sgpr21
                                        ; implicit-def: $vgpr6
                                        ; implicit-def: $vgpr2_vgpr3
                                        ; implicit-def: $vgpr30
                                        ; implicit-def: $vgpr31
                                        ; implicit-def: $vgpr32
	s_cbranch_execnz .LBB177_301
.LBB177_116:                            ;   in Loop: Header=BB177_31 Depth=1
	s_mov_b64 s[14:15], s[20:21]
	s_mov_b64 s[38:39], s[20:21]
	s_and_saveexec_b64 s[0:1], s[28:29]
	s_cbranch_execnz .LBB177_497
	s_branch .LBB177_498
.LBB177_117:                            ;   in Loop: Header=BB177_31 Depth=1
	s_or_b64 exec, exec, s[0:1]
	s_waitcnt lgkmcnt(0)
	s_barrier
	s_mov_b64 s[0:1], exec
	v_readlane_b32 s4, v56, 10
	v_readlane_b32 s5, v56, 11
	s_and_b64 s[4:5], s[0:1], s[4:5]
	s_mov_b64 exec, s[4:5]
	s_cbranch_execz .LBB177_119
; %bb.118:                              ;   in Loop: Header=BB177_31 Depth=1
	ds_read_b32 v2, v15 offset:5144
	s_waitcnt lgkmcnt(0)
	v_ashrrev_i32_e32 v3, 31, v2
	ds_write_b64 v15, v[2:3] offset:5120
.LBB177_119:                            ;   in Loop: Header=BB177_31 Depth=1
	s_or_b64 exec, exec, s[0:1]
	s_waitcnt lgkmcnt(0)
	s_barrier
	s_mov_b64 s[0:1], -1
	s_and_b64 vcc, exec, s[2:3]
	s_cbranch_vccnz .LBB177_46
	s_branch .LBB177_56
.LBB177_120:                            ;   in Loop: Header=BB177_31 Depth=1
	s_mov_b64 s[20:21], -1
	s_mov_b64 s[6:7], 0
                                        ; implicit-def: $sgpr34_sgpr35
                                        ; implicit-def: $vgpr32
	s_mov_b64 s[36:37], s[20:21]
	s_cbranch_execnz .LBB177_123
	s_branch .LBB177_136
.LBB177_121:                            ;   in Loop: Header=BB177_31 Depth=1
	s_or_b64 exec, exec, s[28:29]
	v_lshrrev_b32_e32 v32, 16, v7
	s_and_b64 s[6:7], s[34:35], exec
.LBB177_122:                            ;   in Loop: Header=BB177_31 Depth=1
	s_or_b64 exec, exec, s[20:21]
	s_mov_b64 s[34:35], -1
	s_mov_b64 s[20:21], 0
	s_mov_b64 s[36:37], s[20:21]
	s_branch .LBB177_136
.LBB177_123:                            ;   in Loop: Header=BB177_31 Depth=1
	v_readlane_b32 s34, v56, 31
	v_readlane_b32 s35, v56, 32
	s_mov_b32 s34, s87
	s_cmp_lg_u64 s[34:35], 0
	s_cbranch_scc0 .LBB177_165
; %bb.124:                              ;   in Loop: Header=BB177_31 Depth=1
	v_cvt_f32_u32_e32 v2, s33
	s_sub_u32 s0, 0, s33
	s_subb_u32 s1, 0, 0
	v_mac_f32_e32 v2, 0, v49
	v_rcp_f32_e32 v2, v2
	v_mul_f32_e32 v2, 0x5f7ffffc, v2
	v_mul_f32_e32 v3, 0x2f800000, v2
	v_trunc_f32_e32 v3, v3
	v_mac_f32_e32 v2, 0xcf800000, v3
	v_cvt_u32_f32_e32 v3, v3
	v_cvt_u32_f32_e32 v2, v2
	v_readfirstlane_b32 s4, v3
	v_readfirstlane_b32 s5, v2
	s_mul_i32 s6, s0, s4
	s_mul_hi_u32 s20, s0, s5
	s_mul_i32 s7, s1, s5
	s_add_i32 s6, s20, s6
	s_mul_i32 s21, s0, s5
	s_add_i32 s6, s6, s7
	s_mul_hi_u32 s20, s5, s21
	s_mul_hi_u32 s7, s5, s6
	s_mul_i32 s5, s5, s6
	s_add_u32 s5, s20, s5
	s_addc_u32 s7, 0, s7
	s_mul_hi_u32 s28, s4, s21
	s_mul_i32 s21, s4, s21
	s_add_u32 s5, s5, s21
	s_mul_hi_u32 s20, s4, s6
	s_addc_u32 s5, s7, s28
	s_addc_u32 s7, s20, 0
	s_mul_i32 s6, s4, s6
	s_add_u32 s5, s5, s6
	s_addc_u32 s6, 0, s7
	v_add_co_u32_e32 v2, vcc, s5, v2
	s_cmp_lg_u64 vcc, 0
	s_addc_u32 s4, s4, s6
	v_readfirstlane_b32 s6, v2
	s_mul_i32 s5, s0, s4
	s_mul_hi_u32 s7, s0, s6
	s_add_i32 s5, s7, s5
	s_mul_i32 s1, s1, s6
	s_add_i32 s5, s5, s1
	s_mul_i32 s0, s0, s6
	s_mul_hi_u32 s7, s4, s0
	s_mul_i32 s20, s4, s0
	s_mul_i32 s28, s6, s5
	s_mul_hi_u32 s0, s6, s0
	s_mul_hi_u32 s21, s6, s5
	s_add_u32 s0, s0, s28
	s_addc_u32 s6, 0, s21
	s_add_u32 s0, s0, s20
	s_mul_hi_u32 s1, s4, s5
	s_addc_u32 s0, s6, s7
	s_addc_u32 s1, s1, 0
	s_mul_i32 s5, s4, s5
	s_add_u32 s0, s0, s5
	s_addc_u32 s1, 0, s1
	v_add_co_u32_e32 v2, vcc, s0, v2
	s_cmp_lg_u64 vcc, 0
	s_addc_u32 s0, s4, s1
	v_readlane_b32 s20, v56, 29
	v_readfirstlane_b32 s5, v2
	s_mul_i32 s4, s20, s0
	s_mul_hi_u32 s6, s20, s5
	s_mul_hi_u32 s1, s20, s0
	s_add_u32 s4, s6, s4
	s_addc_u32 s1, 0, s1
	s_mul_hi_u32 s7, s35, s5
	s_mul_i32 s5, s35, s5
	s_add_u32 s4, s4, s5
	s_mul_hi_u32 s6, s35, s0
	s_addc_u32 s1, s1, s7
	s_addc_u32 s4, s6, 0
	s_mul_i32 s0, s35, s0
	s_add_u32 s0, s1, s0
	s_addc_u32 s1, 0, s4
	s_mul_hi_u32 s4, s33, s0
	s_mul_i32 s0, s33, s0
	s_mul_i32 s1, s33, s1
	v_mov_b32_e32 v2, s0
	s_add_i32 s4, s4, s1
	v_sub_co_u32_e32 v2, vcc, s20, v2
	s_cmp_lg_u64 vcc, 0
	s_subb_u32 s0, s35, s4
	v_subrev_co_u32_e32 v3, vcc, s33, v2
	s_cmp_lg_u64 vcc, 0
	s_subb_u32 s1, s0, 0
	v_subrev_co_u32_e32 v4, vcc, s33, v3
	s_cmp_lg_u64 vcc, 0
	s_subb_u32 s4, s1, 0
	v_cmp_le_u32_e32 vcc, s33, v3
	s_cmp_eq_u32 s1, 0
	v_cndmask_b32_e64 v5, 0, -1, vcc
	s_cselect_b64 vcc, -1, 0
	v_cndmask_b32_e32 v5, -1, v5, vcc
	v_mov_b32_e32 v6, s1
	v_mov_b32_e32 v7, s4
	v_cmp_ne_u32_e32 vcc, 0, v5
	v_cndmask_b32_e32 v5, v6, v7, vcc
	v_cndmask_b32_e32 v4, v3, v4, vcc
	v_cmp_le_u32_e32 vcc, s33, v2
	s_cmp_eq_u32 s0, 0
	v_cndmask_b32_e64 v3, 0, -1, vcc
	s_cselect_b64 vcc, -1, 0
	v_cndmask_b32_e32 v3, -1, v3, vcc
	v_mov_b32_e32 v6, s0
	v_cmp_ne_u32_e32 vcc, 0, v3
	v_cndmask_b32_e32 v3, v6, v5, vcc
	v_cndmask_b32_e32 v2, v2, v4, vcc
	s_cbranch_execnz .LBB177_126
.LBB177_125:                            ;   in Loop: Header=BB177_31 Depth=1
	v_cvt_f32_u32_e32 v2, s33
	s_sub_i32 s0, 0, s33
	v_rcp_iflag_f32_e32 v2, v2
	v_mul_f32_e32 v2, 0x4f7ffffe, v2
	v_cvt_u32_f32_e32 v2, v2
	v_mul_lo_u32 v3, s0, v2
	v_mul_hi_u32 v3, v2, v3
	v_add_u32_e32 v2, v2, v3
	v_readlane_b32 s0, v56, 29
	v_mul_hi_u32 v2, s0, v2
	v_mul_lo_u32 v2, v2, s33
	v_sub_u32_e32 v2, s0, v2
	v_subrev_u32_e32 v3, s33, v2
	v_cmp_le_u32_e32 vcc, s33, v2
	v_cndmask_b32_e32 v2, v2, v3, vcc
	v_subrev_u32_e32 v3, s33, v2
	v_cmp_le_u32_e32 vcc, s33, v2
	v_cndmask_b32_e32 v14, v2, v3, vcc
	v_pk_mov_b32 v[2:3], v[14:15], v[14:15] op_sel:[0,1]
.LBB177_126:                            ;   in Loop: Header=BB177_31 Depth=1
	v_readlane_b32 s0, v56, 29
	v_mov_b32_e32 v4, s35
	v_sub_co_u32_e32 v2, vcc, s0, v2
	v_subb_co_u32_e32 v3, vcc, v4, v3, vcc
	v_cmp_gt_u64_e32 vcc, v[2:3], v[0:1]
	s_mov_b64 s[6:7], 0
                                        ; implicit-def: $vgpr32
	s_and_saveexec_b64 s[0:1], vcc
	s_cbranch_execz .LBB177_135
; %bb.127:                              ;   in Loop: Header=BB177_31 Depth=1
	s_mov_b64 s[20:21], 0
	v_pk_mov_b32 v[4:5], v[26:27], v[26:27] op_sel:[0,1]
	v_pk_mov_b32 v[6:7], v[0:1], v[0:1] op_sel:[0,1]
                                        ; implicit-def: $sgpr28_sgpr29
	s_branch .LBB177_129
.LBB177_128:                            ;   in Loop: Header=BB177_129 Depth=2
	s_or_b64 exec, exec, s[6:7]
	s_waitcnt lgkmcnt(0)
	s_barrier
	s_waitcnt vmcnt(0)
	ds_read_b32 v8, v15 offset:3072
	v_mov_b32_e32 v9, s92
	v_add_co_u32_e64 v6, s[6:7], s33, v6
	v_addc_co_u32_e64 v7, s[6:7], v7, v9, s[6:7]
	s_waitcnt lgkmcnt(0)
	v_cmp_ne_u16_e32 vcc, 0, v8
	v_cmp_ge_u64_e64 s[6:7], v[6:7], v[2:3]
	s_or_b64 s[4:5], s[6:7], vcc
	v_mov_b32_e32 v9, s65
	v_add_co_u32_e64 v4, s[6:7], s64, v4
	s_and_b64 s[4:5], exec, s[4:5]
	v_addc_co_u32_e64 v5, s[6:7], v5, v9, s[6:7]
	s_or_b64 s[20:21], s[4:5], s[20:21]
	s_andn2_b64 s[4:5], s[28:29], exec
	s_and_b64 s[6:7], vcc, exec
	s_or_b64 s[28:29], s[4:5], s[6:7]
	s_barrier
	s_andn2_b64 exec, exec, s[20:21]
	s_cbranch_execz .LBB177_134
.LBB177_129:                            ;   Parent Loop BB177_31 Depth=1
                                        ; =>  This Inner Loop Header: Depth=2
	v_cmp_gt_u64_e32 vcc, s[60:61], v[6:7]
	v_mov_b32_e32 v8, 0
	s_and_saveexec_b64 s[6:7], vcc
	s_cbranch_execz .LBB177_131
; %bb.130:                              ;   in Loop: Header=BB177_129 Depth=2
	global_load_ushort v8, v[4:5], off
.LBB177_131:                            ;   in Loop: Header=BB177_129 Depth=2
	s_or_b64 exec, exec, s[6:7]
	s_and_saveexec_b64 s[6:7], vcc
	s_cbranch_execz .LBB177_128
; %bb.132:                              ;   in Loop: Header=BB177_129 Depth=2
	s_waitcnt vmcnt(0)
	v_add_u32_sdwa v9, sext(v8), s11 dst_sel:DWORD dst_unused:UNUSED_PAD src0_sel:WORD_0 src1_sel:DWORD
	v_and_b32_e32 v9, v9, v31
	v_cmp_eq_u32_e32 vcc, v9, v30
	s_and_b64 exec, exec, vcc
	s_cbranch_execz .LBB177_128
; %bb.133:                              ;   in Loop: Header=BB177_129 Depth=2
	v_perm_b32 v8, v8, 1, v50
	ds_write_b32 v15, v8 offset:3072
	s_branch .LBB177_128
.LBB177_134:                            ;   in Loop: Header=BB177_31 Depth=1
	s_or_b64 exec, exec, s[20:21]
	v_lshrrev_b32_e32 v32, 16, v8
	s_and_b64 s[6:7], s[28:29], exec
.LBB177_135:                            ;   in Loop: Header=BB177_31 Depth=1
	v_writelane_b32 v56, s34, 31
	v_writelane_b32 v56, s35, 32
	s_or_b64 exec, exec, s[0:1]
	s_mov_b64 s[36:37], -1
	s_mov_b64 s[20:21], 0
	s_mov_b64 s[34:35], 0
.LBB177_136:                            ;   in Loop: Header=BB177_31 Depth=1
	s_orn2_b64 s[0:1], s[6:7], exec
.LBB177_137:                            ;   in Loop: Header=BB177_31 Depth=1
	s_or_b64 exec, exec, s[26:27]
	s_mov_b64 s[38:39], 0
	s_mov_b64 s[28:29], 0
	;; [unrolled: 1-line block ×3, first 2 shown]
                                        ; implicit-def: $vgpr6
                                        ; implicit-def: $vgpr2_vgpr3
	s_and_saveexec_b64 s[40:41], s[0:1]
	s_cbranch_execz .LBB177_300
; %bb.138:                              ;   in Loop: Header=BB177_31 Depth=1
	v_mov_b32_e32 v2, 1
	s_xor_b64 s[2:3], s[2:3], -1
	s_mov_b64 s[6:7], 0
	v_mov_b32_e32 v3, 0
	v_mov_b32_e32 v6, 1
	s_and_saveexec_b64 s[0:1], s[2:3]
	s_cbranch_execz .LBB177_148
; %bb.139:                              ;   in Loop: Header=BB177_31 Depth=1
	v_cmp_ge_u64_e32 vcc, s[16:17], v[28:29]
                                        ; implicit-def: $sgpr4
                                        ; implicit-def: $sgpr2_sgpr3
	s_and_saveexec_b64 s[6:7], vcc
	s_xor_b64 s[6:7], exec, s[6:7]
	s_cbranch_execz .LBB177_145
; %bb.140:                              ;   in Loop: Header=BB177_31 Depth=1
	ds_read_b64 v[2:3], v15 offset:5120
	s_waitcnt lgkmcnt(0)
	v_cmp_ne_u64_e32 vcc, 0, v[2:3]
	s_cbranch_vccnz .LBB177_144
; %bb.141:                              ;   in Loop: Header=BB177_31 Depth=1
	s_mov_b64 s[2:3], exec
	v_readlane_b32 s4, v56, 10
	v_readlane_b32 s5, v56, 11
	s_and_b64 s[4:5], s[2:3], s[4:5]
	s_mov_b64 exec, s[4:5]
	s_cbranch_execz .LBB177_143
; %bb.142:                              ;   in Loop: Header=BB177_31 Depth=1
	v_pk_mov_b32 v[2:3], s[16:17], s[16:17] op_sel:[0,1]
	ds_write_b64 v15, v[2:3] offset:5128
.LBB177_143:                            ;   in Loop: Header=BB177_31 Depth=1
	s_or_b64 exec, exec, s[2:3]
	s_waitcnt lgkmcnt(0)
	s_barrier
.LBB177_144:                            ;   in Loop: Header=BB177_31 Depth=1
	v_and_b32_e32 v30, s94, v30
	v_or_b32_e32 v31, s86, v31
	s_mov_b64 s[2:3], 0
	s_mov_b32 s4, 8
.LBB177_145:                            ;   in Loop: Header=BB177_31 Depth=1
	s_or_saveexec_b64 s[6:7], s[6:7]
	v_mov_b32_e32 v6, s4
	v_pk_mov_b32 v[2:3], v[28:29], v[28:29] op_sel:[0,1]
	s_xor_b64 exec, exec, s[6:7]
; %bb.146:                              ;   in Loop: Header=BB177_31 Depth=1
	v_mov_b32_e32 v3, s17
	v_subrev_co_u32_e32 v2, vcc, s16, v28
	v_subb_co_u32_e32 v3, vcc, v29, v3, vcc
	v_mov_b32_e32 v6, 0
	s_or_b64 s[2:3], s[2:3], exec
; %bb.147:                              ;   in Loop: Header=BB177_31 Depth=1
	s_or_b64 exec, exec, s[6:7]
	s_and_b64 s[6:7], s[2:3], exec
.LBB177_148:                            ;   in Loop: Header=BB177_31 Depth=1
	s_or_b64 exec, exec, s[0:1]
	s_mov_b64 s[42:43], -1
                                        ; implicit-def: $sgpr0_sgpr1
                                        ; implicit-def: $sgpr2_sgpr3
                                        ; implicit-def: $sgpr28_sgpr29
	s_and_saveexec_b64 s[4:5], s[6:7]
	s_xor_b64 s[26:27], exec, s[4:5]
	s_cbranch_execz .LBB177_297
; %bb.149:                              ;   in Loop: Header=BB177_31 Depth=1
	s_cmp_eq_u64 s[18:19], 1
	s_cselect_b64 s[0:1], -1, 0
	v_cmp_eq_u64_e32 vcc, 1, v[2:3]
	s_and_b64 s[2:3], s[0:1], vcc
	s_mov_b64 s[0:1], -1
                                        ; implicit-def: $sgpr28_sgpr29
                                        ; implicit-def: $sgpr44_sgpr45
                                        ; implicit-def: $sgpr42_sgpr43
	s_and_saveexec_b64 s[46:47], s[2:3]
	s_cbranch_execz .LBB177_183
; %bb.150:                              ;   in Loop: Header=BB177_31 Depth=1
	ds_read_b64 v[4:5], v15 offset:5120
	s_waitcnt lgkmcnt(0)
	s_barrier
	v_readfirstlane_b32 s0, v4
	v_readfirstlane_b32 s1, v5
	s_mov_b64 s[6:7], exec
	v_readlane_b32 s4, v56, 24
	v_readlane_b32 s5, v56, 25
	s_and_b64 s[4:5], s[6:7], s[4:5]
	s_mov_b64 exec, s[4:5]
	s_cbranch_execz .LBB177_152
; %bb.151:                              ;   in Loop: Header=BB177_31 Depth=1
	ds_write_b16 v46, v15
.LBB177_152:                            ;   in Loop: Header=BB177_31 Depth=1
	s_or_b64 exec, exec, s[6:7]
	v_and_b32_e32 v4, s94, v30
	v_lshl_or_b32 v30, 1, s95, v4
	v_or_b32_e32 v31, s86, v31
	s_cmp_eq_u64 s[0:1], 0
	s_waitcnt lgkmcnt(0)
	s_barrier
	s_cbranch_scc1 .LBB177_166
; %bb.153:                              ;   in Loop: Header=BB177_31 Depth=1
	v_readlane_b32 s4, v56, 28
	s_add_u32 s4, s4, s0
	v_readlane_b32 s5, v56, 30
	s_addc_u32 s7, s5, s1
	s_mov_b32 s6, s87
	s_cmp_lg_u64 s[6:7], 0
	s_cbranch_scc0 .LBB177_210
; %bb.154:                              ;   in Loop: Header=BB177_31 Depth=1
	v_cvt_f32_u32_e32 v4, s33
	s_sub_u32 s5, 0, s33
	s_subb_u32 s6, 0, 0
	v_mac_f32_e32 v4, 0, v49
	v_rcp_f32_e32 v4, v4
	v_mul_f32_e32 v4, 0x5f7ffffc, v4
	v_mul_f32_e32 v5, 0x2f800000, v4
	v_trunc_f32_e32 v5, v5
	v_mac_f32_e32 v4, 0xcf800000, v5
	v_cvt_u32_f32_e32 v5, v5
	v_cvt_u32_f32_e32 v4, v4
	v_readfirstlane_b32 s28, v5
	v_readfirstlane_b32 s29, v4
	s_mul_i32 s42, s5, s28
	s_mul_hi_u32 s44, s5, s29
	s_mul_i32 s43, s6, s29
	s_add_i32 s42, s44, s42
	s_mul_i32 s45, s5, s29
	s_add_i32 s42, s42, s43
	s_mul_hi_u32 s44, s29, s45
	s_mul_hi_u32 s43, s29, s42
	s_mul_i32 s29, s29, s42
	s_add_u32 s29, s44, s29
	s_addc_u32 s43, 0, s43
	s_mul_hi_u32 s48, s28, s45
	s_mul_i32 s45, s28, s45
	s_add_u32 s29, s29, s45
	s_mul_hi_u32 s44, s28, s42
	s_addc_u32 s29, s43, s48
	s_addc_u32 s43, s44, 0
	s_mul_i32 s42, s28, s42
	s_add_u32 s29, s29, s42
	s_addc_u32 s42, 0, s43
	v_add_co_u32_e32 v4, vcc, s29, v4
	s_cmp_lg_u64 vcc, 0
	s_addc_u32 s28, s28, s42
	v_readfirstlane_b32 s42, v4
	s_mul_i32 s29, s5, s28
	s_mul_hi_u32 s43, s5, s42
	s_add_i32 s29, s43, s29
	s_mul_i32 s6, s6, s42
	s_add_i32 s29, s29, s6
	s_mul_i32 s5, s5, s42
	s_mul_hi_u32 s43, s28, s5
	s_mul_i32 s44, s28, s5
	s_mul_i32 s48, s42, s29
	s_mul_hi_u32 s5, s42, s5
	s_mul_hi_u32 s45, s42, s29
	s_add_u32 s5, s5, s48
	s_addc_u32 s42, 0, s45
	s_add_u32 s5, s5, s44
	s_mul_hi_u32 s6, s28, s29
	s_addc_u32 s5, s42, s43
	s_addc_u32 s6, s6, 0
	s_mul_i32 s29, s28, s29
	s_add_u32 s5, s5, s29
	s_addc_u32 s6, 0, s6
	v_add_co_u32_e32 v4, vcc, s5, v4
	s_cmp_lg_u64 vcc, 0
	s_addc_u32 s5, s28, s6
	v_readfirstlane_b32 s29, v4
	s_mul_i32 s28, s4, s5
	s_mul_hi_u32 s42, s4, s29
	s_mul_hi_u32 s6, s4, s5
	s_add_u32 s28, s42, s28
	s_addc_u32 s6, 0, s6
	s_mul_hi_u32 s43, s7, s29
	s_mul_i32 s29, s7, s29
	s_add_u32 s28, s28, s29
	s_mul_hi_u32 s42, s7, s5
	s_addc_u32 s6, s6, s43
	s_addc_u32 s28, s42, 0
	s_mul_i32 s5, s7, s5
	s_add_u32 s5, s6, s5
	s_addc_u32 s6, 0, s28
	s_mul_hi_u32 s28, s33, s5
	s_mul_i32 s5, s33, s5
	s_mul_i32 s6, s33, s6
	v_mov_b32_e32 v4, s5
	s_add_i32 s28, s28, s6
	v_sub_co_u32_e32 v4, vcc, s4, v4
	s_cmp_lg_u64 vcc, 0
	s_subb_u32 s5, s7, s28
	v_subrev_co_u32_e32 v5, vcc, s33, v4
	s_cmp_lg_u64 vcc, 0
	s_subb_u32 s6, s5, 0
	v_subrev_co_u32_e32 v6, vcc, s33, v5
	s_cmp_lg_u64 vcc, 0
	s_subb_u32 s28, s6, 0
	v_cmp_le_u32_e32 vcc, s33, v5
	s_cmp_eq_u32 s6, 0
	v_cndmask_b32_e64 v7, 0, -1, vcc
	s_cselect_b64 vcc, -1, 0
	v_cndmask_b32_e32 v7, -1, v7, vcc
	v_mov_b32_e32 v8, s6
	v_mov_b32_e32 v9, s28
	v_cmp_ne_u32_e32 vcc, 0, v7
	v_cndmask_b32_e32 v7, v8, v9, vcc
	v_cndmask_b32_e32 v6, v5, v6, vcc
	v_cmp_le_u32_e32 vcc, s33, v4
	s_cmp_eq_u32 s5, 0
	v_cndmask_b32_e64 v5, 0, -1, vcc
	s_cselect_b64 vcc, -1, 0
	v_cndmask_b32_e32 v5, -1, v5, vcc
	v_mov_b32_e32 v8, s5
	v_cmp_ne_u32_e32 vcc, 0, v5
	v_cndmask_b32_e32 v5, v8, v7, vcc
	v_cndmask_b32_e32 v4, v4, v6, vcc
	s_cbranch_execnz .LBB177_156
.LBB177_155:                            ;   in Loop: Header=BB177_31 Depth=1
	v_cvt_f32_u32_e32 v4, s33
	s_sub_i32 s5, 0, s33
	v_rcp_iflag_f32_e32 v4, v4
	v_mul_f32_e32 v4, 0x4f7ffffe, v4
	v_cvt_u32_f32_e32 v4, v4
	v_mul_lo_u32 v5, s5, v4
	v_mul_hi_u32 v5, v4, v5
	v_add_u32_e32 v4, v4, v5
	v_mul_hi_u32 v4, s4, v4
	v_mul_lo_u32 v4, v4, s33
	v_sub_u32_e32 v4, s4, v4
	v_subrev_u32_e32 v5, s33, v4
	v_cmp_le_u32_e32 vcc, s33, v4
	v_cndmask_b32_e32 v4, v4, v5, vcc
	v_subrev_u32_e32 v5, s33, v4
	v_cmp_le_u32_e32 vcc, s33, v4
	v_cndmask_b32_e32 v14, v4, v5, vcc
	v_pk_mov_b32 v[4:5], v[14:15], v[14:15] op_sel:[0,1]
.LBB177_156:                            ;   in Loop: Header=BB177_31 Depth=1
	v_mov_b32_e32 v6, s7
	v_sub_co_u32_e32 v4, vcc, s4, v4
	v_subb_co_u32_e32 v5, vcc, v6, v5, vcc
	v_cmp_gt_u64_e32 vcc, v[4:5], v[0:1]
	s_mov_b64 s[6:7], 0
                                        ; implicit-def: $vgpr32
	s_and_saveexec_b64 s[28:29], vcc
	s_cbranch_execz .LBB177_168
; %bb.157:                              ;   in Loop: Header=BB177_31 Depth=1
	s_mov_b64 s[42:43], 0
	v_mov_b32_e32 v8, v45
	v_pk_mov_b32 v[6:7], v[0:1], v[0:1] op_sel:[0,1]
                                        ; implicit-def: $sgpr44_sgpr45
	s_branch .LBB177_159
.LBB177_158:                            ;   in Loop: Header=BB177_159 Depth=2
	s_or_b64 exec, exec, s[6:7]
	s_waitcnt lgkmcnt(0)
	s_barrier
	ds_read_b32 v9, v15 offset:3072
	v_mov_b32_e32 v14, s92
	v_add_co_u32_e64 v6, s[6:7], s33, v6
	v_addc_co_u32_e64 v7, s[6:7], v7, v14, s[6:7]
	s_waitcnt lgkmcnt(0)
	v_cmp_ne_u16_e32 vcc, 0, v9
	v_cmp_ge_u64_e64 s[6:7], v[6:7], v[4:5]
	s_or_b64 s[4:5], s[6:7], vcc
	s_and_b64 s[4:5], exec, s[4:5]
	s_or_b64 s[42:43], s[4:5], s[42:43]
	s_andn2_b64 s[4:5], s[44:45], exec
	s_and_b64 s[6:7], vcc, exec
	v_add_u32_e32 v8, s10, v8
	s_or_b64 s[44:45], s[4:5], s[6:7]
	s_barrier
	s_andn2_b64 exec, exec, s[42:43]
	s_cbranch_execz .LBB177_167
.LBB177_159:                            ;   Parent Loop BB177_31 Depth=1
                                        ; =>  This Inner Loop Header: Depth=2
	v_cmp_gt_u64_e32 vcc, s[0:1], v[6:7]
	v_mov_b32_e32 v9, 0
	s_and_saveexec_b64 s[6:7], vcc
	s_cbranch_execz .LBB177_161
; %bb.160:                              ;   in Loop: Header=BB177_159 Depth=2
	ds_read_u16 v9, v8
.LBB177_161:                            ;   in Loop: Header=BB177_159 Depth=2
	s_or_b64 exec, exec, s[6:7]
	s_and_saveexec_b64 s[6:7], vcc
	s_cbranch_execz .LBB177_158
; %bb.162:                              ;   in Loop: Header=BB177_159 Depth=2
	s_waitcnt lgkmcnt(0)
	v_add_u32_sdwa v14, sext(v9), s11 dst_sel:DWORD dst_unused:UNUSED_PAD src0_sel:WORD_0 src1_sel:DWORD
	v_and_b32_e32 v14, v14, v31
	v_cmp_eq_u32_e32 vcc, v14, v30
	s_and_b64 exec, exec, vcc
	s_cbranch_execz .LBB177_158
; %bb.163:                              ;   in Loop: Header=BB177_159 Depth=2
	v_perm_b32 v9, v9, 1, v50
	ds_write_b32 v15, v9 offset:3072
	s_branch .LBB177_158
.LBB177_164:                            ;   in Loop: Header=BB177_31 Depth=1
                                        ; implicit-def: $vgpr2_vgpr3
	s_branch .LBB177_106
.LBB177_165:                            ;   in Loop: Header=BB177_31 Depth=1
                                        ; implicit-def: $vgpr2_vgpr3
	s_branch .LBB177_125
.LBB177_166:                            ;   in Loop: Header=BB177_31 Depth=1
	s_mov_b64 s[28:29], -1
	s_mov_b64 s[6:7], 0
                                        ; implicit-def: $sgpr42_sgpr43
                                        ; implicit-def: $vgpr32
	s_mov_b64 s[44:45], s[28:29]
	s_cbranch_execnz .LBB177_169
	s_branch .LBB177_182
.LBB177_167:                            ;   in Loop: Header=BB177_31 Depth=1
	s_or_b64 exec, exec, s[42:43]
	v_lshrrev_b32_e32 v32, 16, v9
	s_and_b64 s[6:7], s[44:45], exec
.LBB177_168:                            ;   in Loop: Header=BB177_31 Depth=1
	s_or_b64 exec, exec, s[28:29]
	s_mov_b64 s[42:43], -1
	s_mov_b64 s[28:29], 0
	s_mov_b64 s[44:45], s[28:29]
	s_branch .LBB177_182
.LBB177_169:                            ;   in Loop: Header=BB177_31 Depth=1
	v_readlane_b32 s42, v56, 31
	v_readlane_b32 s43, v56, 32
	s_mov_b32 s42, s87
	s_cmp_lg_u64 s[42:43], 0
	v_writelane_b32 v56, s42, 31
	v_writelane_b32 v56, s43, 32
	s_cbranch_scc0 .LBB177_211
; %bb.170:                              ;   in Loop: Header=BB177_31 Depth=1
	v_cvt_f32_u32_e32 v4, s33
	s_sub_u32 s0, 0, s33
	s_subb_u32 s1, 0, 0
	v_mac_f32_e32 v4, 0, v49
	v_rcp_f32_e32 v4, v4
	v_mul_f32_e32 v4, 0x5f7ffffc, v4
	v_mul_f32_e32 v5, 0x2f800000, v4
	v_trunc_f32_e32 v5, v5
	v_mac_f32_e32 v4, 0xcf800000, v5
	v_cvt_u32_f32_e32 v5, v5
	v_cvt_u32_f32_e32 v4, v4
	v_readfirstlane_b32 s4, v5
	v_readfirstlane_b32 s5, v4
	s_mul_i32 s6, s0, s4
	s_mul_hi_u32 s28, s0, s5
	s_mul_i32 s7, s1, s5
	s_add_i32 s6, s28, s6
	s_mul_i32 s29, s0, s5
	s_add_i32 s6, s6, s7
	s_mul_hi_u32 s28, s5, s29
	s_mul_hi_u32 s7, s5, s6
	s_mul_i32 s5, s5, s6
	s_add_u32 s5, s28, s5
	s_addc_u32 s7, 0, s7
	s_mul_hi_u32 s42, s4, s29
	s_mul_i32 s29, s4, s29
	s_add_u32 s5, s5, s29
	s_mul_hi_u32 s28, s4, s6
	s_addc_u32 s5, s7, s42
	s_addc_u32 s7, s28, 0
	s_mul_i32 s6, s4, s6
	s_add_u32 s5, s5, s6
	s_addc_u32 s6, 0, s7
	v_add_co_u32_e32 v4, vcc, s5, v4
	s_cmp_lg_u64 vcc, 0
	s_addc_u32 s4, s4, s6
	v_readfirstlane_b32 s6, v4
	s_mul_i32 s5, s0, s4
	s_mul_hi_u32 s7, s0, s6
	s_add_i32 s5, s7, s5
	s_mul_i32 s1, s1, s6
	s_add_i32 s5, s5, s1
	s_mul_i32 s0, s0, s6
	s_mul_hi_u32 s7, s4, s0
	s_mul_i32 s28, s4, s0
	s_mul_i32 s42, s6, s5
	s_mul_hi_u32 s0, s6, s0
	s_mul_hi_u32 s29, s6, s5
	s_add_u32 s0, s0, s42
	s_addc_u32 s6, 0, s29
	s_add_u32 s0, s0, s28
	s_mul_hi_u32 s1, s4, s5
	s_addc_u32 s0, s6, s7
	s_addc_u32 s1, s1, 0
	s_mul_i32 s5, s4, s5
	s_add_u32 s0, s0, s5
	s_addc_u32 s1, 0, s1
	v_add_co_u32_e32 v4, vcc, s0, v4
	s_cmp_lg_u64 vcc, 0
	s_addc_u32 s0, s4, s1
	v_readlane_b32 s28, v56, 29
	v_readfirstlane_b32 s5, v4
	s_mul_i32 s4, s28, s0
	s_mul_hi_u32 s6, s28, s5
	s_mul_hi_u32 s1, s28, s0
	s_add_u32 s4, s6, s4
	s_addc_u32 s1, 0, s1
	s_mul_hi_u32 s7, s43, s5
	s_mul_i32 s5, s43, s5
	s_add_u32 s4, s4, s5
	s_mul_hi_u32 s6, s43, s0
	s_addc_u32 s1, s1, s7
	s_addc_u32 s4, s6, 0
	s_mul_i32 s0, s43, s0
	s_add_u32 s0, s1, s0
	s_addc_u32 s1, 0, s4
	s_mul_hi_u32 s4, s33, s0
	s_mul_i32 s0, s33, s0
	s_mul_i32 s1, s33, s1
	v_mov_b32_e32 v4, s0
	s_add_i32 s4, s4, s1
	v_sub_co_u32_e32 v4, vcc, s28, v4
	s_cmp_lg_u64 vcc, 0
	s_subb_u32 s0, s43, s4
	v_subrev_co_u32_e32 v5, vcc, s33, v4
	s_cmp_lg_u64 vcc, 0
	s_subb_u32 s1, s0, 0
	v_subrev_co_u32_e32 v6, vcc, s33, v5
	s_cmp_lg_u64 vcc, 0
	s_subb_u32 s4, s1, 0
	v_cmp_le_u32_e32 vcc, s33, v5
	s_cmp_eq_u32 s1, 0
	v_cndmask_b32_e64 v7, 0, -1, vcc
	s_cselect_b64 vcc, -1, 0
	v_cndmask_b32_e32 v7, -1, v7, vcc
	v_mov_b32_e32 v8, s1
	v_mov_b32_e32 v9, s4
	v_cmp_ne_u32_e32 vcc, 0, v7
	v_cndmask_b32_e32 v7, v8, v9, vcc
	v_cndmask_b32_e32 v6, v5, v6, vcc
	v_cmp_le_u32_e32 vcc, s33, v4
	s_cmp_eq_u32 s0, 0
	v_cndmask_b32_e64 v5, 0, -1, vcc
	s_cselect_b64 vcc, -1, 0
	v_cndmask_b32_e32 v5, -1, v5, vcc
	v_mov_b32_e32 v8, s0
	v_cmp_ne_u32_e32 vcc, 0, v5
	v_cndmask_b32_e32 v5, v8, v7, vcc
	v_cndmask_b32_e32 v4, v4, v6, vcc
	s_cbranch_execnz .LBB177_172
.LBB177_171:                            ;   in Loop: Header=BB177_31 Depth=1
	v_cvt_f32_u32_e32 v4, s33
	s_sub_i32 s0, 0, s33
	v_rcp_iflag_f32_e32 v4, v4
	v_mul_f32_e32 v4, 0x4f7ffffe, v4
	v_cvt_u32_f32_e32 v4, v4
	v_mul_lo_u32 v5, s0, v4
	v_mul_hi_u32 v5, v4, v5
	v_add_u32_e32 v4, v4, v5
	v_readlane_b32 s0, v56, 29
	v_mul_hi_u32 v4, s0, v4
	v_mul_lo_u32 v4, v4, s33
	v_sub_u32_e32 v4, s0, v4
	v_subrev_u32_e32 v5, s33, v4
	v_cmp_le_u32_e32 vcc, s33, v4
	v_cndmask_b32_e32 v4, v4, v5, vcc
	v_subrev_u32_e32 v5, s33, v4
	v_cmp_le_u32_e32 vcc, s33, v4
	v_cndmask_b32_e32 v14, v4, v5, vcc
	v_pk_mov_b32 v[4:5], v[14:15], v[14:15] op_sel:[0,1]
.LBB177_172:                            ;   in Loop: Header=BB177_31 Depth=1
	v_readlane_b32 s0, v56, 31
	v_readlane_b32 s1, v56, 32
	;; [unrolled: 1-line block ×3, first 2 shown]
	v_mov_b32_e32 v6, s1
	v_sub_co_u32_e32 v4, vcc, s0, v4
	v_subb_co_u32_e32 v5, vcc, v6, v5, vcc
	v_cmp_gt_u64_e32 vcc, v[4:5], v[0:1]
	s_mov_b64 s[6:7], 0
                                        ; implicit-def: $vgpr32
	s_and_saveexec_b64 s[0:1], vcc
	s_cbranch_execz .LBB177_181
; %bb.173:                              ;   in Loop: Header=BB177_31 Depth=1
	s_mov_b64 s[28:29], 0
	v_pk_mov_b32 v[6:7], v[26:27], v[26:27] op_sel:[0,1]
	v_pk_mov_b32 v[8:9], v[0:1], v[0:1] op_sel:[0,1]
                                        ; implicit-def: $sgpr42_sgpr43
	s_branch .LBB177_175
.LBB177_174:                            ;   in Loop: Header=BB177_175 Depth=2
	s_or_b64 exec, exec, s[6:7]
	s_waitcnt lgkmcnt(0)
	s_barrier
	s_waitcnt vmcnt(0)
	ds_read_b32 v14, v15 offset:3072
	v_mov_b32_e32 v32, s92
	v_add_co_u32_e64 v8, s[6:7], s33, v8
	v_addc_co_u32_e64 v9, s[6:7], v9, v32, s[6:7]
	s_waitcnt lgkmcnt(0)
	v_cmp_ne_u16_e32 vcc, 0, v14
	v_cmp_ge_u64_e64 s[6:7], v[8:9], v[4:5]
	s_or_b64 s[4:5], s[6:7], vcc
	v_mov_b32_e32 v32, s65
	v_add_co_u32_e64 v6, s[6:7], s64, v6
	s_and_b64 s[4:5], exec, s[4:5]
	v_addc_co_u32_e64 v7, s[6:7], v7, v32, s[6:7]
	s_or_b64 s[28:29], s[4:5], s[28:29]
	s_andn2_b64 s[4:5], s[42:43], exec
	s_and_b64 s[6:7], vcc, exec
	s_or_b64 s[42:43], s[4:5], s[6:7]
	s_barrier
	s_andn2_b64 exec, exec, s[28:29]
	s_cbranch_execz .LBB177_180
.LBB177_175:                            ;   Parent Loop BB177_31 Depth=1
                                        ; =>  This Inner Loop Header: Depth=2
	v_cmp_gt_u64_e32 vcc, s[60:61], v[8:9]
	v_mov_b32_e32 v14, 0
	s_and_saveexec_b64 s[6:7], vcc
	s_cbranch_execz .LBB177_177
; %bb.176:                              ;   in Loop: Header=BB177_175 Depth=2
	global_load_ushort v14, v[6:7], off
.LBB177_177:                            ;   in Loop: Header=BB177_175 Depth=2
	s_or_b64 exec, exec, s[6:7]
	s_and_saveexec_b64 s[6:7], vcc
	s_cbranch_execz .LBB177_174
; %bb.178:                              ;   in Loop: Header=BB177_175 Depth=2
	s_waitcnt vmcnt(0)
	v_add_u32_sdwa v32, sext(v14), s11 dst_sel:DWORD dst_unused:UNUSED_PAD src0_sel:WORD_0 src1_sel:DWORD
	v_and_b32_e32 v32, v32, v31
	v_cmp_eq_u32_e32 vcc, v32, v30
	s_and_b64 exec, exec, vcc
	s_cbranch_execz .LBB177_174
; %bb.179:                              ;   in Loop: Header=BB177_175 Depth=2
	v_perm_b32 v14, v14, 1, v50
	ds_write_b32 v15, v14 offset:3072
	s_branch .LBB177_174
.LBB177_180:                            ;   in Loop: Header=BB177_31 Depth=1
	s_or_b64 exec, exec, s[28:29]
	v_lshrrev_b32_e32 v32, 16, v14
	s_and_b64 s[6:7], s[42:43], exec
.LBB177_181:                            ;   in Loop: Header=BB177_31 Depth=1
	s_or_b64 exec, exec, s[0:1]
	s_mov_b64 s[44:45], -1
	s_mov_b64 s[28:29], 0
	s_mov_b64 s[42:43], 0
.LBB177_182:                            ;   in Loop: Header=BB177_31 Depth=1
	s_orn2_b64 s[0:1], s[6:7], exec
.LBB177_183:                            ;   in Loop: Header=BB177_31 Depth=1
	s_or_b64 exec, exec, s[46:47]
	s_mov_b64 s[6:7], 0
                                        ; implicit-def: $vgpr6
	s_and_saveexec_b64 s[46:47], s[0:1]
	s_cbranch_execz .LBB177_296
; %bb.184:                              ;   in Loop: Header=BB177_31 Depth=1
	v_mov_b32_e32 v4, 1
	s_xor_b64 s[2:3], s[2:3], -1
	s_mov_b64 s[52:53], 0
	v_mov_b32_e32 v5, 0
	v_mov_b32_e32 v6, 1
	s_and_saveexec_b64 s[0:1], s[2:3]
	s_cbranch_execz .LBB177_194
; %bb.185:                              ;   in Loop: Header=BB177_31 Depth=1
	v_cmp_ge_u64_e32 vcc, s[18:19], v[2:3]
                                        ; implicit-def: $sgpr4
                                        ; implicit-def: $sgpr2_sgpr3
	s_and_saveexec_b64 s[6:7], vcc
	s_xor_b64 s[6:7], exec, s[6:7]
	s_cbranch_execz .LBB177_191
; %bb.186:                              ;   in Loop: Header=BB177_31 Depth=1
	ds_read_b64 v[4:5], v15 offset:5120
	s_waitcnt lgkmcnt(0)
	v_cmp_ne_u64_e32 vcc, 0, v[4:5]
	s_cbranch_vccnz .LBB177_190
; %bb.187:                              ;   in Loop: Header=BB177_31 Depth=1
	s_mov_b64 s[2:3], exec
	v_readlane_b32 s4, v56, 10
	v_readlane_b32 s5, v56, 11
	s_and_b64 s[4:5], s[2:3], s[4:5]
	s_mov_b64 exec, s[4:5]
	s_cbranch_execz .LBB177_189
; %bb.188:                              ;   in Loop: Header=BB177_31 Depth=1
	v_pk_mov_b32 v[4:5], s[18:19], s[18:19] op_sel:[0,1]
	ds_write_b64 v15, v[4:5] offset:5128
.LBB177_189:                            ;   in Loop: Header=BB177_31 Depth=1
	s_or_b64 exec, exec, s[2:3]
	s_waitcnt lgkmcnt(0)
	s_barrier
.LBB177_190:                            ;   in Loop: Header=BB177_31 Depth=1
	v_and_b32_e32 v4, s94, v30
	v_lshl_or_b32 v30, 1, s95, v4
	v_or_b32_e32 v31, s86, v31
	s_mov_b64 s[2:3], 0
	s_mov_b32 s4, 8
.LBB177_191:                            ;   in Loop: Header=BB177_31 Depth=1
	s_or_saveexec_b64 s[6:7], s[6:7]
	v_mov_b32_e32 v6, s4
	s_xor_b64 exec, exec, s[6:7]
; %bb.192:                              ;   in Loop: Header=BB177_31 Depth=1
	v_mov_b32_e32 v4, s19
	v_subrev_co_u32_e32 v2, vcc, s18, v2
	v_subb_co_u32_e32 v3, vcc, v3, v4, vcc
	v_mov_b32_e32 v6, 0
	s_or_b64 s[2:3], s[2:3], exec
; %bb.193:                              ;   in Loop: Header=BB177_31 Depth=1
	s_or_b64 exec, exec, s[6:7]
	s_and_b64 s[52:53], s[2:3], exec
	v_pk_mov_b32 v[4:5], v[2:3], v[2:3] op_sel:[0,1]
.LBB177_194:                            ;   in Loop: Header=BB177_31 Depth=1
	s_or_b64 exec, exec, s[0:1]
	s_mov_b64 s[0:1], -1
                                        ; implicit-def: $sgpr2_sgpr3
                                        ; implicit-def: $sgpr6_sgpr7
                                        ; implicit-def: $sgpr50_sgpr51
	s_and_saveexec_b64 s[48:49], s[52:53]
	s_cbranch_execz .LBB177_295
; %bb.195:                              ;   in Loop: Header=BB177_31 Depth=1
	s_cmp_eq_u64 s[22:23], 1
	s_cselect_b64 s[0:1], -1, 0
	v_cmp_eq_u64_e32 vcc, 1, v[4:5]
	s_and_b64 s[50:51], s[0:1], vcc
	s_mov_b64 s[6:7], -1
                                        ; implicit-def: $sgpr2_sgpr3
                                        ; implicit-def: $sgpr52_sgpr53
                                        ; implicit-def: $sgpr76_sgpr77
	s_and_saveexec_b64 s[54:55], s[50:51]
	s_cbranch_execz .LBB177_229
; %bb.196:                              ;   in Loop: Header=BB177_31 Depth=1
	ds_read_b64 v[2:3], v15 offset:5120
	s_waitcnt lgkmcnt(0)
	s_barrier
	v_readfirstlane_b32 s0, v2
	v_readfirstlane_b32 s1, v3
	s_mov_b64 s[2:3], exec
	v_readlane_b32 s4, v56, 24
	v_readlane_b32 s5, v56, 25
	s_and_b64 s[4:5], s[2:3], s[4:5]
	s_mov_b64 exec, s[4:5]
	s_cbranch_execz .LBB177_198
; %bb.197:                              ;   in Loop: Header=BB177_31 Depth=1
	ds_write_b16 v46, v15
.LBB177_198:                            ;   in Loop: Header=BB177_31 Depth=1
	s_or_b64 exec, exec, s[2:3]
	v_and_b32_e32 v2, s94, v30
	v_lshl_or_b32 v30, 2, s95, v2
	v_or_b32_e32 v31, s86, v31
	s_cmp_eq_u64 s[0:1], 0
	s_waitcnt lgkmcnt(0)
	s_barrier
	s_cbranch_scc1 .LBB177_212
; %bb.199:                              ;   in Loop: Header=BB177_31 Depth=1
	v_readlane_b32 s2, v56, 28
	s_add_u32 s4, s2, s0
	v_readlane_b32 s2, v56, 30
	s_addc_u32 s3, s2, s1
	s_mov_b32 s2, s87
	s_mov_b64 s[80:81], s[68:69]
	s_cmp_lg_u64 s[2:3], 0
	s_cbranch_scc0 .LBB177_247
; %bb.200:                              ;   in Loop: Header=BB177_31 Depth=1
	v_cvt_f32_u32_e32 v2, s33
	s_sub_u32 s2, 0, s33
	s_subb_u32 s5, 0, 0
	v_mac_f32_e32 v2, 0, v49
	v_rcp_f32_e32 v2, v2
	v_mul_f32_e32 v2, 0x5f7ffffc, v2
	v_mul_f32_e32 v3, 0x2f800000, v2
	v_trunc_f32_e32 v3, v3
	v_mac_f32_e32 v2, 0xcf800000, v3
	v_cvt_u32_f32_e32 v3, v3
	v_cvt_u32_f32_e32 v2, v2
	v_readfirstlane_b32 s6, v3
	v_readfirstlane_b32 s7, v2
	s_mul_i32 s52, s2, s6
	s_mul_hi_u32 s66, s2, s7
	s_mul_i32 s53, s5, s7
	s_add_i32 s52, s66, s52
	s_mul_i32 s67, s2, s7
	s_add_i32 s52, s52, s53
	s_mul_hi_u32 s66, s7, s67
	s_mul_hi_u32 s53, s7, s52
	s_mul_i32 s7, s7, s52
	s_add_u32 s7, s66, s7
	s_addc_u32 s53, 0, s53
	s_mul_hi_u32 s68, s6, s67
	s_mul_i32 s67, s6, s67
	s_add_u32 s7, s7, s67
	s_mul_hi_u32 s66, s6, s52
	s_addc_u32 s7, s53, s68
	s_addc_u32 s53, s66, 0
	s_mul_i32 s52, s6, s52
	s_add_u32 s7, s7, s52
	s_addc_u32 s52, 0, s53
	v_add_co_u32_e32 v2, vcc, s7, v2
	s_cmp_lg_u64 vcc, 0
	s_addc_u32 s6, s6, s52
	v_readfirstlane_b32 s52, v2
	s_mul_i32 s7, s2, s6
	s_mul_hi_u32 s53, s2, s52
	s_add_i32 s7, s53, s7
	s_mul_i32 s5, s5, s52
	s_add_i32 s7, s7, s5
	s_mul_i32 s2, s2, s52
	s_mul_hi_u32 s53, s6, s2
	s_mul_i32 s66, s6, s2
	s_mul_i32 s68, s52, s7
	s_mul_hi_u32 s2, s52, s2
	s_mul_hi_u32 s67, s52, s7
	s_add_u32 s2, s2, s68
	s_addc_u32 s52, 0, s67
	s_add_u32 s2, s2, s66
	s_mul_hi_u32 s5, s6, s7
	s_addc_u32 s2, s52, s53
	s_addc_u32 s5, s5, 0
	s_mul_i32 s7, s6, s7
	s_add_u32 s2, s2, s7
	s_addc_u32 s5, 0, s5
	v_add_co_u32_e32 v2, vcc, s2, v2
	s_cmp_lg_u64 vcc, 0
	s_addc_u32 s2, s6, s5
	v_readfirstlane_b32 s7, v2
	s_mul_i32 s6, s4, s2
	s_mul_hi_u32 s52, s4, s7
	s_mul_hi_u32 s5, s4, s2
	s_add_u32 s6, s52, s6
	s_addc_u32 s5, 0, s5
	s_mul_hi_u32 s53, s3, s7
	s_mul_i32 s7, s3, s7
	s_add_u32 s6, s6, s7
	s_mul_hi_u32 s52, s3, s2
	s_addc_u32 s5, s5, s53
	s_addc_u32 s6, s52, 0
	s_mul_i32 s2, s3, s2
	s_add_u32 s2, s5, s2
	s_addc_u32 s5, 0, s6
	s_mul_hi_u32 s6, s33, s2
	s_mul_i32 s2, s33, s2
	s_mul_i32 s5, s33, s5
	v_mov_b32_e32 v2, s2
	s_add_i32 s6, s6, s5
	v_sub_co_u32_e32 v2, vcc, s4, v2
	s_cmp_lg_u64 vcc, 0
	s_subb_u32 s2, s3, s6
	v_subrev_co_u32_e32 v3, vcc, s33, v2
	s_cmp_lg_u64 vcc, 0
	s_subb_u32 s5, s2, 0
	v_subrev_co_u32_e32 v6, vcc, s33, v3
	s_cmp_lg_u64 vcc, 0
	s_subb_u32 s6, s5, 0
	v_cmp_le_u32_e32 vcc, s33, v3
	s_cmp_eq_u32 s5, 0
	v_cndmask_b32_e64 v7, 0, -1, vcc
	s_cselect_b64 vcc, -1, 0
	v_cndmask_b32_e32 v7, -1, v7, vcc
	v_mov_b32_e32 v8, s5
	v_mov_b32_e32 v9, s6
	v_cmp_ne_u32_e32 vcc, 0, v7
	v_cndmask_b32_e32 v7, v8, v9, vcc
	v_cndmask_b32_e32 v6, v3, v6, vcc
	v_cmp_le_u32_e32 vcc, s33, v2
	s_cmp_eq_u32 s2, 0
	v_cndmask_b32_e64 v3, 0, -1, vcc
	s_cselect_b64 vcc, -1, 0
	v_cndmask_b32_e32 v3, -1, v3, vcc
	v_mov_b32_e32 v8, s2
	v_cmp_ne_u32_e32 vcc, 0, v3
	v_cndmask_b32_e32 v3, v8, v7, vcc
	v_cndmask_b32_e32 v2, v2, v6, vcc
	s_cbranch_execnz .LBB177_202
.LBB177_201:                            ;   in Loop: Header=BB177_31 Depth=1
	v_cvt_f32_u32_e32 v2, s33
	s_sub_i32 s2, 0, s33
	v_rcp_iflag_f32_e32 v2, v2
	v_mul_f32_e32 v2, 0x4f7ffffe, v2
	v_cvt_u32_f32_e32 v2, v2
	v_mul_lo_u32 v3, s2, v2
	v_mul_hi_u32 v3, v2, v3
	v_add_u32_e32 v2, v2, v3
	v_mul_hi_u32 v2, s4, v2
	v_mul_lo_u32 v2, v2, s33
	v_sub_u32_e32 v2, s4, v2
	v_subrev_u32_e32 v3, s33, v2
	v_cmp_le_u32_e32 vcc, s33, v2
	v_cndmask_b32_e32 v2, v2, v3, vcc
	v_subrev_u32_e32 v3, s33, v2
	v_cmp_le_u32_e32 vcc, s33, v2
	v_cndmask_b32_e32 v14, v2, v3, vcc
	v_pk_mov_b32 v[2:3], v[14:15], v[14:15] op_sel:[0,1]
.LBB177_202:                            ;   in Loop: Header=BB177_31 Depth=1
	v_mov_b32_e32 v6, s3
	v_sub_co_u32_e32 v2, vcc, s4, v2
	v_subb_co_u32_e32 v3, vcc, v6, v3, vcc
	v_cmp_gt_u64_e32 vcc, v[2:3], v[0:1]
	s_mov_b64 s[6:7], 0
                                        ; implicit-def: $vgpr32
	s_and_saveexec_b64 s[2:3], vcc
	s_mov_b64 s[68:69], s[80:81]
	s_cbranch_execz .LBB177_214
; %bb.203:                              ;   in Loop: Header=BB177_31 Depth=1
	s_mov_b64 s[52:53], 0
	v_mov_b32_e32 v8, v45
	v_pk_mov_b32 v[6:7], v[0:1], v[0:1] op_sel:[0,1]
                                        ; implicit-def: $sgpr66_sgpr67
	s_branch .LBB177_205
.LBB177_204:                            ;   in Loop: Header=BB177_205 Depth=2
	s_or_b64 exec, exec, s[6:7]
	s_waitcnt lgkmcnt(0)
	s_barrier
	ds_read_b32 v9, v15 offset:3072
	v_mov_b32_e32 v14, s92
	v_add_co_u32_e64 v6, s[6:7], s33, v6
	v_addc_co_u32_e64 v7, s[6:7], v7, v14, s[6:7]
	s_waitcnt lgkmcnt(0)
	v_cmp_ne_u16_e32 vcc, 0, v9
	v_cmp_ge_u64_e64 s[6:7], v[6:7], v[2:3]
	s_or_b64 s[4:5], s[6:7], vcc
	s_and_b64 s[4:5], exec, s[4:5]
	s_or_b64 s[52:53], s[4:5], s[52:53]
	s_andn2_b64 s[4:5], s[66:67], exec
	s_and_b64 s[6:7], vcc, exec
	v_add_u32_e32 v8, s10, v8
	s_or_b64 s[66:67], s[4:5], s[6:7]
	s_barrier
	s_andn2_b64 exec, exec, s[52:53]
	s_cbranch_execz .LBB177_213
.LBB177_205:                            ;   Parent Loop BB177_31 Depth=1
                                        ; =>  This Inner Loop Header: Depth=2
	v_cmp_gt_u64_e32 vcc, s[0:1], v[6:7]
	v_mov_b32_e32 v9, 0
	s_and_saveexec_b64 s[6:7], vcc
	s_cbranch_execz .LBB177_207
; %bb.206:                              ;   in Loop: Header=BB177_205 Depth=2
	ds_read_u16 v9, v8
.LBB177_207:                            ;   in Loop: Header=BB177_205 Depth=2
	s_or_b64 exec, exec, s[6:7]
	s_and_saveexec_b64 s[6:7], vcc
	s_cbranch_execz .LBB177_204
; %bb.208:                              ;   in Loop: Header=BB177_205 Depth=2
	s_waitcnt lgkmcnt(0)
	v_add_u32_sdwa v14, sext(v9), s11 dst_sel:DWORD dst_unused:UNUSED_PAD src0_sel:WORD_0 src1_sel:DWORD
	v_and_b32_e32 v14, v14, v31
	v_cmp_eq_u32_e32 vcc, v14, v30
	s_and_b64 exec, exec, vcc
	s_cbranch_execz .LBB177_204
; %bb.209:                              ;   in Loop: Header=BB177_205 Depth=2
	v_perm_b32 v9, v9, 1, v50
	ds_write_b32 v15, v9 offset:3072
	s_branch .LBB177_204
.LBB177_210:                            ;   in Loop: Header=BB177_31 Depth=1
                                        ; implicit-def: $vgpr4_vgpr5
	s_branch .LBB177_155
.LBB177_211:                            ;   in Loop: Header=BB177_31 Depth=1
                                        ; implicit-def: $vgpr4_vgpr5
	s_branch .LBB177_171
.LBB177_212:                            ;   in Loop: Header=BB177_31 Depth=1
	s_mov_b64 s[2:3], -1
	s_mov_b64 s[6:7], 0
                                        ; implicit-def: $sgpr76_sgpr77
                                        ; implicit-def: $vgpr32
	s_mov_b64 s[52:53], s[2:3]
	s_cbranch_execnz .LBB177_215
	s_branch .LBB177_228
.LBB177_213:                            ;   in Loop: Header=BB177_31 Depth=1
	s_or_b64 exec, exec, s[52:53]
	v_lshrrev_b32_e32 v32, 16, v9
	s_and_b64 s[6:7], s[66:67], exec
.LBB177_214:                            ;   in Loop: Header=BB177_31 Depth=1
	s_or_b64 exec, exec, s[2:3]
	s_mov_b64 s[76:77], -1
	s_mov_b64 s[2:3], 0
	s_mov_b64 s[52:53], s[2:3]
	s_branch .LBB177_228
.LBB177_215:                            ;   in Loop: Header=BB177_31 Depth=1
	v_readlane_b32 s52, v56, 31
	v_readlane_b32 s53, v56, 32
	s_mov_b32 s52, s87
	s_cmp_lg_u64 s[52:53], 0
	v_writelane_b32 v56, s52, 31
	v_writelane_b32 v56, s53, 32
	s_cbranch_scc0 .LBB177_248
; %bb.216:                              ;   in Loop: Header=BB177_31 Depth=1
	v_cvt_f32_u32_e32 v2, s33
	s_sub_u32 s0, 0, s33
	s_subb_u32 s1, 0, 0
	v_mac_f32_e32 v2, 0, v49
	v_rcp_f32_e32 v2, v2
	v_mul_f32_e32 v2, 0x5f7ffffc, v2
	v_mul_f32_e32 v3, 0x2f800000, v2
	v_trunc_f32_e32 v3, v3
	v_mac_f32_e32 v2, 0xcf800000, v3
	v_cvt_u32_f32_e32 v3, v3
	v_cvt_u32_f32_e32 v2, v2
	v_readfirstlane_b32 s2, v3
	v_readfirstlane_b32 s3, v2
	s_mul_i32 s4, s0, s2
	s_mul_hi_u32 s6, s0, s3
	s_mul_i32 s5, s1, s3
	s_add_i32 s4, s6, s4
	s_mul_i32 s7, s0, s3
	s_add_i32 s4, s4, s5
	s_mul_hi_u32 s6, s3, s7
	s_mul_hi_u32 s5, s3, s4
	s_mul_i32 s3, s3, s4
	s_add_u32 s3, s6, s3
	s_addc_u32 s5, 0, s5
	s_mul_hi_u32 s52, s2, s7
	s_mul_i32 s7, s2, s7
	s_add_u32 s3, s3, s7
	s_mul_hi_u32 s6, s2, s4
	s_addc_u32 s3, s5, s52
	s_addc_u32 s5, s6, 0
	s_mul_i32 s4, s2, s4
	s_add_u32 s3, s3, s4
	s_addc_u32 s4, 0, s5
	v_add_co_u32_e32 v2, vcc, s3, v2
	s_cmp_lg_u64 vcc, 0
	s_addc_u32 s2, s2, s4
	v_readfirstlane_b32 s4, v2
	s_mul_i32 s3, s0, s2
	s_mul_hi_u32 s5, s0, s4
	s_add_i32 s3, s5, s3
	s_mul_i32 s1, s1, s4
	s_add_i32 s3, s3, s1
	s_mul_i32 s0, s0, s4
	s_mul_hi_u32 s5, s2, s0
	s_mul_i32 s6, s2, s0
	s_mul_i32 s52, s4, s3
	s_mul_hi_u32 s0, s4, s0
	s_mul_hi_u32 s7, s4, s3
	s_add_u32 s0, s0, s52
	s_addc_u32 s4, 0, s7
	s_add_u32 s0, s0, s6
	s_mul_hi_u32 s1, s2, s3
	s_addc_u32 s0, s4, s5
	s_addc_u32 s1, s1, 0
	s_mul_i32 s3, s2, s3
	s_add_u32 s0, s0, s3
	s_addc_u32 s1, 0, s1
	v_add_co_u32_e32 v2, vcc, s0, v2
	s_cmp_lg_u64 vcc, 0
	s_addc_u32 s0, s2, s1
	v_readlane_b32 s6, v56, 29
	v_readfirstlane_b32 s3, v2
	s_mul_i32 s2, s6, s0
	s_mul_hi_u32 s4, s6, s3
	s_mul_hi_u32 s1, s6, s0
	s_add_u32 s2, s4, s2
	s_addc_u32 s1, 0, s1
	s_mul_hi_u32 s5, s53, s3
	s_mul_i32 s3, s53, s3
	s_add_u32 s2, s2, s3
	s_mul_hi_u32 s4, s53, s0
	s_addc_u32 s1, s1, s5
	s_addc_u32 s2, s4, 0
	s_mul_i32 s0, s53, s0
	s_add_u32 s0, s1, s0
	s_addc_u32 s1, 0, s2
	s_mul_hi_u32 s2, s33, s0
	s_mul_i32 s0, s33, s0
	s_mul_i32 s1, s33, s1
	v_mov_b32_e32 v2, s0
	s_add_i32 s2, s2, s1
	v_sub_co_u32_e32 v2, vcc, s6, v2
	s_cmp_lg_u64 vcc, 0
	s_subb_u32 s0, s53, s2
	v_subrev_co_u32_e32 v3, vcc, s33, v2
	s_cmp_lg_u64 vcc, 0
	s_subb_u32 s1, s0, 0
	v_subrev_co_u32_e32 v6, vcc, s33, v3
	s_cmp_lg_u64 vcc, 0
	s_subb_u32 s2, s1, 0
	v_cmp_le_u32_e32 vcc, s33, v3
	s_cmp_eq_u32 s1, 0
	v_cndmask_b32_e64 v7, 0, -1, vcc
	s_cselect_b64 vcc, -1, 0
	v_cndmask_b32_e32 v7, -1, v7, vcc
	v_mov_b32_e32 v8, s1
	v_mov_b32_e32 v9, s2
	v_cmp_ne_u32_e32 vcc, 0, v7
	v_cndmask_b32_e32 v7, v8, v9, vcc
	v_cndmask_b32_e32 v6, v3, v6, vcc
	v_cmp_le_u32_e32 vcc, s33, v2
	s_cmp_eq_u32 s0, 0
	v_cndmask_b32_e64 v3, 0, -1, vcc
	s_cselect_b64 vcc, -1, 0
	v_cndmask_b32_e32 v3, -1, v3, vcc
	v_mov_b32_e32 v8, s0
	v_cmp_ne_u32_e32 vcc, 0, v3
	v_cndmask_b32_e32 v3, v8, v7, vcc
	v_cndmask_b32_e32 v2, v2, v6, vcc
	s_cbranch_execnz .LBB177_218
.LBB177_217:                            ;   in Loop: Header=BB177_31 Depth=1
	v_cvt_f32_u32_e32 v2, s33
	s_sub_i32 s0, 0, s33
	v_rcp_iflag_f32_e32 v2, v2
	v_mul_f32_e32 v2, 0x4f7ffffe, v2
	v_cvt_u32_f32_e32 v2, v2
	v_mul_lo_u32 v3, s0, v2
	v_mul_hi_u32 v3, v2, v3
	v_add_u32_e32 v2, v2, v3
	v_readlane_b32 s0, v56, 29
	v_mul_hi_u32 v2, s0, v2
	v_mul_lo_u32 v2, v2, s33
	v_sub_u32_e32 v2, s0, v2
	v_subrev_u32_e32 v3, s33, v2
	v_cmp_le_u32_e32 vcc, s33, v2
	v_cndmask_b32_e32 v2, v2, v3, vcc
	v_subrev_u32_e32 v3, s33, v2
	v_cmp_le_u32_e32 vcc, s33, v2
	v_cndmask_b32_e32 v14, v2, v3, vcc
	v_pk_mov_b32 v[2:3], v[14:15], v[14:15] op_sel:[0,1]
.LBB177_218:                            ;   in Loop: Header=BB177_31 Depth=1
	v_readlane_b32 s0, v56, 31
	v_readlane_b32 s1, v56, 32
	;; [unrolled: 1-line block ×3, first 2 shown]
	v_mov_b32_e32 v6, s1
	v_sub_co_u32_e32 v2, vcc, s0, v2
	v_subb_co_u32_e32 v3, vcc, v6, v3, vcc
	v_cmp_gt_u64_e32 vcc, v[2:3], v[0:1]
	s_mov_b64 s[6:7], 0
                                        ; implicit-def: $vgpr32
	s_and_saveexec_b64 s[0:1], vcc
	s_cbranch_execz .LBB177_227
; %bb.219:                              ;   in Loop: Header=BB177_31 Depth=1
	s_mov_b64 s[2:3], 0
	v_pk_mov_b32 v[6:7], v[26:27], v[26:27] op_sel:[0,1]
	v_pk_mov_b32 v[8:9], v[0:1], v[0:1] op_sel:[0,1]
                                        ; implicit-def: $sgpr52_sgpr53
	s_branch .LBB177_221
.LBB177_220:                            ;   in Loop: Header=BB177_221 Depth=2
	s_or_b64 exec, exec, s[6:7]
	s_waitcnt lgkmcnt(0)
	s_barrier
	s_waitcnt vmcnt(0)
	ds_read_b32 v14, v15 offset:3072
	v_mov_b32_e32 v32, s92
	v_add_co_u32_e64 v8, s[6:7], s33, v8
	v_addc_co_u32_e64 v9, s[6:7], v9, v32, s[6:7]
	s_waitcnt lgkmcnt(0)
	v_cmp_ne_u16_e32 vcc, 0, v14
	v_cmp_ge_u64_e64 s[6:7], v[8:9], v[2:3]
	s_or_b64 s[4:5], s[6:7], vcc
	v_mov_b32_e32 v32, s65
	v_add_co_u32_e64 v6, s[6:7], s64, v6
	s_and_b64 s[4:5], exec, s[4:5]
	v_addc_co_u32_e64 v7, s[6:7], v7, v32, s[6:7]
	s_or_b64 s[2:3], s[4:5], s[2:3]
	s_andn2_b64 s[4:5], s[52:53], exec
	s_and_b64 s[6:7], vcc, exec
	s_or_b64 s[52:53], s[4:5], s[6:7]
	s_barrier
	s_andn2_b64 exec, exec, s[2:3]
	s_cbranch_execz .LBB177_226
.LBB177_221:                            ;   Parent Loop BB177_31 Depth=1
                                        ; =>  This Inner Loop Header: Depth=2
	v_cmp_gt_u64_e32 vcc, s[60:61], v[8:9]
	v_mov_b32_e32 v14, 0
	s_and_saveexec_b64 s[6:7], vcc
	s_cbranch_execz .LBB177_223
; %bb.222:                              ;   in Loop: Header=BB177_221 Depth=2
	global_load_ushort v14, v[6:7], off
.LBB177_223:                            ;   in Loop: Header=BB177_221 Depth=2
	s_or_b64 exec, exec, s[6:7]
	s_and_saveexec_b64 s[6:7], vcc
	s_cbranch_execz .LBB177_220
; %bb.224:                              ;   in Loop: Header=BB177_221 Depth=2
	s_waitcnt vmcnt(0)
	v_add_u32_sdwa v32, sext(v14), s11 dst_sel:DWORD dst_unused:UNUSED_PAD src0_sel:WORD_0 src1_sel:DWORD
	v_and_b32_e32 v32, v32, v31
	v_cmp_eq_u32_e32 vcc, v32, v30
	s_and_b64 exec, exec, vcc
	s_cbranch_execz .LBB177_220
; %bb.225:                              ;   in Loop: Header=BB177_221 Depth=2
	v_perm_b32 v14, v14, 1, v50
	ds_write_b32 v15, v14 offset:3072
	s_branch .LBB177_220
.LBB177_226:                            ;   in Loop: Header=BB177_31 Depth=1
	s_or_b64 exec, exec, s[2:3]
	v_lshrrev_b32_e32 v32, 16, v14
	s_and_b64 s[6:7], s[52:53], exec
.LBB177_227:                            ;   in Loop: Header=BB177_31 Depth=1
	s_or_b64 exec, exec, s[0:1]
	s_mov_b64 s[52:53], -1
	s_mov_b64 s[2:3], 0
	s_mov_b64 s[76:77], 0
.LBB177_228:                            ;   in Loop: Header=BB177_31 Depth=1
	s_orn2_b64 s[6:7], s[6:7], exec
.LBB177_229:                            ;   in Loop: Header=BB177_31 Depth=1
	s_or_b64 exec, exec, s[54:55]
	s_mov_b64 s[0:1], 0
                                        ; implicit-def: $vgpr6
	s_and_saveexec_b64 s[54:55], s[6:7]
	s_cbranch_execz .LBB177_294
; %bb.230:                              ;   in Loop: Header=BB177_31 Depth=1
	v_mov_b32_e32 v2, 1
	s_xor_b64 s[4:5], s[50:51], -1
	s_mov_b64 s[80:81], 0
	v_mov_b32_e32 v3, 0
	v_mov_b32_e32 v6, 1
	s_and_saveexec_b64 s[0:1], s[4:5]
	s_cbranch_execz .LBB177_240
; %bb.231:                              ;   in Loop: Header=BB177_31 Depth=1
	v_cmp_ge_u64_e32 vcc, s[22:23], v[4:5]
                                        ; implicit-def: $sgpr4
                                        ; implicit-def: $sgpr6_sgpr7
	s_and_saveexec_b64 s[50:51], vcc
	s_xor_b64 s[50:51], exec, s[50:51]
	s_cbranch_execz .LBB177_237
; %bb.232:                              ;   in Loop: Header=BB177_31 Depth=1
	ds_read_b64 v[2:3], v15 offset:5120
	s_waitcnt lgkmcnt(0)
	v_cmp_ne_u64_e32 vcc, 0, v[2:3]
	s_cbranch_vccnz .LBB177_236
; %bb.233:                              ;   in Loop: Header=BB177_31 Depth=1
	s_mov_b64 s[6:7], exec
	v_readlane_b32 s4, v56, 10
	v_readlane_b32 s5, v56, 11
	s_and_b64 s[4:5], s[6:7], s[4:5]
	s_mov_b64 exec, s[4:5]
	s_cbranch_execz .LBB177_235
; %bb.234:                              ;   in Loop: Header=BB177_31 Depth=1
	v_pk_mov_b32 v[2:3], s[22:23], s[22:23] op_sel:[0,1]
	ds_write_b64 v15, v[2:3] offset:5128
.LBB177_235:                            ;   in Loop: Header=BB177_31 Depth=1
	s_or_b64 exec, exec, s[6:7]
	s_waitcnt lgkmcnt(0)
	s_barrier
.LBB177_236:                            ;   in Loop: Header=BB177_31 Depth=1
	v_and_b32_e32 v2, s94, v30
	v_lshl_or_b32 v30, 2, s95, v2
	v_or_b32_e32 v31, s86, v31
	s_mov_b64 s[6:7], 0
	s_mov_b32 s4, 8
.LBB177_237:                            ;   in Loop: Header=BB177_31 Depth=1
	s_or_saveexec_b64 s[50:51], s[50:51]
	v_mov_b32_e32 v6, s4
	s_xor_b64 exec, exec, s[50:51]
; %bb.238:                              ;   in Loop: Header=BB177_31 Depth=1
	v_mov_b32_e32 v2, s23
	v_subrev_co_u32_e32 v4, vcc, s22, v4
	v_subb_co_u32_e32 v5, vcc, v5, v2, vcc
	v_mov_b32_e32 v6, 0
	s_or_b64 s[6:7], s[6:7], exec
; %bb.239:                              ;   in Loop: Header=BB177_31 Depth=1
	s_or_b64 exec, exec, s[50:51]
	s_and_b64 s[80:81], s[6:7], exec
	v_pk_mov_b32 v[2:3], v[4:5], v[4:5] op_sel:[0,1]
.LBB177_240:                            ;   in Loop: Header=BB177_31 Depth=1
	s_or_b64 exec, exec, s[0:1]
	s_mov_b64 s[50:51], -1
                                        ; implicit-def: $sgpr0_sgpr1
                                        ; implicit-def: $sgpr66_sgpr67
                                        ; implicit-def: $sgpr6_sgpr7
	s_mov_b64 s[4:5], exec
	s_mov_b64 s[82:83], s[4:5]
	s_and_b64 s[4:5], s[4:5], s[80:81]
	s_mov_b64 exec, s[4:5]
	s_cbranch_execz .LBB177_293
; %bb.241:                              ;   in Loop: Header=BB177_31 Depth=1
	s_cmp_eq_u64 s[24:25], 1
                                        ; implicit-def: $vgpr55 : SGPR spill to VGPR lane
	s_cselect_b64 s[0:1], -1, 0
	v_cmp_eq_u64_e32 vcc, 1, v[2:3]
	v_writelane_b32 v55, s76, 0
	s_and_b64 vcc, s[0:1], vcc
	s_mov_b64 s[80:81], -1
	v_writelane_b32 v55, s77, 1
                                        ; implicit-def: $sgpr0_sgpr1
                                        ; implicit-def: $sgpr66_sgpr67
                                        ; implicit-def: $sgpr6_sgpr7
	s_and_saveexec_b64 s[50:51], vcc
	s_cbranch_execz .LBB177_280
; %bb.242:                              ;   in Loop: Header=BB177_31 Depth=1
	ds_read_b64 v[4:5], v15 offset:5120
	s_waitcnt lgkmcnt(0)
	s_barrier
	v_readfirstlane_b32 s0, v4
	v_readfirstlane_b32 s1, v5
	s_mov_b64 s[6:7], exec
	v_readlane_b32 s4, v56, 24
	v_readlane_b32 s5, v56, 25
	s_and_b64 s[4:5], s[6:7], s[4:5]
	s_mov_b64 exec, s[4:5]
	s_cbranch_execz .LBB177_244
; %bb.243:                              ;   in Loop: Header=BB177_31 Depth=1
	ds_write_b16 v46, v15
.LBB177_244:                            ;   in Loop: Header=BB177_31 Depth=1
	s_or_b64 exec, exec, s[6:7]
	v_or_b32_e32 v30, s86, v30
	v_or_b32_e32 v31, s86, v31
	s_cmp_eq_u64 s[0:1], 0
	v_writelane_b32 v55, vcc_lo, 2
	s_waitcnt lgkmcnt(0)
	s_barrier
	v_writelane_b32 v55, vcc_hi, 3
	s_cbranch_scc1 .LBB177_249
; %bb.245:                              ;   in Loop: Header=BB177_31 Depth=1
	v_readlane_b32 s4, v56, 28
	s_add_u32 s4, s4, s0
	v_readlane_b32 s5, v56, 30
	s_addc_u32 s7, s5, s1
	s_mov_b32 s6, s87
	s_mov_b64 s[76:77], s[68:69]
	s_cmp_lg_u64 s[6:7], 0
	s_cbranch_scc0 .LBB177_250
; %bb.246:                              ;   in Loop: Header=BB177_31 Depth=1
	v_cvt_f32_u32_e32 v4, s33
	s_sub_u32 s5, 0, s33
	s_subb_u32 s6, 0, 0
	v_mac_f32_e32 v4, 0, v49
	v_rcp_f32_e32 v4, v4
	v_mul_f32_e32 v4, 0x5f7ffffc, v4
	v_mul_f32_e32 v5, 0x2f800000, v4
	v_trunc_f32_e32 v5, v5
	v_mac_f32_e32 v4, 0xcf800000, v5
	v_cvt_u32_f32_e32 v5, v5
	v_cvt_u32_f32_e32 v4, v4
	v_readfirstlane_b32 s66, v5
	v_readfirstlane_b32 s67, v4
	s_mul_i32 s68, s5, s66
	s_mul_hi_u32 s80, s5, s67
	s_mul_i32 s69, s6, s67
	s_add_i32 s68, s80, s68
	s_mul_i32 s81, s5, s67
	s_add_i32 s68, s68, s69
	s_mul_hi_u32 s80, s67, s81
	s_mul_hi_u32 s69, s67, s68
	s_mul_i32 s67, s67, s68
	s_add_u32 s67, s80, s67
	s_addc_u32 s69, 0, s69
	s_mul_hi_u32 s88, s66, s81
	s_mul_i32 s81, s66, s81
	s_add_u32 s67, s67, s81
	s_mul_hi_u32 s80, s66, s68
	s_addc_u32 s67, s69, s88
	s_addc_u32 s69, s80, 0
	s_mul_i32 s68, s66, s68
	s_add_u32 s67, s67, s68
	s_addc_u32 s68, 0, s69
	v_add_co_u32_e32 v4, vcc, s67, v4
	s_cmp_lg_u64 vcc, 0
	s_addc_u32 s66, s66, s68
	v_readfirstlane_b32 s68, v4
	s_mul_i32 s67, s5, s66
	s_mul_hi_u32 s69, s5, s68
	s_add_i32 s67, s69, s67
	s_mul_i32 s6, s6, s68
	s_add_i32 s67, s67, s6
	s_mul_i32 s5, s5, s68
	s_mul_hi_u32 s69, s66, s5
	s_mul_i32 s80, s66, s5
	s_mul_i32 s88, s68, s67
	s_mul_hi_u32 s5, s68, s5
	s_mul_hi_u32 s81, s68, s67
	s_add_u32 s5, s5, s88
	s_addc_u32 s68, 0, s81
	s_add_u32 s5, s5, s80
	s_mul_hi_u32 s6, s66, s67
	s_addc_u32 s5, s68, s69
	s_addc_u32 s6, s6, 0
	s_mul_i32 s67, s66, s67
	s_add_u32 s5, s5, s67
	s_addc_u32 s6, 0, s6
	v_add_co_u32_e32 v4, vcc, s5, v4
	s_cmp_lg_u64 vcc, 0
	s_addc_u32 s5, s66, s6
	v_readfirstlane_b32 s67, v4
	s_mul_i32 s66, s4, s5
	s_mul_hi_u32 s68, s4, s67
	s_mul_hi_u32 s6, s4, s5
	s_add_u32 s66, s68, s66
	s_addc_u32 s6, 0, s6
	s_mul_hi_u32 s69, s7, s67
	s_mul_i32 s67, s7, s67
	s_add_u32 s66, s66, s67
	s_mul_hi_u32 s68, s7, s5
	s_addc_u32 s6, s6, s69
	s_addc_u32 s66, s68, 0
	s_mul_i32 s5, s7, s5
	s_add_u32 s5, s6, s5
	s_addc_u32 s6, 0, s66
	s_mul_hi_u32 s66, s33, s5
	s_mul_i32 s5, s33, s5
	s_mul_i32 s6, s33, s6
	v_mov_b32_e32 v4, s5
	s_add_i32 s66, s66, s6
	v_sub_co_u32_e32 v4, vcc, s4, v4
	s_cmp_lg_u64 vcc, 0
	s_subb_u32 s5, s7, s66
	v_subrev_co_u32_e32 v5, vcc, s33, v4
	s_cmp_lg_u64 vcc, 0
	s_subb_u32 s6, s5, 0
	v_subrev_co_u32_e32 v6, vcc, s33, v5
	s_cmp_lg_u64 vcc, 0
	s_subb_u32 s66, s6, 0
	v_cmp_le_u32_e32 vcc, s33, v5
	s_cmp_eq_u32 s6, 0
	v_cndmask_b32_e64 v7, 0, -1, vcc
	s_cselect_b64 vcc, -1, 0
	v_cndmask_b32_e32 v7, -1, v7, vcc
	v_mov_b32_e32 v8, s6
	v_mov_b32_e32 v9, s66
	v_cmp_ne_u32_e32 vcc, 0, v7
	v_cndmask_b32_e32 v7, v8, v9, vcc
	v_cndmask_b32_e32 v6, v5, v6, vcc
	v_cmp_le_u32_e32 vcc, s33, v4
	s_cmp_eq_u32 s5, 0
	v_cndmask_b32_e64 v5, 0, -1, vcc
	s_cselect_b64 vcc, -1, 0
	v_cndmask_b32_e32 v5, -1, v5, vcc
	v_mov_b32_e32 v8, s5
	v_cmp_ne_u32_e32 vcc, 0, v5
	v_cndmask_b32_e32 v5, v8, v7, vcc
	v_cndmask_b32_e32 v4, v4, v6, vcc
	s_mov_b64 s[66:67], 0
	s_branch .LBB177_251
.LBB177_247:                            ;   in Loop: Header=BB177_31 Depth=1
                                        ; implicit-def: $vgpr2_vgpr3
	s_andn2_b64 vcc, exec, s[6:7]
	s_cbranch_vccz .LBB177_201
	s_branch .LBB177_202
.LBB177_248:                            ;   in Loop: Header=BB177_31 Depth=1
                                        ; implicit-def: $vgpr2_vgpr3
	s_branch .LBB177_217
.LBB177_249:                            ;   in Loop: Header=BB177_31 Depth=1
	s_mov_b64 s[0:1], -1
	s_mov_b64 s[80:81], 0
                                        ; implicit-def: $sgpr6_sgpr7
                                        ; implicit-def: $vgpr32
	s_branch .LBB177_263
.LBB177_250:                            ;   in Loop: Header=BB177_31 Depth=1
	s_mov_b64 s[66:67], -1
                                        ; implicit-def: $vgpr4_vgpr5
.LBB177_251:                            ;   in Loop: Header=BB177_31 Depth=1
	s_andn2_b64 vcc, exec, s[66:67]
	s_cbranch_vccnz .LBB177_253
; %bb.252:                              ;   in Loop: Header=BB177_31 Depth=1
	v_cvt_f32_u32_e32 v4, s33
	s_sub_i32 s5, 0, s33
	v_rcp_iflag_f32_e32 v4, v4
	v_mul_f32_e32 v4, 0x4f7ffffe, v4
	v_cvt_u32_f32_e32 v4, v4
	v_mul_lo_u32 v5, s5, v4
	v_mul_hi_u32 v5, v4, v5
	v_add_u32_e32 v4, v4, v5
	v_mul_hi_u32 v4, s4, v4
	v_mul_lo_u32 v4, v4, s33
	v_sub_u32_e32 v4, s4, v4
	v_subrev_u32_e32 v5, s33, v4
	v_cmp_le_u32_e32 vcc, s33, v4
	v_cndmask_b32_e32 v4, v4, v5, vcc
	v_subrev_u32_e32 v5, s33, v4
	v_cmp_le_u32_e32 vcc, s33, v4
	v_cndmask_b32_e32 v14, v4, v5, vcc
	v_pk_mov_b32 v[4:5], v[14:15], v[14:15] op_sel:[0,1]
.LBB177_253:                            ;   in Loop: Header=BB177_31 Depth=1
	v_mov_b32_e32 v6, s7
	v_sub_co_u32_e32 v4, vcc, s4, v4
	v_subb_co_u32_e32 v5, vcc, v6, v5, vcc
	v_cmp_gt_u64_e32 vcc, v[4:5], v[0:1]
	s_mov_b64 s[80:81], 0
                                        ; implicit-def: $vgpr32
	s_and_saveexec_b64 s[66:67], vcc
	s_mov_b64 s[68:69], s[76:77]
	s_cbranch_execz .LBB177_262
; %bb.254:                              ;   in Loop: Header=BB177_31 Depth=1
	v_mov_b32_e32 v8, v45
	v_pk_mov_b32 v[6:7], v[0:1], v[0:1] op_sel:[0,1]
                                        ; implicit-def: $sgpr88_sgpr89
	s_branch .LBB177_256
.LBB177_255:                            ;   in Loop: Header=BB177_256 Depth=2
	s_or_b64 exec, exec, s[6:7]
	s_waitcnt lgkmcnt(0)
	s_barrier
	ds_read_b32 v9, v15 offset:3072
	v_mov_b32_e32 v14, s92
	v_add_co_u32_e64 v6, s[6:7], s33, v6
	v_addc_co_u32_e64 v7, s[6:7], v7, v14, s[6:7]
	s_waitcnt lgkmcnt(0)
	v_cmp_ne_u16_e32 vcc, 0, v9
	v_cmp_ge_u64_e64 s[6:7], v[6:7], v[4:5]
	s_or_b64 s[4:5], s[6:7], vcc
	s_and_b64 s[4:5], exec, s[4:5]
	s_or_b64 s[80:81], s[4:5], s[80:81]
	s_andn2_b64 s[4:5], s[88:89], exec
	s_and_b64 s[6:7], vcc, exec
	v_add_u32_e32 v8, s10, v8
	s_or_b64 s[88:89], s[4:5], s[6:7]
	s_barrier
	s_andn2_b64 exec, exec, s[80:81]
	s_cbranch_execz .LBB177_261
.LBB177_256:                            ;   Parent Loop BB177_31 Depth=1
                                        ; =>  This Inner Loop Header: Depth=2
	v_cmp_gt_u64_e32 vcc, s[0:1], v[6:7]
	v_mov_b32_e32 v9, 0
	s_and_saveexec_b64 s[6:7], vcc
	s_cbranch_execz .LBB177_258
; %bb.257:                              ;   in Loop: Header=BB177_256 Depth=2
	ds_read_u16 v9, v8
.LBB177_258:                            ;   in Loop: Header=BB177_256 Depth=2
	s_or_b64 exec, exec, s[6:7]
	s_and_saveexec_b64 s[6:7], vcc
	s_cbranch_execz .LBB177_255
; %bb.259:                              ;   in Loop: Header=BB177_256 Depth=2
	s_waitcnt lgkmcnt(0)
	v_add_u32_sdwa v14, sext(v9), s11 dst_sel:DWORD dst_unused:UNUSED_PAD src0_sel:WORD_0 src1_sel:DWORD
	v_and_b32_e32 v14, v14, v31
	v_cmp_eq_u32_e32 vcc, v14, v30
	s_and_b64 exec, exec, vcc
	s_cbranch_execz .LBB177_255
; %bb.260:                              ;   in Loop: Header=BB177_256 Depth=2
	v_perm_b32 v9, v9, 1, v50
	ds_write_b32 v15, v9 offset:3072
	s_branch .LBB177_255
.LBB177_261:                            ;   in Loop: Header=BB177_31 Depth=1
	s_or_b64 exec, exec, s[80:81]
	v_lshrrev_b32_e32 v32, 16, v9
	s_and_b64 s[80:81], s[88:89], exec
.LBB177_262:                            ;   in Loop: Header=BB177_31 Depth=1
	s_or_b64 exec, exec, s[66:67]
	s_mov_b64 s[6:7], -1
	s_mov_b64 s[0:1], 0
.LBB177_263:                            ;   in Loop: Header=BB177_31 Depth=1
	s_and_b64 vcc, exec, s[0:1]
	s_mov_b64 s[66:67], s[0:1]
	s_cbranch_vccz .LBB177_279
; %bb.264:                              ;   in Loop: Header=BB177_31 Depth=1
	s_mov_b64 s[76:77], s[68:69]
	v_readlane_b32 s68, v56, 31
	v_readlane_b32 s69, v56, 32
	s_mov_b32 s68, s87
	s_cmp_lg_u64 s[68:69], 0
	v_writelane_b32 v56, s68, 31
	v_writelane_b32 v56, s69, 32
	s_cbranch_scc0 .LBB177_266
; %bb.265:                              ;   in Loop: Header=BB177_31 Depth=1
	v_cvt_f32_u32_e32 v4, s33
	s_sub_u32 s0, 0, s33
	s_subb_u32 s1, 0, 0
	v_mac_f32_e32 v4, 0, v49
	v_rcp_f32_e32 v4, v4
	v_mul_f32_e32 v4, 0x5f7ffffc, v4
	v_mul_f32_e32 v5, 0x2f800000, v4
	v_trunc_f32_e32 v5, v5
	v_mac_f32_e32 v4, 0xcf800000, v5
	v_cvt_u32_f32_e32 v5, v5
	v_cvt_u32_f32_e32 v4, v4
	v_readfirstlane_b32 s4, v5
	v_readfirstlane_b32 s5, v4
	s_mul_i32 s6, s0, s4
	s_mul_hi_u32 s66, s0, s5
	s_mul_i32 s7, s1, s5
	s_add_i32 s6, s66, s6
	s_mul_i32 s67, s0, s5
	s_add_i32 s6, s6, s7
	s_mul_hi_u32 s66, s5, s67
	s_mul_hi_u32 s7, s5, s6
	s_mul_i32 s5, s5, s6
	s_add_u32 s5, s66, s5
	s_addc_u32 s7, 0, s7
	s_mul_hi_u32 s68, s4, s67
	s_mul_i32 s67, s4, s67
	s_add_u32 s5, s5, s67
	s_mul_hi_u32 s66, s4, s6
	s_addc_u32 s5, s7, s68
	s_addc_u32 s7, s66, 0
	s_mul_i32 s6, s4, s6
	s_add_u32 s5, s5, s6
	s_addc_u32 s6, 0, s7
	v_add_co_u32_e32 v4, vcc, s5, v4
	s_cmp_lg_u64 vcc, 0
	s_addc_u32 s4, s4, s6
	v_readfirstlane_b32 s6, v4
	s_mul_i32 s5, s0, s4
	s_mul_hi_u32 s7, s0, s6
	s_add_i32 s5, s7, s5
	s_mul_i32 s1, s1, s6
	s_add_i32 s5, s5, s1
	s_mul_i32 s0, s0, s6
	s_mul_hi_u32 s7, s4, s0
	s_mul_i32 s66, s4, s0
	s_mul_i32 s68, s6, s5
	s_mul_hi_u32 s0, s6, s0
	s_mul_hi_u32 s67, s6, s5
	s_add_u32 s0, s0, s68
	s_addc_u32 s6, 0, s67
	s_add_u32 s0, s0, s66
	s_mul_hi_u32 s1, s4, s5
	s_addc_u32 s0, s6, s7
	s_addc_u32 s1, s1, 0
	s_mul_i32 s5, s4, s5
	s_add_u32 s0, s0, s5
	s_addc_u32 s1, 0, s1
	v_add_co_u32_e32 v4, vcc, s0, v4
	s_cmp_lg_u64 vcc, 0
	s_addc_u32 s0, s4, s1
	v_readlane_b32 s66, v56, 29
	v_readfirstlane_b32 s5, v4
	s_mul_i32 s4, s66, s0
	s_mul_hi_u32 s6, s66, s5
	s_mul_hi_u32 s1, s66, s0
	s_add_u32 s4, s6, s4
	s_addc_u32 s1, 0, s1
	s_mul_hi_u32 s7, s69, s5
	s_mul_i32 s5, s69, s5
	s_add_u32 s4, s4, s5
	s_mul_hi_u32 s6, s69, s0
	s_addc_u32 s1, s1, s7
	s_addc_u32 s4, s6, 0
	s_mul_i32 s0, s69, s0
	s_add_u32 s0, s1, s0
	s_addc_u32 s1, 0, s4
	s_mul_hi_u32 s4, s33, s0
	s_mul_i32 s0, s33, s0
	s_mul_i32 s1, s33, s1
	v_mov_b32_e32 v4, s0
	s_add_i32 s4, s4, s1
	v_sub_co_u32_e32 v4, vcc, s66, v4
	s_cmp_lg_u64 vcc, 0
	s_subb_u32 s0, s69, s4
	v_subrev_co_u32_e32 v5, vcc, s33, v4
	s_cmp_lg_u64 vcc, 0
	s_subb_u32 s1, s0, 0
	v_subrev_co_u32_e32 v6, vcc, s33, v5
	s_cmp_lg_u64 vcc, 0
	s_subb_u32 s4, s1, 0
	v_cmp_le_u32_e32 vcc, s33, v5
	s_cmp_eq_u32 s1, 0
	v_cndmask_b32_e64 v7, 0, -1, vcc
	s_cselect_b64 vcc, -1, 0
	v_cndmask_b32_e32 v7, -1, v7, vcc
	v_mov_b32_e32 v8, s1
	v_mov_b32_e32 v9, s4
	v_cmp_ne_u32_e32 vcc, 0, v7
	v_cndmask_b32_e32 v7, v8, v9, vcc
	v_cndmask_b32_e32 v6, v5, v6, vcc
	v_cmp_le_u32_e32 vcc, s33, v4
	s_cmp_eq_u32 s0, 0
	v_cndmask_b32_e64 v5, 0, -1, vcc
	s_cselect_b64 vcc, -1, 0
	v_cndmask_b32_e32 v5, -1, v5, vcc
	v_mov_b32_e32 v8, s0
	v_cmp_ne_u32_e32 vcc, 0, v5
	v_cndmask_b32_e32 v5, v8, v7, vcc
	v_cndmask_b32_e32 v4, v4, v6, vcc
	s_mov_b64 s[0:1], 0
	s_branch .LBB177_267
.LBB177_266:                            ;   in Loop: Header=BB177_31 Depth=1
	s_mov_b64 s[0:1], -1
                                        ; implicit-def: $vgpr4_vgpr5
.LBB177_267:                            ;   in Loop: Header=BB177_31 Depth=1
	s_andn2_b64 vcc, exec, s[0:1]
	s_cbranch_vccnz .LBB177_269
; %bb.268:                              ;   in Loop: Header=BB177_31 Depth=1
	v_cvt_f32_u32_e32 v4, s33
	s_sub_i32 s0, 0, s33
	v_rcp_iflag_f32_e32 v4, v4
	v_mul_f32_e32 v4, 0x4f7ffffe, v4
	v_cvt_u32_f32_e32 v4, v4
	v_mul_lo_u32 v5, s0, v4
	v_mul_hi_u32 v5, v4, v5
	v_add_u32_e32 v4, v4, v5
	v_readlane_b32 s0, v56, 29
	v_mul_hi_u32 v4, s0, v4
	v_mul_lo_u32 v4, v4, s33
	v_sub_u32_e32 v4, s0, v4
	v_subrev_u32_e32 v5, s33, v4
	v_cmp_le_u32_e32 vcc, s33, v4
	v_cndmask_b32_e32 v4, v4, v5, vcc
	v_subrev_u32_e32 v5, s33, v4
	v_cmp_le_u32_e32 vcc, s33, v4
	v_cndmask_b32_e32 v14, v4, v5, vcc
	v_pk_mov_b32 v[4:5], v[14:15], v[14:15] op_sel:[0,1]
.LBB177_269:                            ;   in Loop: Header=BB177_31 Depth=1
	v_readlane_b32 s0, v56, 31
	v_readlane_b32 s1, v56, 32
	;; [unrolled: 1-line block ×3, first 2 shown]
	v_mov_b32_e32 v6, s1
	v_sub_co_u32_e32 v4, vcc, s0, v4
	v_subb_co_u32_e32 v5, vcc, v6, v5, vcc
	v_cmp_gt_u64_e32 vcc, v[4:5], v[0:1]
	s_mov_b64 s[80:81], 0
                                        ; implicit-def: $vgpr32
	s_and_saveexec_b64 s[0:1], vcc
	s_mov_b64 s[68:69], s[76:77]
	s_cbranch_execz .LBB177_278
; %bb.270:                              ;   in Loop: Header=BB177_31 Depth=1
	s_mov_b64 s[66:67], 0
	v_pk_mov_b32 v[6:7], v[26:27], v[26:27] op_sel:[0,1]
	v_pk_mov_b32 v[8:9], v[0:1], v[0:1] op_sel:[0,1]
                                        ; implicit-def: $sgpr80_sgpr81
	s_branch .LBB177_272
.LBB177_271:                            ;   in Loop: Header=BB177_272 Depth=2
	s_or_b64 exec, exec, s[6:7]
	s_waitcnt lgkmcnt(0)
	s_barrier
	s_waitcnt vmcnt(0)
	ds_read_b32 v14, v15 offset:3072
	v_mov_b32_e32 v32, s92
	v_add_co_u32_e64 v8, s[6:7], s33, v8
	v_addc_co_u32_e64 v9, s[6:7], v9, v32, s[6:7]
	s_waitcnt lgkmcnt(0)
	v_cmp_ne_u16_e32 vcc, 0, v14
	v_cmp_ge_u64_e64 s[6:7], v[8:9], v[4:5]
	s_or_b64 s[4:5], s[6:7], vcc
	v_mov_b32_e32 v32, s65
	v_add_co_u32_e64 v6, s[6:7], s64, v6
	s_and_b64 s[4:5], exec, s[4:5]
	v_addc_co_u32_e64 v7, s[6:7], v7, v32, s[6:7]
	s_or_b64 s[66:67], s[4:5], s[66:67]
	s_andn2_b64 s[4:5], s[80:81], exec
	s_and_b64 s[6:7], vcc, exec
	s_or_b64 s[80:81], s[4:5], s[6:7]
	s_barrier
	s_andn2_b64 exec, exec, s[66:67]
	s_cbranch_execz .LBB177_277
.LBB177_272:                            ;   Parent Loop BB177_31 Depth=1
                                        ; =>  This Inner Loop Header: Depth=2
	v_cmp_gt_u64_e32 vcc, s[60:61], v[8:9]
	v_mov_b32_e32 v14, 0
	s_and_saveexec_b64 s[6:7], vcc
	s_cbranch_execz .LBB177_274
; %bb.273:                              ;   in Loop: Header=BB177_272 Depth=2
	global_load_ushort v14, v[6:7], off
.LBB177_274:                            ;   in Loop: Header=BB177_272 Depth=2
	s_or_b64 exec, exec, s[6:7]
	s_and_saveexec_b64 s[6:7], vcc
	s_cbranch_execz .LBB177_271
; %bb.275:                              ;   in Loop: Header=BB177_272 Depth=2
	s_waitcnt vmcnt(0)
	v_add_u32_sdwa v32, sext(v14), s11 dst_sel:DWORD dst_unused:UNUSED_PAD src0_sel:WORD_0 src1_sel:DWORD
	v_and_b32_e32 v32, v32, v31
	v_cmp_eq_u32_e32 vcc, v32, v30
	s_and_b64 exec, exec, vcc
	s_cbranch_execz .LBB177_271
; %bb.276:                              ;   in Loop: Header=BB177_272 Depth=2
	v_perm_b32 v14, v14, 1, v50
	ds_write_b32 v15, v14 offset:3072
	s_branch .LBB177_271
.LBB177_277:                            ;   in Loop: Header=BB177_31 Depth=1
	s_or_b64 exec, exec, s[66:67]
	v_lshrrev_b32_e32 v32, 16, v14
	s_and_b64 s[80:81], s[80:81], exec
.LBB177_278:                            ;   in Loop: Header=BB177_31 Depth=1
	s_or_b64 exec, exec, s[0:1]
	s_mov_b64 s[66:67], -1
	s_mov_b64 s[0:1], 0
	s_mov_b64 s[6:7], 0
.LBB177_279:                            ;   in Loop: Header=BB177_31 Depth=1
	v_readlane_b32 vcc_lo, v55, 2
	s_orn2_b64 s[80:81], s[80:81], exec
	v_readlane_b32 vcc_hi, v55, 3
.LBB177_280:                            ;   in Loop: Header=BB177_31 Depth=1
	s_or_b64 exec, exec, s[50:51]
	s_mov_b64 s[88:89], 0
                                        ; implicit-def: $vgpr6
                                        ; implicit-def: $vgpr4_vgpr5
	s_and_saveexec_b64 s[50:51], s[80:81]
	v_readlane_b32 s76, v55, 0
	v_readlane_b32 s77, v55, 1
	s_cbranch_execz .LBB177_292
; %bb.281:                              ;   in Loop: Header=BB177_31 Depth=1
	v_mov_b32_e32 v4, 1
	s_xor_b64 s[4:5], vcc, -1
	v_mov_b32_e32 v6, 1
	v_mov_b32_e32 v5, 0
	s_and_saveexec_b64 s[80:81], s[4:5]
	s_cbranch_execz .LBB177_291
; %bb.282:                              ;   in Loop: Header=BB177_31 Depth=1
	v_writelane_b32 v55, s90, 4
	s_mov_b64 s[76:77], s[68:69]
	v_cmp_ge_u64_e32 vcc, s[24:25], v[2:3]
	v_writelane_b32 v55, s91, 5
                                        ; implicit-def: $sgpr4
	s_and_saveexec_b64 s[68:69], vcc
	s_xor_b64 s[88:89], exec, s[68:69]
	s_cbranch_execz .LBB177_288
; %bb.283:                              ;   in Loop: Header=BB177_31 Depth=1
	ds_read_b64 v[4:5], v15 offset:5120
	s_waitcnt lgkmcnt(0)
	v_cmp_ne_u64_e32 vcc, 0, v[4:5]
	s_cbranch_vccnz .LBB177_287
; %bb.284:                              ;   in Loop: Header=BB177_31 Depth=1
	s_mov_b64 s[90:91], exec
	v_readlane_b32 s4, v56, 10
	v_readlane_b32 s5, v56, 11
	s_and_b64 s[4:5], s[90:91], s[4:5]
	s_mov_b64 exec, s[4:5]
	s_cbranch_execz .LBB177_286
; %bb.285:                              ;   in Loop: Header=BB177_31 Depth=1
	v_pk_mov_b32 v[4:5], s[24:25], s[24:25] op_sel:[0,1]
	ds_write_b64 v15, v[4:5] offset:5128
.LBB177_286:                            ;   in Loop: Header=BB177_31 Depth=1
	s_or_b64 exec, exec, s[90:91]
	s_waitcnt lgkmcnt(0)
	s_barrier
.LBB177_287:                            ;   in Loop: Header=BB177_31 Depth=1
	v_or_b32_e32 v30, s86, v30
	v_or_b32_e32 v31, s86, v31
	s_mov_b32 s4, 8
.LBB177_288:                            ;   in Loop: Header=BB177_31 Depth=1
	s_or_saveexec_b64 s[88:89], s[88:89]
	v_mov_b32_e32 v6, s4
	s_xor_b64 exec, exec, s[88:89]
; %bb.289:                              ;   in Loop: Header=BB177_31 Depth=1
	v_mov_b32_e32 v4, s25
	v_subrev_co_u32_e32 v2, vcc, s24, v2
	v_subb_co_u32_e32 v3, vcc, v3, v4, vcc
	v_mov_b32_e32 v6, 8
; %bb.290:                              ;   in Loop: Header=BB177_31 Depth=1
	s_or_b64 exec, exec, s[88:89]
	s_mov_b64 s[68:69], s[76:77]
	v_readlane_b32 s90, v55, 4
	v_readlane_b32 s76, v55, 0
	v_pk_mov_b32 v[4:5], v[2:3], v[2:3] op_sel:[0,1]
	v_readlane_b32 s91, v55, 5
	v_readlane_b32 s77, v55, 1
.LBB177_291:                            ;   in Loop: Header=BB177_31 Depth=1
	s_or_b64 exec, exec, s[80:81]
	s_mov_b64 s[88:89], exec
.LBB177_292:                            ;   in Loop: Header=BB177_31 Depth=1
	s_or_b64 exec, exec, s[50:51]
	s_orn2_b64 s[50:51], s[88:89], exec
	v_pk_mov_b32 v[2:3], v[4:5], v[4:5] op_sel:[0,1]
.LBB177_293:                            ;   in Loop: Header=BB177_31 Depth=1
	s_or_b64 exec, exec, s[82:83]
	s_andn2_b64 s[2:3], s[2:3], exec
	s_and_b64 s[0:1], s[0:1], exec
	s_or_b64 s[2:3], s[2:3], s[0:1]
	s_andn2_b64 s[0:1], s[52:53], exec
	s_and_b64 s[4:5], s[66:67], exec
	s_or_b64 s[52:53], s[0:1], s[4:5]
	;; [unrolled: 3-line block ×3, first 2 shown]
	s_and_b64 s[0:1], s[50:51], exec
	v_pk_mov_b32 v[4:5], v[2:3], v[2:3] op_sel:[0,1]
.LBB177_294:                            ;   in Loop: Header=BB177_31 Depth=1
	s_or_b64 exec, exec, s[54:55]
	s_and_b64 s[50:51], s[2:3], exec
	s_and_b64 s[6:7], s[52:53], exec
	;; [unrolled: 1-line block ×3, first 2 shown]
	s_orn2_b64 s[0:1], s[0:1], exec
.LBB177_295:                            ;   in Loop: Header=BB177_31 Depth=1
	s_or_b64 exec, exec, s[48:49]
	s_andn2_b64 s[4:5], s[28:29], exec
	s_and_b64 s[28:29], s[50:51], exec
	s_or_b64 s[28:29], s[4:5], s[28:29]
	s_andn2_b64 s[4:5], s[44:45], exec
	s_and_b64 s[6:7], s[6:7], exec
	s_or_b64 s[44:45], s[4:5], s[6:7]
	;; [unrolled: 3-line block ×3, first 2 shown]
	s_and_b64 s[6:7], s[0:1], exec
	v_pk_mov_b32 v[2:3], v[4:5], v[4:5] op_sel:[0,1]
.LBB177_296:                            ;   in Loop: Header=BB177_31 Depth=1
	s_or_b64 exec, exec, s[46:47]
	s_and_b64 s[28:29], s[28:29], exec
	s_and_b64 s[2:3], s[44:45], exec
	;; [unrolled: 1-line block ×3, first 2 shown]
	s_orn2_b64 s[42:43], s[6:7], exec
.LBB177_297:                            ;   in Loop: Header=BB177_31 Depth=1
	s_or_b64 exec, exec, s[26:27]
	s_mov_b64 s[6:7], 0
	s_mov_b64 s[26:27], 0
	s_and_saveexec_b64 s[4:5], s[42:43]
	s_xor_b64 s[42:43], exec, s[4:5]
; %bb.298:                              ;   in Loop: Header=BB177_31 Depth=1
	v_cmp_eq_u32_e32 vcc, 8, v6
	v_cmp_ne_u32_e64 s[6:7], 8, v6
	s_andn2_b64 s[28:29], s[28:29], exec
	s_andn2_b64 s[2:3], s[2:3], exec
	;; [unrolled: 1-line block ×3, first 2 shown]
	s_and_b64 s[26:27], s[6:7], exec
	s_and_b64 s[6:7], vcc, exec
; %bb.299:                              ;   in Loop: Header=BB177_31 Depth=1
	s_or_b64 exec, exec, s[42:43]
	s_andn2_b64 s[4:5], s[20:21], exec
	s_and_b64 s[20:21], s[28:29], exec
	s_or_b64 s[20:21], s[4:5], s[20:21]
	s_andn2_b64 s[4:5], s[36:37], exec
	s_and_b64 s[2:3], s[2:3], exec
	s_or_b64 s[36:37], s[4:5], s[2:3]
	;; [unrolled: 3-line block ×3, first 2 shown]
	s_and_b64 s[26:27], s[26:27], exec
	s_and_b64 s[28:29], s[6:7], exec
.LBB177_300:                            ;   in Loop: Header=BB177_31 Depth=1
	s_or_b64 exec, exec, s[40:41]
	s_and_b64 vcc, exec, s[38:39]
	s_cbranch_vccz .LBB177_116
.LBB177_301:                            ;   in Loop: Header=BB177_31 Depth=1
	s_cmp_eq_u64 s[24:25], 1
	s_cselect_b64 s[0:1], -1, 0
	s_and_b64 s[2:3], s[0:1], s[14:15]
	s_mov_b64 s[0:1], -1
                                        ; implicit-def: $sgpr14_sgpr15
                                        ; implicit-def: $sgpr38_sgpr39
                                        ; implicit-def: $sgpr20_sgpr21
	s_and_saveexec_b64 s[34:35], s[2:3]
	s_cbranch_execz .LBB177_333
; %bb.302:                              ;   in Loop: Header=BB177_31 Depth=1
	ds_read_b64 v[2:3], v15 offset:5120
	s_waitcnt lgkmcnt(0)
	s_barrier
	v_readfirstlane_b32 s0, v2
	v_readfirstlane_b32 s1, v3
	s_mov_b64 s[6:7], exec
	v_readlane_b32 s4, v56, 24
	v_readlane_b32 s5, v56, 25
	s_and_b64 s[4:5], s[6:7], s[4:5]
	s_mov_b64 exec, s[4:5]
	s_cbranch_execz .LBB177_304
; %bb.303:                              ;   in Loop: Header=BB177_31 Depth=1
	ds_write_b16 v46, v15
.LBB177_304:                            ;   in Loop: Header=BB177_31 Depth=1
	s_or_b64 exec, exec, s[6:7]
	v_or_b32_e32 v52, s86, v52
	v_or_b32_e32 v51, s86, v51
	s_cmp_eq_u64 s[0:1], 0
	s_waitcnt lgkmcnt(0)
	s_barrier
	s_cbranch_scc1 .LBB177_316
; %bb.305:                              ;   in Loop: Header=BB177_31 Depth=1
	v_readlane_b32 s4, v56, 28
	s_add_u32 s4, s4, s0
	v_readlane_b32 s5, v56, 30
	s_addc_u32 s7, s5, s1
	s_mov_b32 s6, s87
	s_cmp_lg_u64 s[6:7], 0
	s_cbranch_scc0 .LBB177_360
; %bb.306:                              ;   in Loop: Header=BB177_31 Depth=1
	v_cvt_f32_u32_e32 v2, s33
	s_sub_u32 s5, 0, s33
	s_subb_u32 s6, 0, 0
	v_mac_f32_e32 v2, 0, v49
	v_rcp_f32_e32 v2, v2
	v_mul_f32_e32 v2, 0x5f7ffffc, v2
	v_mul_f32_e32 v3, 0x2f800000, v2
	v_trunc_f32_e32 v3, v3
	v_mac_f32_e32 v2, 0xcf800000, v3
	v_cvt_u32_f32_e32 v3, v3
	v_cvt_u32_f32_e32 v2, v2
	v_readfirstlane_b32 s14, v3
	v_readfirstlane_b32 s15, v2
	s_mul_i32 s20, s5, s14
	s_mul_hi_u32 s36, s5, s15
	s_mul_i32 s21, s6, s15
	s_add_i32 s20, s36, s20
	s_mul_i32 s37, s5, s15
	s_add_i32 s20, s20, s21
	s_mul_hi_u32 s36, s15, s37
	s_mul_hi_u32 s21, s15, s20
	s_mul_i32 s15, s15, s20
	s_add_u32 s15, s36, s15
	s_addc_u32 s21, 0, s21
	s_mul_hi_u32 s38, s14, s37
	s_mul_i32 s37, s14, s37
	s_add_u32 s15, s15, s37
	s_mul_hi_u32 s36, s14, s20
	s_addc_u32 s15, s21, s38
	s_addc_u32 s21, s36, 0
	s_mul_i32 s20, s14, s20
	s_add_u32 s15, s15, s20
	s_addc_u32 s20, 0, s21
	v_add_co_u32_e32 v2, vcc, s15, v2
	s_cmp_lg_u64 vcc, 0
	s_addc_u32 s14, s14, s20
	v_readfirstlane_b32 s20, v2
	s_mul_i32 s15, s5, s14
	s_mul_hi_u32 s21, s5, s20
	s_add_i32 s15, s21, s15
	s_mul_i32 s6, s6, s20
	s_add_i32 s15, s15, s6
	s_mul_i32 s5, s5, s20
	s_mul_hi_u32 s21, s14, s5
	s_mul_i32 s36, s14, s5
	s_mul_i32 s38, s20, s15
	s_mul_hi_u32 s5, s20, s5
	s_mul_hi_u32 s37, s20, s15
	s_add_u32 s5, s5, s38
	s_addc_u32 s20, 0, s37
	s_add_u32 s5, s5, s36
	s_mul_hi_u32 s6, s14, s15
	s_addc_u32 s5, s20, s21
	s_addc_u32 s6, s6, 0
	s_mul_i32 s15, s14, s15
	s_add_u32 s5, s5, s15
	s_addc_u32 s6, 0, s6
	v_add_co_u32_e32 v2, vcc, s5, v2
	s_cmp_lg_u64 vcc, 0
	s_addc_u32 s5, s14, s6
	v_readfirstlane_b32 s15, v2
	s_mul_i32 s14, s4, s5
	s_mul_hi_u32 s20, s4, s15
	s_mul_hi_u32 s6, s4, s5
	s_add_u32 s14, s20, s14
	s_addc_u32 s6, 0, s6
	s_mul_hi_u32 s21, s7, s15
	s_mul_i32 s15, s7, s15
	s_add_u32 s14, s14, s15
	s_mul_hi_u32 s20, s7, s5
	s_addc_u32 s6, s6, s21
	s_addc_u32 s14, s20, 0
	s_mul_i32 s5, s7, s5
	s_add_u32 s5, s6, s5
	s_addc_u32 s6, 0, s14
	s_mul_hi_u32 s14, s33, s5
	s_mul_i32 s5, s33, s5
	s_mul_i32 s6, s33, s6
	v_mov_b32_e32 v2, s5
	s_add_i32 s14, s14, s6
	v_sub_co_u32_e32 v2, vcc, s4, v2
	s_cmp_lg_u64 vcc, 0
	s_subb_u32 s5, s7, s14
	v_subrev_co_u32_e32 v3, vcc, s33, v2
	s_cmp_lg_u64 vcc, 0
	s_subb_u32 s6, s5, 0
	v_subrev_co_u32_e32 v4, vcc, s33, v3
	s_cmp_lg_u64 vcc, 0
	s_subb_u32 s14, s6, 0
	v_cmp_le_u32_e32 vcc, s33, v3
	s_cmp_eq_u32 s6, 0
	v_cndmask_b32_e64 v5, 0, -1, vcc
	s_cselect_b64 vcc, -1, 0
	v_cndmask_b32_e32 v5, -1, v5, vcc
	v_mov_b32_e32 v6, s6
	v_mov_b32_e32 v7, s14
	v_cmp_ne_u32_e32 vcc, 0, v5
	v_cndmask_b32_e32 v5, v6, v7, vcc
	v_cndmask_b32_e32 v4, v3, v4, vcc
	v_cmp_le_u32_e32 vcc, s33, v2
	s_cmp_eq_u32 s5, 0
	v_cndmask_b32_e64 v3, 0, -1, vcc
	s_cselect_b64 vcc, -1, 0
	v_cndmask_b32_e32 v3, -1, v3, vcc
	v_mov_b32_e32 v6, s5
	v_cmp_ne_u32_e32 vcc, 0, v3
	v_cndmask_b32_e32 v3, v6, v5, vcc
	v_cndmask_b32_e32 v2, v2, v4, vcc
	s_cbranch_execnz .LBB177_308
.LBB177_307:                            ;   in Loop: Header=BB177_31 Depth=1
	v_cvt_f32_u32_e32 v2, s33
	s_sub_i32 s5, 0, s33
	v_rcp_iflag_f32_e32 v2, v2
	v_mul_f32_e32 v2, 0x4f7ffffe, v2
	v_cvt_u32_f32_e32 v2, v2
	v_mul_lo_u32 v3, s5, v2
	v_mul_hi_u32 v3, v2, v3
	v_add_u32_e32 v2, v2, v3
	v_mul_hi_u32 v2, s4, v2
	v_mul_lo_u32 v2, v2, s33
	v_sub_u32_e32 v2, s4, v2
	v_subrev_u32_e32 v3, s33, v2
	v_cmp_le_u32_e32 vcc, s33, v2
	v_cndmask_b32_e32 v2, v2, v3, vcc
	v_subrev_u32_e32 v3, s33, v2
	v_cmp_le_u32_e32 vcc, s33, v2
	v_cndmask_b32_e32 v14, v2, v3, vcc
	v_pk_mov_b32 v[2:3], v[14:15], v[14:15] op_sel:[0,1]
.LBB177_308:                            ;   in Loop: Header=BB177_31 Depth=1
	v_mov_b32_e32 v4, s7
	v_sub_co_u32_e32 v2, vcc, s4, v2
	v_subb_co_u32_e32 v3, vcc, v4, v3, vcc
	v_cmp_gt_u64_e32 vcc, v[2:3], v[0:1]
	s_mov_b64 s[6:7], 0
                                        ; implicit-def: $vgpr53
	s_and_saveexec_b64 s[14:15], vcc
	s_cbranch_execz .LBB177_318
; %bb.309:                              ;   in Loop: Header=BB177_31 Depth=1
	s_mov_b64 s[20:21], 0
	v_mov_b32_e32 v6, v45
	v_pk_mov_b32 v[4:5], v[0:1], v[0:1] op_sel:[0,1]
                                        ; implicit-def: $sgpr36_sgpr37
	s_branch .LBB177_311
.LBB177_310:                            ;   in Loop: Header=BB177_311 Depth=2
	s_or_b64 exec, exec, s[6:7]
	s_waitcnt lgkmcnt(0)
	s_barrier
	ds_read_b32 v7, v15 offset:3072
	v_mov_b32_e32 v8, s92
	v_add_co_u32_e64 v4, s[6:7], s33, v4
	v_addc_co_u32_e64 v5, s[6:7], v5, v8, s[6:7]
	s_waitcnt lgkmcnt(0)
	v_cmp_ne_u16_e32 vcc, 0, v7
	v_cmp_ge_u64_e64 s[6:7], v[4:5], v[2:3]
	s_or_b64 s[4:5], s[6:7], vcc
	s_and_b64 s[4:5], exec, s[4:5]
	s_or_b64 s[20:21], s[4:5], s[20:21]
	s_andn2_b64 s[4:5], s[36:37], exec
	s_and_b64 s[6:7], vcc, exec
	v_add_u32_e32 v6, s10, v6
	s_or_b64 s[36:37], s[4:5], s[6:7]
	s_barrier
	s_andn2_b64 exec, exec, s[20:21]
	s_cbranch_execz .LBB177_317
.LBB177_311:                            ;   Parent Loop BB177_31 Depth=1
                                        ; =>  This Inner Loop Header: Depth=2
	v_cmp_gt_u64_e32 vcc, s[0:1], v[4:5]
	v_mov_b32_e32 v7, 0
	s_and_saveexec_b64 s[6:7], vcc
	s_cbranch_execz .LBB177_313
; %bb.312:                              ;   in Loop: Header=BB177_311 Depth=2
	ds_read_u16 v7, v6
.LBB177_313:                            ;   in Loop: Header=BB177_311 Depth=2
	s_or_b64 exec, exec, s[6:7]
	s_and_saveexec_b64 s[6:7], vcc
	s_cbranch_execz .LBB177_310
; %bb.314:                              ;   in Loop: Header=BB177_311 Depth=2
	s_waitcnt lgkmcnt(0)
	v_add_u32_sdwa v8, sext(v7), s11 dst_sel:DWORD dst_unused:UNUSED_PAD src0_sel:WORD_0 src1_sel:DWORD
	v_and_b32_e32 v8, v8, v51
	v_cmp_eq_u32_e32 vcc, v8, v52
	s_and_b64 exec, exec, vcc
	s_cbranch_execz .LBB177_310
; %bb.315:                              ;   in Loop: Header=BB177_311 Depth=2
	v_perm_b32 v7, v7, 1, v50
	ds_write_b32 v15, v7 offset:3072
	s_branch .LBB177_310
.LBB177_316:                            ;   in Loop: Header=BB177_31 Depth=1
	s_mov_b64 s[14:15], -1
	s_mov_b64 s[6:7], 0
                                        ; implicit-def: $sgpr38_sgpr39
                                        ; implicit-def: $vgpr53
	s_mov_b64 s[20:21], s[14:15]
	s_cbranch_execnz .LBB177_319
	s_branch .LBB177_332
.LBB177_317:                            ;   in Loop: Header=BB177_31 Depth=1
	s_or_b64 exec, exec, s[20:21]
	v_lshrrev_b32_e32 v53, 16, v7
	s_and_b64 s[6:7], s[36:37], exec
.LBB177_318:                            ;   in Loop: Header=BB177_31 Depth=1
	s_or_b64 exec, exec, s[14:15]
	s_mov_b64 s[14:15], 0
	s_mov_b64 s[38:39], -1
	s_mov_b64 s[20:21], s[14:15]
	s_branch .LBB177_332
.LBB177_319:                            ;   in Loop: Header=BB177_31 Depth=1
	v_readlane_b32 s20, v56, 31
	v_readlane_b32 s21, v56, 32
	s_mov_b32 s20, s87
	s_cmp_lg_u64 s[20:21], 0
	v_writelane_b32 v56, s20, 31
	v_writelane_b32 v56, s21, 32
	s_cbranch_scc0 .LBB177_361
; %bb.320:                              ;   in Loop: Header=BB177_31 Depth=1
	v_cvt_f32_u32_e32 v2, s33
	s_sub_u32 s0, 0, s33
	s_subb_u32 s1, 0, 0
	v_mac_f32_e32 v2, 0, v49
	v_rcp_f32_e32 v2, v2
	v_mul_f32_e32 v2, 0x5f7ffffc, v2
	v_mul_f32_e32 v3, 0x2f800000, v2
	v_trunc_f32_e32 v3, v3
	v_mac_f32_e32 v2, 0xcf800000, v3
	v_cvt_u32_f32_e32 v3, v3
	v_cvt_u32_f32_e32 v2, v2
	v_readfirstlane_b32 s4, v3
	v_readfirstlane_b32 s5, v2
	s_mul_i32 s6, s0, s4
	s_mul_hi_u32 s14, s0, s5
	s_mul_i32 s7, s1, s5
	s_add_i32 s6, s14, s6
	s_mul_i32 s15, s0, s5
	s_add_i32 s6, s6, s7
	s_mul_hi_u32 s14, s5, s15
	s_mul_hi_u32 s7, s5, s6
	s_mul_i32 s5, s5, s6
	s_add_u32 s5, s14, s5
	s_addc_u32 s7, 0, s7
	s_mul_hi_u32 s20, s4, s15
	s_mul_i32 s15, s4, s15
	s_add_u32 s5, s5, s15
	s_mul_hi_u32 s14, s4, s6
	s_addc_u32 s5, s7, s20
	s_addc_u32 s7, s14, 0
	s_mul_i32 s6, s4, s6
	s_add_u32 s5, s5, s6
	s_addc_u32 s6, 0, s7
	v_add_co_u32_e32 v2, vcc, s5, v2
	s_cmp_lg_u64 vcc, 0
	s_addc_u32 s4, s4, s6
	v_readfirstlane_b32 s6, v2
	s_mul_i32 s5, s0, s4
	s_mul_hi_u32 s7, s0, s6
	s_add_i32 s5, s7, s5
	s_mul_i32 s1, s1, s6
	s_add_i32 s5, s5, s1
	s_mul_i32 s0, s0, s6
	s_mul_hi_u32 s7, s4, s0
	s_mul_i32 s14, s4, s0
	s_mul_i32 s20, s6, s5
	s_mul_hi_u32 s0, s6, s0
	s_mul_hi_u32 s15, s6, s5
	s_add_u32 s0, s0, s20
	s_addc_u32 s6, 0, s15
	s_add_u32 s0, s0, s14
	s_mul_hi_u32 s1, s4, s5
	s_addc_u32 s0, s6, s7
	s_addc_u32 s1, s1, 0
	s_mul_i32 s5, s4, s5
	s_add_u32 s0, s0, s5
	s_addc_u32 s1, 0, s1
	v_add_co_u32_e32 v2, vcc, s0, v2
	s_cmp_lg_u64 vcc, 0
	s_addc_u32 s0, s4, s1
	v_readlane_b32 s14, v56, 29
	v_readfirstlane_b32 s5, v2
	s_mul_i32 s4, s14, s0
	s_mul_hi_u32 s6, s14, s5
	s_mul_hi_u32 s1, s14, s0
	s_add_u32 s4, s6, s4
	s_addc_u32 s1, 0, s1
	s_mul_hi_u32 s7, s21, s5
	s_mul_i32 s5, s21, s5
	s_add_u32 s4, s4, s5
	s_mul_hi_u32 s6, s21, s0
	s_addc_u32 s1, s1, s7
	s_addc_u32 s4, s6, 0
	s_mul_i32 s0, s21, s0
	s_add_u32 s0, s1, s0
	s_addc_u32 s1, 0, s4
	s_mul_hi_u32 s4, s33, s0
	s_mul_i32 s0, s33, s0
	s_mul_i32 s1, s33, s1
	v_mov_b32_e32 v2, s0
	s_add_i32 s4, s4, s1
	v_sub_co_u32_e32 v2, vcc, s14, v2
	s_cmp_lg_u64 vcc, 0
	s_subb_u32 s0, s21, s4
	v_subrev_co_u32_e32 v3, vcc, s33, v2
	s_cmp_lg_u64 vcc, 0
	s_subb_u32 s1, s0, 0
	v_subrev_co_u32_e32 v4, vcc, s33, v3
	s_cmp_lg_u64 vcc, 0
	s_subb_u32 s4, s1, 0
	v_cmp_le_u32_e32 vcc, s33, v3
	s_cmp_eq_u32 s1, 0
	v_cndmask_b32_e64 v5, 0, -1, vcc
	s_cselect_b64 vcc, -1, 0
	v_cndmask_b32_e32 v5, -1, v5, vcc
	v_mov_b32_e32 v6, s1
	v_mov_b32_e32 v7, s4
	v_cmp_ne_u32_e32 vcc, 0, v5
	v_cndmask_b32_e32 v5, v6, v7, vcc
	v_cndmask_b32_e32 v4, v3, v4, vcc
	v_cmp_le_u32_e32 vcc, s33, v2
	s_cmp_eq_u32 s0, 0
	v_cndmask_b32_e64 v3, 0, -1, vcc
	s_cselect_b64 vcc, -1, 0
	v_cndmask_b32_e32 v3, -1, v3, vcc
	v_mov_b32_e32 v6, s0
	v_cmp_ne_u32_e32 vcc, 0, v3
	v_cndmask_b32_e32 v3, v6, v5, vcc
	v_cndmask_b32_e32 v2, v2, v4, vcc
	s_cbranch_execnz .LBB177_322
.LBB177_321:                            ;   in Loop: Header=BB177_31 Depth=1
	v_cvt_f32_u32_e32 v2, s33
	s_sub_i32 s0, 0, s33
	v_rcp_iflag_f32_e32 v2, v2
	v_mul_f32_e32 v2, 0x4f7ffffe, v2
	v_cvt_u32_f32_e32 v2, v2
	v_mul_lo_u32 v3, s0, v2
	v_mul_hi_u32 v3, v2, v3
	v_add_u32_e32 v2, v2, v3
	v_readlane_b32 s0, v56, 29
	v_mul_hi_u32 v2, s0, v2
	v_mul_lo_u32 v2, v2, s33
	v_sub_u32_e32 v2, s0, v2
	v_subrev_u32_e32 v3, s33, v2
	v_cmp_le_u32_e32 vcc, s33, v2
	v_cndmask_b32_e32 v2, v2, v3, vcc
	v_subrev_u32_e32 v3, s33, v2
	v_cmp_le_u32_e32 vcc, s33, v2
	v_cndmask_b32_e32 v14, v2, v3, vcc
	v_pk_mov_b32 v[2:3], v[14:15], v[14:15] op_sel:[0,1]
.LBB177_322:                            ;   in Loop: Header=BB177_31 Depth=1
	v_readlane_b32 s0, v56, 31
	v_readlane_b32 s1, v56, 32
	;; [unrolled: 1-line block ×3, first 2 shown]
	v_mov_b32_e32 v4, s1
	v_sub_co_u32_e32 v2, vcc, s0, v2
	v_subb_co_u32_e32 v3, vcc, v4, v3, vcc
	v_cmp_gt_u64_e32 vcc, v[2:3], v[0:1]
	s_mov_b64 s[6:7], 0
                                        ; implicit-def: $vgpr53
	s_and_saveexec_b64 s[0:1], vcc
	s_cbranch_execz .LBB177_331
; %bb.323:                              ;   in Loop: Header=BB177_31 Depth=1
	s_mov_b64 s[14:15], 0
	v_pk_mov_b32 v[4:5], v[26:27], v[26:27] op_sel:[0,1]
	v_pk_mov_b32 v[6:7], v[0:1], v[0:1] op_sel:[0,1]
                                        ; implicit-def: $sgpr20_sgpr21
	s_branch .LBB177_325
.LBB177_324:                            ;   in Loop: Header=BB177_325 Depth=2
	s_or_b64 exec, exec, s[6:7]
	s_waitcnt lgkmcnt(0)
	s_barrier
	s_waitcnt vmcnt(0)
	ds_read_b32 v8, v15 offset:3072
	v_mov_b32_e32 v9, s92
	v_add_co_u32_e64 v6, s[6:7], s33, v6
	v_addc_co_u32_e64 v7, s[6:7], v7, v9, s[6:7]
	s_waitcnt lgkmcnt(0)
	v_cmp_ne_u16_e32 vcc, 0, v8
	v_cmp_ge_u64_e64 s[6:7], v[6:7], v[2:3]
	s_or_b64 s[4:5], s[6:7], vcc
	v_mov_b32_e32 v9, s65
	v_add_co_u32_e64 v4, s[6:7], s64, v4
	s_and_b64 s[4:5], exec, s[4:5]
	v_addc_co_u32_e64 v5, s[6:7], v5, v9, s[6:7]
	s_or_b64 s[14:15], s[4:5], s[14:15]
	s_andn2_b64 s[4:5], s[20:21], exec
	s_and_b64 s[6:7], vcc, exec
	s_or_b64 s[20:21], s[4:5], s[6:7]
	s_barrier
	s_andn2_b64 exec, exec, s[14:15]
	s_cbranch_execz .LBB177_330
.LBB177_325:                            ;   Parent Loop BB177_31 Depth=1
                                        ; =>  This Inner Loop Header: Depth=2
	v_cmp_gt_u64_e32 vcc, s[60:61], v[6:7]
	v_mov_b32_e32 v8, 0
	s_and_saveexec_b64 s[6:7], vcc
	s_cbranch_execz .LBB177_327
; %bb.326:                              ;   in Loop: Header=BB177_325 Depth=2
	global_load_ushort v8, v[4:5], off
.LBB177_327:                            ;   in Loop: Header=BB177_325 Depth=2
	s_or_b64 exec, exec, s[6:7]
	s_and_saveexec_b64 s[6:7], vcc
	s_cbranch_execz .LBB177_324
; %bb.328:                              ;   in Loop: Header=BB177_325 Depth=2
	s_waitcnt vmcnt(0)
	v_add_u32_sdwa v9, sext(v8), s11 dst_sel:DWORD dst_unused:UNUSED_PAD src0_sel:WORD_0 src1_sel:DWORD
	v_and_b32_e32 v9, v9, v51
	v_cmp_eq_u32_e32 vcc, v9, v52
	s_and_b64 exec, exec, vcc
	s_cbranch_execz .LBB177_324
; %bb.329:                              ;   in Loop: Header=BB177_325 Depth=2
	v_perm_b32 v8, v8, 1, v50
	ds_write_b32 v15, v8 offset:3072
	s_branch .LBB177_324
.LBB177_330:                            ;   in Loop: Header=BB177_31 Depth=1
	s_or_b64 exec, exec, s[14:15]
	v_lshrrev_b32_e32 v53, 16, v8
	s_and_b64 s[6:7], s[20:21], exec
.LBB177_331:                            ;   in Loop: Header=BB177_31 Depth=1
	s_or_b64 exec, exec, s[0:1]
	s_mov_b64 s[38:39], 0
	s_mov_b64 s[14:15], -1
	s_mov_b64 s[20:21], 0
.LBB177_332:                            ;   in Loop: Header=BB177_31 Depth=1
	s_orn2_b64 s[0:1], s[6:7], exec
.LBB177_333:                            ;   in Loop: Header=BB177_31 Depth=1
	s_or_b64 exec, exec, s[34:35]
                                        ; implicit-def: $vgpr6
                                        ; implicit-def: $vgpr2_vgpr3
                                        ; implicit-def: $vgpr30
                                        ; implicit-def: $vgpr31
                                        ; implicit-def: $vgpr32
	s_and_saveexec_b64 s[34:35], s[0:1]
	s_cbranch_execz .LBB177_496
; %bb.334:                              ;   in Loop: Header=BB177_31 Depth=1
	v_mov_b32_e32 v2, 1
	s_xor_b64 s[2:3], s[2:3], -1
	s_mov_b64 s[6:7], 0
	v_mov_b32_e32 v3, 0
	v_mov_b32_e32 v6, 1
	s_and_saveexec_b64 s[0:1], s[2:3]
	s_cbranch_execz .LBB177_344
; %bb.335:                              ;   in Loop: Header=BB177_31 Depth=1
	v_cmp_ge_u64_e32 vcc, s[24:25], v[28:29]
                                        ; implicit-def: $sgpr4
                                        ; implicit-def: $sgpr2_sgpr3
	s_and_saveexec_b64 s[6:7], vcc
	s_xor_b64 s[6:7], exec, s[6:7]
	s_cbranch_execz .LBB177_341
; %bb.336:                              ;   in Loop: Header=BB177_31 Depth=1
	ds_read_b64 v[2:3], v15 offset:5120
	s_waitcnt lgkmcnt(0)
	v_cmp_ne_u64_e32 vcc, 0, v[2:3]
	s_cbranch_vccnz .LBB177_340
; %bb.337:                              ;   in Loop: Header=BB177_31 Depth=1
	s_mov_b64 s[2:3], exec
	v_readlane_b32 s4, v56, 10
	v_readlane_b32 s5, v56, 11
	s_and_b64 s[4:5], s[2:3], s[4:5]
	s_mov_b64 exec, s[4:5]
	s_cbranch_execz .LBB177_339
; %bb.338:                              ;   in Loop: Header=BB177_31 Depth=1
	v_pk_mov_b32 v[2:3], s[24:25], s[24:25] op_sel:[0,1]
	ds_write_b64 v15, v[2:3] offset:5128
.LBB177_339:                            ;   in Loop: Header=BB177_31 Depth=1
	s_or_b64 exec, exec, s[2:3]
	s_waitcnt lgkmcnt(0)
	s_barrier
.LBB177_340:                            ;   in Loop: Header=BB177_31 Depth=1
	v_or_b32_e32 v52, s86, v52
	v_or_b32_e32 v51, s86, v51
	s_mov_b64 s[2:3], 0
	s_mov_b32 s4, 5
.LBB177_341:                            ;   in Loop: Header=BB177_31 Depth=1
	s_or_saveexec_b64 s[6:7], s[6:7]
	v_mov_b32_e32 v6, s4
	s_xor_b64 exec, exec, s[6:7]
; %bb.342:                              ;   in Loop: Header=BB177_31 Depth=1
	v_mov_b32_e32 v2, s25
	v_subrev_co_u32_e32 v28, vcc, s24, v28
	v_subb_co_u32_e32 v29, vcc, v29, v2, vcc
	v_mov_b32_e32 v6, 0
	s_or_b64 s[2:3], s[2:3], exec
; %bb.343:                              ;   in Loop: Header=BB177_31 Depth=1
	s_or_b64 exec, exec, s[6:7]
	s_and_b64 s[6:7], s[2:3], exec
	v_pk_mov_b32 v[2:3], v[28:29], v[28:29] op_sel:[0,1]
.LBB177_344:                            ;   in Loop: Header=BB177_31 Depth=1
	s_or_b64 exec, exec, s[0:1]
	s_mov_b64 s[40:41], -1
                                        ; implicit-def: $sgpr0_sgpr1
                                        ; implicit-def: $sgpr2_sgpr3
                                        ; implicit-def: $sgpr36_sgpr37
	s_and_saveexec_b64 s[4:5], s[6:7]
	s_xor_b64 s[24:25], exec, s[4:5]
	s_cbranch_execz .LBB177_493
; %bb.345:                              ;   in Loop: Header=BB177_31 Depth=1
	s_cmp_eq_u64 s[22:23], 1
	s_cselect_b64 s[0:1], -1, 0
	v_cmp_eq_u64_e32 vcc, 1, v[2:3]
	s_and_b64 s[2:3], s[0:1], vcc
	s_mov_b64 s[0:1], -1
                                        ; implicit-def: $sgpr36_sgpr37
                                        ; implicit-def: $sgpr40_sgpr41
                                        ; implicit-def: $sgpr42_sgpr43
	s_and_saveexec_b64 s[44:45], s[2:3]
	s_cbranch_execz .LBB177_379
; %bb.346:                              ;   in Loop: Header=BB177_31 Depth=1
	ds_read_b64 v[4:5], v15 offset:5120
	s_waitcnt lgkmcnt(0)
	s_barrier
	v_readfirstlane_b32 s0, v4
	v_readfirstlane_b32 s1, v5
	s_mov_b64 s[6:7], exec
	v_readlane_b32 s4, v56, 24
	v_readlane_b32 s5, v56, 25
	s_and_b64 s[4:5], s[6:7], s[4:5]
	s_mov_b64 exec, s[4:5]
	s_cbranch_execz .LBB177_348
; %bb.347:                              ;   in Loop: Header=BB177_31 Depth=1
	ds_write_b16 v46, v15
.LBB177_348:                            ;   in Loop: Header=BB177_31 Depth=1
	s_or_b64 exec, exec, s[6:7]
	v_and_b32_e32 v4, s94, v52
	v_lshl_or_b32 v52, 2, s95, v4
	v_or_b32_e32 v51, s86, v51
	s_cmp_eq_u64 s[0:1], 0
	s_waitcnt lgkmcnt(0)
	s_barrier
	s_cbranch_scc1 .LBB177_362
; %bb.349:                              ;   in Loop: Header=BB177_31 Depth=1
	v_readlane_b32 s4, v56, 28
	s_add_u32 s4, s4, s0
	v_readlane_b32 s5, v56, 30
	s_addc_u32 s7, s5, s1
	s_mov_b32 s6, s87
	s_cmp_lg_u64 s[6:7], 0
	s_cbranch_scc0 .LBB177_406
; %bb.350:                              ;   in Loop: Header=BB177_31 Depth=1
	v_cvt_f32_u32_e32 v4, s33
	s_sub_u32 s5, 0, s33
	s_subb_u32 s6, 0, 0
	v_mac_f32_e32 v4, 0, v49
	v_rcp_f32_e32 v4, v4
	v_mul_f32_e32 v4, 0x5f7ffffc, v4
	v_mul_f32_e32 v5, 0x2f800000, v4
	v_trunc_f32_e32 v5, v5
	v_mac_f32_e32 v4, 0xcf800000, v5
	v_cvt_u32_f32_e32 v5, v5
	v_cvt_u32_f32_e32 v4, v4
	v_readfirstlane_b32 s36, v5
	v_readfirstlane_b32 s37, v4
	s_mul_i32 s40, s5, s36
	s_mul_hi_u32 s42, s5, s37
	s_mul_i32 s41, s6, s37
	s_add_i32 s40, s42, s40
	s_mul_i32 s43, s5, s37
	s_add_i32 s40, s40, s41
	s_mul_hi_u32 s42, s37, s43
	s_mul_hi_u32 s41, s37, s40
	s_mul_i32 s37, s37, s40
	s_add_u32 s37, s42, s37
	s_addc_u32 s41, 0, s41
	s_mul_hi_u32 s46, s36, s43
	s_mul_i32 s43, s36, s43
	s_add_u32 s37, s37, s43
	s_mul_hi_u32 s42, s36, s40
	s_addc_u32 s37, s41, s46
	s_addc_u32 s41, s42, 0
	s_mul_i32 s40, s36, s40
	s_add_u32 s37, s37, s40
	s_addc_u32 s40, 0, s41
	v_add_co_u32_e32 v4, vcc, s37, v4
	s_cmp_lg_u64 vcc, 0
	s_addc_u32 s36, s36, s40
	v_readfirstlane_b32 s40, v4
	s_mul_i32 s37, s5, s36
	s_mul_hi_u32 s41, s5, s40
	s_add_i32 s37, s41, s37
	s_mul_i32 s6, s6, s40
	s_add_i32 s37, s37, s6
	s_mul_i32 s5, s5, s40
	s_mul_hi_u32 s41, s36, s5
	s_mul_i32 s42, s36, s5
	s_mul_i32 s46, s40, s37
	s_mul_hi_u32 s5, s40, s5
	s_mul_hi_u32 s43, s40, s37
	s_add_u32 s5, s5, s46
	s_addc_u32 s40, 0, s43
	s_add_u32 s5, s5, s42
	s_mul_hi_u32 s6, s36, s37
	s_addc_u32 s5, s40, s41
	s_addc_u32 s6, s6, 0
	s_mul_i32 s37, s36, s37
	s_add_u32 s5, s5, s37
	s_addc_u32 s6, 0, s6
	v_add_co_u32_e32 v4, vcc, s5, v4
	s_cmp_lg_u64 vcc, 0
	s_addc_u32 s5, s36, s6
	v_readfirstlane_b32 s37, v4
	s_mul_i32 s36, s4, s5
	s_mul_hi_u32 s40, s4, s37
	s_mul_hi_u32 s6, s4, s5
	s_add_u32 s36, s40, s36
	s_addc_u32 s6, 0, s6
	s_mul_hi_u32 s41, s7, s37
	s_mul_i32 s37, s7, s37
	s_add_u32 s36, s36, s37
	s_mul_hi_u32 s40, s7, s5
	s_addc_u32 s6, s6, s41
	s_addc_u32 s36, s40, 0
	s_mul_i32 s5, s7, s5
	s_add_u32 s5, s6, s5
	s_addc_u32 s6, 0, s36
	s_mul_hi_u32 s36, s33, s5
	s_mul_i32 s5, s33, s5
	s_mul_i32 s6, s33, s6
	v_mov_b32_e32 v4, s5
	s_add_i32 s36, s36, s6
	v_sub_co_u32_e32 v4, vcc, s4, v4
	s_cmp_lg_u64 vcc, 0
	s_subb_u32 s5, s7, s36
	v_subrev_co_u32_e32 v5, vcc, s33, v4
	s_cmp_lg_u64 vcc, 0
	s_subb_u32 s6, s5, 0
	v_subrev_co_u32_e32 v6, vcc, s33, v5
	s_cmp_lg_u64 vcc, 0
	s_subb_u32 s36, s6, 0
	v_cmp_le_u32_e32 vcc, s33, v5
	s_cmp_eq_u32 s6, 0
	v_cndmask_b32_e64 v7, 0, -1, vcc
	s_cselect_b64 vcc, -1, 0
	v_cndmask_b32_e32 v7, -1, v7, vcc
	v_mov_b32_e32 v8, s6
	v_mov_b32_e32 v9, s36
	v_cmp_ne_u32_e32 vcc, 0, v7
	v_cndmask_b32_e32 v7, v8, v9, vcc
	v_cndmask_b32_e32 v6, v5, v6, vcc
	v_cmp_le_u32_e32 vcc, s33, v4
	s_cmp_eq_u32 s5, 0
	v_cndmask_b32_e64 v5, 0, -1, vcc
	s_cselect_b64 vcc, -1, 0
	v_cndmask_b32_e32 v5, -1, v5, vcc
	v_mov_b32_e32 v8, s5
	v_cmp_ne_u32_e32 vcc, 0, v5
	v_cndmask_b32_e32 v5, v8, v7, vcc
	v_cndmask_b32_e32 v4, v4, v6, vcc
	s_cbranch_execnz .LBB177_352
.LBB177_351:                            ;   in Loop: Header=BB177_31 Depth=1
	v_cvt_f32_u32_e32 v4, s33
	s_sub_i32 s5, 0, s33
	v_rcp_iflag_f32_e32 v4, v4
	v_mul_f32_e32 v4, 0x4f7ffffe, v4
	v_cvt_u32_f32_e32 v4, v4
	v_mul_lo_u32 v5, s5, v4
	v_mul_hi_u32 v5, v4, v5
	v_add_u32_e32 v4, v4, v5
	v_mul_hi_u32 v4, s4, v4
	v_mul_lo_u32 v4, v4, s33
	v_sub_u32_e32 v4, s4, v4
	v_subrev_u32_e32 v5, s33, v4
	v_cmp_le_u32_e32 vcc, s33, v4
	v_cndmask_b32_e32 v4, v4, v5, vcc
	v_subrev_u32_e32 v5, s33, v4
	v_cmp_le_u32_e32 vcc, s33, v4
	v_cndmask_b32_e32 v14, v4, v5, vcc
	v_pk_mov_b32 v[4:5], v[14:15], v[14:15] op_sel:[0,1]
.LBB177_352:                            ;   in Loop: Header=BB177_31 Depth=1
	v_mov_b32_e32 v6, s7
	v_sub_co_u32_e32 v4, vcc, s4, v4
	v_subb_co_u32_e32 v5, vcc, v6, v5, vcc
	v_cmp_gt_u64_e32 vcc, v[4:5], v[0:1]
	s_mov_b64 s[6:7], 0
                                        ; implicit-def: $vgpr53
	s_and_saveexec_b64 s[36:37], vcc
	s_cbranch_execz .LBB177_364
; %bb.353:                              ;   in Loop: Header=BB177_31 Depth=1
	s_mov_b64 s[40:41], 0
	v_mov_b32_e32 v8, v45
	v_pk_mov_b32 v[6:7], v[0:1], v[0:1] op_sel:[0,1]
                                        ; implicit-def: $sgpr42_sgpr43
	s_branch .LBB177_355
.LBB177_354:                            ;   in Loop: Header=BB177_355 Depth=2
	s_or_b64 exec, exec, s[6:7]
	s_waitcnt lgkmcnt(0)
	s_barrier
	ds_read_b32 v9, v15 offset:3072
	v_mov_b32_e32 v14, s92
	v_add_co_u32_e64 v6, s[6:7], s33, v6
	v_addc_co_u32_e64 v7, s[6:7], v7, v14, s[6:7]
	s_waitcnt lgkmcnt(0)
	v_cmp_ne_u16_e32 vcc, 0, v9
	v_cmp_ge_u64_e64 s[6:7], v[6:7], v[4:5]
	s_or_b64 s[4:5], s[6:7], vcc
	s_and_b64 s[4:5], exec, s[4:5]
	s_or_b64 s[40:41], s[4:5], s[40:41]
	s_andn2_b64 s[4:5], s[42:43], exec
	s_and_b64 s[6:7], vcc, exec
	v_add_u32_e32 v8, s10, v8
	s_or_b64 s[42:43], s[4:5], s[6:7]
	s_barrier
	s_andn2_b64 exec, exec, s[40:41]
	s_cbranch_execz .LBB177_363
.LBB177_355:                            ;   Parent Loop BB177_31 Depth=1
                                        ; =>  This Inner Loop Header: Depth=2
	v_cmp_gt_u64_e32 vcc, s[0:1], v[6:7]
	v_mov_b32_e32 v9, 0
	s_and_saveexec_b64 s[6:7], vcc
	s_cbranch_execz .LBB177_357
; %bb.356:                              ;   in Loop: Header=BB177_355 Depth=2
	ds_read_u16 v9, v8
.LBB177_357:                            ;   in Loop: Header=BB177_355 Depth=2
	s_or_b64 exec, exec, s[6:7]
	s_and_saveexec_b64 s[6:7], vcc
	s_cbranch_execz .LBB177_354
; %bb.358:                              ;   in Loop: Header=BB177_355 Depth=2
	s_waitcnt lgkmcnt(0)
	v_add_u32_sdwa v14, sext(v9), s11 dst_sel:DWORD dst_unused:UNUSED_PAD src0_sel:WORD_0 src1_sel:DWORD
	v_and_b32_e32 v14, v14, v51
	v_cmp_eq_u32_e32 vcc, v14, v52
	s_and_b64 exec, exec, vcc
	s_cbranch_execz .LBB177_354
; %bb.359:                              ;   in Loop: Header=BB177_355 Depth=2
	v_perm_b32 v9, v9, 1, v50
	ds_write_b32 v15, v9 offset:3072
	s_branch .LBB177_354
.LBB177_360:                            ;   in Loop: Header=BB177_31 Depth=1
                                        ; implicit-def: $vgpr2_vgpr3
	s_branch .LBB177_307
.LBB177_361:                            ;   in Loop: Header=BB177_31 Depth=1
                                        ; implicit-def: $vgpr2_vgpr3
	s_branch .LBB177_321
.LBB177_362:                            ;   in Loop: Header=BB177_31 Depth=1
	s_mov_b64 s[36:37], -1
	s_mov_b64 s[6:7], 0
                                        ; implicit-def: $sgpr40_sgpr41
                                        ; implicit-def: $vgpr53
	s_mov_b64 s[42:43], s[36:37]
	s_cbranch_execnz .LBB177_365
	s_branch .LBB177_378
.LBB177_363:                            ;   in Loop: Header=BB177_31 Depth=1
	s_or_b64 exec, exec, s[40:41]
	v_lshrrev_b32_e32 v53, 16, v9
	s_and_b64 s[6:7], s[42:43], exec
.LBB177_364:                            ;   in Loop: Header=BB177_31 Depth=1
	s_or_b64 exec, exec, s[36:37]
	s_mov_b64 s[36:37], 0
	s_mov_b64 s[40:41], -1
	s_mov_b64 s[42:43], s[36:37]
	s_branch .LBB177_378
.LBB177_365:                            ;   in Loop: Header=BB177_31 Depth=1
	v_readlane_b32 s40, v56, 31
	v_readlane_b32 s41, v56, 32
	s_mov_b32 s40, s87
	s_cmp_lg_u64 s[40:41], 0
	v_writelane_b32 v56, s40, 31
	v_writelane_b32 v56, s41, 32
	s_cbranch_scc0 .LBB177_407
; %bb.366:                              ;   in Loop: Header=BB177_31 Depth=1
	v_cvt_f32_u32_e32 v4, s33
	s_sub_u32 s0, 0, s33
	s_subb_u32 s1, 0, 0
	v_mac_f32_e32 v4, 0, v49
	v_rcp_f32_e32 v4, v4
	v_mul_f32_e32 v4, 0x5f7ffffc, v4
	v_mul_f32_e32 v5, 0x2f800000, v4
	v_trunc_f32_e32 v5, v5
	v_mac_f32_e32 v4, 0xcf800000, v5
	v_cvt_u32_f32_e32 v5, v5
	v_cvt_u32_f32_e32 v4, v4
	v_readfirstlane_b32 s4, v5
	v_readfirstlane_b32 s5, v4
	s_mul_i32 s6, s0, s4
	s_mul_hi_u32 s36, s0, s5
	s_mul_i32 s7, s1, s5
	s_add_i32 s6, s36, s6
	s_mul_i32 s37, s0, s5
	s_add_i32 s6, s6, s7
	s_mul_hi_u32 s36, s5, s37
	s_mul_hi_u32 s7, s5, s6
	s_mul_i32 s5, s5, s6
	s_add_u32 s5, s36, s5
	s_addc_u32 s7, 0, s7
	s_mul_hi_u32 s40, s4, s37
	s_mul_i32 s37, s4, s37
	s_add_u32 s5, s5, s37
	s_mul_hi_u32 s36, s4, s6
	s_addc_u32 s5, s7, s40
	s_addc_u32 s7, s36, 0
	s_mul_i32 s6, s4, s6
	s_add_u32 s5, s5, s6
	s_addc_u32 s6, 0, s7
	v_add_co_u32_e32 v4, vcc, s5, v4
	s_cmp_lg_u64 vcc, 0
	s_addc_u32 s4, s4, s6
	v_readfirstlane_b32 s6, v4
	s_mul_i32 s5, s0, s4
	s_mul_hi_u32 s7, s0, s6
	s_add_i32 s5, s7, s5
	s_mul_i32 s1, s1, s6
	s_add_i32 s5, s5, s1
	s_mul_i32 s0, s0, s6
	s_mul_hi_u32 s7, s4, s0
	s_mul_i32 s36, s4, s0
	s_mul_i32 s40, s6, s5
	s_mul_hi_u32 s0, s6, s0
	s_mul_hi_u32 s37, s6, s5
	s_add_u32 s0, s0, s40
	s_addc_u32 s6, 0, s37
	s_add_u32 s0, s0, s36
	s_mul_hi_u32 s1, s4, s5
	s_addc_u32 s0, s6, s7
	s_addc_u32 s1, s1, 0
	s_mul_i32 s5, s4, s5
	s_add_u32 s0, s0, s5
	s_addc_u32 s1, 0, s1
	v_add_co_u32_e32 v4, vcc, s0, v4
	s_cmp_lg_u64 vcc, 0
	s_addc_u32 s0, s4, s1
	v_readlane_b32 s36, v56, 29
	v_readfirstlane_b32 s5, v4
	s_mul_i32 s4, s36, s0
	s_mul_hi_u32 s6, s36, s5
	s_mul_hi_u32 s1, s36, s0
	s_add_u32 s4, s6, s4
	s_addc_u32 s1, 0, s1
	s_mul_hi_u32 s7, s41, s5
	s_mul_i32 s5, s41, s5
	s_add_u32 s4, s4, s5
	s_mul_hi_u32 s6, s41, s0
	s_addc_u32 s1, s1, s7
	s_addc_u32 s4, s6, 0
	s_mul_i32 s0, s41, s0
	s_add_u32 s0, s1, s0
	s_addc_u32 s1, 0, s4
	s_mul_hi_u32 s4, s33, s0
	s_mul_i32 s0, s33, s0
	s_mul_i32 s1, s33, s1
	v_mov_b32_e32 v4, s0
	s_add_i32 s4, s4, s1
	v_sub_co_u32_e32 v4, vcc, s36, v4
	s_cmp_lg_u64 vcc, 0
	s_subb_u32 s0, s41, s4
	v_subrev_co_u32_e32 v5, vcc, s33, v4
	s_cmp_lg_u64 vcc, 0
	s_subb_u32 s1, s0, 0
	v_subrev_co_u32_e32 v6, vcc, s33, v5
	s_cmp_lg_u64 vcc, 0
	s_subb_u32 s4, s1, 0
	v_cmp_le_u32_e32 vcc, s33, v5
	s_cmp_eq_u32 s1, 0
	v_cndmask_b32_e64 v7, 0, -1, vcc
	s_cselect_b64 vcc, -1, 0
	v_cndmask_b32_e32 v7, -1, v7, vcc
	v_mov_b32_e32 v8, s1
	v_mov_b32_e32 v9, s4
	v_cmp_ne_u32_e32 vcc, 0, v7
	v_cndmask_b32_e32 v7, v8, v9, vcc
	v_cndmask_b32_e32 v6, v5, v6, vcc
	v_cmp_le_u32_e32 vcc, s33, v4
	s_cmp_eq_u32 s0, 0
	v_cndmask_b32_e64 v5, 0, -1, vcc
	s_cselect_b64 vcc, -1, 0
	v_cndmask_b32_e32 v5, -1, v5, vcc
	v_mov_b32_e32 v8, s0
	v_cmp_ne_u32_e32 vcc, 0, v5
	v_cndmask_b32_e32 v5, v8, v7, vcc
	v_cndmask_b32_e32 v4, v4, v6, vcc
	s_cbranch_execnz .LBB177_368
.LBB177_367:                            ;   in Loop: Header=BB177_31 Depth=1
	v_cvt_f32_u32_e32 v4, s33
	s_sub_i32 s0, 0, s33
	v_rcp_iflag_f32_e32 v4, v4
	v_mul_f32_e32 v4, 0x4f7ffffe, v4
	v_cvt_u32_f32_e32 v4, v4
	v_mul_lo_u32 v5, s0, v4
	v_mul_hi_u32 v5, v4, v5
	v_add_u32_e32 v4, v4, v5
	v_readlane_b32 s0, v56, 29
	v_mul_hi_u32 v4, s0, v4
	v_mul_lo_u32 v4, v4, s33
	v_sub_u32_e32 v4, s0, v4
	v_subrev_u32_e32 v5, s33, v4
	v_cmp_le_u32_e32 vcc, s33, v4
	v_cndmask_b32_e32 v4, v4, v5, vcc
	v_subrev_u32_e32 v5, s33, v4
	v_cmp_le_u32_e32 vcc, s33, v4
	v_cndmask_b32_e32 v14, v4, v5, vcc
	v_pk_mov_b32 v[4:5], v[14:15], v[14:15] op_sel:[0,1]
.LBB177_368:                            ;   in Loop: Header=BB177_31 Depth=1
	v_readlane_b32 s0, v56, 31
	v_readlane_b32 s1, v56, 32
	;; [unrolled: 1-line block ×3, first 2 shown]
	v_mov_b32_e32 v6, s1
	v_sub_co_u32_e32 v4, vcc, s0, v4
	v_subb_co_u32_e32 v5, vcc, v6, v5, vcc
	v_cmp_gt_u64_e32 vcc, v[4:5], v[0:1]
	s_mov_b64 s[6:7], 0
                                        ; implicit-def: $vgpr53
	s_and_saveexec_b64 s[0:1], vcc
	s_cbranch_execz .LBB177_377
; %bb.369:                              ;   in Loop: Header=BB177_31 Depth=1
	s_mov_b64 s[36:37], 0
	v_pk_mov_b32 v[6:7], v[26:27], v[26:27] op_sel:[0,1]
	v_pk_mov_b32 v[8:9], v[0:1], v[0:1] op_sel:[0,1]
                                        ; implicit-def: $sgpr40_sgpr41
	s_branch .LBB177_371
.LBB177_370:                            ;   in Loop: Header=BB177_371 Depth=2
	s_or_b64 exec, exec, s[6:7]
	s_waitcnt lgkmcnt(0)
	s_barrier
	s_waitcnt vmcnt(0)
	ds_read_b32 v14, v15 offset:3072
	v_mov_b32_e32 v28, s92
	v_add_co_u32_e64 v8, s[6:7], s33, v8
	v_addc_co_u32_e64 v9, s[6:7], v9, v28, s[6:7]
	s_waitcnt lgkmcnt(0)
	v_cmp_ne_u16_e32 vcc, 0, v14
	v_cmp_ge_u64_e64 s[6:7], v[8:9], v[4:5]
	s_or_b64 s[4:5], s[6:7], vcc
	v_mov_b32_e32 v28, s65
	v_add_co_u32_e64 v6, s[6:7], s64, v6
	s_and_b64 s[4:5], exec, s[4:5]
	v_addc_co_u32_e64 v7, s[6:7], v7, v28, s[6:7]
	s_or_b64 s[36:37], s[4:5], s[36:37]
	s_andn2_b64 s[4:5], s[40:41], exec
	s_and_b64 s[6:7], vcc, exec
	s_or_b64 s[40:41], s[4:5], s[6:7]
	s_barrier
	s_andn2_b64 exec, exec, s[36:37]
	s_cbranch_execz .LBB177_376
.LBB177_371:                            ;   Parent Loop BB177_31 Depth=1
                                        ; =>  This Inner Loop Header: Depth=2
	v_cmp_gt_u64_e32 vcc, s[60:61], v[8:9]
	v_mov_b32_e32 v14, 0
	s_and_saveexec_b64 s[6:7], vcc
	s_cbranch_execz .LBB177_373
; %bb.372:                              ;   in Loop: Header=BB177_371 Depth=2
	global_load_ushort v14, v[6:7], off
.LBB177_373:                            ;   in Loop: Header=BB177_371 Depth=2
	s_or_b64 exec, exec, s[6:7]
	s_and_saveexec_b64 s[6:7], vcc
	s_cbranch_execz .LBB177_370
; %bb.374:                              ;   in Loop: Header=BB177_371 Depth=2
	s_waitcnt vmcnt(0)
	v_add_u32_sdwa v28, sext(v14), s11 dst_sel:DWORD dst_unused:UNUSED_PAD src0_sel:WORD_0 src1_sel:DWORD
	v_and_b32_e32 v28, v28, v51
	v_cmp_eq_u32_e32 vcc, v28, v52
	s_and_b64 exec, exec, vcc
	s_cbranch_execz .LBB177_370
; %bb.375:                              ;   in Loop: Header=BB177_371 Depth=2
	v_perm_b32 v14, v14, 1, v50
	ds_write_b32 v15, v14 offset:3072
	s_branch .LBB177_370
.LBB177_376:                            ;   in Loop: Header=BB177_31 Depth=1
	s_or_b64 exec, exec, s[36:37]
	v_lshrrev_b32_e32 v53, 16, v14
	s_and_b64 s[6:7], s[40:41], exec
.LBB177_377:                            ;   in Loop: Header=BB177_31 Depth=1
	s_or_b64 exec, exec, s[0:1]
	s_mov_b64 s[40:41], 0
	s_mov_b64 s[36:37], -1
	s_mov_b64 s[42:43], 0
.LBB177_378:                            ;   in Loop: Header=BB177_31 Depth=1
	s_orn2_b64 s[0:1], s[6:7], exec
.LBB177_379:                            ;   in Loop: Header=BB177_31 Depth=1
	s_or_b64 exec, exec, s[44:45]
	s_mov_b64 s[6:7], 0
                                        ; implicit-def: $vgpr6
	s_and_saveexec_b64 s[44:45], s[0:1]
	s_cbranch_execz .LBB177_492
; %bb.380:                              ;   in Loop: Header=BB177_31 Depth=1
	v_mov_b32_e32 v4, 1
	s_xor_b64 s[2:3], s[2:3], -1
	s_mov_b64 s[46:47], 0
	v_mov_b32_e32 v5, 0
	v_mov_b32_e32 v6, 1
	s_and_saveexec_b64 s[0:1], s[2:3]
	s_cbranch_execz .LBB177_390
; %bb.381:                              ;   in Loop: Header=BB177_31 Depth=1
	v_cmp_ge_u64_e32 vcc, s[22:23], v[2:3]
                                        ; implicit-def: $sgpr4
                                        ; implicit-def: $sgpr2_sgpr3
	s_and_saveexec_b64 s[6:7], vcc
	s_xor_b64 s[6:7], exec, s[6:7]
	s_cbranch_execz .LBB177_387
; %bb.382:                              ;   in Loop: Header=BB177_31 Depth=1
	ds_read_b64 v[4:5], v15 offset:5120
	s_waitcnt lgkmcnt(0)
	v_cmp_ne_u64_e32 vcc, 0, v[4:5]
	s_cbranch_vccnz .LBB177_386
; %bb.383:                              ;   in Loop: Header=BB177_31 Depth=1
	s_mov_b64 s[2:3], exec
	v_readlane_b32 s4, v56, 10
	v_readlane_b32 s5, v56, 11
	s_and_b64 s[4:5], s[2:3], s[4:5]
	s_mov_b64 exec, s[4:5]
	s_cbranch_execz .LBB177_385
; %bb.384:                              ;   in Loop: Header=BB177_31 Depth=1
	v_pk_mov_b32 v[4:5], s[22:23], s[22:23] op_sel:[0,1]
	ds_write_b64 v15, v[4:5] offset:5128
.LBB177_385:                            ;   in Loop: Header=BB177_31 Depth=1
	s_or_b64 exec, exec, s[2:3]
	s_waitcnt lgkmcnt(0)
	s_barrier
.LBB177_386:                            ;   in Loop: Header=BB177_31 Depth=1
	v_and_b32_e32 v4, s94, v52
	v_lshl_or_b32 v52, 2, s95, v4
	v_or_b32_e32 v51, s86, v51
	s_mov_b64 s[2:3], 0
	s_mov_b32 s4, 5
.LBB177_387:                            ;   in Loop: Header=BB177_31 Depth=1
	s_or_saveexec_b64 s[6:7], s[6:7]
	v_mov_b32_e32 v6, s4
	s_xor_b64 exec, exec, s[6:7]
; %bb.388:                              ;   in Loop: Header=BB177_31 Depth=1
	v_mov_b32_e32 v4, s23
	v_subrev_co_u32_e32 v2, vcc, s22, v2
	v_subb_co_u32_e32 v3, vcc, v3, v4, vcc
	v_mov_b32_e32 v6, 0
	s_or_b64 s[2:3], s[2:3], exec
; %bb.389:                              ;   in Loop: Header=BB177_31 Depth=1
	s_or_b64 exec, exec, s[6:7]
	s_and_b64 s[46:47], s[2:3], exec
	v_pk_mov_b32 v[4:5], v[2:3], v[2:3] op_sel:[0,1]
.LBB177_390:                            ;   in Loop: Header=BB177_31 Depth=1
	s_or_b64 exec, exec, s[0:1]
	s_mov_b64 s[0:1], -1
                                        ; implicit-def: $sgpr2_sgpr3
                                        ; implicit-def: $sgpr6_sgpr7
                                        ; implicit-def: $sgpr50_sgpr51
	s_and_saveexec_b64 s[22:23], s[46:47]
	s_cbranch_execz .LBB177_491
; %bb.391:                              ;   in Loop: Header=BB177_31 Depth=1
	s_cmp_eq_u64 s[18:19], 1
	s_cselect_b64 s[0:1], -1, 0
	v_cmp_eq_u64_e32 vcc, 1, v[4:5]
	s_and_b64 s[52:53], s[0:1], vcc
	s_mov_b64 s[6:7], -1
                                        ; implicit-def: $sgpr2_sgpr3
                                        ; implicit-def: $sgpr46_sgpr47
                                        ; implicit-def: $sgpr48_sgpr49
	s_and_saveexec_b64 s[50:51], s[52:53]
	s_cbranch_execz .LBB177_425
; %bb.392:                              ;   in Loop: Header=BB177_31 Depth=1
	ds_read_b64 v[2:3], v15 offset:5120
	s_waitcnt lgkmcnt(0)
	s_barrier
	v_readfirstlane_b32 s0, v2
	v_readfirstlane_b32 s1, v3
	s_mov_b64 s[2:3], exec
	v_readlane_b32 s4, v56, 24
	v_readlane_b32 s5, v56, 25
	s_and_b64 s[4:5], s[2:3], s[4:5]
	s_mov_b64 exec, s[4:5]
	s_cbranch_execz .LBB177_394
; %bb.393:                              ;   in Loop: Header=BB177_31 Depth=1
	ds_write_b16 v46, v15
.LBB177_394:                            ;   in Loop: Header=BB177_31 Depth=1
	s_or_b64 exec, exec, s[2:3]
	v_and_b32_e32 v2, s94, v52
	v_lshl_or_b32 v52, 1, s95, v2
	v_or_b32_e32 v51, s86, v51
	s_cmp_eq_u64 s[0:1], 0
	s_waitcnt lgkmcnt(0)
	s_barrier
	s_cbranch_scc1 .LBB177_408
; %bb.395:                              ;   in Loop: Header=BB177_31 Depth=1
	v_readlane_b32 s2, v56, 28
	s_add_u32 s4, s2, s0
	v_readlane_b32 s2, v56, 30
	s_addc_u32 s3, s2, s1
	s_mov_b32 s2, s87
	s_cmp_lg_u64 s[2:3], 0
	s_cbranch_scc0 .LBB177_443
; %bb.396:                              ;   in Loop: Header=BB177_31 Depth=1
	v_cvt_f32_u32_e32 v2, s33
	s_sub_u32 s2, 0, s33
	s_subb_u32 s5, 0, 0
	v_mac_f32_e32 v2, 0, v49
	v_rcp_f32_e32 v2, v2
	v_mul_f32_e32 v2, 0x5f7ffffc, v2
	v_mul_f32_e32 v3, 0x2f800000, v2
	v_trunc_f32_e32 v3, v3
	v_mac_f32_e32 v2, 0xcf800000, v3
	v_cvt_u32_f32_e32 v3, v3
	v_cvt_u32_f32_e32 v2, v2
	v_readfirstlane_b32 s6, v3
	v_readfirstlane_b32 s7, v2
	s_mul_i32 s46, s2, s6
	s_mul_hi_u32 s48, s2, s7
	s_mul_i32 s47, s5, s7
	s_add_i32 s46, s48, s46
	s_mul_i32 s49, s2, s7
	s_add_i32 s46, s46, s47
	s_mul_hi_u32 s48, s7, s49
	s_mul_hi_u32 s47, s7, s46
	s_mul_i32 s7, s7, s46
	s_add_u32 s7, s48, s7
	s_addc_u32 s47, 0, s47
	s_mul_hi_u32 s54, s6, s49
	s_mul_i32 s49, s6, s49
	s_add_u32 s7, s7, s49
	s_mul_hi_u32 s48, s6, s46
	s_addc_u32 s7, s47, s54
	s_addc_u32 s47, s48, 0
	s_mul_i32 s46, s6, s46
	s_add_u32 s7, s7, s46
	s_addc_u32 s46, 0, s47
	v_add_co_u32_e32 v2, vcc, s7, v2
	s_cmp_lg_u64 vcc, 0
	s_addc_u32 s6, s6, s46
	v_readfirstlane_b32 s46, v2
	s_mul_i32 s7, s2, s6
	s_mul_hi_u32 s47, s2, s46
	s_add_i32 s7, s47, s7
	s_mul_i32 s5, s5, s46
	s_add_i32 s7, s7, s5
	s_mul_i32 s2, s2, s46
	s_mul_hi_u32 s47, s6, s2
	s_mul_i32 s48, s6, s2
	s_mul_i32 s54, s46, s7
	s_mul_hi_u32 s2, s46, s2
	s_mul_hi_u32 s49, s46, s7
	s_add_u32 s2, s2, s54
	s_addc_u32 s46, 0, s49
	s_add_u32 s2, s2, s48
	s_mul_hi_u32 s5, s6, s7
	s_addc_u32 s2, s46, s47
	s_addc_u32 s5, s5, 0
	s_mul_i32 s7, s6, s7
	s_add_u32 s2, s2, s7
	s_addc_u32 s5, 0, s5
	v_add_co_u32_e32 v2, vcc, s2, v2
	s_cmp_lg_u64 vcc, 0
	s_addc_u32 s2, s6, s5
	v_readfirstlane_b32 s7, v2
	s_mul_i32 s6, s4, s2
	s_mul_hi_u32 s46, s4, s7
	s_mul_hi_u32 s5, s4, s2
	s_add_u32 s6, s46, s6
	s_addc_u32 s5, 0, s5
	s_mul_hi_u32 s47, s3, s7
	s_mul_i32 s7, s3, s7
	s_add_u32 s6, s6, s7
	s_mul_hi_u32 s46, s3, s2
	s_addc_u32 s5, s5, s47
	s_addc_u32 s6, s46, 0
	s_mul_i32 s2, s3, s2
	s_add_u32 s2, s5, s2
	s_addc_u32 s5, 0, s6
	s_mul_hi_u32 s6, s33, s2
	s_mul_i32 s2, s33, s2
	s_mul_i32 s5, s33, s5
	v_mov_b32_e32 v2, s2
	s_add_i32 s6, s6, s5
	v_sub_co_u32_e32 v2, vcc, s4, v2
	s_cmp_lg_u64 vcc, 0
	s_subb_u32 s2, s3, s6
	v_subrev_co_u32_e32 v3, vcc, s33, v2
	s_cmp_lg_u64 vcc, 0
	s_subb_u32 s5, s2, 0
	v_subrev_co_u32_e32 v6, vcc, s33, v3
	s_cmp_lg_u64 vcc, 0
	s_subb_u32 s6, s5, 0
	v_cmp_le_u32_e32 vcc, s33, v3
	s_cmp_eq_u32 s5, 0
	v_cndmask_b32_e64 v7, 0, -1, vcc
	s_cselect_b64 vcc, -1, 0
	v_cndmask_b32_e32 v7, -1, v7, vcc
	v_mov_b32_e32 v8, s5
	v_mov_b32_e32 v9, s6
	v_cmp_ne_u32_e32 vcc, 0, v7
	v_cndmask_b32_e32 v7, v8, v9, vcc
	v_cndmask_b32_e32 v6, v3, v6, vcc
	v_cmp_le_u32_e32 vcc, s33, v2
	s_cmp_eq_u32 s2, 0
	v_cndmask_b32_e64 v3, 0, -1, vcc
	s_cselect_b64 vcc, -1, 0
	v_cndmask_b32_e32 v3, -1, v3, vcc
	v_mov_b32_e32 v8, s2
	v_cmp_ne_u32_e32 vcc, 0, v3
	v_cndmask_b32_e32 v3, v8, v7, vcc
	v_cndmask_b32_e32 v2, v2, v6, vcc
	s_cbranch_execnz .LBB177_398
.LBB177_397:                            ;   in Loop: Header=BB177_31 Depth=1
	v_cvt_f32_u32_e32 v2, s33
	s_sub_i32 s2, 0, s33
	v_rcp_iflag_f32_e32 v2, v2
	v_mul_f32_e32 v2, 0x4f7ffffe, v2
	v_cvt_u32_f32_e32 v2, v2
	v_mul_lo_u32 v3, s2, v2
	v_mul_hi_u32 v3, v2, v3
	v_add_u32_e32 v2, v2, v3
	v_mul_hi_u32 v2, s4, v2
	v_mul_lo_u32 v2, v2, s33
	v_sub_u32_e32 v2, s4, v2
	v_subrev_u32_e32 v3, s33, v2
	v_cmp_le_u32_e32 vcc, s33, v2
	v_cndmask_b32_e32 v2, v2, v3, vcc
	v_subrev_u32_e32 v3, s33, v2
	v_cmp_le_u32_e32 vcc, s33, v2
	v_cndmask_b32_e32 v14, v2, v3, vcc
	v_pk_mov_b32 v[2:3], v[14:15], v[14:15] op_sel:[0,1]
.LBB177_398:                            ;   in Loop: Header=BB177_31 Depth=1
	v_mov_b32_e32 v6, s3
	v_sub_co_u32_e32 v2, vcc, s4, v2
	v_subb_co_u32_e32 v3, vcc, v6, v3, vcc
	v_cmp_gt_u64_e32 vcc, v[2:3], v[0:1]
	s_mov_b64 s[6:7], 0
                                        ; implicit-def: $vgpr53
	s_and_saveexec_b64 s[2:3], vcc
	s_cbranch_execz .LBB177_410
; %bb.399:                              ;   in Loop: Header=BB177_31 Depth=1
	s_mov_b64 s[46:47], 0
	v_mov_b32_e32 v8, v45
	v_pk_mov_b32 v[6:7], v[0:1], v[0:1] op_sel:[0,1]
                                        ; implicit-def: $sgpr48_sgpr49
	s_branch .LBB177_401
.LBB177_400:                            ;   in Loop: Header=BB177_401 Depth=2
	s_or_b64 exec, exec, s[6:7]
	s_waitcnt lgkmcnt(0)
	s_barrier
	ds_read_b32 v9, v15 offset:3072
	v_mov_b32_e32 v14, s92
	v_add_co_u32_e64 v6, s[6:7], s33, v6
	v_addc_co_u32_e64 v7, s[6:7], v7, v14, s[6:7]
	s_waitcnt lgkmcnt(0)
	v_cmp_ne_u16_e32 vcc, 0, v9
	v_cmp_ge_u64_e64 s[6:7], v[6:7], v[2:3]
	s_or_b64 s[4:5], s[6:7], vcc
	s_and_b64 s[4:5], exec, s[4:5]
	s_or_b64 s[46:47], s[4:5], s[46:47]
	s_andn2_b64 s[4:5], s[48:49], exec
	s_and_b64 s[6:7], vcc, exec
	v_add_u32_e32 v8, s10, v8
	s_or_b64 s[48:49], s[4:5], s[6:7]
	s_barrier
	s_andn2_b64 exec, exec, s[46:47]
	s_cbranch_execz .LBB177_409
.LBB177_401:                            ;   Parent Loop BB177_31 Depth=1
                                        ; =>  This Inner Loop Header: Depth=2
	v_cmp_gt_u64_e32 vcc, s[0:1], v[6:7]
	v_mov_b32_e32 v9, 0
	s_and_saveexec_b64 s[6:7], vcc
	s_cbranch_execz .LBB177_403
; %bb.402:                              ;   in Loop: Header=BB177_401 Depth=2
	ds_read_u16 v9, v8
.LBB177_403:                            ;   in Loop: Header=BB177_401 Depth=2
	s_or_b64 exec, exec, s[6:7]
	s_and_saveexec_b64 s[6:7], vcc
	s_cbranch_execz .LBB177_400
; %bb.404:                              ;   in Loop: Header=BB177_401 Depth=2
	s_waitcnt lgkmcnt(0)
	v_add_u32_sdwa v14, sext(v9), s11 dst_sel:DWORD dst_unused:UNUSED_PAD src0_sel:WORD_0 src1_sel:DWORD
	v_and_b32_e32 v14, v14, v51
	v_cmp_eq_u32_e32 vcc, v14, v52
	s_and_b64 exec, exec, vcc
	s_cbranch_execz .LBB177_400
; %bb.405:                              ;   in Loop: Header=BB177_401 Depth=2
	v_perm_b32 v9, v9, 1, v50
	ds_write_b32 v15, v9 offset:3072
	s_branch .LBB177_400
.LBB177_406:                            ;   in Loop: Header=BB177_31 Depth=1
                                        ; implicit-def: $vgpr4_vgpr5
	s_branch .LBB177_351
.LBB177_407:                            ;   in Loop: Header=BB177_31 Depth=1
                                        ; implicit-def: $vgpr4_vgpr5
	s_branch .LBB177_367
.LBB177_408:                            ;   in Loop: Header=BB177_31 Depth=1
	s_mov_b64 s[2:3], -1
	s_mov_b64 s[6:7], 0
                                        ; implicit-def: $sgpr46_sgpr47
                                        ; implicit-def: $vgpr53
	s_mov_b64 s[48:49], s[2:3]
	s_cbranch_execnz .LBB177_411
	s_branch .LBB177_424
.LBB177_409:                            ;   in Loop: Header=BB177_31 Depth=1
	s_or_b64 exec, exec, s[46:47]
	v_lshrrev_b32_e32 v53, 16, v9
	s_and_b64 s[6:7], s[48:49], exec
.LBB177_410:                            ;   in Loop: Header=BB177_31 Depth=1
	s_or_b64 exec, exec, s[2:3]
	s_mov_b64 s[2:3], 0
	s_mov_b64 s[46:47], -1
	s_mov_b64 s[48:49], s[2:3]
	s_branch .LBB177_424
.LBB177_411:                            ;   in Loop: Header=BB177_31 Depth=1
	v_readlane_b32 s46, v56, 31
	v_readlane_b32 s47, v56, 32
	s_mov_b32 s46, s87
	s_cmp_lg_u64 s[46:47], 0
	v_writelane_b32 v56, s46, 31
	v_writelane_b32 v56, s47, 32
	s_cbranch_scc0 .LBB177_444
; %bb.412:                              ;   in Loop: Header=BB177_31 Depth=1
	v_cvt_f32_u32_e32 v2, s33
	s_sub_u32 s0, 0, s33
	s_subb_u32 s1, 0, 0
	v_mac_f32_e32 v2, 0, v49
	v_rcp_f32_e32 v2, v2
	v_mul_f32_e32 v2, 0x5f7ffffc, v2
	v_mul_f32_e32 v3, 0x2f800000, v2
	v_trunc_f32_e32 v3, v3
	v_mac_f32_e32 v2, 0xcf800000, v3
	v_cvt_u32_f32_e32 v3, v3
	v_cvt_u32_f32_e32 v2, v2
	v_readfirstlane_b32 s2, v3
	v_readfirstlane_b32 s3, v2
	s_mul_i32 s4, s0, s2
	s_mul_hi_u32 s6, s0, s3
	s_mul_i32 s5, s1, s3
	s_add_i32 s4, s6, s4
	s_mul_i32 s7, s0, s3
	s_add_i32 s4, s4, s5
	s_mul_hi_u32 s6, s3, s7
	s_mul_hi_u32 s5, s3, s4
	s_mul_i32 s3, s3, s4
	s_add_u32 s3, s6, s3
	s_addc_u32 s5, 0, s5
	s_mul_hi_u32 s46, s2, s7
	s_mul_i32 s7, s2, s7
	s_add_u32 s3, s3, s7
	s_mul_hi_u32 s6, s2, s4
	s_addc_u32 s3, s5, s46
	s_addc_u32 s5, s6, 0
	s_mul_i32 s4, s2, s4
	s_add_u32 s3, s3, s4
	s_addc_u32 s4, 0, s5
	v_add_co_u32_e32 v2, vcc, s3, v2
	s_cmp_lg_u64 vcc, 0
	s_addc_u32 s2, s2, s4
	v_readfirstlane_b32 s4, v2
	s_mul_i32 s3, s0, s2
	s_mul_hi_u32 s5, s0, s4
	s_add_i32 s3, s5, s3
	s_mul_i32 s1, s1, s4
	s_add_i32 s3, s3, s1
	s_mul_i32 s0, s0, s4
	s_mul_hi_u32 s5, s2, s0
	s_mul_i32 s6, s2, s0
	s_mul_i32 s46, s4, s3
	s_mul_hi_u32 s0, s4, s0
	s_mul_hi_u32 s7, s4, s3
	s_add_u32 s0, s0, s46
	s_addc_u32 s4, 0, s7
	s_add_u32 s0, s0, s6
	s_mul_hi_u32 s1, s2, s3
	s_addc_u32 s0, s4, s5
	s_addc_u32 s1, s1, 0
	s_mul_i32 s3, s2, s3
	s_add_u32 s0, s0, s3
	s_addc_u32 s1, 0, s1
	v_add_co_u32_e32 v2, vcc, s0, v2
	s_cmp_lg_u64 vcc, 0
	s_addc_u32 s0, s2, s1
	v_readlane_b32 s6, v56, 29
	v_readfirstlane_b32 s3, v2
	s_mul_i32 s2, s6, s0
	s_mul_hi_u32 s4, s6, s3
	s_mul_hi_u32 s1, s6, s0
	s_add_u32 s2, s4, s2
	s_addc_u32 s1, 0, s1
	s_mul_hi_u32 s5, s47, s3
	s_mul_i32 s3, s47, s3
	s_add_u32 s2, s2, s3
	s_mul_hi_u32 s4, s47, s0
	s_addc_u32 s1, s1, s5
	s_addc_u32 s2, s4, 0
	s_mul_i32 s0, s47, s0
	s_add_u32 s0, s1, s0
	s_addc_u32 s1, 0, s2
	s_mul_hi_u32 s2, s33, s0
	s_mul_i32 s0, s33, s0
	s_mul_i32 s1, s33, s1
	v_mov_b32_e32 v2, s0
	s_add_i32 s2, s2, s1
	v_sub_co_u32_e32 v2, vcc, s6, v2
	s_cmp_lg_u64 vcc, 0
	s_subb_u32 s0, s47, s2
	v_subrev_co_u32_e32 v3, vcc, s33, v2
	s_cmp_lg_u64 vcc, 0
	s_subb_u32 s1, s0, 0
	v_subrev_co_u32_e32 v6, vcc, s33, v3
	s_cmp_lg_u64 vcc, 0
	s_subb_u32 s2, s1, 0
	v_cmp_le_u32_e32 vcc, s33, v3
	s_cmp_eq_u32 s1, 0
	v_cndmask_b32_e64 v7, 0, -1, vcc
	s_cselect_b64 vcc, -1, 0
	v_cndmask_b32_e32 v7, -1, v7, vcc
	v_mov_b32_e32 v8, s1
	v_mov_b32_e32 v9, s2
	v_cmp_ne_u32_e32 vcc, 0, v7
	v_cndmask_b32_e32 v7, v8, v9, vcc
	v_cndmask_b32_e32 v6, v3, v6, vcc
	v_cmp_le_u32_e32 vcc, s33, v2
	s_cmp_eq_u32 s0, 0
	v_cndmask_b32_e64 v3, 0, -1, vcc
	s_cselect_b64 vcc, -1, 0
	v_cndmask_b32_e32 v3, -1, v3, vcc
	v_mov_b32_e32 v8, s0
	v_cmp_ne_u32_e32 vcc, 0, v3
	v_cndmask_b32_e32 v3, v8, v7, vcc
	v_cndmask_b32_e32 v2, v2, v6, vcc
	s_cbranch_execnz .LBB177_414
.LBB177_413:                            ;   in Loop: Header=BB177_31 Depth=1
	v_cvt_f32_u32_e32 v2, s33
	s_sub_i32 s0, 0, s33
	v_rcp_iflag_f32_e32 v2, v2
	v_mul_f32_e32 v2, 0x4f7ffffe, v2
	v_cvt_u32_f32_e32 v2, v2
	v_mul_lo_u32 v3, s0, v2
	v_mul_hi_u32 v3, v2, v3
	v_add_u32_e32 v2, v2, v3
	v_readlane_b32 s0, v56, 29
	v_mul_hi_u32 v2, s0, v2
	v_mul_lo_u32 v2, v2, s33
	v_sub_u32_e32 v2, s0, v2
	v_subrev_u32_e32 v3, s33, v2
	v_cmp_le_u32_e32 vcc, s33, v2
	v_cndmask_b32_e32 v2, v2, v3, vcc
	v_subrev_u32_e32 v3, s33, v2
	v_cmp_le_u32_e32 vcc, s33, v2
	v_cndmask_b32_e32 v14, v2, v3, vcc
	v_pk_mov_b32 v[2:3], v[14:15], v[14:15] op_sel:[0,1]
.LBB177_414:                            ;   in Loop: Header=BB177_31 Depth=1
	v_readlane_b32 s0, v56, 31
	v_readlane_b32 s1, v56, 32
	;; [unrolled: 1-line block ×3, first 2 shown]
	v_mov_b32_e32 v6, s1
	v_sub_co_u32_e32 v2, vcc, s0, v2
	v_subb_co_u32_e32 v3, vcc, v6, v3, vcc
	v_cmp_gt_u64_e32 vcc, v[2:3], v[0:1]
	s_mov_b64 s[6:7], 0
                                        ; implicit-def: $vgpr53
	s_and_saveexec_b64 s[0:1], vcc
	s_cbranch_execz .LBB177_423
; %bb.415:                              ;   in Loop: Header=BB177_31 Depth=1
	s_mov_b64 s[2:3], 0
	v_pk_mov_b32 v[6:7], v[26:27], v[26:27] op_sel:[0,1]
	v_pk_mov_b32 v[8:9], v[0:1], v[0:1] op_sel:[0,1]
                                        ; implicit-def: $sgpr46_sgpr47
	s_branch .LBB177_417
.LBB177_416:                            ;   in Loop: Header=BB177_417 Depth=2
	s_or_b64 exec, exec, s[6:7]
	s_waitcnt lgkmcnt(0)
	s_barrier
	s_waitcnt vmcnt(0)
	ds_read_b32 v14, v15 offset:3072
	v_mov_b32_e32 v28, s92
	v_add_co_u32_e64 v8, s[6:7], s33, v8
	v_addc_co_u32_e64 v9, s[6:7], v9, v28, s[6:7]
	s_waitcnt lgkmcnt(0)
	v_cmp_ne_u16_e32 vcc, 0, v14
	v_cmp_ge_u64_e64 s[6:7], v[8:9], v[2:3]
	s_or_b64 s[4:5], s[6:7], vcc
	v_mov_b32_e32 v28, s65
	v_add_co_u32_e64 v6, s[6:7], s64, v6
	s_and_b64 s[4:5], exec, s[4:5]
	v_addc_co_u32_e64 v7, s[6:7], v7, v28, s[6:7]
	s_or_b64 s[2:3], s[4:5], s[2:3]
	s_andn2_b64 s[4:5], s[46:47], exec
	s_and_b64 s[6:7], vcc, exec
	s_or_b64 s[46:47], s[4:5], s[6:7]
	s_barrier
	s_andn2_b64 exec, exec, s[2:3]
	s_cbranch_execz .LBB177_422
.LBB177_417:                            ;   Parent Loop BB177_31 Depth=1
                                        ; =>  This Inner Loop Header: Depth=2
	v_cmp_gt_u64_e32 vcc, s[60:61], v[8:9]
	v_mov_b32_e32 v14, 0
	s_and_saveexec_b64 s[6:7], vcc
	s_cbranch_execz .LBB177_419
; %bb.418:                              ;   in Loop: Header=BB177_417 Depth=2
	global_load_ushort v14, v[6:7], off
.LBB177_419:                            ;   in Loop: Header=BB177_417 Depth=2
	s_or_b64 exec, exec, s[6:7]
	s_and_saveexec_b64 s[6:7], vcc
	s_cbranch_execz .LBB177_416
; %bb.420:                              ;   in Loop: Header=BB177_417 Depth=2
	s_waitcnt vmcnt(0)
	v_add_u32_sdwa v28, sext(v14), s11 dst_sel:DWORD dst_unused:UNUSED_PAD src0_sel:WORD_0 src1_sel:DWORD
	v_and_b32_e32 v28, v28, v51
	v_cmp_eq_u32_e32 vcc, v28, v52
	s_and_b64 exec, exec, vcc
	s_cbranch_execz .LBB177_416
; %bb.421:                              ;   in Loop: Header=BB177_417 Depth=2
	v_perm_b32 v14, v14, 1, v50
	ds_write_b32 v15, v14 offset:3072
	s_branch .LBB177_416
.LBB177_422:                            ;   in Loop: Header=BB177_31 Depth=1
	s_or_b64 exec, exec, s[2:3]
	v_lshrrev_b32_e32 v53, 16, v14
	s_and_b64 s[6:7], s[46:47], exec
.LBB177_423:                            ;   in Loop: Header=BB177_31 Depth=1
	s_or_b64 exec, exec, s[0:1]
	s_mov_b64 s[46:47], 0
	s_mov_b64 s[2:3], -1
	s_mov_b64 s[48:49], 0
.LBB177_424:                            ;   in Loop: Header=BB177_31 Depth=1
	s_orn2_b64 s[6:7], s[6:7], exec
.LBB177_425:                            ;   in Loop: Header=BB177_31 Depth=1
	s_or_b64 exec, exec, s[50:51]
	s_mov_b64 s[0:1], 0
                                        ; implicit-def: $vgpr6
	s_and_saveexec_b64 s[50:51], s[6:7]
	s_cbranch_execz .LBB177_490
; %bb.426:                              ;   in Loop: Header=BB177_31 Depth=1
	v_mov_b32_e32 v2, 1
	s_xor_b64 s[4:5], s[52:53], -1
	s_mov_b64 s[54:55], 0
	v_mov_b32_e32 v3, 0
	v_mov_b32_e32 v6, 1
	s_and_saveexec_b64 s[0:1], s[4:5]
	s_cbranch_execz .LBB177_436
; %bb.427:                              ;   in Loop: Header=BB177_31 Depth=1
	v_cmp_ge_u64_e32 vcc, s[18:19], v[4:5]
                                        ; implicit-def: $sgpr4
                                        ; implicit-def: $sgpr6_sgpr7
	s_and_saveexec_b64 s[52:53], vcc
	s_xor_b64 s[52:53], exec, s[52:53]
	s_cbranch_execz .LBB177_433
; %bb.428:                              ;   in Loop: Header=BB177_31 Depth=1
	ds_read_b64 v[2:3], v15 offset:5120
	s_waitcnt lgkmcnt(0)
	v_cmp_ne_u64_e32 vcc, 0, v[2:3]
	s_cbranch_vccnz .LBB177_432
; %bb.429:                              ;   in Loop: Header=BB177_31 Depth=1
	s_mov_b64 s[6:7], exec
	v_readlane_b32 s4, v56, 10
	v_readlane_b32 s5, v56, 11
	s_and_b64 s[4:5], s[6:7], s[4:5]
	s_mov_b64 exec, s[4:5]
	s_cbranch_execz .LBB177_431
; %bb.430:                              ;   in Loop: Header=BB177_31 Depth=1
	v_pk_mov_b32 v[2:3], s[18:19], s[18:19] op_sel:[0,1]
	ds_write_b64 v15, v[2:3] offset:5128
.LBB177_431:                            ;   in Loop: Header=BB177_31 Depth=1
	s_or_b64 exec, exec, s[6:7]
	s_waitcnt lgkmcnt(0)
	s_barrier
.LBB177_432:                            ;   in Loop: Header=BB177_31 Depth=1
	v_and_b32_e32 v2, s94, v52
	v_lshl_or_b32 v52, 1, s95, v2
	v_or_b32_e32 v51, s86, v51
	s_mov_b64 s[6:7], 0
	s_mov_b32 s4, 5
.LBB177_433:                            ;   in Loop: Header=BB177_31 Depth=1
	s_or_saveexec_b64 s[52:53], s[52:53]
	v_mov_b32_e32 v6, s4
	s_xor_b64 exec, exec, s[52:53]
; %bb.434:                              ;   in Loop: Header=BB177_31 Depth=1
	v_mov_b32_e32 v2, s19
	v_subrev_co_u32_e32 v4, vcc, s18, v4
	v_subb_co_u32_e32 v5, vcc, v5, v2, vcc
	v_mov_b32_e32 v6, 0
	s_or_b64 s[6:7], s[6:7], exec
; %bb.435:                              ;   in Loop: Header=BB177_31 Depth=1
	s_or_b64 exec, exec, s[52:53]
	s_and_b64 s[54:55], s[6:7], exec
	v_pk_mov_b32 v[2:3], v[4:5], v[4:5] op_sel:[0,1]
.LBB177_436:                            ;   in Loop: Header=BB177_31 Depth=1
	s_or_b64 exec, exec, s[0:1]
	s_mov_b64 s[52:53], -1
                                        ; implicit-def: $sgpr0_sgpr1
                                        ; implicit-def: $sgpr6_sgpr7
                                        ; implicit-def: $sgpr66_sgpr67
	s_and_saveexec_b64 s[18:19], s[54:55]
	s_cbranch_execz .LBB177_489
; %bb.437:                              ;   in Loop: Header=BB177_31 Depth=1
	s_cmp_eq_u64 s[16:17], 1
	s_cselect_b64 s[0:1], -1, 0
	v_cmp_eq_u64_e32 vcc, 1, v[2:3]
	s_and_b64 s[52:53], s[0:1], vcc
	s_mov_b64 s[80:81], -1
                                        ; implicit-def: $sgpr0_sgpr1
                                        ; implicit-def: $sgpr6_sgpr7
                                        ; implicit-def: $sgpr66_sgpr67
	s_and_saveexec_b64 s[54:55], s[52:53]
	s_cbranch_execz .LBB177_476
; %bb.438:                              ;   in Loop: Header=BB177_31 Depth=1
	ds_read_b64 v[4:5], v15 offset:5120
	s_waitcnt lgkmcnt(0)
	s_barrier
	v_readfirstlane_b32 s0, v4
	v_readfirstlane_b32 s1, v5
	s_mov_b64 s[6:7], exec
	v_readlane_b32 s4, v56, 24
	v_readlane_b32 s5, v56, 25
	s_and_b64 s[4:5], s[6:7], s[4:5]
	s_mov_b64 exec, s[4:5]
	s_cbranch_execz .LBB177_440
; %bb.439:                              ;   in Loop: Header=BB177_31 Depth=1
	ds_write_b16 v46, v15
.LBB177_440:                            ;   in Loop: Header=BB177_31 Depth=1
	s_or_b64 exec, exec, s[6:7]
	v_and_b32_e32 v52, s94, v52
	v_or_b32_e32 v51, s86, v51
	s_cmp_eq_u64 s[0:1], 0
	s_waitcnt lgkmcnt(0)
	s_barrier
	s_cbranch_scc1 .LBB177_445
; %bb.441:                              ;   in Loop: Header=BB177_31 Depth=1
	v_readlane_b32 s4, v56, 28
	s_add_u32 s4, s4, s0
	v_readlane_b32 s5, v56, 30
	s_addc_u32 s7, s5, s1
	s_mov_b32 s6, s87
	s_mov_b64 s[82:83], s[68:69]
	s_cmp_lg_u64 s[6:7], 0
	s_cbranch_scc0 .LBB177_446
; %bb.442:                              ;   in Loop: Header=BB177_31 Depth=1
	v_cvt_f32_u32_e32 v4, s33
	s_sub_u32 s5, 0, s33
	s_subb_u32 s6, 0, 0
	v_mac_f32_e32 v4, 0, v49
	v_rcp_f32_e32 v4, v4
	v_mul_f32_e32 v4, 0x5f7ffffc, v4
	v_mul_f32_e32 v5, 0x2f800000, v4
	v_trunc_f32_e32 v5, v5
	v_mac_f32_e32 v4, 0xcf800000, v5
	v_cvt_u32_f32_e32 v5, v5
	v_cvt_u32_f32_e32 v4, v4
	v_readfirstlane_b32 s66, v5
	v_readfirstlane_b32 s67, v4
	s_mul_i32 s68, s5, s66
	s_mul_hi_u32 s80, s5, s67
	s_mul_i32 s69, s6, s67
	s_add_i32 s68, s80, s68
	s_mul_i32 s81, s5, s67
	s_add_i32 s68, s68, s69
	s_mul_hi_u32 s80, s67, s81
	s_mul_hi_u32 s69, s67, s68
	s_mul_i32 s67, s67, s68
	s_add_u32 s67, s80, s67
	s_addc_u32 s69, 0, s69
	s_mul_hi_u32 s88, s66, s81
	s_mul_i32 s81, s66, s81
	s_add_u32 s67, s67, s81
	s_mul_hi_u32 s80, s66, s68
	s_addc_u32 s67, s69, s88
	s_addc_u32 s69, s80, 0
	s_mul_i32 s68, s66, s68
	s_add_u32 s67, s67, s68
	s_addc_u32 s68, 0, s69
	v_add_co_u32_e32 v4, vcc, s67, v4
	s_cmp_lg_u64 vcc, 0
	s_addc_u32 s66, s66, s68
	v_readfirstlane_b32 s68, v4
	s_mul_i32 s67, s5, s66
	s_mul_hi_u32 s69, s5, s68
	s_add_i32 s67, s69, s67
	s_mul_i32 s6, s6, s68
	s_add_i32 s67, s67, s6
	s_mul_i32 s5, s5, s68
	s_mul_hi_u32 s69, s66, s5
	s_mul_i32 s80, s66, s5
	s_mul_i32 s88, s68, s67
	s_mul_hi_u32 s5, s68, s5
	s_mul_hi_u32 s81, s68, s67
	s_add_u32 s5, s5, s88
	s_addc_u32 s68, 0, s81
	s_add_u32 s5, s5, s80
	s_mul_hi_u32 s6, s66, s67
	s_addc_u32 s5, s68, s69
	s_addc_u32 s6, s6, 0
	s_mul_i32 s67, s66, s67
	s_add_u32 s5, s5, s67
	s_addc_u32 s6, 0, s6
	v_add_co_u32_e32 v4, vcc, s5, v4
	s_cmp_lg_u64 vcc, 0
	s_addc_u32 s5, s66, s6
	v_readfirstlane_b32 s67, v4
	s_mul_i32 s66, s4, s5
	s_mul_hi_u32 s68, s4, s67
	s_mul_hi_u32 s6, s4, s5
	s_add_u32 s66, s68, s66
	s_addc_u32 s6, 0, s6
	s_mul_hi_u32 s69, s7, s67
	s_mul_i32 s67, s7, s67
	s_add_u32 s66, s66, s67
	s_mul_hi_u32 s68, s7, s5
	s_addc_u32 s6, s6, s69
	s_addc_u32 s66, s68, 0
	s_mul_i32 s5, s7, s5
	s_add_u32 s5, s6, s5
	s_addc_u32 s6, 0, s66
	s_mul_hi_u32 s66, s33, s5
	s_mul_i32 s5, s33, s5
	s_mul_i32 s6, s33, s6
	v_mov_b32_e32 v4, s5
	s_add_i32 s66, s66, s6
	v_sub_co_u32_e32 v4, vcc, s4, v4
	s_cmp_lg_u64 vcc, 0
	s_subb_u32 s5, s7, s66
	v_subrev_co_u32_e32 v5, vcc, s33, v4
	s_cmp_lg_u64 vcc, 0
	s_subb_u32 s6, s5, 0
	v_subrev_co_u32_e32 v6, vcc, s33, v5
	s_cmp_lg_u64 vcc, 0
	s_subb_u32 s66, s6, 0
	v_cmp_le_u32_e32 vcc, s33, v5
	s_cmp_eq_u32 s6, 0
	v_cndmask_b32_e64 v7, 0, -1, vcc
	s_cselect_b64 vcc, -1, 0
	v_cndmask_b32_e32 v7, -1, v7, vcc
	v_mov_b32_e32 v8, s6
	v_mov_b32_e32 v9, s66
	v_cmp_ne_u32_e32 vcc, 0, v7
	v_cndmask_b32_e32 v7, v8, v9, vcc
	v_cndmask_b32_e32 v6, v5, v6, vcc
	v_cmp_le_u32_e32 vcc, s33, v4
	s_cmp_eq_u32 s5, 0
	v_cndmask_b32_e64 v5, 0, -1, vcc
	s_cselect_b64 vcc, -1, 0
	v_cndmask_b32_e32 v5, -1, v5, vcc
	v_mov_b32_e32 v8, s5
	v_cmp_ne_u32_e32 vcc, 0, v5
	v_cndmask_b32_e32 v5, v8, v7, vcc
	v_cndmask_b32_e32 v4, v4, v6, vcc
	s_mov_b64 s[66:67], 0
	s_branch .LBB177_447
.LBB177_443:                            ;   in Loop: Header=BB177_31 Depth=1
                                        ; implicit-def: $vgpr2_vgpr3
	s_andn2_b64 vcc, exec, s[6:7]
	s_cbranch_vccz .LBB177_397
	s_branch .LBB177_398
.LBB177_444:                            ;   in Loop: Header=BB177_31 Depth=1
                                        ; implicit-def: $vgpr2_vgpr3
	s_branch .LBB177_413
.LBB177_445:                            ;   in Loop: Header=BB177_31 Depth=1
	s_mov_b64 s[0:1], -1
	s_mov_b64 s[80:81], 0
                                        ; implicit-def: $sgpr6_sgpr7
                                        ; implicit-def: $vgpr53
	s_branch .LBB177_459
.LBB177_446:                            ;   in Loop: Header=BB177_31 Depth=1
	s_mov_b64 s[66:67], -1
                                        ; implicit-def: $vgpr4_vgpr5
.LBB177_447:                            ;   in Loop: Header=BB177_31 Depth=1
	s_andn2_b64 vcc, exec, s[66:67]
	s_cbranch_vccnz .LBB177_449
; %bb.448:                              ;   in Loop: Header=BB177_31 Depth=1
	v_cvt_f32_u32_e32 v4, s33
	s_sub_i32 s5, 0, s33
	v_rcp_iflag_f32_e32 v4, v4
	v_mul_f32_e32 v4, 0x4f7ffffe, v4
	v_cvt_u32_f32_e32 v4, v4
	v_mul_lo_u32 v5, s5, v4
	v_mul_hi_u32 v5, v4, v5
	v_add_u32_e32 v4, v4, v5
	v_mul_hi_u32 v4, s4, v4
	v_mul_lo_u32 v4, v4, s33
	v_sub_u32_e32 v4, s4, v4
	v_subrev_u32_e32 v5, s33, v4
	v_cmp_le_u32_e32 vcc, s33, v4
	v_cndmask_b32_e32 v4, v4, v5, vcc
	v_subrev_u32_e32 v5, s33, v4
	v_cmp_le_u32_e32 vcc, s33, v4
	v_cndmask_b32_e32 v14, v4, v5, vcc
	v_pk_mov_b32 v[4:5], v[14:15], v[14:15] op_sel:[0,1]
.LBB177_449:                            ;   in Loop: Header=BB177_31 Depth=1
	v_mov_b32_e32 v6, s7
	v_sub_co_u32_e32 v4, vcc, s4, v4
	v_subb_co_u32_e32 v5, vcc, v6, v5, vcc
	v_cmp_gt_u64_e32 vcc, v[4:5], v[0:1]
	s_mov_b64 s[80:81], 0
                                        ; implicit-def: $vgpr53
	s_and_saveexec_b64 s[66:67], vcc
	s_mov_b64 s[68:69], s[82:83]
	s_cbranch_execz .LBB177_458
; %bb.450:                              ;   in Loop: Header=BB177_31 Depth=1
	v_mov_b32_e32 v8, v45
	v_pk_mov_b32 v[6:7], v[0:1], v[0:1] op_sel:[0,1]
                                        ; implicit-def: $sgpr88_sgpr89
	s_branch .LBB177_452
.LBB177_451:                            ;   in Loop: Header=BB177_452 Depth=2
	s_or_b64 exec, exec, s[6:7]
	s_waitcnt lgkmcnt(0)
	s_barrier
	ds_read_b32 v9, v15 offset:3072
	v_mov_b32_e32 v14, s92
	v_add_co_u32_e64 v6, s[6:7], s33, v6
	v_addc_co_u32_e64 v7, s[6:7], v7, v14, s[6:7]
	s_waitcnt lgkmcnt(0)
	v_cmp_ne_u16_e32 vcc, 0, v9
	v_cmp_ge_u64_e64 s[6:7], v[6:7], v[4:5]
	s_or_b64 s[4:5], s[6:7], vcc
	s_and_b64 s[4:5], exec, s[4:5]
	s_or_b64 s[80:81], s[4:5], s[80:81]
	s_andn2_b64 s[4:5], s[88:89], exec
	s_and_b64 s[6:7], vcc, exec
	v_add_u32_e32 v8, s10, v8
	s_or_b64 s[88:89], s[4:5], s[6:7]
	s_barrier
	s_andn2_b64 exec, exec, s[80:81]
	s_cbranch_execz .LBB177_457
.LBB177_452:                            ;   Parent Loop BB177_31 Depth=1
                                        ; =>  This Inner Loop Header: Depth=2
	v_cmp_gt_u64_e32 vcc, s[0:1], v[6:7]
	v_mov_b32_e32 v9, 0
	s_and_saveexec_b64 s[6:7], vcc
	s_cbranch_execz .LBB177_454
; %bb.453:                              ;   in Loop: Header=BB177_452 Depth=2
	ds_read_u16 v9, v8
.LBB177_454:                            ;   in Loop: Header=BB177_452 Depth=2
	s_or_b64 exec, exec, s[6:7]
	s_and_saveexec_b64 s[6:7], vcc
	s_cbranch_execz .LBB177_451
; %bb.455:                              ;   in Loop: Header=BB177_452 Depth=2
	s_waitcnt lgkmcnt(0)
	v_add_u32_sdwa v14, sext(v9), s11 dst_sel:DWORD dst_unused:UNUSED_PAD src0_sel:WORD_0 src1_sel:DWORD
	v_and_b32_e32 v14, v14, v51
	v_cmp_eq_u32_e32 vcc, v14, v52
	s_and_b64 exec, exec, vcc
	s_cbranch_execz .LBB177_451
; %bb.456:                              ;   in Loop: Header=BB177_452 Depth=2
	v_perm_b32 v9, v9, 1, v50
	ds_write_b32 v15, v9 offset:3072
	s_branch .LBB177_451
.LBB177_457:                            ;   in Loop: Header=BB177_31 Depth=1
	s_or_b64 exec, exec, s[80:81]
	v_lshrrev_b32_e32 v53, 16, v9
	s_and_b64 s[80:81], s[88:89], exec
.LBB177_458:                            ;   in Loop: Header=BB177_31 Depth=1
	s_or_b64 exec, exec, s[66:67]
	s_mov_b64 s[0:1], 0
	s_mov_b64 s[6:7], -1
.LBB177_459:                            ;   in Loop: Header=BB177_31 Depth=1
	s_and_b64 vcc, exec, s[0:1]
	s_mov_b64 s[66:67], s[0:1]
	s_cbranch_vccz .LBB177_475
; %bb.460:                              ;   in Loop: Header=BB177_31 Depth=1
	s_mov_b64 s[82:83], s[68:69]
	v_readlane_b32 s68, v56, 31
	v_readlane_b32 s69, v56, 32
	s_mov_b32 s68, s87
	s_cmp_lg_u64 s[68:69], 0
	v_writelane_b32 v56, s68, 31
	v_writelane_b32 v56, s69, 32
	s_cbranch_scc0 .LBB177_462
; %bb.461:                              ;   in Loop: Header=BB177_31 Depth=1
	v_cvt_f32_u32_e32 v4, s33
	s_sub_u32 s0, 0, s33
	s_subb_u32 s1, 0, 0
	v_mac_f32_e32 v4, 0, v49
	v_rcp_f32_e32 v4, v4
	v_mul_f32_e32 v4, 0x5f7ffffc, v4
	v_mul_f32_e32 v5, 0x2f800000, v4
	v_trunc_f32_e32 v5, v5
	v_mac_f32_e32 v4, 0xcf800000, v5
	v_cvt_u32_f32_e32 v5, v5
	v_cvt_u32_f32_e32 v4, v4
	v_readfirstlane_b32 s4, v5
	v_readfirstlane_b32 s5, v4
	s_mul_i32 s6, s0, s4
	s_mul_hi_u32 s66, s0, s5
	s_mul_i32 s7, s1, s5
	s_add_i32 s6, s66, s6
	s_mul_i32 s67, s0, s5
	s_add_i32 s6, s6, s7
	s_mul_hi_u32 s66, s5, s67
	s_mul_hi_u32 s7, s5, s6
	s_mul_i32 s5, s5, s6
	s_add_u32 s5, s66, s5
	s_addc_u32 s7, 0, s7
	s_mul_hi_u32 s68, s4, s67
	s_mul_i32 s67, s4, s67
	s_add_u32 s5, s5, s67
	s_mul_hi_u32 s66, s4, s6
	s_addc_u32 s5, s7, s68
	s_addc_u32 s7, s66, 0
	s_mul_i32 s6, s4, s6
	s_add_u32 s5, s5, s6
	s_addc_u32 s6, 0, s7
	v_add_co_u32_e32 v4, vcc, s5, v4
	s_cmp_lg_u64 vcc, 0
	s_addc_u32 s4, s4, s6
	v_readfirstlane_b32 s6, v4
	s_mul_i32 s5, s0, s4
	s_mul_hi_u32 s7, s0, s6
	s_add_i32 s5, s7, s5
	s_mul_i32 s1, s1, s6
	s_add_i32 s5, s5, s1
	s_mul_i32 s0, s0, s6
	s_mul_hi_u32 s7, s4, s0
	s_mul_i32 s66, s4, s0
	s_mul_i32 s68, s6, s5
	s_mul_hi_u32 s0, s6, s0
	s_mul_hi_u32 s67, s6, s5
	s_add_u32 s0, s0, s68
	s_addc_u32 s6, 0, s67
	s_add_u32 s0, s0, s66
	s_mul_hi_u32 s1, s4, s5
	s_addc_u32 s0, s6, s7
	s_addc_u32 s1, s1, 0
	s_mul_i32 s5, s4, s5
	s_add_u32 s0, s0, s5
	s_addc_u32 s1, 0, s1
	v_add_co_u32_e32 v4, vcc, s0, v4
	s_cmp_lg_u64 vcc, 0
	s_addc_u32 s0, s4, s1
	v_readlane_b32 s66, v56, 29
	v_readfirstlane_b32 s5, v4
	s_mul_i32 s4, s66, s0
	s_mul_hi_u32 s6, s66, s5
	s_mul_hi_u32 s1, s66, s0
	s_add_u32 s4, s6, s4
	s_addc_u32 s1, 0, s1
	s_mul_hi_u32 s7, s69, s5
	s_mul_i32 s5, s69, s5
	s_add_u32 s4, s4, s5
	s_mul_hi_u32 s6, s69, s0
	s_addc_u32 s1, s1, s7
	s_addc_u32 s4, s6, 0
	s_mul_i32 s0, s69, s0
	s_add_u32 s0, s1, s0
	s_addc_u32 s1, 0, s4
	s_mul_hi_u32 s4, s33, s0
	s_mul_i32 s0, s33, s0
	s_mul_i32 s1, s33, s1
	v_mov_b32_e32 v4, s0
	s_add_i32 s4, s4, s1
	v_sub_co_u32_e32 v4, vcc, s66, v4
	s_cmp_lg_u64 vcc, 0
	s_subb_u32 s0, s69, s4
	v_subrev_co_u32_e32 v5, vcc, s33, v4
	s_cmp_lg_u64 vcc, 0
	s_subb_u32 s1, s0, 0
	v_subrev_co_u32_e32 v6, vcc, s33, v5
	s_cmp_lg_u64 vcc, 0
	s_subb_u32 s4, s1, 0
	v_cmp_le_u32_e32 vcc, s33, v5
	s_cmp_eq_u32 s1, 0
	v_cndmask_b32_e64 v7, 0, -1, vcc
	s_cselect_b64 vcc, -1, 0
	v_cndmask_b32_e32 v7, -1, v7, vcc
	v_mov_b32_e32 v8, s1
	v_mov_b32_e32 v9, s4
	v_cmp_ne_u32_e32 vcc, 0, v7
	v_cndmask_b32_e32 v7, v8, v9, vcc
	v_cndmask_b32_e32 v6, v5, v6, vcc
	v_cmp_le_u32_e32 vcc, s33, v4
	s_cmp_eq_u32 s0, 0
	v_cndmask_b32_e64 v5, 0, -1, vcc
	s_cselect_b64 vcc, -1, 0
	v_cndmask_b32_e32 v5, -1, v5, vcc
	v_mov_b32_e32 v8, s0
	v_cmp_ne_u32_e32 vcc, 0, v5
	v_cndmask_b32_e32 v5, v8, v7, vcc
	v_cndmask_b32_e32 v4, v4, v6, vcc
	s_mov_b64 s[0:1], 0
	s_branch .LBB177_463
.LBB177_462:                            ;   in Loop: Header=BB177_31 Depth=1
	s_mov_b64 s[0:1], -1
                                        ; implicit-def: $vgpr4_vgpr5
.LBB177_463:                            ;   in Loop: Header=BB177_31 Depth=1
	s_andn2_b64 vcc, exec, s[0:1]
	s_cbranch_vccnz .LBB177_465
; %bb.464:                              ;   in Loop: Header=BB177_31 Depth=1
	v_cvt_f32_u32_e32 v4, s33
	s_sub_i32 s0, 0, s33
	v_rcp_iflag_f32_e32 v4, v4
	v_mul_f32_e32 v4, 0x4f7ffffe, v4
	v_cvt_u32_f32_e32 v4, v4
	v_mul_lo_u32 v5, s0, v4
	v_mul_hi_u32 v5, v4, v5
	v_add_u32_e32 v4, v4, v5
	v_readlane_b32 s0, v56, 29
	v_mul_hi_u32 v4, s0, v4
	v_mul_lo_u32 v4, v4, s33
	v_sub_u32_e32 v4, s0, v4
	v_subrev_u32_e32 v5, s33, v4
	v_cmp_le_u32_e32 vcc, s33, v4
	v_cndmask_b32_e32 v4, v4, v5, vcc
	v_subrev_u32_e32 v5, s33, v4
	v_cmp_le_u32_e32 vcc, s33, v4
	v_cndmask_b32_e32 v14, v4, v5, vcc
	v_pk_mov_b32 v[4:5], v[14:15], v[14:15] op_sel:[0,1]
.LBB177_465:                            ;   in Loop: Header=BB177_31 Depth=1
	v_readlane_b32 s0, v56, 31
	v_readlane_b32 s1, v56, 32
	;; [unrolled: 1-line block ×3, first 2 shown]
	v_mov_b32_e32 v6, s1
	v_sub_co_u32_e32 v4, vcc, s0, v4
	v_subb_co_u32_e32 v5, vcc, v6, v5, vcc
	v_cmp_gt_u64_e32 vcc, v[4:5], v[0:1]
	s_mov_b64 s[80:81], 0
                                        ; implicit-def: $vgpr53
	s_and_saveexec_b64 s[0:1], vcc
	s_mov_b64 s[68:69], s[82:83]
	s_cbranch_execz .LBB177_474
; %bb.466:                              ;   in Loop: Header=BB177_31 Depth=1
	s_mov_b64 s[66:67], 0
	v_pk_mov_b32 v[6:7], v[26:27], v[26:27] op_sel:[0,1]
	v_pk_mov_b32 v[8:9], v[0:1], v[0:1] op_sel:[0,1]
                                        ; implicit-def: $sgpr80_sgpr81
	s_branch .LBB177_468
.LBB177_467:                            ;   in Loop: Header=BB177_468 Depth=2
	s_or_b64 exec, exec, s[6:7]
	s_waitcnt lgkmcnt(0)
	s_barrier
	s_waitcnt vmcnt(0)
	ds_read_b32 v14, v15 offset:3072
	v_mov_b32_e32 v28, s92
	v_add_co_u32_e64 v8, s[6:7], s33, v8
	v_addc_co_u32_e64 v9, s[6:7], v9, v28, s[6:7]
	s_waitcnt lgkmcnt(0)
	v_cmp_ne_u16_e32 vcc, 0, v14
	v_cmp_ge_u64_e64 s[6:7], v[8:9], v[4:5]
	s_or_b64 s[4:5], s[6:7], vcc
	v_mov_b32_e32 v28, s65
	v_add_co_u32_e64 v6, s[6:7], s64, v6
	s_and_b64 s[4:5], exec, s[4:5]
	v_addc_co_u32_e64 v7, s[6:7], v7, v28, s[6:7]
	s_or_b64 s[66:67], s[4:5], s[66:67]
	s_andn2_b64 s[4:5], s[80:81], exec
	s_and_b64 s[6:7], vcc, exec
	s_or_b64 s[80:81], s[4:5], s[6:7]
	s_barrier
	s_andn2_b64 exec, exec, s[66:67]
	s_cbranch_execz .LBB177_473
.LBB177_468:                            ;   Parent Loop BB177_31 Depth=1
                                        ; =>  This Inner Loop Header: Depth=2
	v_cmp_gt_u64_e32 vcc, s[60:61], v[8:9]
	v_mov_b32_e32 v14, 0
	s_and_saveexec_b64 s[6:7], vcc
	s_cbranch_execz .LBB177_470
; %bb.469:                              ;   in Loop: Header=BB177_468 Depth=2
	global_load_ushort v14, v[6:7], off
.LBB177_470:                            ;   in Loop: Header=BB177_468 Depth=2
	s_or_b64 exec, exec, s[6:7]
	s_and_saveexec_b64 s[6:7], vcc
	s_cbranch_execz .LBB177_467
; %bb.471:                              ;   in Loop: Header=BB177_468 Depth=2
	s_waitcnt vmcnt(0)
	v_add_u32_sdwa v28, sext(v14), s11 dst_sel:DWORD dst_unused:UNUSED_PAD src0_sel:WORD_0 src1_sel:DWORD
	v_and_b32_e32 v28, v28, v51
	v_cmp_eq_u32_e32 vcc, v28, v52
	s_and_b64 exec, exec, vcc
	s_cbranch_execz .LBB177_467
; %bb.472:                              ;   in Loop: Header=BB177_468 Depth=2
	v_perm_b32 v14, v14, 1, v50
	ds_write_b32 v15, v14 offset:3072
	s_branch .LBB177_467
.LBB177_473:                            ;   in Loop: Header=BB177_31 Depth=1
	s_or_b64 exec, exec, s[66:67]
	v_lshrrev_b32_e32 v53, 16, v14
	s_and_b64 s[80:81], s[80:81], exec
.LBB177_474:                            ;   in Loop: Header=BB177_31 Depth=1
	s_or_b64 exec, exec, s[0:1]
	s_mov_b64 s[6:7], 0
	s_mov_b64 s[0:1], -1
	s_mov_b64 s[66:67], 0
.LBB177_475:                            ;   in Loop: Header=BB177_31 Depth=1
	s_orn2_b64 s[80:81], s[80:81], exec
.LBB177_476:                            ;   in Loop: Header=BB177_31 Depth=1
	s_or_b64 exec, exec, s[54:55]
	s_mov_b64 s[88:89], 0
                                        ; implicit-def: $vgpr6
                                        ; implicit-def: $vgpr4_vgpr5
	s_and_saveexec_b64 s[54:55], s[80:81]
	s_cbranch_execz .LBB177_488
; %bb.477:                              ;   in Loop: Header=BB177_31 Depth=1
	v_mov_b32_e32 v4, 1
	s_xor_b64 s[4:5], s[52:53], -1
	v_mov_b32_e32 v6, 1
	v_mov_b32_e32 v5, 0
	s_and_saveexec_b64 s[52:53], s[4:5]
	s_cbranch_execz .LBB177_487
; %bb.478:                              ;   in Loop: Header=BB177_31 Depth=1
	s_mov_b64 s[82:83], s[68:69]
	v_cmp_ge_u64_e32 vcc, s[16:17], v[2:3]
                                        ; implicit-def: $sgpr4
	s_and_saveexec_b64 s[68:69], vcc
	s_xor_b64 s[80:81], exec, s[68:69]
	s_cbranch_execz .LBB177_484
; %bb.479:                              ;   in Loop: Header=BB177_31 Depth=1
	ds_read_b64 v[4:5], v15 offset:5120
	s_waitcnt lgkmcnt(0)
	v_cmp_ne_u64_e32 vcc, 0, v[4:5]
	s_cbranch_vccnz .LBB177_483
; %bb.480:                              ;   in Loop: Header=BB177_31 Depth=1
	s_mov_b64 s[88:89], exec
	v_readlane_b32 s4, v56, 10
	v_readlane_b32 s5, v56, 11
	s_and_b64 s[4:5], s[88:89], s[4:5]
	s_mov_b64 exec, s[4:5]
	s_cbranch_execz .LBB177_482
; %bb.481:                              ;   in Loop: Header=BB177_31 Depth=1
	v_pk_mov_b32 v[4:5], s[16:17], s[16:17] op_sel:[0,1]
	ds_write_b64 v15, v[4:5] offset:5128
.LBB177_482:                            ;   in Loop: Header=BB177_31 Depth=1
	s_or_b64 exec, exec, s[88:89]
	s_waitcnt lgkmcnt(0)
	s_barrier
.LBB177_483:                            ;   in Loop: Header=BB177_31 Depth=1
	v_and_b32_e32 v52, s94, v52
	v_or_b32_e32 v51, s86, v51
	s_mov_b32 s4, 5
.LBB177_484:                            ;   in Loop: Header=BB177_31 Depth=1
	s_or_saveexec_b64 s[80:81], s[80:81]
	v_mov_b32_e32 v6, s4
	s_xor_b64 exec, exec, s[80:81]
; %bb.485:                              ;   in Loop: Header=BB177_31 Depth=1
	v_mov_b32_e32 v4, s17
	v_subrev_co_u32_e32 v2, vcc, s16, v2
	v_subb_co_u32_e32 v3, vcc, v3, v4, vcc
	v_mov_b32_e32 v6, 5
; %bb.486:                              ;   in Loop: Header=BB177_31 Depth=1
	s_or_b64 exec, exec, s[80:81]
	v_pk_mov_b32 v[4:5], v[2:3], v[2:3] op_sel:[0,1]
	s_mov_b64 s[68:69], s[82:83]
.LBB177_487:                            ;   in Loop: Header=BB177_31 Depth=1
	s_or_b64 exec, exec, s[52:53]
	s_mov_b64 s[88:89], exec
.LBB177_488:                            ;   in Loop: Header=BB177_31 Depth=1
	s_or_b64 exec, exec, s[54:55]
	s_orn2_b64 s[52:53], s[88:89], exec
	v_pk_mov_b32 v[2:3], v[4:5], v[4:5] op_sel:[0,1]
.LBB177_489:                            ;   in Loop: Header=BB177_31 Depth=1
	s_or_b64 exec, exec, s[18:19]
	s_andn2_b64 s[2:3], s[2:3], exec
	s_and_b64 s[0:1], s[0:1], exec
	s_or_b64 s[2:3], s[2:3], s[0:1]
	s_andn2_b64 s[0:1], s[46:47], exec
	s_and_b64 s[4:5], s[6:7], exec
	s_or_b64 s[46:47], s[0:1], s[4:5]
	;; [unrolled: 3-line block ×3, first 2 shown]
	s_and_b64 s[0:1], s[52:53], exec
	v_pk_mov_b32 v[4:5], v[2:3], v[2:3] op_sel:[0,1]
.LBB177_490:                            ;   in Loop: Header=BB177_31 Depth=1
	s_or_b64 exec, exec, s[50:51]
	s_and_b64 s[50:51], s[2:3], exec
	s_and_b64 s[6:7], s[46:47], exec
	;; [unrolled: 1-line block ×3, first 2 shown]
	s_orn2_b64 s[0:1], s[0:1], exec
.LBB177_491:                            ;   in Loop: Header=BB177_31 Depth=1
	s_or_b64 exec, exec, s[22:23]
	s_andn2_b64 s[4:5], s[36:37], exec
	s_and_b64 s[16:17], s[50:51], exec
	s_or_b64 s[36:37], s[4:5], s[16:17]
	s_andn2_b64 s[4:5], s[40:41], exec
	s_and_b64 s[6:7], s[6:7], exec
	s_or_b64 s[40:41], s[4:5], s[6:7]
	;; [unrolled: 3-line block ×3, first 2 shown]
	s_and_b64 s[6:7], s[0:1], exec
	v_pk_mov_b32 v[2:3], v[4:5], v[4:5] op_sel:[0,1]
.LBB177_492:                            ;   in Loop: Header=BB177_31 Depth=1
	s_or_b64 exec, exec, s[44:45]
	s_and_b64 s[36:37], s[36:37], exec
	s_and_b64 s[2:3], s[40:41], exec
	;; [unrolled: 1-line block ×3, first 2 shown]
	s_orn2_b64 s[40:41], s[6:7], exec
.LBB177_493:                            ;   in Loop: Header=BB177_31 Depth=1
	s_or_b64 exec, exec, s[24:25]
	s_mov_b64 s[6:7], s[28:29]
	s_mov_b64 s[16:17], s[26:27]
	s_and_saveexec_b64 s[18:19], s[40:41]
; %bb.494:                              ;   in Loop: Header=BB177_31 Depth=1
	v_cmp_ne_u32_e64 s[6:7], 5, v6
	v_cmp_eq_u32_e32 vcc, 5, v6
	s_andn2_b64 s[4:5], s[26:27], exec
	s_and_b64 s[6:7], s[6:7], exec
	s_or_b64 s[16:17], s[4:5], s[6:7]
	s_andn2_b64 s[4:5], s[28:29], exec
	s_and_b64 s[6:7], vcc, exec
	s_andn2_b64 s[36:37], s[36:37], exec
	s_andn2_b64 s[2:3], s[2:3], exec
	s_andn2_b64 s[0:1], s[0:1], exec
	s_or_b64 s[6:7], s[4:5], s[6:7]
; %bb.495:                              ;   in Loop: Header=BB177_31 Depth=1
	s_or_b64 exec, exec, s[18:19]
	s_andn2_b64 s[4:5], s[14:15], exec
	s_and_b64 s[14:15], s[36:37], exec
	s_or_b64 s[14:15], s[4:5], s[14:15]
	s_andn2_b64 s[4:5], s[38:39], exec
	s_and_b64 s[2:3], s[2:3], exec
	s_or_b64 s[38:39], s[4:5], s[2:3]
	;; [unrolled: 3-line block ×5, first 2 shown]
	v_mov_b32_e32 v30, v52
	v_mov_b32_e32 v31, v51
	;; [unrolled: 1-line block ×3, first 2 shown]
.LBB177_496:                            ;   in Loop: Header=BB177_31 Depth=1
	s_or_b64 exec, exec, s[34:35]
	s_mov_b64 s[36:37], s[20:21]
	s_mov_b64 s[34:35], s[20:21]
	s_and_saveexec_b64 s[0:1], s[28:29]
.LBB177_497:                            ;   in Loop: Header=BB177_31 Depth=1
	v_mov_b32_e32 v6, 0
	s_andn2_b64 s[20:21], s[20:21], exec
	s_andn2_b64 s[14:15], s[14:15], exec
	;; [unrolled: 1-line block ×5, first 2 shown]
	s_or_b64 s[26:27], s[26:27], exec
.LBB177_498:                            ;   in Loop: Header=BB177_31 Depth=1
	s_or_b64 exec, exec, s[0:1]
	v_readlane_b32 s0, v56, 62
	v_readlane_b32 s1, v56, 63
	s_andn2_b64 s[0:1], s[0:1], exec
	s_and_b64 s[4:5], s[20:21], exec
	s_or_b64 s[16:17], s[0:1], s[4:5]
	v_readlane_b32 s0, v56, 60
	v_readlane_b32 s1, v56, 61
	s_andn2_b64 s[0:1], s[0:1], exec
	s_and_b64 s[4:5], s[14:15], exec
	s_or_b64 s[14:15], s[0:1], s[4:5]
	v_readlane_b32 s0, v56, 58
	v_readlane_b32 s1, v56, 59
	s_andn2_b64 s[0:1], s[0:1], exec
	s_and_b64 s[4:5], s[38:39], exec
	s_or_b64 s[6:7], s[0:1], s[4:5]
	v_readlane_b32 s0, v56, 56
	v_readlane_b32 s1, v56, 57
	s_andn2_b64 s[0:1], s[0:1], exec
	s_and_b64 s[4:5], s[36:37], exec
	s_or_b64 s[28:29], s[0:1], s[4:5]
	v_readlane_b32 s0, v56, 54
	v_readlane_b32 s1, v56, 55
	s_andn2_b64 s[0:1], s[0:1], exec
	s_and_b64 s[4:5], s[34:35], exec
	s_mov_b64 s[2:3], -1
	s_mov_b64 s[36:37], s[16:17]
	s_mov_b64 s[34:35], s[14:15]
	s_or_b64 s[24:25], s[0:1], s[4:5]
                                        ; implicit-def: $vgpr51
                                        ; implicit-def: $vgpr52
                                        ; implicit-def: $vgpr28_vgpr29
                                        ; implicit-def: $vgpr53
	s_and_saveexec_b64 s[0:1], s[26:27]
	s_mov_b64 s[26:27], s[6:7]
	s_xor_b64 s[0:1], exec, s[0:1]
	s_cbranch_execz .LBB177_30
; %bb.499:                              ;   in Loop: Header=BB177_31 Depth=1
	v_cmp_eq_u32_e32 vcc, 0, v6
	s_mov_b64 s[6:7], -1
	s_and_saveexec_b64 s[14:15], vcc
	s_cbranch_execz .LBB177_29
; %bb.500:                              ;   in Loop: Header=BB177_31 Depth=1
	v_readlane_b32 s2, v56, 51
	s_xor_b32 s2, s2, 1
	v_writelane_b32 v56, s2, 51
	v_readlane_b32 s2, v56, 50
	s_add_i32 s4, s2, -2
	s_cmp_eq_u32 s2, 0
	s_cselect_b64 s[2:3], -1, 0
	s_xor_b64 s[6:7], exec, -1
	s_orn2_b64 s[2:3], s[2:3], exec
	v_writelane_b32 v56, s4, 50
	s_branch .LBB177_29
.LBB177_501:
	s_or_b64 exec, exec, s[70:71]
	v_readlane_b32 s0, v56, 52
	v_readlane_b32 s1, v56, 53
	s_xor_b64 s[2:3], s[8:9], -1
	s_xor_b64 s[10:11], s[30:31], -1
	;; [unrolled: 1-line block ×5, first 2 shown]
	s_mov_b64 s[4:5], 0
	s_and_saveexec_b64 s[12:13], s[6:7]
	s_xor_b64 s[6:7], exec, s[12:13]
	s_cbranch_execnz .LBB177_506
; %bb.502:
	s_andn2_saveexec_b64 s[0:1], s[6:7]
	s_cbranch_execnz .LBB177_525
.LBB177_503:
	s_or_b64 exec, exec, s[0:1]
	s_and_saveexec_b64 s[0:1], s[4:5]
.LBB177_504:
	; divergent unreachable
.LBB177_505:
	s_endpgm
.LBB177_506:
	s_and_saveexec_b64 s[12:13], s[8:9]
	s_xor_b64 s[8:9], exec, s[12:13]
	s_cbranch_execz .LBB177_523
; %bb.507:
	s_and_saveexec_b64 s[12:13], s[10:11]
	s_xor_b64 s[10:11], exec, s[12:13]
	s_cbranch_execz .LBB177_521
; %bb.508:
	;; [unrolled: 4-line block ×3, first 2 shown]
	s_and_saveexec_b64 s[2:3], s[0:1]
	s_xor_b64 s[0:1], exec, s[2:3]
; %bb.510:
	v_xor_b32_e32 v32, 0xffff8000, v30
; %bb.511:
	s_or_b64 exec, exec, s[0:1]
	s_mov_b64 s[0:1], exec
	v_readlane_b32 s2, v56, 10
	v_readlane_b32 s3, v56, 11
	;; [unrolled: 1-line block ×3, first 2 shown]
	s_and_b64 s[2:3], s[0:1], s[2:3]
	v_readlane_b32 s37, v56, 15
	s_mov_b64 exec, s[2:3]
	s_cbranch_execz .LBB177_513
; %bb.512:
	v_mov_b32_e32 v2, 0
	v_mov_b32_e32 v3, v2
	ds_write_b64 v2, v[2:3] offset:5136
.LBB177_513:
	s_or_b64 exec, exec, s[0:1]
	v_mov_b32_e32 v19, 0
	s_waitcnt lgkmcnt(0)
	s_barrier
	s_mov_b64 s[0:1], exec
	v_readlane_b32 s2, v56, 22
	v_readlane_b32 s3, v56, 23
	s_and_b64 s[2:3], s[0:1], s[2:3]
	s_mov_b64 exec, s[2:3]
	s_cbranch_execz .LBB177_515
; %bb.514:
	global_load_ushort v19, v[12:13], off
.LBB177_515:
	s_or_b64 exec, exec, s[0:1]
	v_readlane_b32 s2, v56, 2
	s_add_u32 s0, s60, 63
	v_readlane_b32 s3, v56, 3
	v_readlane_b32 s4, v56, 0
	s_addc_u32 s15, s61, 0
	s_and_b32 s14, s0, 0xffffffc0
	v_readlane_b32 s5, v56, 1
	s_mul_i32 s0, s4, s3
	s_mul_hi_u32 s1, s4, s2
	s_add_i32 s0, s1, s0
	s_mul_i32 s1, s5, s2
	s_add_i32 s1, s0, s1
	s_mul_i32 s0, s4, s2
	v_readlane_b32 s4, v56, 6
	v_readlane_b32 s5, v56, 7
	s_mul_i32 s2, s4, s79
	s_mul_hi_u32 s3, s4, s78
	s_add_i32 s2, s3, s2
	s_mul_i32 s3, s5, s78
	s_add_i32 s3, s2, s3
	s_mul_i32 s2, s4, s78
	s_lshl_b64 s[0:1], s[0:1], 1
	v_readlane_b32 s4, v56, 4
	v_readlane_b32 s5, v56, 5
	s_add_u32 s4, s4, s0
	s_addc_u32 s5, s5, s1
	s_lshl_b64 s[0:1], s[56:57], 1
	s_add_u32 s44, s4, s0
	s_addc_u32 s45, s5, s1
	s_lshl_b64 s[0:1], s[2:3], 3
	v_readlane_b32 s2, v56, 8
	v_readlane_b32 s3, v56, 9
	s_add_u32 s2, s2, s0
	s_addc_u32 s3, s3, s1
	s_lshl_b64 s[0:1], s[74:75], 3
	s_add_u32 s46, s2, s0
	s_addc_u32 s47, s3, s1
	v_readlane_b32 s0, v56, 12
	v_readlane_b32 s1, v56, 13
	s_load_dwordx2 s[16:17], s[0:1], 0x368
	s_load_dwordx2 s[18:19], s[0:1], 0x510
	v_cmp_gt_u64_e32 vcc, s[14:15], v[0:1]
	s_mov_b64 s[20:21], -1
	s_mov_b64 s[2:3], 0
	v_add_u32_e32 v18, s33, v0
	s_mov_b64 s[4:5], 0
	s_and_saveexec_b64 s[0:1], vcc
	s_cbranch_execnz .LBB177_526
; %bb.516:
	s_or_b64 exec, exec, s[0:1]
	s_and_saveexec_b64 s[0:1], s[20:21]
	s_cbranch_execnz .LBB177_541
.LBB177_517:
	s_or_b64 exec, exec, s[0:1]
	s_and_saveexec_b64 s[0:1], s[4:5]
	s_xor_b64 s[0:1], exec, s[0:1]
	s_cbranch_execnz .LBB177_563
.LBB177_518:
	s_or_b64 exec, exec, s[0:1]
	s_and_b64 s[4:5], s[2:3], exec
.LBB177_519:
	s_andn2_saveexec_b64 s[0:1], s[12:13]
	s_cbranch_execnz .LBB177_566
.LBB177_520:
	s_or_b64 exec, exec, s[0:1]
	s_and_b64 s[4:5], s[4:5], exec
.LBB177_521:
	s_andn2_saveexec_b64 s[0:1], s[10:11]
	s_cbranch_execnz .LBB177_565
.LBB177_522:
	s_or_b64 exec, exec, s[0:1]
	s_and_b64 s[4:5], s[4:5], exec
.LBB177_523:
	s_andn2_saveexec_b64 s[0:1], s[8:9]
	s_cbranch_execnz .LBB177_564
.LBB177_524:
	s_or_b64 exec, exec, s[0:1]
	s_and_b64 s[4:5], s[4:5], exec
	s_andn2_saveexec_b64 s[0:1], s[6:7]
	s_cbranch_execz .LBB177_503
.LBB177_525:
	s_or_b64 s[4:5], s[4:5], exec
	s_trap 2
	s_or_b64 exec, exec, s[0:1]
	s_and_saveexec_b64 s[0:1], s[4:5]
	s_cbranch_execnz .LBB177_504
	s_branch .LBB177_505
.LBB177_526:
	v_mad_u64_u32 v[2:3], s[4:5], s58, v18, 0
	v_mov_b32_e32 v4, v3
	v_mad_u64_u32 v[4:5], s[4:5], s59, v18, v[4:5]
	v_readlane_b32 s4, v56, 46
	v_readlane_b32 s5, v56, 47
	s_add_u32 s4, s4, s72
	s_addc_u32 s5, s5, s73
	v_readlane_b32 s20, v56, 48
	v_mov_b32_e32 v3, v4
	v_readlane_b32 s21, v56, 49
	s_add_u32 s4, s4, s20
	v_lshlrev_b64 v[2:3], 1, v[2:3]
	s_addc_u32 s5, s5, s21
	s_mov_b32 s34, 0x8000
	v_mov_b32_e32 v4, s5
	v_add_co_u32_e32 v2, vcc, s4, v2
	v_add_u32_sdwa v20, sext(v32), s34 dst_sel:DWORD dst_unused:UNUSED_PAD src0_sel:WORD_0 src1_sel:DWORD
	v_addc_co_u32_e32 v3, vcc, v4, v3, vcc
	s_mov_b64 s[20:21], 0
	v_mov_b32_e32 v21, s92
	v_mov_b32_e32 v5, 0
	v_pk_mov_b32 v[14:15], v[0:1], v[0:1] op_sel:[0,1]
                                        ; implicit-def: $sgpr22_sgpr23
                                        ; implicit-def: $vgpr8_vgpr9
	s_branch .LBB177_528
.LBB177_527:                            ;   in Loop: Header=BB177_528 Depth=1
	s_or_b64 exec, exec, s[24:25]
	s_xor_b64 s[24:25], s[28:29], -1
	s_and_b64 s[4:5], exec, s[4:5]
	s_or_b64 s[20:21], s[4:5], s[20:21]
	s_andn2_b64 s[4:5], s[22:23], exec
	s_and_b64 s[22:23], s[24:25], exec
	s_or_b64 s[22:23], s[4:5], s[22:23]
	v_mov_b32_e32 v19, v22
	v_pk_mov_b32 v[14:15], v[6:7], v[6:7] op_sel:[0,1]
	s_andn2_b64 exec, exec, s[20:21]
	s_cbranch_execz .LBB177_540
.LBB177_528:                            ; =>This Inner Loop Header: Depth=1
	v_add_co_u32_e32 v6, vcc, s33, v14
	v_addc_co_u32_e32 v7, vcc, v15, v21, vcc
	v_cmp_gt_u64_e32 vcc, s[60:61], v[6:7]
	v_mov_b32_e32 v22, 0
	s_and_saveexec_b64 s[4:5], vcc
	s_cbranch_execz .LBB177_530
; %bb.529:                              ;   in Loop: Header=BB177_528 Depth=1
	global_load_ushort v22, v[2:3], off
.LBB177_530:                            ;   in Loop: Header=BB177_528 Depth=1
	s_or_b64 exec, exec, s[4:5]
	s_waitcnt vmcnt(0)
	v_add_u32_sdwa v4, sext(v19), s34 dst_sel:DWORD dst_unused:UNUSED_PAD src0_sel:WORD_0 src1_sel:DWORD
	v_cmp_gt_u32_e64 s[4:5], v4, v20
	v_cndmask_b32_e64 v16, 0, 1, s[4:5]
	v_cmp_lt_u32_e64 s[4:5], v4, v20
	v_cndmask_b32_e64 v4, 0, 1, s[4:5]
	v_cndmask_b32_e64 v4, v4, v16, s[36:37]
	v_and_b32_e32 v4, 1, v4
	v_cmp_gt_u64_e32 vcc, s[60:61], v[14:15]
	v_cmp_eq_u32_e64 s[4:5], 1, v4
	s_and_b64 s[26:27], vcc, s[4:5]
	v_cndmask_b32_e64 v4, 0, 1, s[26:27]
	v_cmp_ne_u32_e32 vcc, 0, v4
	s_cmp_lg_u64 vcc, 0
	s_cselect_b64 s[4:5], -1, 0
	s_and_b64 s[4:5], s[68:69], s[4:5]
	s_and_saveexec_b64 s[24:25], s[4:5]
	s_cbranch_execz .LBB177_534
; %bb.531:                              ;   in Loop: Header=BB177_528 Depth=1
	s_mov_b64 s[30:31], exec
	v_mbcnt_lo_u32_b32 v4, s30, 0
	v_mbcnt_hi_u32_b32 v16, s31, v4
	s_bcnt1_i32_b64 s35, vcc
	v_cmp_eq_u32_e64 s[4:5], 0, v16
                                        ; implicit-def: $vgpr8_vgpr9
	s_and_saveexec_b64 s[28:29], s[4:5]
	s_cbranch_execz .LBB177_533
; %bb.532:                              ;   in Loop: Header=BB177_528 Depth=1
	s_bcnt1_i32_b64 s4, s[30:31]
	s_mul_i32 s4, s35, s4
	v_mov_b32_e32 v4, s4
	s_waitcnt lgkmcnt(0)
	ds_add_rtn_u64 v[8:9], v5, v[4:5] offset:5136
.LBB177_533:                            ;   in Loop: Header=BB177_528 Depth=1
	s_or_b64 exec, exec, s[28:29]
	s_waitcnt lgkmcnt(0)
	v_readfirstlane_b32 s4, v9
	v_readfirstlane_b32 s5, v8
	v_mov_b32_e32 v8, s5
	v_mov_b32_e32 v9, s4
	v_mad_u64_u32 v[8:9], s[4:5], s35, v16, v[8:9]
.LBB177_534:                            ;   in Loop: Header=BB177_528 Depth=1
	s_or_b64 exec, exec, s[24:25]
	s_waitcnt lgkmcnt(0)
	ds_bpermute_b32 v8, v42, v8
	ds_bpermute_b32 v9, v42, v9
	s_mov_b64 s[4:5], -1
	s_mov_b64 s[30:31], -1
                                        ; implicit-def: $sgpr28_sgpr29
	s_and_saveexec_b64 s[24:25], s[26:27]
	s_cbranch_execz .LBB177_538
; %bb.535:                              ;   in Loop: Header=BB177_528 Depth=1
	v_and_b32_e32 v16, vcc_lo, v10
	v_and_b32_e32 v4, vcc_hi, v11
	v_bcnt_u32_b32 v16, v16, 0
	v_bcnt_u32_b32 v4, v4, v16
	s_waitcnt lgkmcnt(0)
	v_add_co_u32_e32 v16, vcc, v8, v4
	v_addc_co_u32_e32 v17, vcc, 0, v9, vcc
	v_cmp_gt_u64_e32 vcc, s[62:63], v[16:17]
	s_mov_b64 s[26:27], 0
	s_and_saveexec_b64 s[28:29], vcc
	s_cbranch_execz .LBB177_537
; %bb.536:                              ;   in Loop: Header=BB177_528 Depth=1
	v_mul_lo_u32 v4, v17, s16
	v_mul_lo_u32 v23, v16, s17
	v_mad_u64_u32 v[24:25], s[30:31], v16, s16, 0
	v_add3_u32 v25, v25, v23, v4
	v_mul_lo_u32 v4, v17, s18
	v_mul_lo_u32 v23, v16, s19
	v_mad_u64_u32 v[16:17], s[30:31], v16, s18, 0
	v_lshlrev_b64 v[24:25], 1, v[24:25]
	v_add3_u32 v17, v17, v23, v4
	v_mov_b32_e32 v4, s45
	v_add_co_u32_e32 v24, vcc, s44, v24
	v_addc_co_u32_e32 v25, vcc, v4, v25, vcc
	v_lshlrev_b64 v[16:17], 3, v[16:17]
	v_mov_b32_e32 v4, s47
	v_add_co_u32_e32 v16, vcc, s46, v16
	s_mov_b64 s[26:27], exec
	v_addc_co_u32_e32 v17, vcc, v4, v17, vcc
	global_store_short v[24:25], v19, off
	global_store_dwordx2 v[16:17], v[14:15], off
.LBB177_537:                            ;   in Loop: Header=BB177_528 Depth=1
	s_or_b64 exec, exec, s[28:29]
	s_mov_b64 s[28:29], -1
	s_orn2_b64 s[30:31], s[26:27], exec
.LBB177_538:                            ;   in Loop: Header=BB177_528 Depth=1
	s_or_b64 exec, exec, s[24:25]
	s_and_saveexec_b64 s[24:25], s[30:31]
	s_cbranch_execz .LBB177_527
; %bb.539:                              ;   in Loop: Header=BB177_528 Depth=1
	v_mov_b32_e32 v4, s65
	v_add_co_u32_e32 v2, vcc, s64, v2
	v_addc_co_u32_e32 v3, vcc, v3, v4, vcc
	v_cmp_le_u64_e32 vcc, s[14:15], v[6:7]
	s_andn2_b64 s[28:29], s[28:29], exec
	s_orn2_b64 s[4:5], vcc, exec
	s_branch .LBB177_527
.LBB177_540:
	s_or_b64 exec, exec, s[20:21]
	s_mov_b64 s[4:5], exec
	s_orn2_b64 s[20:21], s[22:23], exec
	s_or_b64 exec, exec, s[0:1]
	s_and_saveexec_b64 s[0:1], s[20:21]
	s_cbranch_execz .LBB177_517
.LBB177_541:
	v_mov_b32_e32 v3, 0
	v_mov_b32_e32 v14, 0
	s_waitcnt lgkmcnt(0)
	s_barrier
	s_mov_b64 s[2:3], exec
	v_readlane_b32 s20, v56, 22
	v_readlane_b32 s21, v56, 23
	s_and_b64 s[20:21], s[2:3], s[20:21]
	s_mov_b64 exec, s[20:21]
	s_cbranch_execz .LBB177_543
; %bb.542:
	global_load_ushort v14, v[12:13], off
.LBB177_543:
	s_or_b64 exec, exec, s[2:3]
	v_mad_u64_u32 v[4:5], s[2:3], s58, v18, 0
	v_mov_b32_e32 v2, v5
	v_mad_u64_u32 v[6:7], s[2:3], s59, v18, v[2:3]
	v_readlane_b32 s2, v56, 46
	v_readlane_b32 s3, v56, 47
	s_add_u32 s2, s2, s72
	s_addc_u32 s3, s3, s73
	v_readlane_b32 s20, v56, 48
	v_mov_b32_e32 v5, v6
	v_readlane_b32 s21, v56, 49
	s_add_u32 s2, s2, s20
	v_lshlrev_b64 v[4:5], 1, v[4:5]
	s_addc_u32 s3, s3, s21
	v_mov_b32_e32 v2, s3
	v_add_co_u32_e32 v4, vcc, s2, v4
	v_addc_co_u32_e32 v5, vcc, v2, v5, vcc
	s_mov_b64 s[22:23], 0
                                        ; implicit-def: $sgpr20_sgpr21
                                        ; implicit-def: $sgpr24_sgpr25
                                        ; implicit-def: $sgpr26_sgpr27
                                        ; implicit-def: $vgpr6_vgpr7
	s_branch .LBB177_546
.LBB177_544:                            ;   in Loop: Header=BB177_546 Depth=1
	s_or_b64 exec, exec, s[34:35]
	s_andn2_b64 s[26:27], s[26:27], exec
	s_and_b64 s[30:31], s[38:39], exec
	s_andn2_b64 s[24:25], s[24:25], exec
	s_and_b64 s[2:3], s[2:3], exec
	s_or_b64 s[26:27], s[26:27], s[30:31]
	s_or_b64 s[24:25], s[24:25], s[2:3]
	v_pk_mov_b32 v[0:1], v[8:9], v[8:9] op_sel:[0,1]
.LBB177_545:                            ;   in Loop: Header=BB177_546 Depth=1
	s_or_b64 exec, exec, s[28:29]
	s_xor_b64 s[2:3], s[26:27], -1
	s_and_b64 s[28:29], exec, s[24:25]
	s_or_b64 s[22:23], s[28:29], s[22:23]
	s_andn2_b64 s[20:21], s[20:21], exec
	s_and_b64 s[2:3], s[2:3], exec
	s_or_b64 s[20:21], s[20:21], s[2:3]
	s_andn2_b64 exec, exec, s[22:23]
	s_cbranch_execz .LBB177_561
.LBB177_546:                            ; =>This Inner Loop Header: Depth=1
	v_cmp_gt_u64_e32 vcc, s[14:15], v[0:1]
	s_or_b64 s[26:27], s[26:27], exec
	s_or_b64 s[24:25], s[24:25], exec
	s_and_saveexec_b64 s[28:29], vcc
	s_cbranch_execz .LBB177_545
; %bb.547:                              ;   in Loop: Header=BB177_546 Depth=1
	v_mov_b32_e32 v2, s92
	v_add_co_u32_e32 v8, vcc, s33, v0
	v_addc_co_u32_e32 v9, vcc, v1, v2, vcc
	v_cmp_gt_u64_e32 vcc, s[60:61], v[8:9]
	v_mov_b32_e32 v15, 0
	s_and_saveexec_b64 s[2:3], vcc
	s_cbranch_execz .LBB177_549
; %bb.548:                              ;   in Loop: Header=BB177_546 Depth=1
	global_load_ushort v15, v[4:5], off
.LBB177_549:                            ;   in Loop: Header=BB177_546 Depth=1
	s_or_b64 exec, exec, s[2:3]
	v_cmp_gt_u64_e32 vcc, s[60:61], v[0:1]
	s_waitcnt vmcnt(0)
	v_cmp_eq_u16_e64 s[2:3], v14, v32
	s_and_b64 s[34:35], vcc, s[2:3]
	v_cndmask_b32_e64 v2, 0, 1, s[34:35]
	v_cmp_ne_u32_e32 vcc, 0, v2
	s_cmp_lg_u64 vcc, 0
	s_cselect_b64 s[2:3], -1, 0
	s_and_b64 s[2:3], s[68:69], s[2:3]
	s_and_saveexec_b64 s[30:31], s[2:3]
	s_cbranch_execz .LBB177_553
; %bb.550:                              ;   in Loop: Header=BB177_546 Depth=1
	s_mov_b64 s[38:39], exec
	v_mbcnt_lo_u32_b32 v2, s38, 0
	v_mbcnt_hi_u32_b32 v12, s39, v2
	s_bcnt1_i32_b64 s40, vcc
	v_cmp_eq_u32_e64 s[2:3], 0, v12
                                        ; implicit-def: $vgpr6_vgpr7
	s_and_saveexec_b64 s[36:37], s[2:3]
	s_cbranch_execz .LBB177_552
; %bb.551:                              ;   in Loop: Header=BB177_546 Depth=1
	s_bcnt1_i32_b64 s2, s[38:39]
	s_mul_i32 s2, s40, s2
	v_mov_b32_e32 v2, s2
	ds_add_rtn_u64 v[6:7], v3, v[2:3] offset:5136
.LBB177_552:                            ;   in Loop: Header=BB177_546 Depth=1
	s_or_b64 exec, exec, s[36:37]
	s_waitcnt lgkmcnt(0)
	v_readfirstlane_b32 s2, v7
	v_readfirstlane_b32 s3, v6
	v_mov_b32_e32 v6, s3
	v_mov_b32_e32 v7, s2
	v_mad_u64_u32 v[6:7], s[2:3], s40, v12, v[6:7]
.LBB177_553:                            ;   in Loop: Header=BB177_546 Depth=1
	s_or_b64 exec, exec, s[30:31]
	ds_bpermute_b32 v6, v42, v6
	ds_bpermute_b32 v7, v42, v7
	s_cmp_eq_u64 vcc, 0
	s_cselect_b64 s[30:31], -1, 0
	s_mov_b64 s[36:37], -1
	s_mov_b64 s[38:39], -1
	s_waitcnt lgkmcnt(0)
	v_cmp_gt_u64_e64 s[2:3], s[62:63], v[6:7]
	s_or_b64 s[30:31], s[30:31], s[2:3]
	v_cndmask_b32_e64 v14, v14, v15, s[30:31]
	s_and_b64 s[40:41], s[34:35], s[30:31]
	s_mov_b64 s[2:3], -1
	s_and_saveexec_b64 s[34:35], s[40:41]
	s_cbranch_execz .LBB177_559
; %bb.554:                              ;   in Loop: Header=BB177_546 Depth=1
	v_and_b32_e32 v12, vcc_lo, v10
	v_and_b32_e32 v2, vcc_hi, v11
	v_bcnt_u32_b32 v12, v12, 0
	v_bcnt_u32_b32 v2, v2, v12
	v_mov_b32_e32 v13, s63
	v_sub_co_u32_e32 v12, vcc, s62, v6
	v_subb_co_u32_e32 v13, vcc, v13, v7, vcc
	v_cmp_le_u64_e64 s[36:37], v[12:13], v[2:3]
	v_cmp_gt_u64_e32 vcc, v[12:13], v[2:3]
	s_mov_b64 s[40:41], -1
	s_and_saveexec_b64 s[38:39], vcc
	s_cbranch_execz .LBB177_558
; %bb.555:                              ;   in Loop: Header=BB177_546 Depth=1
	v_add_co_u32_e32 v12, vcc, v6, v2
	v_addc_co_u32_e32 v13, vcc, 0, v7, vcc
	v_cmp_gt_u64_e32 vcc, s[62:63], v[12:13]
	s_mov_b64 s[42:43], s[36:37]
	s_and_saveexec_b64 s[40:41], vcc
	s_cbranch_execz .LBB177_557
; %bb.556:                              ;   in Loop: Header=BB177_546 Depth=1
	v_mul_lo_u32 v2, v13, s16
	v_mul_lo_u32 v14, v12, s17
	v_mad_u64_u32 v[16:17], s[42:43], v12, s16, 0
	v_add3_u32 v17, v17, v14, v2
	v_mul_lo_u32 v2, v13, s18
	v_mul_lo_u32 v14, v12, s19
	v_mad_u64_u32 v[12:13], s[42:43], v12, s18, 0
	v_lshlrev_b64 v[16:17], 1, v[16:17]
	v_add3_u32 v13, v13, v14, v2
	v_mov_b32_e32 v2, s45
	v_add_co_u32_e32 v16, vcc, s44, v16
	v_addc_co_u32_e32 v17, vcc, v2, v17, vcc
	v_lshlrev_b64 v[12:13], 3, v[12:13]
	v_mov_b32_e32 v2, s47
	v_add_co_u32_e32 v12, vcc, s46, v12
	v_addc_co_u32_e32 v13, vcc, v2, v13, vcc
	s_or_b64 s[42:43], s[36:37], exec
	global_store_short v[16:17], v32, off
	global_store_dwordx2 v[12:13], v[0:1], off
.LBB177_557:                            ;   in Loop: Header=BB177_546 Depth=1
	s_or_b64 exec, exec, s[40:41]
	s_andn2_b64 s[36:37], s[36:37], exec
	s_and_b64 s[42:43], s[42:43], exec
	s_xor_b64 s[40:41], exec, -1
	s_or_b64 s[36:37], s[36:37], s[42:43]
.LBB177_558:                            ;   in Loop: Header=BB177_546 Depth=1
	s_or_b64 exec, exec, s[38:39]
	s_orn2_b64 s[38:39], s[40:41], exec
	s_or_b64 s[30:31], s[30:31], exec
	s_orn2_b64 s[36:37], s[36:37], exec
	v_mov_b32_e32 v14, v15
.LBB177_559:                            ;   in Loop: Header=BB177_546 Depth=1
	s_or_b64 exec, exec, s[34:35]
	s_and_saveexec_b64 s[34:35], s[36:37]
	s_cbranch_execz .LBB177_544
; %bb.560:                              ;   in Loop: Header=BB177_546 Depth=1
	s_xor_b64 s[2:3], s[30:31], -1
	v_mov_b32_e32 v0, s65
	v_add_co_u32_e32 v4, vcc, s64, v4
	v_addc_co_u32_e32 v5, vcc, v5, v0, vcc
	s_or_b64 s[38:39], s[38:39], exec
	s_orn2_b64 s[2:3], s[2:3], exec
	s_branch .LBB177_544
.LBB177_561:
	s_or_b64 exec, exec, s[22:23]
	s_mov_b64 s[2:3], 0
	s_and_saveexec_b64 s[14:15], s[20:21]
	s_xor_b64 s[14:15], exec, s[14:15]
	s_cbranch_execnz .LBB177_567
.LBB177_562:
	s_or_b64 exec, exec, s[14:15]
	s_and_b64 s[2:3], s[2:3], exec
	s_andn2_b64 s[4:5], s[4:5], exec
	s_or_b64 exec, exec, s[0:1]
	s_and_saveexec_b64 s[0:1], s[4:5]
	s_xor_b64 s[0:1], exec, s[0:1]
	s_cbranch_execz .LBB177_518
.LBB177_563:
	s_or_b64 s[2:3], s[2:3], exec
	s_trap 2
	s_branch .LBB177_518
.LBB177_564:
	s_or_b64 s[4:5], s[4:5], exec
	s_trap 2
	s_branch .LBB177_524
.LBB177_565:
	s_or_b64 s[4:5], s[4:5], exec
	s_trap 2
	s_branch .LBB177_522
.LBB177_566:
	s_trap 2
	s_or_b64 s[4:5], s[4:5], exec
	s_branch .LBB177_520
.LBB177_567:
	s_mov_b64 s[2:3], exec
	s_trap 2
	s_branch .LBB177_562
	.section	.rodata,"a",@progbits
	.p2align	6, 0x0
	.amdhsa_kernel _ZN2at6native6sbtopk10gatherTopKIsmLin1ELb0EEEvNS_4cuda6detail10TensorInfoIKT_T0_EES8_S8_bS8_S8_NS5_IS6_S8_EES8_NS5_IlS8_EES8_PS6_
		.amdhsa_group_segment_fixed_size 5152
		.amdhsa_private_segment_fixed_size 0
		.amdhsa_kernarg_size 1568
		.amdhsa_user_sgpr_count 6
		.amdhsa_user_sgpr_private_segment_buffer 1
		.amdhsa_user_sgpr_dispatch_ptr 0
		.amdhsa_user_sgpr_queue_ptr 0
		.amdhsa_user_sgpr_kernarg_segment_ptr 1
		.amdhsa_user_sgpr_dispatch_id 0
		.amdhsa_user_sgpr_flat_scratch_init 0
		.amdhsa_user_sgpr_kernarg_preload_length 0
		.amdhsa_user_sgpr_kernarg_preload_offset 0
		.amdhsa_user_sgpr_private_segment_size 0
		.amdhsa_uses_dynamic_stack 0
		.amdhsa_system_sgpr_private_segment_wavefront_offset 0
		.amdhsa_system_sgpr_workgroup_id_x 1
		.amdhsa_system_sgpr_workgroup_id_y 1
		.amdhsa_system_sgpr_workgroup_id_z 1
		.amdhsa_system_sgpr_workgroup_info 0
		.amdhsa_system_vgpr_workitem_id 0
		.amdhsa_next_free_vgpr 57
		.amdhsa_next_free_sgpr 96
		.amdhsa_accum_offset 60
		.amdhsa_reserve_vcc 1
		.amdhsa_reserve_flat_scratch 0
		.amdhsa_float_round_mode_32 0
		.amdhsa_float_round_mode_16_64 0
		.amdhsa_float_denorm_mode_32 3
		.amdhsa_float_denorm_mode_16_64 3
		.amdhsa_dx10_clamp 1
		.amdhsa_ieee_mode 1
		.amdhsa_fp16_overflow 0
		.amdhsa_tg_split 0
		.amdhsa_exception_fp_ieee_invalid_op 0
		.amdhsa_exception_fp_denorm_src 0
		.amdhsa_exception_fp_ieee_div_zero 0
		.amdhsa_exception_fp_ieee_overflow 0
		.amdhsa_exception_fp_ieee_underflow 0
		.amdhsa_exception_fp_ieee_inexact 0
		.amdhsa_exception_int_div_zero 0
	.end_amdhsa_kernel
	.section	.text._ZN2at6native6sbtopk10gatherTopKIsmLin1ELb0EEEvNS_4cuda6detail10TensorInfoIKT_T0_EES8_S8_bS8_S8_NS5_IS6_S8_EES8_NS5_IlS8_EES8_PS6_,"axG",@progbits,_ZN2at6native6sbtopk10gatherTopKIsmLin1ELb0EEEvNS_4cuda6detail10TensorInfoIKT_T0_EES8_S8_bS8_S8_NS5_IS6_S8_EES8_NS5_IlS8_EES8_PS6_,comdat
.Lfunc_end177:
	.size	_ZN2at6native6sbtopk10gatherTopKIsmLin1ELb0EEEvNS_4cuda6detail10TensorInfoIKT_T0_EES8_S8_bS8_S8_NS5_IS6_S8_EES8_NS5_IlS8_EES8_PS6_, .Lfunc_end177-_ZN2at6native6sbtopk10gatherTopKIsmLin1ELb0EEEvNS_4cuda6detail10TensorInfoIKT_T0_EES8_S8_bS8_S8_NS5_IS6_S8_EES8_NS5_IlS8_EES8_PS6_
                                        ; -- End function
	.section	.AMDGPU.csdata,"",@progbits
; Kernel info:
; codeLenInByte = 29652
; NumSgprs: 100
; NumVgprs: 57
; NumAgprs: 0
; TotalNumVgprs: 57
; ScratchSize: 0
; MemoryBound: 0
; FloatMode: 240
; IeeeMode: 1
; LDSByteSize: 5152 bytes/workgroup (compile time only)
; SGPRBlocks: 12
; VGPRBlocks: 7
; NumSGPRsForWavesPerEU: 100
; NumVGPRsForWavesPerEU: 57
; AccumOffset: 60
; Occupancy: 8
; WaveLimiterHint : 1
; COMPUTE_PGM_RSRC2:SCRATCH_EN: 0
; COMPUTE_PGM_RSRC2:USER_SGPR: 6
; COMPUTE_PGM_RSRC2:TRAP_HANDLER: 0
; COMPUTE_PGM_RSRC2:TGID_X_EN: 1
; COMPUTE_PGM_RSRC2:TGID_Y_EN: 1
; COMPUTE_PGM_RSRC2:TGID_Z_EN: 1
; COMPUTE_PGM_RSRC2:TIDIG_COMP_CNT: 0
; COMPUTE_PGM_RSRC3_GFX90A:ACCUM_OFFSET: 14
; COMPUTE_PGM_RSRC3_GFX90A:TG_SPLIT: 0
	.section	.text._ZN2at6native6mbtopk23computeBlockDigitCountsIdmmLi1EEEvNS_4cuda6detail10TensorInfoIKT_T0_EEjPjjS8_iijT1_PSB_Ps,"axG",@progbits,_ZN2at6native6mbtopk23computeBlockDigitCountsIdmmLi1EEEvNS_4cuda6detail10TensorInfoIKT_T0_EEjPjjS8_iijT1_PSB_Ps,comdat
	.protected	_ZN2at6native6mbtopk23computeBlockDigitCountsIdmmLi1EEEvNS_4cuda6detail10TensorInfoIKT_T0_EEjPjjS8_iijT1_PSB_Ps ; -- Begin function _ZN2at6native6mbtopk23computeBlockDigitCountsIdmmLi1EEEvNS_4cuda6detail10TensorInfoIKT_T0_EEjPjjS8_iijT1_PSB_Ps
	.globl	_ZN2at6native6mbtopk23computeBlockDigitCountsIdmmLi1EEEvNS_4cuda6detail10TensorInfoIKT_T0_EEjPjjS8_iijT1_PSB_Ps
	.p2align	8
	.type	_ZN2at6native6mbtopk23computeBlockDigitCountsIdmmLi1EEEvNS_4cuda6detail10TensorInfoIKT_T0_EEjPjjS8_iijT1_PSB_Ps,@function
_ZN2at6native6mbtopk23computeBlockDigitCountsIdmmLi1EEEvNS_4cuda6detail10TensorInfoIKT_T0_EEjPjjS8_iijT1_PSB_Ps: ; @_ZN2at6native6mbtopk23computeBlockDigitCountsIdmmLi1EEEvNS_4cuda6detail10TensorInfoIKT_T0_EEjPjjS8_iijT1_PSB_Ps
; %bb.0:
	s_load_dwordx4 s[0:3], s[4:5], 0x1c0
	s_load_dwordx2 s[10:11], s[4:5], 0x1e8
	s_waitcnt lgkmcnt(0)
	s_load_dword s3, s[4:5], 0x1b0
	s_mov_b32 s13, 0
	v_cvt_f32_u32_e32 v1, s2
	s_mul_i32 s8, s11, s8
	s_add_i32 s7, s8, s7
	s_mul_i32 s16, s7, s10
	v_rcp_iflag_f32_e32 v1, v1
	s_sub_i32 s9, 0, s2
	s_add_i32 s16, s16, s6
	v_mul_f32_e32 v1, 0x4f7ffffe, v1
	v_cvt_u32_f32_e32 v1, v1
	v_readfirstlane_b32 s6, v1
	s_mul_i32 s9, s9, s6
	s_mul_hi_u32 s7, s6, s9
	s_add_i32 s6, s6, s7
	s_mul_hi_u32 s6, s16, s6
	s_mul_i32 s7, s6, s2
	s_sub_i32 s7, s16, s7
	s_add_i32 s8, s6, 1
	s_sub_i32 s9, s7, s2
	s_cmp_ge_u32 s7, s2
	s_cselect_b32 s6, s8, s6
	s_cselect_b32 s7, s9, s7
	s_add_i32 s8, s6, 1
	s_cmp_ge_u32 s7, s2
	s_cselect_b32 s12, s8, s6
	s_waitcnt lgkmcnt(0)
	s_cmp_ge_u32 s12, s3
	s_cbranch_scc1 .LBB178_23
; %bb.1:
	s_load_dwordx4 s[8:11], s[4:5], 0x1d0
	s_load_dwordx2 s[6:7], s[4:5], 0x1e0
	s_lshl_b64 s[14:15], s[12:13], 3
	s_movk_i32 s3, 0x100
	v_cmp_gt_u32_e32 vcc, s3, v0
	s_waitcnt lgkmcnt(0)
	s_add_u32 s14, s10, s14
	s_addc_u32 s15, s11, s15
	v_lshlrev_b32_e32 v1, 2, v0
	s_and_saveexec_b64 s[10:11], vcc
	s_cbranch_execz .LBB178_3
; %bb.2:
	v_mov_b32_e32 v2, 0
	ds_write_b32 v1, v2
.LBB178_3:
	s_or_b64 exec, exec, s[10:11]
	s_load_dword s13, s[4:5], 0x1a0
	s_mul_i32 s3, s12, s2
	s_sub_i32 s3, s16, s3
	s_add_i32 s10, s3, 1
	s_mul_i32 s3, s1, s3
	s_lshl_b32 s18, s3, 8
	s_waitcnt lgkmcnt(0)
	s_sub_i32 s3, s13, s18
	s_add_u32 s3, s3, 0xff
	s_addc_u32 s11, 0, 0
	v_mov_b32_e32 v2, s3
	v_alignbit_b32 v2, s11, v2, 8
	s_cmp_lt_u32 s10, s2
	v_readfirstlane_b32 s2, v2
	s_cselect_b32 s17, s1, s2
	s_cmp_lt_i32 s17, 1
	s_mov_b32 s1, 0
	s_barrier
	s_cbranch_scc1 .LBB178_19
; %bb.4:
	s_load_dwordx2 s[20:21], s[4:5], 0xd0
	s_load_dwordx2 s[10:11], s[4:5], 0x1b8
	;; [unrolled: 1-line block ×4, first 2 shown]
	v_add_u32_e32 v4, s18, v0
	s_waitcnt lgkmcnt(0)
	s_mul_i32 s4, s21, s12
	s_mul_hi_u32 s5, s20, s12
	s_add_i32 s5, s5, s4
	s_mul_i32 s4, s20, s12
	s_lshl_b64 s[4:5], s[4:5], 3
	s_add_u32 s14, s22, s4
	s_addc_u32 s15, s23, s5
	s_and_b32 s12, s0, 0xff
	s_cmp_eq_u32 s17, 1
	s_cbranch_scc1 .LBB178_14
; %bb.5:
	s_and_b32 s18, s17, 0x7ffffffe
	s_mov_b32 s19, 0
	v_mov_b32_e32 v5, 1
	v_mov_b32_e32 v6, 2
	;; [unrolled: 1-line block ×3, first 2 shown]
	s_branch .LBB178_7
.LBB178_6:                              ;   in Loop: Header=BB178_7 Depth=1
	s_or_b64 exec, exec, s[4:5]
	s_add_i32 s19, s19, 2
	s_cmp_eq_u32 s18, s19
	v_add_u32_e32 v7, 0x200, v7
	s_cbranch_scc1 .LBB178_13
.LBB178_7:                              ; =>This Inner Loop Header: Depth=1
	v_cmp_gt_u32_e64 s[0:1], s13, v7
	s_and_saveexec_b64 s[4:5], s[0:1]
	s_cbranch_execz .LBB178_10
; %bb.8:                                ;   in Loop: Header=BB178_7 Depth=1
	v_mad_u64_u32 v[2:3], s[0:1], v7, s10, 0
	v_mov_b32_e32 v8, v3
	v_mad_u64_u32 v[8:9], s[0:1], v7, s11, v[8:9]
	v_mov_b32_e32 v3, v8
	v_lshlrev_b64 v[2:3], 3, v[2:3]
	v_mov_b32_e32 v8, s15
	v_add_co_u32_e64 v2, s[0:1], s14, v2
	v_addc_co_u32_e64 v3, s[0:1], v8, v3, s[0:1]
	global_load_dwordx2 v[2:3], v[2:3], off
	s_waitcnt vmcnt(0)
	v_ashrrev_i32_e32 v8, 31, v3
	v_or_b32_e32 v9, 0x80000000, v8
	v_xor_b32_e32 v8, v8, v2
	v_xor_b32_e32 v9, v9, v3
	v_cmp_o_f64_e64 s[0:1], v[2:3], v[2:3]
	v_cndmask_b32_e64 v3, -1, v9, s[0:1]
	v_cndmask_b32_e64 v2, -1, v8, s[0:1]
	v_xor_b32_e32 v8, s3, v3
	v_xor_b32_e32 v10, s2, v2
	v_and_b32_e32 v9, s9, v8
	v_and_b32_e32 v8, s8, v10
	v_cmp_eq_u64_e64 s[0:1], 0, v[8:9]
	s_and_b64 exec, exec, s[0:1]
	s_cbranch_execz .LBB178_10
; %bb.9:                                ;   in Loop: Header=BB178_7 Depth=1
	v_lshrrev_b64 v[2:3], s12, v[2:3]
	v_lshlrev_b32_sdwa v2, v6, v2 dst_sel:DWORD dst_unused:UNUSED_PAD src0_sel:DWORD src1_sel:BYTE_0
	ds_add_u32 v2, v5
.LBB178_10:                             ;   in Loop: Header=BB178_7 Depth=1
	s_or_b64 exec, exec, s[4:5]
	v_add_u32_e32 v2, 0x100, v7
	v_cmp_gt_u32_e64 s[0:1], s13, v2
	s_and_saveexec_b64 s[4:5], s[0:1]
	s_cbranch_execz .LBB178_6
; %bb.11:                               ;   in Loop: Header=BB178_7 Depth=1
	v_mad_u64_u32 v[8:9], s[0:1], v2, s10, 0
	v_mov_b32_e32 v10, v9
	v_mad_u64_u32 v[2:3], s[0:1], v2, s11, v[10:11]
	v_mov_b32_e32 v9, v2
	v_lshlrev_b64 v[2:3], 3, v[8:9]
	v_mov_b32_e32 v8, s15
	v_add_co_u32_e64 v2, s[0:1], s14, v2
	v_addc_co_u32_e64 v3, s[0:1], v8, v3, s[0:1]
	global_load_dwordx2 v[2:3], v[2:3], off
	s_waitcnt vmcnt(0)
	v_ashrrev_i32_e32 v8, 31, v3
	v_or_b32_e32 v9, 0x80000000, v8
	v_xor_b32_e32 v8, v8, v2
	v_xor_b32_e32 v9, v9, v3
	v_cmp_o_f64_e64 s[0:1], v[2:3], v[2:3]
	v_cndmask_b32_e64 v3, -1, v9, s[0:1]
	v_cndmask_b32_e64 v2, -1, v8, s[0:1]
	v_xor_b32_e32 v8, s3, v3
	v_xor_b32_e32 v10, s2, v2
	v_and_b32_e32 v9, s9, v8
	v_and_b32_e32 v8, s8, v10
	v_cmp_eq_u64_e64 s[0:1], 0, v[8:9]
	s_and_b64 exec, exec, s[0:1]
	s_cbranch_execz .LBB178_6
; %bb.12:                               ;   in Loop: Header=BB178_7 Depth=1
	v_lshrrev_b64 v[2:3], s12, v[2:3]
	v_lshlrev_b32_sdwa v2, v6, v2 dst_sel:DWORD dst_unused:UNUSED_PAD src0_sel:DWORD src1_sel:BYTE_0
	ds_add_u32 v2, v5
	s_branch .LBB178_6
.LBB178_13:
	s_lshl_b32 s1, s18, 8
.LBB178_14:
	s_bitcmp0_b32 s17, 0
	s_cbranch_scc1 .LBB178_19
; %bb.15:
	v_add_u32_e32 v2, s1, v4
	v_cmp_gt_u32_e64 s[0:1], s13, v2
	s_and_saveexec_b64 s[4:5], s[0:1]
	s_cbranch_execz .LBB178_18
; %bb.16:
	v_mad_u64_u32 v[4:5], s[0:1], v2, s10, 0
	v_mov_b32_e32 v6, v5
	v_mad_u64_u32 v[2:3], s[0:1], v2, s11, v[6:7]
	v_mov_b32_e32 v5, v2
	v_lshlrev_b64 v[2:3], 3, v[4:5]
	v_mov_b32_e32 v4, s15
	v_add_co_u32_e64 v2, s[0:1], s14, v2
	v_addc_co_u32_e64 v3, s[0:1], v4, v3, s[0:1]
	global_load_dwordx2 v[2:3], v[2:3], off
	s_waitcnt vmcnt(0)
	v_ashrrev_i32_e32 v4, 31, v3
	v_or_b32_e32 v5, 0x80000000, v4
	v_xor_b32_e32 v4, v4, v2
	v_xor_b32_e32 v5, v5, v3
	v_cmp_o_f64_e64 s[0:1], v[2:3], v[2:3]
	v_cndmask_b32_e64 v3, -1, v5, s[0:1]
	v_cndmask_b32_e64 v2, -1, v4, s[0:1]
	v_xor_b32_e32 v4, s3, v3
	v_xor_b32_e32 v6, s2, v2
	v_and_b32_e32 v5, s9, v4
	v_and_b32_e32 v4, s8, v6
	v_cmp_eq_u64_e64 s[0:1], 0, v[4:5]
	s_and_b64 exec, exec, s[0:1]
	s_cbranch_execz .LBB178_18
; %bb.17:
	v_lshrrev_b64 v[2:3], s12, v[2:3]
	v_mov_b32_e32 v3, 2
	v_lshlrev_b32_sdwa v2, v3, v2 dst_sel:DWORD dst_unused:UNUSED_PAD src0_sel:DWORD src1_sel:BYTE_0
	v_mov_b32_e32 v3, 1
	ds_add_u32 v2, v3
.LBB178_18:
	s_or_b64 exec, exec, s[4:5]
.LBB178_19:
	v_mov_b32_e32 v2, 0
	s_waitcnt lgkmcnt(0)
	s_barrier
	s_and_saveexec_b64 s[0:1], vcc
	s_cbranch_execz .LBB178_21
; %bb.20:
	ds_read_b32 v2, v1
.LBB178_21:
	s_or_b64 exec, exec, s[0:1]
	s_and_saveexec_b64 s[0:1], vcc
	s_cbranch_execz .LBB178_23
; %bb.22:
	v_lshl_or_b32 v0, s16, 8, v0
	v_mov_b32_e32 v1, 0
	v_lshlrev_b64 v[0:1], 1, v[0:1]
	v_mov_b32_e32 v3, s7
	v_add_co_u32_e32 v0, vcc, s6, v0
	v_addc_co_u32_e32 v1, vcc, v3, v1, vcc
	s_waitcnt lgkmcnt(0)
	global_store_short v[0:1], v2, off
.LBB178_23:
	s_endpgm
	.section	.rodata,"a",@progbits
	.p2align	6, 0x0
	.amdhsa_kernel _ZN2at6native6mbtopk23computeBlockDigitCountsIdmmLi1EEEvNS_4cuda6detail10TensorInfoIKT_T0_EEjPjjS8_iijT1_PSB_Ps
		.amdhsa_group_segment_fixed_size 1024
		.amdhsa_private_segment_fixed_size 0
		.amdhsa_kernarg_size 744
		.amdhsa_user_sgpr_count 6
		.amdhsa_user_sgpr_private_segment_buffer 1
		.amdhsa_user_sgpr_dispatch_ptr 0
		.amdhsa_user_sgpr_queue_ptr 0
		.amdhsa_user_sgpr_kernarg_segment_ptr 1
		.amdhsa_user_sgpr_dispatch_id 0
		.amdhsa_user_sgpr_flat_scratch_init 0
		.amdhsa_user_sgpr_kernarg_preload_length 0
		.amdhsa_user_sgpr_kernarg_preload_offset 0
		.amdhsa_user_sgpr_private_segment_size 0
		.amdhsa_uses_dynamic_stack 0
		.amdhsa_system_sgpr_private_segment_wavefront_offset 0
		.amdhsa_system_sgpr_workgroup_id_x 1
		.amdhsa_system_sgpr_workgroup_id_y 1
		.amdhsa_system_sgpr_workgroup_id_z 1
		.amdhsa_system_sgpr_workgroup_info 0
		.amdhsa_system_vgpr_workitem_id 0
		.amdhsa_next_free_vgpr 12
		.amdhsa_next_free_sgpr 24
		.amdhsa_accum_offset 12
		.amdhsa_reserve_vcc 1
		.amdhsa_reserve_flat_scratch 0
		.amdhsa_float_round_mode_32 0
		.amdhsa_float_round_mode_16_64 0
		.amdhsa_float_denorm_mode_32 3
		.amdhsa_float_denorm_mode_16_64 3
		.amdhsa_dx10_clamp 1
		.amdhsa_ieee_mode 1
		.amdhsa_fp16_overflow 0
		.amdhsa_tg_split 0
		.amdhsa_exception_fp_ieee_invalid_op 0
		.amdhsa_exception_fp_denorm_src 0
		.amdhsa_exception_fp_ieee_div_zero 0
		.amdhsa_exception_fp_ieee_overflow 0
		.amdhsa_exception_fp_ieee_underflow 0
		.amdhsa_exception_fp_ieee_inexact 0
		.amdhsa_exception_int_div_zero 0
	.end_amdhsa_kernel
	.section	.text._ZN2at6native6mbtopk23computeBlockDigitCountsIdmmLi1EEEvNS_4cuda6detail10TensorInfoIKT_T0_EEjPjjS8_iijT1_PSB_Ps,"axG",@progbits,_ZN2at6native6mbtopk23computeBlockDigitCountsIdmmLi1EEEvNS_4cuda6detail10TensorInfoIKT_T0_EEjPjjS8_iijT1_PSB_Ps,comdat
.Lfunc_end178:
	.size	_ZN2at6native6mbtopk23computeBlockDigitCountsIdmmLi1EEEvNS_4cuda6detail10TensorInfoIKT_T0_EEjPjjS8_iijT1_PSB_Ps, .Lfunc_end178-_ZN2at6native6mbtopk23computeBlockDigitCountsIdmmLi1EEEvNS_4cuda6detail10TensorInfoIKT_T0_EEjPjjS8_iijT1_PSB_Ps
                                        ; -- End function
	.section	.AMDGPU.csdata,"",@progbits
; Kernel info:
; codeLenInByte = 1108
; NumSgprs: 28
; NumVgprs: 12
; NumAgprs: 0
; TotalNumVgprs: 12
; ScratchSize: 0
; MemoryBound: 0
; FloatMode: 240
; IeeeMode: 1
; LDSByteSize: 1024 bytes/workgroup (compile time only)
; SGPRBlocks: 3
; VGPRBlocks: 1
; NumSGPRsForWavesPerEU: 28
; NumVGPRsForWavesPerEU: 12
; AccumOffset: 12
; Occupancy: 8
; WaveLimiterHint : 1
; COMPUTE_PGM_RSRC2:SCRATCH_EN: 0
; COMPUTE_PGM_RSRC2:USER_SGPR: 6
; COMPUTE_PGM_RSRC2:TRAP_HANDLER: 0
; COMPUTE_PGM_RSRC2:TGID_X_EN: 1
; COMPUTE_PGM_RSRC2:TGID_Y_EN: 1
; COMPUTE_PGM_RSRC2:TGID_Z_EN: 1
; COMPUTE_PGM_RSRC2:TIDIG_COMP_CNT: 0
; COMPUTE_PGM_RSRC3_GFX90A:ACCUM_OFFSET: 2
; COMPUTE_PGM_RSRC3_GFX90A:TG_SPLIT: 0
	.section	.text._ZN2at6native6mbtopk10gatherTopKIdmLi1EEEvNS_4cuda6detail10TensorInfoIKT_T0_EES8_S8_bjS8_NS5_IS6_S8_EES8_NS5_IlS8_EES8_jjPS6_PjSD_j,"axG",@progbits,_ZN2at6native6mbtopk10gatherTopKIdmLi1EEEvNS_4cuda6detail10TensorInfoIKT_T0_EES8_S8_bjS8_NS5_IS6_S8_EES8_NS5_IlS8_EES8_jjPS6_PjSD_j,comdat
	.protected	_ZN2at6native6mbtopk10gatherTopKIdmLi1EEEvNS_4cuda6detail10TensorInfoIKT_T0_EES8_S8_bjS8_NS5_IS6_S8_EES8_NS5_IlS8_EES8_jjPS6_PjSD_j ; -- Begin function _ZN2at6native6mbtopk10gatherTopKIdmLi1EEEvNS_4cuda6detail10TensorInfoIKT_T0_EES8_S8_bjS8_NS5_IS6_S8_EES8_NS5_IlS8_EES8_jjPS6_PjSD_j
	.globl	_ZN2at6native6mbtopk10gatherTopKIdmLi1EEEvNS_4cuda6detail10TensorInfoIKT_T0_EES8_S8_bjS8_NS5_IS6_S8_EES8_NS5_IlS8_EES8_jjPS6_PjSD_j
	.p2align	8
	.type	_ZN2at6native6mbtopk10gatherTopKIdmLi1EEEvNS_4cuda6detail10TensorInfoIKT_T0_EES8_S8_bjS8_NS5_IS6_S8_EES8_NS5_IlS8_EES8_jjPS6_PjSD_j,@function
_ZN2at6native6mbtopk10gatherTopKIdmLi1EEEvNS_4cuda6detail10TensorInfoIKT_T0_EES8_S8_bjS8_NS5_IS6_S8_EES8_NS5_IlS8_EES8_jjPS6_PjSD_j: ; @_ZN2at6native6mbtopk10gatherTopKIdmLi1EEEvNS_4cuda6detail10TensorInfoIKT_T0_EES8_S8_bjS8_NS5_IS6_S8_EES8_NS5_IlS8_EES8_jjPS6_PjSD_j
; %bb.0:
	s_load_dwordx2 s[0:1], s[4:5], 0x538
	s_load_dword s2, s[4:5], 0x530
	s_waitcnt lgkmcnt(0)
	s_mul_i32 s1, s1, s8
	s_add_i32 s1, s1, s7
	s_mul_i32 s0, s1, s0
	s_add_i32 s0, s0, s6
	s_cmp_ge_u32 s0, s2
	s_cbranch_scc1 .LBB179_42
; %bb.1:
	s_load_dwordx2 s[20:21], s[4:5], 0x510
	s_load_dwordx4 s[8:11], s[4:5], 0x1a0
	s_mov_b32 s7, 0
	s_waitcnt lgkmcnt(0)
	v_cvt_f32_u32_e32 v1, s21
	s_sub_i32 s2, 0, s21
	s_lshl_b32 s1, s20, 8
	v_rcp_iflag_f32_e32 v1, v1
	v_mul_f32_e32 v1, 0x4f7ffffe, v1
	v_cvt_u32_f32_e32 v1, v1
	v_readfirstlane_b32 s3, v1
	s_mul_i32 s2, s2, s3
	s_mul_hi_u32 s2, s3, s2
	s_add_i32 s3, s3, s2
	s_mul_hi_u32 s2, s0, s3
	s_mul_i32 s3, s2, s21
	s_sub_i32 s3, s0, s3
	s_add_i32 s6, s2, 1
	s_sub_i32 s12, s3, s21
	s_cmp_ge_u32 s3, s21
	s_cselect_b32 s2, s6, s2
	s_cselect_b32 s3, s12, s3
	s_add_i32 s6, s2, 1
	s_cmp_ge_u32 s3, s21
	s_cselect_b32 s6, s6, s2
	s_mul_i32 s30, s6, s21
	s_sub_i32 s42, s0, s30
	s_add_i32 s0, s42, 1
	s_cmp_lt_u32 s0, s21
	s_mul_i32 s33, s42, s1
	s_cbranch_scc1 .LBB179_3
; %bb.2:
	s_sub_u32 s0, s8, s33
	s_subb_u32 s1, s9, 0
	s_add_u32 s0, s0, 0xff
	s_addc_u32 s1, s1, 0
	s_ashr_i32 s2, s1, 31
	s_lshr_b32 s2, s2, 24
	s_add_u32 s0, s0, s2
	s_addc_u32 s1, s1, 0
	v_mov_b32_e32 v1, s0
	v_alignbit_b32 v1, s1, v1, 8
	v_readfirstlane_b32 s20, v1
.LBB179_3:
	s_load_dwordx4 s[12:15], s[4:5], 0x518
	s_load_dwordx2 s[24:25], s[4:5], 0x0
	s_load_dwordx2 s[34:35], s[4:5], 0xd0
	;; [unrolled: 1-line block ×4, first 2 shown]
	s_lshl_b64 s[0:1], s[6:7], 3
	s_waitcnt lgkmcnt(0)
	s_add_u32 s0, s12, s0
	s_addc_u32 s1, s13, s1
	s_load_dwordx2 s[22:23], s[0:1], 0x0
	v_cmp_ne_u32_e64 s[0:1], 0, v0
	v_cmp_eq_u32_e64 s[2:3], 0, v0
	s_and_saveexec_b64 s[12:13], s[2:3]
	s_cbranch_execz .LBB179_19
; %bb.4:
	s_load_dwordx2 s[36:37], s[4:5], 0x528
	s_mov_b32 s31, 0
	s_lshl_b64 s[38:39], s[30:31], 2
	s_add_u32 s16, s14, s38
	s_addc_u32 s17, s15, s39
	s_waitcnt lgkmcnt(0)
	s_add_u32 s18, s36, s38
	s_addc_u32 s19, s37, s39
	s_mov_b32 s30, 0
	s_cmp_lt_u32 s21, 4
	s_cbranch_scc1 .LBB179_16
; %bb.5:
	s_mov_b32 s43, 0
.LBB179_6:                              ; =>This Inner Loop Header: Depth=1
	s_add_u32 s16, s14, s38
	s_addc_u32 s17, s15, s39
	s_load_dwordx4 s[16:19], s[16:17], 0x0
	s_add_u32 s40, s36, s38
	s_addc_u32 s41, s37, s39
	s_cmp_ge_u32 s43, s42
	s_cbranch_scc0 .LBB179_13
; %bb.7:                                ;   in Loop: Header=BB179_6 Depth=1
	s_add_i32 s44, s43, 1
	s_cmp_ge_u32 s44, s42
	s_cbranch_scc0 .LBB179_14
.LBB179_8:                              ;   in Loop: Header=BB179_6 Depth=1
	s_add_i32 s44, s44, 1
	s_cmp_ge_u32 s44, s42
	s_cbranch_scc0 .LBB179_15
.LBB179_9:                              ;   in Loop: Header=BB179_6 Depth=1
	s_add_i32 s44, s44, 1
	s_cmp_ge_u32 s44, s42
	s_cbranch_scc1 .LBB179_11
.LBB179_10:                             ;   in Loop: Header=BB179_6 Depth=1
	s_load_dword s40, s[40:41], 0xc
	s_waitcnt lgkmcnt(0)
	s_add_i32 s31, s31, s19
	s_add_i32 s7, s40, s7
.LBB179_11:                             ;   in Loop: Header=BB179_6 Depth=1
	s_waitcnt lgkmcnt(0)
	s_add_i32 s16, s16, s30
	s_add_i32 s16, s16, s17
	;; [unrolled: 1-line block ×4, first 2 shown]
	s_add_u32 s14, s14, 16
	s_addc_u32 s15, s15, 0
	s_add_u32 s36, s36, 16
	s_addc_u32 s37, s37, 0
	s_add_i32 s41, s44, 4
	s_add_u32 s18, s36, s38
	s_addc_u32 s19, s37, s39
	s_add_u32 s16, s14, s38
	s_addc_u32 s17, s15, s39
	s_add_i32 s40, s44, 1
	s_cmp_ge_u32 s41, s21
	s_cbranch_scc1 .LBB179_17
; %bb.12:                               ;   in Loop: Header=BB179_6 Depth=1
	s_mov_b32 s43, s40
	s_branch .LBB179_6
.LBB179_13:                             ;   in Loop: Header=BB179_6 Depth=1
	s_load_dword s44, s[40:41], 0x0
	s_waitcnt lgkmcnt(0)
	s_add_i32 s31, s16, s31
	s_add_i32 s7, s44, s7
	s_add_i32 s44, s43, 1
	s_cmp_ge_u32 s44, s42
	s_cbranch_scc1 .LBB179_8
.LBB179_14:                             ;   in Loop: Header=BB179_6 Depth=1
	s_load_dword s45, s[40:41], 0x4
	s_waitcnt lgkmcnt(0)
	s_add_i32 s31, s31, s17
	s_add_i32 s7, s45, s7
	;; [unrolled: 1-line block ×3, first 2 shown]
	s_cmp_ge_u32 s44, s42
	s_cbranch_scc1 .LBB179_9
.LBB179_15:                             ;   in Loop: Header=BB179_6 Depth=1
	s_load_dword s45, s[40:41], 0x8
	s_waitcnt lgkmcnt(0)
	s_add_i32 s31, s31, s18
	s_add_i32 s7, s45, s7
	;; [unrolled: 1-line block ×3, first 2 shown]
	s_cmp_ge_u32 s44, s42
	s_cbranch_scc0 .LBB179_10
	s_branch .LBB179_11
.LBB179_16:
	s_mov_b32 s14, 0
	s_cmp_ge_u32 s14, s21
	s_cbranch_scc0 .LBB179_40
	s_branch .LBB179_18
.LBB179_17:
	s_add_i32 s14, s43, 4
	s_cmp_ge_u32 s14, s21
	s_cbranch_scc0 .LBB179_40
.LBB179_18:
	v_mov_b32_e32 v2, s7
	v_mov_b32_e32 v3, s30
	;; [unrolled: 1-line block ×4, first 2 shown]
	ds_write_b96 v1, v[2:4] offset:1056
.LBB179_19:
	s_or_b64 exec, exec, s[12:13]
	s_load_dwordx4 s[12:15], s[4:5], 0x1b8
	s_load_dwordx4 s[16:19], s[4:5], 0x360
	s_cmp_eq_u32 s20, 0
	s_waitcnt lgkmcnt(0)
	s_barrier
	s_cbranch_scc1 .LBB179_42
; %bb.20:
	s_mul_i32 s7, s35, s6
	s_mul_hi_u32 s21, s34, s6
	s_add_i32 s31, s21, s7
	s_mul_i32 s7, s29, s6
	s_mul_hi_u32 s21, s28, s6
	s_mul_i32 s30, s34, s6
	s_add_i32 s29, s21, s7
	s_mul_i32 s7, s27, s6
	s_mul_hi_u32 s21, s26, s6
	s_mul_i32 s28, s28, s6
	s_add_i32 s7, s21, s7
	s_mul_i32 s6, s26, s6
	s_lshl_b64 s[26:27], s[30:31], 3
	s_add_u32 s21, s24, s26
	s_addc_u32 s24, s25, s27
	s_lshl_b64 s[26:27], s[28:29], 3
	s_add_u32 s25, s14, s26
	s_addc_u32 s26, s15, s27
	s_lshl_b64 s[6:7], s[6:7], 3
	v_mov_b32_e32 v1, 0
	s_add_u32 s27, s18, s6
	ds_read_b96 v[2:4], v1 offset:1056
	s_addc_u32 s28, s19, s7
	s_ashr_i32 s6, s23, 31
	s_or_b32 s7, s6, 0x80000000
	v_cmp_o_f64_e64 s[14:15], s[22:23], s[22:23]
	s_xor_b64 s[6:7], s[6:7], s[22:23]
	s_and_b64 s[14:15], s[14:15], exec
	s_cselect_b32 s15, s7, -1
	s_load_dword s7, s[4:5], 0x1b0
	s_load_dwordx2 s[18:19], s[4:5], 0x508
	s_waitcnt lgkmcnt(0)
	v_add_u32_e32 v2, v2, v3
	v_lshrrev_b32_e32 v3, 5, v0
	v_add_lshl_u32 v5, v3, v0, 2
	v_lshlrev_b32_e32 v3, 2, v0
	v_lshrrev_b32_e32 v6, 3, v0
	v_add_lshl_u32 v10, v6, v3, 2
	v_add_u32_e32 v3, -1, v0
	v_lshrrev_b32_e32 v6, 5, v3
	v_add_lshl_u32 v11, v6, v3, 2
	v_mbcnt_lo_u32_b32 v3, -1, 0
	s_cselect_b32 s14, s6, -1
	s_bitcmp1_b32 s7, 0
	v_mbcnt_hi_u32_b32 v12, -1, v3
	s_cselect_b64 s[4:5], -1, 0
	v_cmp_gt_u32_e64 s[6:7], 64, v0
	v_add_u32_e32 v0, s33, v0
	v_and_b32_e32 v13, 15, v12
	v_bfe_i32 v14, v12, 4, 1
	v_add_u32_e32 v15, -1, v12
	v_and_b32_e32 v16, 64, v12
                                        ; implicit-def: $vgpr6_vgpr7
	s_branch .LBB179_23
.LBB179_21:                             ;   in Loop: Header=BB179_23 Depth=1
	s_or_b64 exec, exec, s[22:23]
	v_add_u32_e32 v2, v3, v2
.LBB179_22:                             ;   in Loop: Header=BB179_23 Depth=1
	s_add_i32 s20, s20, -1
	v_add_u32_e32 v4, v17, v4
	s_cmp_lg_u32 s20, 0
	v_add_u32_e32 v0, 0x100, v0
	s_cbranch_scc0 .LBB179_42
.LBB179_23:                             ; =>This Inner Loop Header: Depth=1
	v_cmp_gt_u64_e32 vcc, s[8:9], v[0:1]
	v_mov_b32_e32 v3, v1
	v_mov_b32_e32 v8, v1
	s_and_saveexec_b64 s[22:23], vcc
	s_cbranch_execz .LBB179_25
; %bb.24:                               ;   in Loop: Header=BB179_23 Depth=1
	v_mad_u64_u32 v[6:7], s[30:31], v0, s12, 0
	v_mov_b32_e32 v8, v7
	v_mad_u64_u32 v[8:9], s[30:31], v0, s13, v[8:9]
	v_mov_b32_e32 v7, v8
	v_lshlrev_b64 v[6:7], 3, v[6:7]
	v_mov_b32_e32 v3, s24
	v_add_co_u32_e32 v6, vcc, s21, v6
	v_addc_co_u32_e32 v7, vcc, v3, v7, vcc
	global_load_dwordx2 v[6:7], v[6:7], off
	s_waitcnt vmcnt(0)
	v_ashrrev_i32_e32 v3, 31, v7
	v_or_b32_e32 v8, 0x80000000, v3
	v_xor_b32_e32 v3, v3, v6
	v_xor_b32_e32 v8, v8, v7
	v_cmp_o_f64_e32 vcc, v[6:7], v[6:7]
	v_cndmask_b32_e32 v9, -1, v8, vcc
	v_cndmask_b32_e32 v8, -1, v3, vcc
	v_cmp_lt_u64_e32 vcc, s[14:15], v[8:9]
	v_cndmask_b32_e64 v3, 0, 1, vcc
	v_cmp_gt_u64_e32 vcc, s[14:15], v[8:9]
	v_cndmask_b32_e64 v17, 0, 1, vcc
	v_cndmask_b32_e64 v3, v17, v3, s[4:5]
	v_cmp_eq_u64_e32 vcc, s[14:15], v[8:9]
	v_and_b32_e32 v3, 1, v3
	v_cndmask_b32_e64 v8, 0, 1, vcc
.LBB179_25:                             ;   in Loop: Header=BB179_23 Depth=1
	s_or_b64 exec, exec, s[22:23]
	ds_write_b32 v5, v3
	s_waitcnt lgkmcnt(0)
	s_barrier
	s_and_saveexec_b64 s[22:23], s[6:7]
	s_cbranch_execz .LBB179_27
; %bb.26:                               ;   in Loop: Header=BB179_23 Depth=1
	ds_read2_b32 v[18:19], v10 offset1:1
	ds_read2_b32 v[20:21], v10 offset0:2 offset1:3
	v_cmp_ne_u32_e32 vcc, 0, v13
	; wave barrier
	s_waitcnt lgkmcnt(1)
	v_add_u32_e32 v9, v19, v18
	s_waitcnt lgkmcnt(0)
	v_add3_u32 v9, v9, v20, v21
	s_nop 1
	v_mov_b32_dpp v17, v9 row_shr:1 row_mask:0xf bank_mask:0xf
	v_cndmask_b32_e32 v17, 0, v17, vcc
	v_add_u32_e32 v9, v17, v9
	v_cmp_lt_u32_e32 vcc, 1, v13
	s_nop 0
	v_mov_b32_dpp v17, v9 row_shr:2 row_mask:0xf bank_mask:0xf
	v_cndmask_b32_e32 v17, 0, v17, vcc
	v_add_u32_e32 v9, v9, v17
	v_cmp_lt_u32_e32 vcc, 3, v13
	;; [unrolled: 5-line block ×4, first 2 shown]
	s_nop 0
	v_mov_b32_dpp v17, v9 row_bcast:15 row_mask:0xf bank_mask:0xf
	v_and_b32_e32 v17, v14, v17
	v_add_u32_e32 v9, v9, v17
	s_nop 1
	v_mov_b32_dpp v17, v9 row_bcast:31 row_mask:0xf bank_mask:0xf
	v_cndmask_b32_e32 v17, 0, v17, vcc
	v_cmp_lt_i32_e32 vcc, v15, v16
	v_add_u32_e32 v9, v9, v17
	v_cndmask_b32_e32 v17, v15, v12, vcc
	v_lshlrev_b32_e32 v17, 2, v17
	ds_bpermute_b32 v9, v17, v9
	s_waitcnt lgkmcnt(0)
	v_add_u32_e32 v9, v9, v18
	v_cndmask_b32_e64 v9, v9, v3, s[2:3]
	ds_write_b32 v10, v9
	; wave barrier
	ds_read2_b32 v[18:19], v10 offset0:1 offset1:2
	ds_read_b32 v17, v10 offset:12
	s_waitcnt lgkmcnt(1)
	v_add_u32_e32 v9, v18, v9
	v_add_u32_e32 v18, v19, v9
	ds_write2_b32 v10, v9, v18 offset0:1 offset1:2
	s_waitcnt lgkmcnt(1)
	v_add_u32_e32 v9, v17, v18
	ds_write_b32 v10, v9 offset:12
.LBB179_27:                             ;   in Loop: Header=BB179_23 Depth=1
	s_or_b64 exec, exec, s[22:23]
	v_mov_b32_e32 v9, 0
	s_waitcnt lgkmcnt(0)
	s_barrier
	s_and_saveexec_b64 s[22:23], s[0:1]
	s_cbranch_execz .LBB179_29
; %bb.28:                               ;   in Loop: Header=BB179_23 Depth=1
	ds_read_b32 v9, v11
.LBB179_29:                             ;   in Loop: Header=BB179_23 Depth=1
	s_or_b64 exec, exec, s[22:23]
	ds_read_b32 v17, v1 offset:1048
	v_cmp_ne_u32_e32 vcc, 0, v3
	s_waitcnt lgkmcnt(0)
	s_barrier
	s_and_saveexec_b64 s[22:23], vcc
	s_cbranch_execz .LBB179_31
; %bb.30:                               ;   in Loop: Header=BB179_23 Depth=1
	v_add_u32_e32 v3, v9, v4
	v_mad_u64_u32 v[18:19], s[30:31], v3, s16, 0
	v_mov_b32_e32 v20, v19
	v_mad_u64_u32 v[20:21], s[30:31], v3, s17, v[20:21]
	v_mov_b32_e32 v19, v20
	v_lshlrev_b64 v[18:19], 3, v[18:19]
	v_mov_b32_e32 v9, s26
	v_add_co_u32_e32 v18, vcc, s25, v18
	v_addc_co_u32_e32 v19, vcc, v9, v19, vcc
	global_store_dwordx2 v[18:19], v[6:7], off
	v_mad_u64_u32 v[18:19], s[30:31], v3, s18, 0
	v_mov_b32_e32 v20, v19
	v_mad_u64_u32 v[20:21], s[30:31], v3, s19, v[20:21]
	v_mov_b32_e32 v19, v20
	v_lshlrev_b64 v[18:19], 3, v[18:19]
	v_mov_b32_e32 v3, s28
	v_add_co_u32_e32 v18, vcc, s27, v18
	v_addc_co_u32_e32 v19, vcc, v3, v19, vcc
	global_store_dwordx2 v[18:19], v[0:1], off
.LBB179_31:                             ;   in Loop: Header=BB179_23 Depth=1
	s_or_b64 exec, exec, s[22:23]
	v_mov_b32_e32 v3, v1
	v_cmp_le_u64_e32 vcc, s[10:11], v[2:3]
	s_cbranch_vccnz .LBB179_22
; %bb.32:                               ;   in Loop: Header=BB179_23 Depth=1
	ds_write_b32 v5, v8
	s_waitcnt lgkmcnt(0)
	s_barrier
	s_and_saveexec_b64 s[22:23], s[6:7]
	s_cbranch_execz .LBB179_34
; %bb.33:                               ;   in Loop: Header=BB179_23 Depth=1
	ds_read2_b32 v[18:19], v10 offset1:1
	ds_read2_b32 v[20:21], v10 offset0:2 offset1:3
	v_cmp_ne_u32_e32 vcc, 0, v13
	; wave barrier
	s_waitcnt lgkmcnt(1)
	v_add_u32_e32 v3, v19, v18
	s_waitcnt lgkmcnt(0)
	v_add3_u32 v3, v3, v20, v21
	s_nop 1
	v_mov_b32_dpp v9, v3 row_shr:1 row_mask:0xf bank_mask:0xf
	v_cndmask_b32_e32 v9, 0, v9, vcc
	v_add_u32_e32 v3, v9, v3
	v_cmp_lt_u32_e32 vcc, 1, v13
	s_nop 0
	v_mov_b32_dpp v9, v3 row_shr:2 row_mask:0xf bank_mask:0xf
	v_cndmask_b32_e32 v9, 0, v9, vcc
	v_add_u32_e32 v3, v3, v9
	v_cmp_lt_u32_e32 vcc, 3, v13
	;; [unrolled: 5-line block ×4, first 2 shown]
	s_nop 0
	v_mov_b32_dpp v9, v3 row_bcast:15 row_mask:0xf bank_mask:0xf
	v_and_b32_e32 v9, v14, v9
	v_add_u32_e32 v3, v3, v9
	s_nop 1
	v_mov_b32_dpp v9, v3 row_bcast:31 row_mask:0xf bank_mask:0xf
	v_cndmask_b32_e32 v9, 0, v9, vcc
	v_cmp_lt_i32_e32 vcc, v15, v16
	v_add_u32_e32 v3, v3, v9
	v_cndmask_b32_e32 v9, v15, v12, vcc
	v_lshlrev_b32_e32 v9, 2, v9
	ds_bpermute_b32 v3, v9, v3
	s_waitcnt lgkmcnt(0)
	v_add_u32_e32 v3, v3, v18
	v_cndmask_b32_e64 v3, v3, v8, s[2:3]
	ds_write_b32 v10, v3
	; wave barrier
	ds_read2_b32 v[18:19], v10 offset0:1 offset1:2
	ds_read_b32 v9, v10 offset:12
	s_waitcnt lgkmcnt(1)
	v_add_u32_e32 v3, v18, v3
	v_add_u32_e32 v18, v19, v3
	ds_write2_b32 v10, v3, v18 offset0:1 offset1:2
	s_waitcnt lgkmcnt(1)
	v_add_u32_e32 v3, v9, v18
	ds_write_b32 v10, v3 offset:12
.LBB179_34:                             ;   in Loop: Header=BB179_23 Depth=1
	s_or_b64 exec, exec, s[22:23]
	v_mov_b32_e32 v9, 0
	s_waitcnt lgkmcnt(0)
	s_barrier
	s_and_saveexec_b64 s[22:23], s[0:1]
	s_cbranch_execz .LBB179_36
; %bb.35:                               ;   in Loop: Header=BB179_23 Depth=1
	ds_read_b32 v9, v11
.LBB179_36:                             ;   in Loop: Header=BB179_23 Depth=1
	s_or_b64 exec, exec, s[22:23]
	ds_read_b32 v3, v1 offset:1048
	v_cmp_ne_u32_e32 vcc, 0, v8
	s_waitcnt lgkmcnt(0)
	s_barrier
	s_and_saveexec_b64 s[22:23], vcc
	s_cbranch_execz .LBB179_21
; %bb.37:                               ;   in Loop: Header=BB179_23 Depth=1
	v_add_u32_e32 v8, v9, v2
	v_mov_b32_e32 v9, v1
	v_cmp_gt_u64_e32 vcc, s[10:11], v[8:9]
	s_and_b64 exec, exec, vcc
	s_cbranch_execz .LBB179_21
; %bb.38:                               ;   in Loop: Header=BB179_23 Depth=1
	v_mad_u64_u32 v[18:19], s[30:31], v8, s16, 0
	v_mov_b32_e32 v20, v19
	v_mad_u64_u32 v[20:21], s[30:31], v8, s17, v[20:21]
	v_mov_b32_e32 v19, v20
	v_lshlrev_b64 v[18:19], 3, v[18:19]
	v_mov_b32_e32 v9, s26
	v_add_co_u32_e32 v18, vcc, s25, v18
	v_addc_co_u32_e32 v19, vcc, v9, v19, vcc
	global_store_dwordx2 v[18:19], v[6:7], off
	v_mad_u64_u32 v[18:19], s[30:31], v8, s18, 0
	v_mov_b32_e32 v20, v19
	v_mad_u64_u32 v[8:9], s[30:31], v8, s19, v[20:21]
	v_mov_b32_e32 v19, v8
	v_lshlrev_b64 v[8:9], 3, v[18:19]
	v_mov_b32_e32 v18, s28
	v_add_co_u32_e32 v8, vcc, s27, v8
	v_addc_co_u32_e32 v9, vcc, v18, v9, vcc
	global_store_dwordx2 v[8:9], v[0:1], off
	s_branch .LBB179_21
.LBB179_39:                             ;   in Loop: Header=BB179_40 Depth=1
	s_add_u32 s16, s16, 4
	s_addc_u32 s17, s17, 0
	s_waitcnt lgkmcnt(0)
	s_add_i32 s30, s15, s30
	s_add_u32 s18, s18, 4
	s_addc_u32 s19, s19, 0
	s_add_i32 s14, s14, 1
	s_cmp_lt_u32 s14, s21
	s_cbranch_scc0 .LBB179_18
.LBB179_40:                             ; =>This Inner Loop Header: Depth=1
	s_load_dword s15, s[16:17], 0x0
	s_cmp_ge_u32 s14, s42
	s_cbranch_scc1 .LBB179_39
; %bb.41:                               ;   in Loop: Header=BB179_40 Depth=1
	s_load_dword s36, s[18:19], 0x0
	s_waitcnt lgkmcnt(0)
	s_add_i32 s31, s15, s31
	s_add_i32 s7, s36, s7
	s_branch .LBB179_39
.LBB179_42:
	s_endpgm
	.section	.rodata,"a",@progbits
	.p2align	6, 0x0
	.amdhsa_kernel _ZN2at6native6mbtopk10gatherTopKIdmLi1EEEvNS_4cuda6detail10TensorInfoIKT_T0_EES8_S8_bjS8_NS5_IS6_S8_EES8_NS5_IlS8_EES8_jjPS6_PjSD_j
		.amdhsa_group_segment_fixed_size 1068
		.amdhsa_private_segment_fixed_size 0
		.amdhsa_kernarg_size 1592
		.amdhsa_user_sgpr_count 6
		.amdhsa_user_sgpr_private_segment_buffer 1
		.amdhsa_user_sgpr_dispatch_ptr 0
		.amdhsa_user_sgpr_queue_ptr 0
		.amdhsa_user_sgpr_kernarg_segment_ptr 1
		.amdhsa_user_sgpr_dispatch_id 0
		.amdhsa_user_sgpr_flat_scratch_init 0
		.amdhsa_user_sgpr_kernarg_preload_length 0
		.amdhsa_user_sgpr_kernarg_preload_offset 0
		.amdhsa_user_sgpr_private_segment_size 0
		.amdhsa_uses_dynamic_stack 0
		.amdhsa_system_sgpr_private_segment_wavefront_offset 0
		.amdhsa_system_sgpr_workgroup_id_x 1
		.amdhsa_system_sgpr_workgroup_id_y 1
		.amdhsa_system_sgpr_workgroup_id_z 1
		.amdhsa_system_sgpr_workgroup_info 0
		.amdhsa_system_vgpr_workitem_id 0
		.amdhsa_next_free_vgpr 22
		.amdhsa_next_free_sgpr 46
		.amdhsa_accum_offset 24
		.amdhsa_reserve_vcc 1
		.amdhsa_reserve_flat_scratch 0
		.amdhsa_float_round_mode_32 0
		.amdhsa_float_round_mode_16_64 0
		.amdhsa_float_denorm_mode_32 3
		.amdhsa_float_denorm_mode_16_64 3
		.amdhsa_dx10_clamp 1
		.amdhsa_ieee_mode 1
		.amdhsa_fp16_overflow 0
		.amdhsa_tg_split 0
		.amdhsa_exception_fp_ieee_invalid_op 0
		.amdhsa_exception_fp_denorm_src 0
		.amdhsa_exception_fp_ieee_div_zero 0
		.amdhsa_exception_fp_ieee_overflow 0
		.amdhsa_exception_fp_ieee_underflow 0
		.amdhsa_exception_fp_ieee_inexact 0
		.amdhsa_exception_int_div_zero 0
	.end_amdhsa_kernel
	.section	.text._ZN2at6native6mbtopk10gatherTopKIdmLi1EEEvNS_4cuda6detail10TensorInfoIKT_T0_EES8_S8_bjS8_NS5_IS6_S8_EES8_NS5_IlS8_EES8_jjPS6_PjSD_j,"axG",@progbits,_ZN2at6native6mbtopk10gatherTopKIdmLi1EEEvNS_4cuda6detail10TensorInfoIKT_T0_EES8_S8_bjS8_NS5_IS6_S8_EES8_NS5_IlS8_EES8_jjPS6_PjSD_j,comdat
.Lfunc_end179:
	.size	_ZN2at6native6mbtopk10gatherTopKIdmLi1EEEvNS_4cuda6detail10TensorInfoIKT_T0_EES8_S8_bjS8_NS5_IS6_S8_EES8_NS5_IlS8_EES8_jjPS6_PjSD_j, .Lfunc_end179-_ZN2at6native6mbtopk10gatherTopKIdmLi1EEEvNS_4cuda6detail10TensorInfoIKT_T0_EES8_S8_bjS8_NS5_IS6_S8_EES8_NS5_IlS8_EES8_jjPS6_PjSD_j
                                        ; -- End function
	.section	.AMDGPU.csdata,"",@progbits
; Kernel info:
; codeLenInByte = 2228
; NumSgprs: 50
; NumVgprs: 22
; NumAgprs: 0
; TotalNumVgprs: 22
; ScratchSize: 0
; MemoryBound: 0
; FloatMode: 240
; IeeeMode: 1
; LDSByteSize: 1068 bytes/workgroup (compile time only)
; SGPRBlocks: 6
; VGPRBlocks: 2
; NumSGPRsForWavesPerEU: 50
; NumVGPRsForWavesPerEU: 22
; AccumOffset: 24
; Occupancy: 8
; WaveLimiterHint : 1
; COMPUTE_PGM_RSRC2:SCRATCH_EN: 0
; COMPUTE_PGM_RSRC2:USER_SGPR: 6
; COMPUTE_PGM_RSRC2:TRAP_HANDLER: 0
; COMPUTE_PGM_RSRC2:TGID_X_EN: 1
; COMPUTE_PGM_RSRC2:TGID_Y_EN: 1
; COMPUTE_PGM_RSRC2:TGID_Z_EN: 1
; COMPUTE_PGM_RSRC2:TIDIG_COMP_CNT: 0
; COMPUTE_PGM_RSRC3_GFX90A:ACCUM_OFFSET: 5
; COMPUTE_PGM_RSRC3_GFX90A:TG_SPLIT: 0
	.section	.text._ZN2at6native6sbtopk10gatherTopKIdmLi1ELb0EEEvNS_4cuda6detail10TensorInfoIKT_T0_EES8_S8_bS8_S8_NS5_IS6_S8_EES8_NS5_IlS8_EES8_PS6_,"axG",@progbits,_ZN2at6native6sbtopk10gatherTopKIdmLi1ELb0EEEvNS_4cuda6detail10TensorInfoIKT_T0_EES8_S8_bS8_S8_NS5_IS6_S8_EES8_NS5_IlS8_EES8_PS6_,comdat
	.protected	_ZN2at6native6sbtopk10gatherTopKIdmLi1ELb0EEEvNS_4cuda6detail10TensorInfoIKT_T0_EES8_S8_bS8_S8_NS5_IS6_S8_EES8_NS5_IlS8_EES8_PS6_ ; -- Begin function _ZN2at6native6sbtopk10gatherTopKIdmLi1ELb0EEEvNS_4cuda6detail10TensorInfoIKT_T0_EES8_S8_bS8_S8_NS5_IS6_S8_EES8_NS5_IlS8_EES8_PS6_
	.globl	_ZN2at6native6sbtopk10gatherTopKIdmLi1ELb0EEEvNS_4cuda6detail10TensorInfoIKT_T0_EES8_S8_bS8_S8_NS5_IS6_S8_EES8_NS5_IlS8_EES8_PS6_
	.p2align	8
	.type	_ZN2at6native6sbtopk10gatherTopKIdmLi1ELb0EEEvNS_4cuda6detail10TensorInfoIKT_T0_EES8_S8_bS8_S8_NS5_IS6_S8_EES8_NS5_IlS8_EES8_PS6_,@function
_ZN2at6native6sbtopk10gatherTopKIdmLi1ELb0EEEvNS_4cuda6detail10TensorInfoIKT_T0_EES8_S8_bS8_S8_NS5_IS6_S8_EES8_NS5_IlS8_EES8_PS6_: ; @_ZN2at6native6sbtopk10gatherTopKIdmLi1ELb0EEEvNS_4cuda6detail10TensorInfoIKT_T0_EES8_S8_bS8_S8_NS5_IS6_S8_EES8_NS5_IlS8_EES8_PS6_
; %bb.0:
	s_load_dwordx4 s[60:63], s[4:5], 0x1b8
	s_load_dwordx2 s[10:11], s[4:5], 0x520
	s_add_u32 s14, s4, 0x520
	s_addc_u32 s15, s5, 0
	s_mov_b32 s17, 0
	s_waitcnt lgkmcnt(0)
	v_mov_b32_e32 v2, s60
	s_mul_i32 s0, s11, s8
	s_add_i32 s0, s0, s7
	s_mul_i32 s0, s0, s10
	v_mov_b32_e32 v3, s61
	s_add_i32 s16, s0, s6
	v_cmp_ge_u64_e32 vcc, s[16:17], v[2:3]
	s_cbranch_vccnz .LBB180_483
; %bb.1:
	s_load_dwordx2 s[0:1], s[4:5], 0x440
                                        ; implicit-def: $vgpr62 : SGPR spill to VGPR lane
	v_cmp_eq_u32_e64 s[8:9], 0, v0
	s_waitcnt lgkmcnt(0)
	v_writelane_b32 v62, s0, 0
	v_writelane_b32 v62, s1, 1
	s_load_dwordx2 s[0:1], s[4:5], 0x370
	s_waitcnt lgkmcnt(0)
	v_writelane_b32 v62, s0, 2
	v_writelane_b32 v62, s1, 3
	s_load_dwordx2 s[0:1], s[4:5], 0x298
	s_waitcnt lgkmcnt(0)
	v_writelane_b32 v62, s0, 4
	v_writelane_b32 v62, s1, 5
	s_load_dwordx4 s[56:59], s[4:5], 0x1a0
	s_load_dwordx2 s[0:1], s[4:5], 0x1c8
	s_waitcnt lgkmcnt(0)
	v_writelane_b32 v62, s0, 6
	v_writelane_b32 v62, s1, 7
	s_load_dwordx2 s[0:1], s[4:5], 0xd0
	s_load_dwordx2 s[12:13], s[4:5], 0x0
	s_mov_b64 s[2:3], exec
	v_writelane_b32 v62, s8, 8
	v_writelane_b32 v62, s9, 9
	s_and_b64 s[8:9], s[2:3], s[8:9]
	s_mov_b64 exec, s[8:9]
	s_cbranch_execz .LBB180_3
; %bb.2:
	v_mov_b32_e32 v2, 0
	v_mov_b32_e32 v4, s56
	;; [unrolled: 1-line block ×4, first 2 shown]
	ds_write_b32 v2, v2 offset:5144
	ds_write_b128 v2, v[2:5] offset:5120
.LBB180_3:
	s_or_b64 exec, exec, s[2:3]
	s_waitcnt lgkmcnt(0)
	s_mul_i32 s1, s1, s16
	s_mul_hi_u32 s2, s0, s16
	s_add_i32 s1, s2, s1
	v_writelane_b32 v62, s4, 10
	s_load_dword s2, s[4:5], 0x1b0
	v_writelane_b32 v62, s5, 11
	s_mov_b32 s4, s16
	s_mul_i32 s0, s0, s16
	v_writelane_b32 v62, s4, 12
	s_lshl_b64 s[0:1], s[0:1], 3
	v_writelane_b32 v62, s5, 13
	s_add_u32 s70, s12, s0
	v_writelane_b32 v62, s0, 14
	s_addc_u32 s71, s13, s1
	s_waitcnt lgkmcnt(0)
	s_bitcmp1_b32 s2, 0
	v_writelane_b32 v62, s1, 15
	s_cselect_b64 s[0:1], -1, 0
	v_writelane_b32 v62, s0, 16
	v_writelane_b32 v62, s1, 17
	s_xor_b64 s[0:1], s[0:1], -1
	v_mov_b32_e32 v2, 0x180
	v_writelane_b32 v62, s0, 18
	v_mov_b32_e32 v3, 0
	v_writelane_b32 v62, s1, 19
	v_mov_b32_e32 v21, 0
	v_mbcnt_lo_u32_b32 v1, -1, 0
	v_cmp_gt_u64_e64 s[0:1], s[56:57], v[2:3]
	v_mbcnt_hi_u32_b32 v47, -1, v1
	v_writelane_b32 v62, s0, 20
	v_mov_b32_e32 v1, v21
	v_writelane_b32 v62, s1, 21
	v_cmp_gt_u64_e64 s[0:1], s[56:57], v[0:1]
	v_writelane_b32 v62, s0, 22
	v_writelane_b32 v62, s1, 23
	v_mad_u64_u32 v[2:3], s[0:1], v0, s62, 0
	v_mov_b32_e32 v4, v3
	v_mad_u64_u32 v[4:5], s[0:1], v0, s63, v[4:5]
	v_cmp_gt_u32_e64 s[0:1], 2, v0
	v_writelane_b32 v62, s0, 24
	s_barrier
	v_writelane_b32 v62, s1, 25
	s_load_dword s0, s[14:15], 0xc
	v_cmp_gt_u32_e32 vcc, 64, v0
	v_cmp_gt_i32_e64 s[2:3], 4, v47
	s_and_b64 s[90:91], vcc, s[2:3]
	v_mov_b32_e32 v3, v4
	s_waitcnt lgkmcnt(0)
	v_cmp_gt_u16_e64 s[2:3], s0, 63
	s_and_b32 s33, s0, 0xffff
	s_bfe_u32 s1, s0, 0xa0006
	v_writelane_b32 v62, s2, 26
	v_writelane_b32 v62, s3, 27
	s_add_u32 s2, s33, -1
	s_addc_u32 s3, 0, -1
	v_writelane_b32 v62, s2, 28
	s_add_u32 s2, s2, s56
	v_writelane_b32 v62, s2, 29
	v_writelane_b32 v62, s3, 30
	s_addc_u32 s3, s3, s57
	v_writelane_b32 v62, s2, 31
	s_cmp_lt_u32 s6, s10
	v_writelane_b32 v62, s3, 32
	s_cselect_b32 s2, 12, 18
	s_add_u32 s2, s14, s2
	s_addc_u32 s3, s15, 0
	v_writelane_b32 v62, s2, 33
	v_writelane_b32 v62, s3, 34
	s_add_i32 s2, s1, -1
	s_bfe_u32 s3, s33, 0x30006
	s_cmp_gt_u32 s2, 6
	s_cselect_b64 s[4:5], -1, 0
	v_writelane_b32 v62, s4, 35
	s_and_b32 s1, s1, 0x3f8
	v_lshlrev_b64 v[4:5], 3, v[2:3]
	v_writelane_b32 v62, s5, 36
	s_cmp_lg_u32 s3, 0
	v_add_co_u32_e32 v18, vcc, s70, v4
	v_lshrrev_b32_e32 v4, 4, v0
	v_writelane_b32 v62, s3, 37
	s_cselect_b64 s[2:3], -1, 0
	v_mov_b32_e32 v6, s71
	v_and_b32_e32 v48, 60, v4
	v_lshlrev_b32_e32 v4, 2, v47
	v_writelane_b32 v62, s2, 38
	v_addc_co_u32_e32 v19, vcc, v6, v5, vcc
	v_and_b32_e32 v46, 0x100, v4
	v_lshlrev_b64 v[4:5], v47, -1
	v_writelane_b32 v62, s3, 39
	s_lshl_b64 s[2:3], s[62:63], 3
	v_lshlrev_b32_e32 v51, 5, v0
	v_not_b32_e32 v17, v5
	v_writelane_b32 v62, s2, 40
	v_or_b32_e32 v5, 24, v51
	v_writelane_b32 v62, s3, 41
	v_mad_u64_u32 v[24:25], s[2:3], s62, v5, 0
	v_not_b32_e32 v16, v4
	v_mov_b32_e32 v4, v25
	v_mad_u64_u32 v[4:5], s[2:3], s63, v5, v[4:5]
	s_lshl_b64 s[2:3], s[62:63], 5
	v_writelane_b32 v62, s2, 42
	v_or_b32_e32 v5, 16, v51
	v_writelane_b32 v62, s3, 43
	v_mad_u64_u32 v[26:27], s[2:3], s62, v5, 0
	v_mov_b32_e32 v25, v4
	v_mov_b32_e32 v4, v27
	v_mad_u64_u32 v[4:5], s[2:3], s63, v5, v[4:5]
	v_or_b32_e32 v5, 8, v51
	v_mad_u64_u32 v[28:29], s[2:3], s62, v5, 0
	v_mov_b32_e32 v27, v4
	v_mov_b32_e32 v4, v29
	v_mad_u64_u32 v[4:5], s[2:3], s63, v5, v[4:5]
	s_mul_i32 s2, s63, s33
	s_mul_hi_u32 s3, s62, s33
	s_add_i32 s3, s3, s2
	s_mul_i32 s2, s62, s33
	s_mov_b32 s83, 0
	v_lshlrev_b32_e32 v49, 3, v0
	v_lshlrev_b64 v[30:31], 5, v[2:3]
	v_mov_b32_e32 v2, 0xc00
	s_lshl_b64 s[60:61], s[2:3], 3
	s_mov_b32 s2, 62
	v_pk_mov_b32 v[32:33], 0, 0
	v_cmp_eq_u32_e64 s[94:95], 0, v47
	v_lshlrev_b32_e32 v22, 2, v0
	v_mov_b32_e32 v23, v21
	v_add_u32_e32 v50, 0xc00, v49
	s_mov_b32 s0, s83
	v_mov_b32_e32 v29, v4
	v_lshl_or_b32 v52, v47, 3, v2
	s_lshl_b32 s88, s33, 3
	v_writelane_b32 v62, s2, 44
	s_mov_b64 s[74:75], 0
	v_pk_mov_b32 v[6:7], 0, 0
	v_pk_mov_b32 v[36:37], s[58:59], s[58:59] op_sel:[0,1]
	v_mov_b32_e32 v3, 0x3ff00000
	v_mov_b32_e32 v53, 0x4f800000
	s_mov_b32 s2, 0
	v_pk_mov_b32 v[34:35], v[32:33], v[32:33] op_sel:[0,1]
                                        ; implicit-def: $sgpr76_sgpr77
                                        ; implicit-def: $sgpr30_sgpr31
                                        ; implicit-def: $sgpr64_sgpr65
                                        ; implicit-def: $sgpr92_sgpr93
                                        ; implicit-def: $sgpr66_sgpr67
                                        ; implicit-def: $sgpr26_sgpr27
	v_writelane_b32 v62, s2, 45
                                        ; implicit-def: $sgpr28_sgpr29
                                        ; implicit-def: $sgpr36_sgpr37
                                        ; implicit-def: $sgpr10_sgpr11
                                        ; implicit-def: $sgpr86_sgpr87
	s_branch .LBB180_6
.LBB180_4:                              ;   in Loop: Header=BB180_6 Depth=1
	s_or_b64 exec, exec, s[12:13]
	s_andn2_b64 s[12:13], s[86:87], exec
	s_and_b64 s[6:7], s[6:7], exec
	s_or_b64 s[86:87], s[12:13], s[6:7]
	s_andn2_b64 s[10:11], s[10:11], exec
	s_andn2_b64 s[36:37], s[36:37], exec
	;; [unrolled: 1-line block ×4, first 2 shown]
	s_orn2_b64 s[4:5], s[4:5], exec
	v_pk_mov_b32 v[34:35], v[14:15], v[14:15] op_sel:[0,1]
	v_pk_mov_b32 v[32:33], v[12:13], v[12:13] op_sel:[0,1]
	s_waitcnt vmcnt(0)
	v_pk_mov_b32 v[36:37], v[38:39], v[38:39] op_sel:[0,1]
	v_pk_mov_b32 v[6:7], v[10:11], v[10:11] op_sel:[0,1]
.LBB180_5:                              ;   in Loop: Header=BB180_6 Depth=1
	s_or_b64 exec, exec, s[2:3]
	s_and_b64 s[2:3], exec, s[4:5]
	s_or_b64 s[74:75], s[2:3], s[74:75]
	s_andn2_b64 s[2:3], s[66:67], exec
	s_and_b64 s[4:5], s[86:87], exec
	s_or_b64 s[66:67], s[2:3], s[4:5]
	s_andn2_b64 s[2:3], s[92:93], exec
	s_and_b64 s[4:5], s[10:11], exec
	;; [unrolled: 3-line block ×5, first 2 shown]
	s_or_b64 s[76:77], s[2:3], s[4:5]
	s_andn2_b64 exec, exec, s[74:75]
	s_cbranch_execz .LBB180_479
.LBB180_6:                              ; =>This Loop Header: Depth=1
                                        ;     Child Loop BB180_14 Depth 2
                                        ;     Child Loop BB180_29 Depth 2
	;; [unrolled: 1-line block ×24, first 2 shown]
	ds_read_b128 v[8:11], v21 offset:5120
	s_waitcnt lgkmcnt(0)
	v_readfirstlane_b32 s3, v9
	v_readfirstlane_b32 s2, v8
	s_cmp_lg_u64 s[2:3], 0
	s_cbranch_scc1 .LBB180_36
; %bb.7:                                ;   in Loop: Header=BB180_6 Depth=1
	v_readlane_b32 s2, v62, 20
	v_readlane_b32 s3, v62, 21
	s_and_b64 vcc, exec, s[2:3]
	s_cbranch_vccz .LBB180_22
; %bb.8:                                ;   in Loop: Header=BB180_6 Depth=1
	s_mov_b64 s[2:3], 0x181
	v_cmp_gt_u64_e32 vcc, s[2:3], v[10:11]
	s_mov_b64 s[2:3], 0
	s_mov_b64 s[4:5], 0
	s_cbranch_vccz .LBB180_23
; %bb.9:                                ;   in Loop: Header=BB180_6 Depth=1
	s_waitcnt vmcnt(0)
	v_pk_mov_b32 v[4:5], 0, 0
	s_mov_b64 s[4:5], exec
	v_readlane_b32 s6, v62, 22
	v_readlane_b32 s7, v62, 23
	s_and_b64 s[6:7], s[4:5], s[6:7]
	s_mov_b64 exec, s[6:7]
	s_cbranch_execz .LBB180_11
; %bb.10:                               ;   in Loop: Header=BB180_6 Depth=1
	global_load_dwordx2 v[4:5], v[18:19], off
.LBB180_11:                             ;   in Loop: Header=BB180_6 Depth=1
	s_or_b64 exec, exec, s[4:5]
	s_mov_b64 s[4:5], exec
	v_readlane_b32 s6, v62, 22
	v_readlane_b32 s7, v62, 23
	s_and_b64 s[6:7], s[4:5], s[6:7]
	s_mov_b64 exec, s[6:7]
	s_cbranch_execz .LBB180_95
; %bb.12:                               ;   in Loop: Header=BB180_6 Depth=1
	v_readlane_b32 s6, v62, 33
	v_readlane_b32 s7, v62, 34
	v_readlane_b32 s8, v62, 40
	v_pk_mov_b32 v[8:9], s[70:71], s[70:71] op_sel:[0,1]
	v_readlane_b32 s9, v62, 41
	s_mov_b64 s[12:13], 0
	s_nop 0
	global_load_ushort v2, v21, s[6:7]
	s_waitcnt vmcnt(0)
	v_readfirstlane_b32 s6, v2
	s_and_b32 s6, 0xffff, s6
	v_add_u32_e32 v11, s6, v0
	s_mul_i32 s14, s9, s6
	s_mul_hi_u32 s15, s8, s6
	s_mul_i32 s22, s8, s6
	v_mad_u64_u32 v[8:9], s[6:7], s8, v11, v[8:9]
	v_mov_b32_e32 v10, v9
	v_mad_u64_u32 v[10:11], s[6:7], s9, v11, v[10:11]
	s_add_i32 s23, s15, s14
	v_mov_b32_e32 v9, v10
	v_pk_mov_b32 v[10:11], v[0:1], v[0:1] op_sel:[0,1]
	s_branch .LBB180_14
.LBB180_13:                             ;   in Loop: Header=BB180_14 Depth=2
	s_or_b64 exec, exec, s[6:7]
	v_mov_b32_e32 v4, s23
	v_add_co_u32_e32 v8, vcc, s22, v8
	v_addc_co_u32_e32 v9, vcc, v9, v4, vcc
	s_waitcnt vmcnt(0)
	v_pk_mov_b32 v[4:5], v[12:13], v[12:13] op_sel:[0,1]
	s_andn2_b64 exec, exec, s[12:13]
	s_cbranch_execz .LBB180_95
.LBB180_14:                             ;   Parent Loop BB180_6 Depth=1
                                        ; =>  This Inner Loop Header: Depth=2
	v_add_co_u32_sdwa v10, vcc, v10, v2 dst_sel:DWORD dst_unused:UNUSED_PAD src0_sel:DWORD src1_sel:WORD_0
	v_addc_co_u32_e32 v11, vcc, 0, v11, vcc
	v_cmp_gt_u64_e64 s[6:7], s[56:57], v[10:11]
	v_cmp_le_u64_e32 vcc, s[56:57], v[10:11]
	v_pk_mov_b32 v[12:13], 0, 0
	s_and_saveexec_b64 s[14:15], s[6:7]
	s_cbranch_execz .LBB180_16
; %bb.15:                               ;   in Loop: Header=BB180_14 Depth=2
	global_load_dwordx2 v[12:13], v[8:9], off
.LBB180_16:                             ;   in Loop: Header=BB180_14 Depth=2
	s_or_b64 exec, exec, s[14:15]
	s_waitcnt lgkmcnt(0)
	v_ashrrev_i32_e32 v14, 31, v5
	v_or_b32_e32 v15, 0x80000000, v14
	v_xor_b32_e32 v15, v15, v5
	v_xor_b32_e32 v14, v14, v4
	v_cmp_o_f64_e64 s[6:7], v[4:5], v[4:5]
	v_cndmask_b32_e64 v15, -1, v15, s[6:7]
	v_cndmask_b32_e64 v14, -1, v14, s[6:7]
	v_and_b32_e32 v15, v15, v35
	v_and_b32_e32 v14, v14, v34
	v_cmp_eq_u64_e64 s[14:15], v[14:15], v[32:33]
	s_cmp_lg_u64 s[14:15], 0
	s_cselect_b64 s[6:7], -1, 0
	s_and_b64 s[6:7], s[94:95], s[6:7]
	v_mov_b32_e32 v14, 0
	s_and_saveexec_b64 s[16:17], s[6:7]
	s_cbranch_execz .LBB180_20
; %bb.17:                               ;   in Loop: Header=BB180_14 Depth=2
	s_mov_b64 s[20:21], exec
	v_mbcnt_lo_u32_b32 v14, s20, 0
	v_mbcnt_hi_u32_b32 v14, s21, v14
	s_bcnt1_i32_b64 s24, s[14:15]
	v_cmp_eq_u32_e64 s[6:7], 0, v14
                                        ; implicit-def: $vgpr15
	s_and_saveexec_b64 s[18:19], s[6:7]
	s_cbranch_execz .LBB180_19
; %bb.18:                               ;   in Loop: Header=BB180_14 Depth=2
	s_bcnt1_i32_b64 s6, s[20:21]
	s_mul_i32 s6, s24, s6
	v_mov_b32_e32 v15, s6
	ds_add_rtn_u32 v15, v21, v15 offset:5144
.LBB180_19:                             ;   in Loop: Header=BB180_14 Depth=2
	s_or_b64 exec, exec, s[18:19]
	s_waitcnt lgkmcnt(0)
	v_readfirstlane_b32 s6, v15
	v_mov_b32_e32 v15, s6
	v_mad_u32_u24 v14, s24, v14, v15
.LBB180_20:                             ;   in Loop: Header=BB180_14 Depth=2
	s_or_b64 exec, exec, s[16:17]
	ds_bpermute_b32 v14, v46, v14
	s_and_b64 s[6:7], exec, vcc
	s_or_b64 s[12:13], s[6:7], s[12:13]
	s_and_saveexec_b64 s[6:7], s[14:15]
	s_cbranch_execz .LBB180_13
; %bb.21:                               ;   in Loop: Header=BB180_14 Depth=2
	v_and_b32_e32 v20, s14, v16
	v_and_b32_e32 v15, s15, v17
	v_bcnt_u32_b32 v20, v20, 0
	v_bcnt_u32_b32 v15, v15, v20
	v_lshlrev_b32_e32 v15, 3, v15
	s_waitcnt lgkmcnt(0)
	v_lshl_add_u32 v14, v14, 3, v15
	ds_write_b64 v14, v[4:5]
	s_branch .LBB180_13
.LBB180_22:                             ;   in Loop: Header=BB180_6 Depth=1
	s_mov_b64 s[2:3], -1
	s_mov_b64 s[4:5], 0
.LBB180_23:                             ;   in Loop: Header=BB180_6 Depth=1
	s_and_b64 vcc, exec, s[2:3]
	s_cbranch_vccz .LBB180_34
.LBB180_24:                             ;   in Loop: Header=BB180_6 Depth=1
	s_waitcnt vmcnt(0)
	v_pk_mov_b32 v[4:5], 0, 0
	s_mov_b64 s[2:3], exec
	v_readlane_b32 s4, v62, 22
	v_readlane_b32 s5, v62, 23
	s_and_b64 s[4:5], s[2:3], s[4:5]
	s_mov_b64 exec, s[4:5]
	s_cbranch_execz .LBB180_26
; %bb.25:                               ;   in Loop: Header=BB180_6 Depth=1
	global_load_dwordx2 v[4:5], v[18:19], off
.LBB180_26:                             ;   in Loop: Header=BB180_6 Depth=1
	s_or_b64 exec, exec, s[2:3]
	s_mov_b64 s[2:3], exec
	v_readlane_b32 s4, v62, 22
	v_readlane_b32 s5, v62, 23
	s_and_b64 s[4:5], s[2:3], s[4:5]
	s_mov_b64 exec, s[4:5]
	s_cbranch_execz .LBB180_31
; %bb.27:                               ;   in Loop: Header=BB180_6 Depth=1
	v_readlane_b32 s4, v62, 33
	v_readlane_b32 s5, v62, 34
	;; [unrolled: 1-line block ×3, first 2 shown]
	v_pk_mov_b32 v[8:9], s[70:71], s[70:71] op_sel:[0,1]
	v_readlane_b32 s9, v62, 41
	v_mov_b32_e32 v14, v49
	s_nop 0
	global_load_ushort v2, v21, s[4:5]
	s_mov_b64 s[4:5], 0
	s_waitcnt vmcnt(0)
	v_readfirstlane_b32 s6, v2
	s_and_b32 s6, 0xffff, s6
	v_add_u32_e32 v11, s6, v0
	s_lshl_b32 s14, s6, 3
	s_mul_i32 s12, s9, s6
	s_mul_hi_u32 s13, s8, s6
	s_mul_i32 s15, s8, s6
	v_mad_u64_u32 v[8:9], s[6:7], s8, v11, v[8:9]
	v_mov_b32_e32 v10, v9
	v_mad_u64_u32 v[10:11], s[6:7], s9, v11, v[10:11]
	s_add_i32 s16, s13, s12
	v_mov_b32_e32 v9, v10
	v_pk_mov_b32 v[10:11], v[0:1], v[0:1] op_sel:[0,1]
	s_branch .LBB180_29
.LBB180_28:                             ;   in Loop: Header=BB180_29 Depth=2
	s_or_b64 exec, exec, s[12:13]
	s_and_b64 s[6:7], exec, vcc
	ds_write_b64 v14, v[4:5]
	v_mov_b32_e32 v4, s16
	v_add_co_u32_e32 v8, vcc, s15, v8
	s_or_b64 s[4:5], s[6:7], s[4:5]
	v_add_u32_e32 v14, s14, v14
	v_addc_co_u32_e32 v9, vcc, v9, v4, vcc
	s_waitcnt vmcnt(0)
	v_pk_mov_b32 v[4:5], v[12:13], v[12:13] op_sel:[0,1]
	s_andn2_b64 exec, exec, s[4:5]
	s_cbranch_execz .LBB180_31
.LBB180_29:                             ;   Parent Loop BB180_6 Depth=1
                                        ; =>  This Inner Loop Header: Depth=2
	v_add_co_u32_sdwa v10, vcc, v10, v2 dst_sel:DWORD dst_unused:UNUSED_PAD src0_sel:DWORD src1_sel:WORD_0
	v_addc_co_u32_e32 v11, vcc, 0, v11, vcc
	v_cmp_gt_u64_e64 s[6:7], s[56:57], v[10:11]
	v_cmp_le_u64_e32 vcc, s[56:57], v[10:11]
	v_pk_mov_b32 v[12:13], 0, 0
	s_and_saveexec_b64 s[12:13], s[6:7]
	s_cbranch_execz .LBB180_28
; %bb.30:                               ;   in Loop: Header=BB180_29 Depth=2
	global_load_dwordx2 v[12:13], v[8:9], off
	s_branch .LBB180_28
.LBB180_31:                             ;   in Loop: Header=BB180_6 Depth=1
	s_or_b64 exec, exec, s[2:3]
	s_waitcnt lgkmcnt(0)
	s_barrier
	s_mov_b64 s[2:3], exec
	v_readlane_b32 s4, v62, 8
	v_readlane_b32 s5, v62, 9
	s_and_b64 s[4:5], s[2:3], s[4:5]
	s_mov_b64 exec, s[4:5]
	s_cbranch_execz .LBB180_33
; %bb.32:                               ;   in Loop: Header=BB180_6 Depth=1
	s_waitcnt vmcnt(0)
	v_pk_mov_b32 v[4:5], s[56:57], s[56:57] op_sel:[0,1]
	ds_write_b64 v21, v[4:5] offset:5120
.LBB180_33:                             ;   in Loop: Header=BB180_6 Depth=1
	s_or_b64 exec, exec, s[2:3]
	s_mov_b64 s[4:5], -1
	s_waitcnt lgkmcnt(0)
	s_barrier
                                        ; implicit-def: $sgpr2_sgpr3
.LBB180_34:                             ;   in Loop: Header=BB180_6 Depth=1
	s_and_b64 vcc, exec, s[4:5]
	s_cbranch_vccz .LBB180_36
; %bb.35:                               ;   in Loop: Header=BB180_6 Depth=1
	s_waitcnt vmcnt(0)
	ds_read_b64 v[4:5], v21 offset:5120
	s_waitcnt lgkmcnt(0)
	v_readfirstlane_b32 s2, v4
.LBB180_36:                             ;   in Loop: Header=BB180_6 Depth=1
	v_writelane_b32 v62, s26, 46
	v_writelane_b32 v62, s27, 47
	;; [unrolled: 1-line block ×4, first 2 shown]
	s_cmp_lt_i32 s2, 1
	v_writelane_b32 v62, s36, 50
	v_writelane_b32 v62, s37, 51
	s_cbranch_scc0 .LBB180_51
; %bb.37:                               ;   in Loop: Header=BB180_6 Depth=1
	v_readlane_b32 s4, v62, 33
	v_readlane_b32 s5, v62, 34
	s_nop 4
	global_load_ushort v2, v21, s[4:5]
	s_mov_b32 s4, s83
	s_mov_b32 s5, s57
	s_waitcnt vmcnt(0)
	v_readfirstlane_b32 s3, v2
	s_and_b32 s3, s3, 0xffff
	s_lshl_b32 s82, s3, 2
	s_cmp_lg_u64 s[4:5], 0
	s_cbranch_scc0 .LBB180_71
; %bb.38:                               ;   in Loop: Header=BB180_6 Depth=1
	v_cvt_f32_u32_e32 v2, s82
	s_sub_u32 s4, 0, s82
	s_subb_u32 s5, 0, 0
	v_mac_f32_e32 v2, 0, v53
	v_rcp_f32_e32 v2, v2
	v_mul_f32_e32 v2, 0x5f7ffffc, v2
	v_mul_f32_e32 v4, 0x2f800000, v2
	v_trunc_f32_e32 v4, v4
	v_mac_f32_e32 v2, 0xcf800000, v4
	v_cvt_u32_f32_e32 v4, v4
	v_cvt_u32_f32_e32 v2, v2
	v_readfirstlane_b32 s6, v4
	v_readfirstlane_b32 s7, v2
	s_mul_i32 s12, s4, s6
	s_mul_hi_u32 s14, s4, s7
	s_mul_i32 s13, s5, s7
	s_add_i32 s12, s14, s12
	s_mul_i32 s15, s4, s7
	s_add_i32 s12, s12, s13
	s_mul_hi_u32 s14, s7, s15
	s_mul_hi_u32 s13, s7, s12
	s_mul_i32 s7, s7, s12
	s_add_u32 s7, s14, s7
	s_addc_u32 s13, 0, s13
	s_mul_hi_u32 s16, s6, s15
	s_mul_i32 s15, s6, s15
	s_add_u32 s7, s7, s15
	s_mul_hi_u32 s14, s6, s12
	s_addc_u32 s7, s13, s16
	s_addc_u32 s13, s14, 0
	s_mul_i32 s12, s6, s12
	s_add_u32 s7, s7, s12
	s_addc_u32 s12, 0, s13
	v_add_co_u32_e32 v2, vcc, s7, v2
	s_cmp_lg_u64 vcc, 0
	s_addc_u32 s6, s6, s12
	v_readfirstlane_b32 s12, v2
	s_mul_i32 s7, s4, s6
	s_mul_hi_u32 s13, s4, s12
	s_add_i32 s7, s13, s7
	s_mul_i32 s5, s5, s12
	s_add_i32 s7, s7, s5
	s_mul_i32 s4, s4, s12
	s_mul_hi_u32 s13, s6, s4
	s_mul_i32 s14, s6, s4
	s_mul_i32 s16, s12, s7
	s_mul_hi_u32 s4, s12, s4
	s_mul_hi_u32 s15, s12, s7
	s_add_u32 s4, s4, s16
	s_addc_u32 s12, 0, s15
	s_add_u32 s4, s4, s14
	s_mul_hi_u32 s5, s6, s7
	s_addc_u32 s4, s12, s13
	s_addc_u32 s5, s5, 0
	s_mul_i32 s7, s6, s7
	s_add_u32 s4, s4, s7
	s_addc_u32 s5, 0, s5
	v_add_co_u32_e32 v2, vcc, s4, v2
	s_cmp_lg_u64 vcc, 0
	s_addc_u32 s4, s6, s5
	v_readfirstlane_b32 s7, v2
	s_mul_i32 s6, s56, s4
	s_mul_hi_u32 s12, s56, s7
	s_mul_hi_u32 s5, s56, s4
	s_add_u32 s6, s12, s6
	s_addc_u32 s5, 0, s5
	s_mul_hi_u32 s13, s57, s7
	s_mul_i32 s7, s57, s7
	s_add_u32 s6, s6, s7
	s_mul_hi_u32 s12, s57, s4
	s_addc_u32 s5, s5, s13
	s_addc_u32 s6, s12, 0
	s_mul_i32 s4, s57, s4
	s_add_u32 s4, s5, s4
	s_addc_u32 s5, 0, s6
	s_mul_hi_u32 s6, s82, s4
	s_mul_i32 s4, s82, s4
	s_mul_i32 s5, s82, s5
	v_mov_b32_e32 v2, s4
	s_add_i32 s6, s6, s5
	v_sub_co_u32_e32 v2, vcc, s56, v2
	s_cmp_lg_u64 vcc, 0
	s_subb_u32 s4, s57, s6
	v_subrev_co_u32_e32 v4, vcc, s82, v2
	s_cmp_lg_u64 vcc, 0
	s_subb_u32 s5, s4, 0
	v_subrev_co_u32_e32 v5, vcc, s82, v4
	s_cmp_lg_u64 vcc, 0
	s_subb_u32 s6, s5, 0
	v_cmp_le_u32_e32 vcc, s82, v4
	s_cmp_eq_u32 s5, 0
	v_cndmask_b32_e64 v8, 0, -1, vcc
	s_cselect_b64 vcc, -1, 0
	v_cndmask_b32_e32 v8, -1, v8, vcc
	v_mov_b32_e32 v9, s5
	v_mov_b32_e32 v10, s6
	v_cmp_ne_u32_e32 vcc, 0, v8
	v_cndmask_b32_e32 v8, v9, v10, vcc
	v_cndmask_b32_e32 v4, v4, v5, vcc
	v_cmp_le_u32_e32 vcc, s82, v2
	s_cmp_eq_u32 s4, 0
	v_cndmask_b32_e64 v5, 0, -1, vcc
	s_cselect_b64 vcc, -1, 0
	v_cndmask_b32_e32 v5, -1, v5, vcc
	v_mov_b32_e32 v9, s4
	v_cmp_ne_u32_e32 vcc, 0, v5
	v_cndmask_b32_e32 v5, v9, v8, vcc
	v_cndmask_b32_e32 v4, v2, v4, vcc
	s_cbranch_execnz .LBB180_40
.LBB180_39:                             ;   in Loop: Header=BB180_6 Depth=1
	v_cvt_f32_u32_e32 v2, s82
	s_sub_i32 s4, 0, s82
	v_rcp_iflag_f32_e32 v2, v2
	v_mul_f32_e32 v2, 0x4f7ffffe, v2
	v_cvt_u32_f32_e32 v2, v2
	v_mul_lo_u32 v4, s4, v2
	v_mul_hi_u32 v4, v2, v4
	v_add_u32_e32 v2, v2, v4
	v_mul_hi_u32 v2, s56, v2
	v_mul_lo_u32 v2, v2, s82
	v_sub_u32_e32 v2, s56, v2
	v_subrev_u32_e32 v4, s82, v2
	v_cmp_le_u32_e32 vcc, s82, v2
	v_cndmask_b32_e32 v2, v2, v4, vcc
	v_subrev_u32_e32 v4, s82, v2
	v_cmp_le_u32_e32 vcc, s82, v2
	v_cndmask_b32_e32 v20, v2, v4, vcc
	v_pk_mov_b32 v[4:5], v[20:21], v[20:21] op_sel:[0,1]
.LBB180_40:                             ;   in Loop: Header=BB180_6 Depth=1
	v_mov_b32_e32 v2, s57
	v_sub_co_u32_e32 v4, vcc, s56, v4
	v_subb_co_u32_e32 v5, vcc, v2, v5, vcc
	v_pk_mov_b32 v[8:9], 0, 0
	v_cmp_gt_u64_e32 vcc, v[4:5], v[22:23]
	s_mov_b64 s[12:13], 0
	v_pk_mov_b32 v[10:11], v[8:9], v[8:9] op_sel:[0,1]
	v_pk_mov_b32 v[12:13], v[8:9], v[8:9] op_sel:[0,1]
	;; [unrolled: 1-line block ×3, first 2 shown]
	s_and_saveexec_b64 s[4:5], vcc
	s_cbranch_execz .LBB180_44
; %bb.41:                               ;   in Loop: Header=BB180_6 Depth=1
	v_readlane_b32 s14, v62, 42
	v_readlane_b32 s6, v62, 44
	;; [unrolled: 1-line block ×3, first 2 shown]
	s_and_b32 s89, s6, 0xfe
	s_mul_i32 s6, s15, s3
	s_mul_hi_u32 s7, s14, s3
	s_mov_b64 s[8:9], s[90:91]
	s_mov_b64 s[68:69], s[94:95]
	s_add_i32 s94, s7, s6
	s_mul_i32 s95, s14, s3
	s_mov_b64 s[78:79], s[70:71]
	s_mov_b64 s[72:73], 0
	;; [unrolled: 1-line block ×5, first 2 shown]
	v_pk_mov_b32 v[38:39], v[22:23], v[22:23] op_sel:[0,1]
.LBB180_42:                             ;   Parent Loop BB180_6 Depth=1
                                        ; =>  This Inner Loop Header: Depth=2
	v_add_co_u32_e64 v38, s[6:7], s82, v38
	v_addc_co_u32_e64 v39, s[6:7], 0, v39, s[6:7]
	v_mov_b32_e32 v2, s79
	v_add_co_u32_e32 v14, vcc, s78, v28
	v_add_co_u32_e64 v40, s[14:15], s78, v26
	v_add_co_u32_e64 v42, s[16:17], s78, v24
	;; [unrolled: 1-line block ×3, first 2 shown]
	v_addc_co_u32_e64 v45, s[6:7], v2, v31, s[6:7]
	v_addc_co_u32_e32 v15, vcc, v2, v29, vcc
	v_addc_co_u32_e64 v41, vcc, v2, v27, s[14:15]
	v_addc_co_u32_e64 v43, vcc, v2, v25, s[16:17]
	global_load_dwordx2 v[44:45], v[44:45], off
	s_nop 0
	global_load_dwordx2 v[14:15], v[14:15], off
	s_nop 0
	;; [unrolled: 2-line block ×3, first 2 shown]
	global_load_dwordx2 v[42:43], v[42:43], off
	v_mov_b32_e32 v9, v21
	v_mov_b32_e32 v11, v21
	;; [unrolled: 1-line block ×3, first 2 shown]
	v_cmp_ge_u64_e32 vcc, v[38:39], v[4:5]
	s_waitcnt vmcnt(3)
	v_ashrrev_i32_e32 v2, 31, v45
	s_waitcnt vmcnt(2)
	v_ashrrev_i32_e32 v8, 31, v15
	v_xor_b32_e32 v20, v8, v14
	v_cmp_o_f64_e64 s[6:7], v[14:15], v[14:15]
	v_or_b32_e32 v14, 0x80000000, v2
	s_waitcnt vmcnt(1)
	v_ashrrev_i32_e32 v10, 31, v41
	s_waitcnt vmcnt(0)
	v_ashrrev_i32_e32 v12, 31, v43
	v_xor_b32_e32 v2, v2, v44
	v_or_b32_e32 v8, 0x80000000, v8
	v_cmp_o_f64_e64 s[18:19], v[44:45], v[44:45]
	v_xor_b32_e32 v45, v14, v45
	v_xor_b32_e32 v54, v10, v40
	v_cmp_o_f64_e64 s[14:15], v[40:41], v[40:41]
	v_xor_b32_e32 v55, v12, v42
	v_cmp_o_f64_e64 s[16:17], v[42:43], v[42:43]
	v_or_b32_e32 v10, 0x80000000, v10
	v_xor_b32_e32 v8, v8, v15
	v_cndmask_b32_e64 v14, -1, v2, s[18:19]
	v_cndmask_b32_e64 v15, -1, v45, s[18:19]
	v_or_b32_e32 v12, 0x80000000, v12
	v_xor_b32_e32 v10, v10, v41
	v_cndmask_b32_e64 v40, -1, v20, s[6:7]
	v_cndmask_b32_e64 v42, -1, v54, s[14:15]
	;; [unrolled: 1-line block ×4, first 2 shown]
	v_and_b32_e32 v54, v14, v34
	v_and_b32_e32 v55, v15, v35
	v_lshrrev_b64 v[14:15], s89, v[14:15]
	v_xor_b32_e32 v12, v12, v43
	v_cndmask_b32_e64 v43, -1, v10, s[14:15]
	v_and_b32_e32 v56, v40, v34
	v_and_b32_e32 v57, v41, v35
	v_lshrrev_b64 v[40:41], s89, v[40:41]
	v_and_b32_e32 v20, 3, v14
	v_cndmask_b32_e64 v45, -1, v12, s[16:17]
	v_and_b32_e32 v58, v42, v34
	v_and_b32_e32 v59, v43, v35
	v_lshrrev_b64 v[42:43], s89, v[42:43]
	v_cmp_eq_u64_e64 s[20:21], v[54:55], v[32:33]
	v_and_b32_e32 v8, 3, v40
	v_cmp_eq_u64_e64 s[6:7], 0, v[20:21]
	v_and_b32_e32 v60, v44, v34
	v_and_b32_e32 v61, v45, v35
	v_lshrrev_b64 v[44:45], s89, v[44:45]
	v_cmp_eq_u64_e64 s[18:19], v[56:57], v[32:33]
	v_and_b32_e32 v10, 3, v42
	v_cmp_eq_u64_e64 s[34:35], 0, v[8:9]
	s_and_b64 s[6:7], s[20:21], s[6:7]
	v_cmp_eq_u64_e64 s[16:17], v[58:59], v[32:33]
	v_and_b32_e32 v12, 3, v44
	v_cmp_eq_u64_e64 s[36:37], 0, v[10:11]
	v_cndmask_b32_e64 v2, 0, 1, s[6:7]
	s_and_b64 s[6:7], s[18:19], s[34:35]
	v_cmp_eq_u64_e64 s[14:15], v[60:61], v[32:33]
	v_cmp_eq_u64_e64 s[38:39], 0, v[12:13]
	;; [unrolled: 1-line block ×5, first 2 shown]
	v_cndmask_b32_e64 v8, 0, 1, s[6:7]
	s_and_b64 s[6:7], s[16:17], s[36:37]
	v_cndmask_b32_e64 v9, 0, 1, s[6:7]
	s_and_b64 s[6:7], s[14:15], s[38:39]
	v_cmp_eq_u64_e64 s[44:45], 1, v[10:11]
	v_cmp_eq_u64_e64 s[52:53], 2, v[10:11]
	;; [unrolled: 1-line block ×3, first 2 shown]
	v_cndmask_b32_e64 v10, 0, 1, s[6:7]
	v_cmp_ne_u32_e64 s[6:7], 0, v2
	v_cmp_ne_u32_e64 s[34:35], 0, v8
	v_cmp_ne_u32_e64 s[36:37], 0, v9
	v_cmp_ne_u32_e64 s[38:39], 0, v10
	s_bcnt1_i32_b64 s6, s[6:7]
	s_bcnt1_i32_b64 s7, s[34:35]
	;; [unrolled: 1-line block ×4, first 2 shown]
	s_add_u32 s6, s6, s90
	s_addc_u32 s36, 0, s91
	s_add_u32 s6, s6, s7
	s_addc_u32 s7, s36, 0
	;; [unrolled: 2-line block ×3, first 2 shown]
	v_cmp_eq_u64_e64 s[40:41], 1, v[20:21]
	s_add_u32 s90, s6, s35
	s_addc_u32 s91, s7, 0
	s_and_b64 s[6:7], s[20:21], s[40:41]
	v_cndmask_b32_e64 v2, 0, 1, s[6:7]
	s_and_b64 s[6:7], s[18:19], s[42:43]
	v_cmp_eq_u64_e64 s[46:47], 1, v[12:13]
	v_cndmask_b32_e64 v10, 0, 1, s[6:7]
	s_and_b64 s[6:7], s[16:17], s[44:45]
	v_cndmask_b32_e64 v11, 0, 1, s[6:7]
	s_and_b64 s[6:7], s[14:15], s[46:47]
	v_cmp_eq_u64_e64 s[54:55], 2, v[12:13]
	v_cmp_eq_u64_e64 s[22:23], 3, v[12:13]
	v_cndmask_b32_e64 v12, 0, 1, s[6:7]
	v_cmp_ne_u32_e64 s[6:7], 0, v2
	v_cmp_ne_u32_e64 s[34:35], 0, v10
	;; [unrolled: 1-line block ×4, first 2 shown]
	s_bcnt1_i32_b64 s6, s[6:7]
	s_bcnt1_i32_b64 s7, s[34:35]
	;; [unrolled: 1-line block ×4, first 2 shown]
	s_add_u32 s6, s6, s84
	s_addc_u32 s36, 0, s85
	s_add_u32 s6, s6, s7
	s_addc_u32 s7, s36, 0
	;; [unrolled: 2-line block ×3, first 2 shown]
	v_cmp_eq_u64_e64 s[48:49], 2, v[20:21]
	s_add_u32 s84, s6, s35
	s_addc_u32 s85, s7, 0
	s_and_b64 s[6:7], s[20:21], s[48:49]
	v_cndmask_b32_e64 v2, 0, 1, s[6:7]
	s_and_b64 s[6:7], s[18:19], s[50:51]
	v_cndmask_b32_e64 v12, 0, 1, s[6:7]
	;; [unrolled: 2-line block ×4, first 2 shown]
	v_cmp_ne_u32_e64 s[6:7], 0, v2
	v_cmp_ne_u32_e64 s[34:35], 0, v12
	;; [unrolled: 1-line block ×4, first 2 shown]
	s_bcnt1_i32_b64 s6, s[6:7]
	s_bcnt1_i32_b64 s7, s[34:35]
	;; [unrolled: 1-line block ×4, first 2 shown]
	s_add_u32 s6, s6, s80
	s_addc_u32 s36, 0, s81
	s_add_u32 s6, s6, s7
	s_addc_u32 s7, s36, 0
	;; [unrolled: 2-line block ×3, first 2 shown]
	v_cmp_eq_u64_e64 s[28:29], 3, v[20:21]
	s_add_u32 s80, s6, s35
	s_addc_u32 s81, s7, 0
	s_and_b64 s[6:7], s[20:21], s[28:29]
	v_cndmask_b32_e64 v2, 0, 1, s[6:7]
	s_and_b64 s[6:7], s[18:19], s[26:27]
	v_cndmask_b32_e64 v14, 0, 1, s[6:7]
	;; [unrolled: 2-line block ×4, first 2 shown]
	v_cmp_ne_u32_e64 s[6:7], 0, v2
	v_cmp_ne_u32_e64 s[14:15], 0, v14
	;; [unrolled: 1-line block ×4, first 2 shown]
	s_bcnt1_i32_b64 s6, s[6:7]
	s_bcnt1_i32_b64 s7, s[14:15]
	;; [unrolled: 1-line block ×4, first 2 shown]
	s_add_u32 s6, s6, s72
	s_addc_u32 s16, 0, s73
	s_add_u32 s6, s6, s7
	s_addc_u32 s7, s16, 0
	;; [unrolled: 2-line block ×5, first 2 shown]
	v_pk_mov_b32 v[8:9], s[90:91], s[90:91] op_sel:[0,1]
	v_pk_mov_b32 v[10:11], s[84:85], s[84:85] op_sel:[0,1]
	;; [unrolled: 1-line block ×3, first 2 shown]
	s_or_b64 s[12:13], vcc, s[12:13]
	v_pk_mov_b32 v[14:15], s[72:73], s[72:73] op_sel:[0,1]
	s_andn2_b64 exec, exec, s[12:13]
	s_cbranch_execnz .LBB180_42
; %bb.43:                               ;   in Loop: Header=BB180_6 Depth=1
	s_or_b64 exec, exec, s[12:13]
	s_mov_b64 s[94:95], s[68:69]
	s_mov_b64 s[90:91], s[8:9]
.LBB180_44:                             ;   in Loop: Header=BB180_6 Depth=1
	s_or_b64 exec, exec, s[4:5]
	v_add_co_u32_e32 v4, vcc, v4, v0
	v_addc_co_u32_e32 v5, vcc, 0, v5, vcc
	v_cmp_gt_u64_e32 vcc, s[56:57], v[4:5]
	v_pk_mov_b32 v[38:39], 0, 0
	s_and_saveexec_b64 s[4:5], vcc
	s_cbranch_execz .LBB180_46
; %bb.45:                               ;   in Loop: Header=BB180_6 Depth=1
	v_mul_lo_u32 v2, v5, s62
	v_mul_lo_u32 v20, v4, s63
	v_mad_u64_u32 v[38:39], s[6:7], v4, s62, 0
	v_add3_u32 v39, v39, v20, v2
	v_lshlrev_b64 v[38:39], 3, v[38:39]
	v_mov_b32_e32 v2, s71
	v_add_co_u32_e64 v38, s[6:7], s70, v38
	v_addc_co_u32_e64 v39, s[6:7], v2, v39, s[6:7]
	global_load_dwordx2 v[38:39], v[38:39], off
.LBB180_46:                             ;   in Loop: Header=BB180_6 Depth=1
	s_or_b64 exec, exec, s[4:5]
	s_and_saveexec_b64 s[4:5], vcc
	s_cbranch_execz .LBB180_53
; %bb.47:                               ;   in Loop: Header=BB180_6 Depth=1
	v_readlane_b32 s6, v62, 44
	s_and_b32 s16, s6, 0xfe
	s_mov_b64 s[12:13], 0
	s_branch .LBB180_49
.LBB180_48:                             ;   in Loop: Header=BB180_49 Depth=2
	s_or_b64 exec, exec, s[14:15]
	s_waitcnt vmcnt(0)
	v_ashrrev_i32_e32 v2, 31, v39
	v_or_b32_e32 v20, 0x80000000, v2
	s_and_b64 s[6:7], exec, vcc
	v_xor_b32_e32 v20, v20, v39
	v_xor_b32_e32 v2, v2, v38
	v_cmp_o_f64_e32 vcc, v[38:39], v[38:39]
	v_cndmask_b32_e32 v39, -1, v20, vcc
	v_cndmask_b32_e32 v38, -1, v2, vcc
	v_and_b32_e32 v43, v39, v35
	v_and_b32_e32 v42, v38, v34
	v_lshrrev_b64 v[38:39], s16, v[38:39]
	v_and_b32_e32 v20, 3, v38
	s_or_b64 s[12:13], s[6:7], s[12:13]
	v_cmp_eq_u64_e32 vcc, v[42:43], v[32:33]
	v_cmp_eq_u64_e64 s[6:7], 0, v[20:21]
	s_and_b64 s[6:7], vcc, s[6:7]
	v_cndmask_b32_e64 v2, 0, 1, s[6:7]
	v_cmp_ne_u32_e64 s[6:7], 0, v2
	s_bcnt1_i32_b64 s6, s[6:7]
	v_add_co_u32_e64 v8, s[6:7], s6, v8
	v_addc_co_u32_e64 v9, s[6:7], 0, v9, s[6:7]
	v_cmp_eq_u64_e64 s[6:7], 1, v[20:21]
	s_and_b64 s[6:7], vcc, s[6:7]
	v_cndmask_b32_e64 v2, 0, 1, s[6:7]
	v_cmp_ne_u32_e64 s[6:7], 0, v2
	s_bcnt1_i32_b64 s6, s[6:7]
	v_add_co_u32_e64 v10, s[6:7], s6, v10
	v_addc_co_u32_e64 v11, s[6:7], 0, v11, s[6:7]
	;; [unrolled: 7-line block ×3, first 2 shown]
	v_cmp_eq_u64_e64 s[6:7], 3, v[20:21]
	s_and_b64 s[6:7], vcc, s[6:7]
	v_cndmask_b32_e64 v2, 0, 1, s[6:7]
	v_cmp_ne_u32_e32 vcc, 0, v2
	s_bcnt1_i32_b64 s6, vcc
	v_add_co_u32_e32 v14, vcc, s6, v14
	v_addc_co_u32_e32 v15, vcc, 0, v15, vcc
	v_pk_mov_b32 v[38:39], v[40:41], v[40:41] op_sel:[0,1]
	s_andn2_b64 exec, exec, s[12:13]
	s_cbranch_execz .LBB180_52
.LBB180_49:                             ;   Parent Loop BB180_6 Depth=1
                                        ; =>  This Inner Loop Header: Depth=2
	v_mov_b32_e32 v2, s83
	v_add_co_u32_e32 v4, vcc, s3, v4
	v_addc_co_u32_e32 v5, vcc, v5, v2, vcc
	v_cmp_gt_u64_e64 s[6:7], s[56:57], v[4:5]
	v_cmp_le_u64_e32 vcc, s[56:57], v[4:5]
	v_pk_mov_b32 v[40:41], 0, 0
	s_and_saveexec_b64 s[14:15], s[6:7]
	s_cbranch_execz .LBB180_48
; %bb.50:                               ;   in Loop: Header=BB180_49 Depth=2
	v_mul_lo_u32 v2, v5, s62
	v_mul_lo_u32 v20, v4, s63
	v_mad_u64_u32 v[40:41], s[6:7], v4, s62, 0
	v_add3_u32 v41, v41, v20, v2
	v_lshlrev_b64 v[40:41], 3, v[40:41]
	v_mov_b32_e32 v2, s71
	v_add_co_u32_e64 v40, s[6:7], s70, v40
	v_addc_co_u32_e64 v41, s[6:7], v2, v41, s[6:7]
	global_load_dwordx2 v[40:41], v[40:41], off
	s_branch .LBB180_48
.LBB180_51:                             ;   in Loop: Header=BB180_6 Depth=1
                                        ; implicit-def: $vgpr14_vgpr15
                                        ; implicit-def: $vgpr10_vgpr11
	s_cbranch_execnz .LBB180_54
	s_branch .LBB180_63
.LBB180_52:                             ;   in Loop: Header=BB180_6 Depth=1
	s_or_b64 exec, exec, s[12:13]
.LBB180_53:                             ;   in Loop: Header=BB180_6 Depth=1
	s_or_b64 exec, exec, s[4:5]
	s_branch .LBB180_63
.LBB180_54:                             ;   in Loop: Header=BB180_6 Depth=1
	v_readlane_b32 s4, v62, 33
	v_readlane_b32 s5, v62, 34
	v_pk_mov_b32 v[8:9], 0, 0
	v_pk_mov_b32 v[10:11], v[8:9], v[8:9] op_sel:[0,1]
	v_pk_mov_b32 v[12:13], v[8:9], v[8:9] op_sel:[0,1]
	;; [unrolled: 1-line block ×3, first 2 shown]
	s_nop 0
	global_load_ushort v2, v21, s[4:5]
	s_mov_b64 s[4:5], 0
	s_waitcnt vmcnt(0)
	v_readfirstlane_b32 s3, v2
	s_and_b32 s3, 0xffff, s3
	s_lshl_b32 s3, s3, 2
	v_cvt_f32_u32_e32 v4, s3
	s_sub_i32 s6, 0, s3
	v_and_b32_e32 v2, 0xffff, v2
	v_rcp_iflag_f32_e32 v4, v4
	v_mul_f32_e32 v4, 0x4f7ffffe, v4
	v_cvt_u32_f32_e32 v4, v4
	v_readfirstlane_b32 s7, v4
	s_mul_i32 s6, s6, s7
	s_mul_hi_u32 s6, s7, s6
	s_add_i32 s7, s7, s6
	s_mul_hi_u32 s6, s2, s7
	s_mul_i32 s6, s6, s3
	s_sub_i32 s6, s2, s6
	s_sub_i32 s7, s6, s3
	s_cmp_ge_u32 s6, s3
	s_cselect_b32 s6, s7, s6
	s_sub_i32 s7, s6, s3
	s_cmp_ge_u32 s6, s3
	s_cselect_b32 s6, s7, s6
	s_sub_i32 s82, s2, s6
	v_cmp_gt_u32_e32 vcc, s82, v22
	s_and_saveexec_b64 s[12:13], vcc
	s_cbranch_execz .LBB180_58
; %bb.55:                               ;   in Loop: Header=BB180_6 Depth=1
	v_readlane_b32 s6, v62, 44
	s_and_b32 s89, s6, 0xfe
	v_lshlrev_b32_e32 v44, 5, v2
	v_mov_b32_e32 v45, v51
	s_mov_b64 s[72:73], 0
	s_mov_b64 s[78:79], 0
	;; [unrolled: 1-line block ×4, first 2 shown]
	v_pk_mov_b32 v[4:5], v[22:23], v[22:23] op_sel:[0,1]
.LBB180_56:                             ;   Parent Loop BB180_6 Depth=1
                                        ; =>  This Inner Loop Header: Depth=2
	ds_read_b128 v[12:15], v45
	ds_read_b128 v[8:11], v45 offset:16
	v_mov_b32_e32 v39, v21
	v_mov_b32_e32 v41, v21
	v_mov_b32_e32 v43, v21
	s_waitcnt lgkmcnt(1)
	v_ashrrev_i32_e32 v20, 31, v13
	v_ashrrev_i32_e32 v38, 31, v15
	s_waitcnt lgkmcnt(0)
	v_ashrrev_i32_e32 v40, 31, v9
	v_ashrrev_i32_e32 v42, 31, v11
	v_xor_b32_e32 v54, v38, v14
	v_cmp_o_f64_e64 s[6:7], v[14:15], v[14:15]
	v_xor_b32_e32 v14, v40, v8
	v_cmp_o_f64_e64 s[14:15], v[8:9], v[8:9]
	v_or_b32_e32 v8, 0x80000000, v20
	v_xor_b32_e32 v55, v42, v10
	v_cmp_o_f64_e64 s[16:17], v[10:11], v[10:11]
	v_xor_b32_e32 v10, v20, v12
	v_or_b32_e32 v20, 0x80000000, v38
	v_or_b32_e32 v38, 0x80000000, v40
	v_cmp_o_f64_e64 s[18:19], v[12:13], v[12:13]
	v_xor_b32_e32 v13, v8, v13
	v_or_b32_e32 v40, 0x80000000, v42
	v_xor_b32_e32 v15, v20, v15
	v_xor_b32_e32 v20, v38, v9
	v_cndmask_b32_e64 v8, -1, v10, s[18:19]
	v_cndmask_b32_e64 v9, -1, v13, s[18:19]
	v_xor_b32_e32 v38, v40, v11
	v_cndmask_b32_e64 v10, -1, v54, s[6:7]
	v_cndmask_b32_e64 v12, -1, v14, s[14:15]
	;; [unrolled: 1-line block ×4, first 2 shown]
	v_and_b32_e32 v54, v8, v34
	v_and_b32_e32 v55, v9, v35
	v_lshrrev_b64 v[8:9], s89, v[8:9]
	v_cndmask_b32_e64 v13, -1, v20, s[14:15]
	v_and_b32_e32 v56, v10, v34
	v_and_b32_e32 v57, v11, v35
	v_lshrrev_b64 v[10:11], s89, v[10:11]
	v_and_b32_e32 v20, 3, v8
	v_cndmask_b32_e64 v15, -1, v38, s[16:17]
	v_and_b32_e32 v58, v12, v34
	v_and_b32_e32 v59, v13, v35
	v_lshrrev_b64 v[12:13], s89, v[12:13]
	v_cmp_eq_u64_e64 s[20:21], v[54:55], v[32:33]
	v_and_b32_e32 v38, 3, v10
	v_cmp_eq_u64_e64 s[6:7], 0, v[20:21]
	v_and_b32_e32 v60, v14, v34
	v_and_b32_e32 v61, v15, v35
	v_lshrrev_b64 v[14:15], s89, v[14:15]
	v_cmp_eq_u64_e64 s[18:19], v[56:57], v[32:33]
	v_and_b32_e32 v40, 3, v12
	v_cmp_eq_u64_e64 s[34:35], 0, v[38:39]
	s_and_b64 s[6:7], s[20:21], s[6:7]
	v_cmp_eq_u64_e64 s[16:17], v[58:59], v[32:33]
	v_and_b32_e32 v42, 3, v14
	v_cmp_eq_u64_e64 s[36:37], 0, v[40:41]
	v_cndmask_b32_e64 v8, 0, 1, s[6:7]
	s_and_b64 s[6:7], s[18:19], s[34:35]
	v_cmp_eq_u64_e64 s[14:15], v[60:61], v[32:33]
	v_cmp_eq_u64_e64 s[38:39], 0, v[42:43]
	v_cndmask_b32_e64 v9, 0, 1, s[6:7]
	s_and_b64 s[6:7], s[16:17], s[36:37]
	v_cndmask_b32_e64 v10, 0, 1, s[6:7]
	s_and_b64 s[6:7], s[14:15], s[38:39]
	v_cndmask_b32_e64 v11, 0, 1, s[6:7]
	v_cmp_ne_u32_e64 s[6:7], 0, v8
	v_cmp_ne_u32_e64 s[34:35], 0, v9
	v_cmp_ne_u32_e64 s[36:37], 0, v10
	v_cmp_ne_u32_e64 s[38:39], 0, v11
	s_bcnt1_i32_b64 s6, s[6:7]
	s_bcnt1_i32_b64 s7, s[34:35]
	s_bcnt1_i32_b64 s34, s[36:37]
	s_bcnt1_i32_b64 s35, s[38:39]
	s_add_u32 s6, s6, s84
	s_addc_u32 s36, 0, s85
	s_add_u32 s6, s6, s7
	s_addc_u32 s7, s36, 0
	s_add_u32 s6, s6, s34
	s_addc_u32 s7, s7, 0
	v_cmp_eq_u64_e64 s[40:41], 1, v[20:21]
	s_add_u32 s84, s6, s35
	v_cmp_eq_u64_e64 s[42:43], 1, v[38:39]
	s_addc_u32 s85, s7, 0
	s_and_b64 s[6:7], s[20:21], s[40:41]
	v_cmp_eq_u64_e64 s[44:45], 1, v[40:41]
	v_cndmask_b32_e64 v10, 0, 1, s[6:7]
	s_and_b64 s[6:7], s[18:19], s[42:43]
	v_cmp_eq_u64_e64 s[46:47], 1, v[42:43]
	v_cndmask_b32_e64 v11, 0, 1, s[6:7]
	s_and_b64 s[6:7], s[16:17], s[44:45]
	v_cndmask_b32_e64 v12, 0, 1, s[6:7]
	s_and_b64 s[6:7], s[14:15], s[46:47]
	v_cndmask_b32_e64 v13, 0, 1, s[6:7]
	v_cmp_ne_u32_e64 s[6:7], 0, v10
	v_cmp_ne_u32_e64 s[34:35], 0, v11
	v_cmp_ne_u32_e64 s[36:37], 0, v12
	v_cmp_ne_u32_e64 s[38:39], 0, v13
	s_bcnt1_i32_b64 s6, s[6:7]
	s_bcnt1_i32_b64 s7, s[34:35]
	s_bcnt1_i32_b64 s34, s[36:37]
	s_bcnt1_i32_b64 s35, s[38:39]
	s_add_u32 s6, s6, s80
	s_addc_u32 s36, 0, s81
	s_add_u32 s6, s6, s7
	s_addc_u32 s7, s36, 0
	s_add_u32 s6, s6, s34
	s_addc_u32 s7, s7, 0
	v_cmp_eq_u64_e64 s[48:49], 2, v[20:21]
	s_add_u32 s80, s6, s35
	v_cmp_eq_u64_e64 s[50:51], 2, v[38:39]
	s_addc_u32 s81, s7, 0
	s_and_b64 s[6:7], s[20:21], s[48:49]
	v_cmp_eq_u64_e64 s[52:53], 2, v[40:41]
	v_cndmask_b32_e64 v12, 0, 1, s[6:7]
	s_and_b64 s[6:7], s[18:19], s[50:51]
	;; [unrolled: 28-line block ×3, first 2 shown]
	v_cmp_eq_u64_e64 s[22:23], 3, v[42:43]
	v_cndmask_b32_e64 v15, 0, 1, s[6:7]
	s_and_b64 s[6:7], s[16:17], s[24:25]
	v_cndmask_b32_e64 v20, 0, 1, s[6:7]
	s_and_b64 s[6:7], s[14:15], s[22:23]
	v_cndmask_b32_e64 v38, 0, 1, s[6:7]
	v_cmp_ne_u32_e64 s[6:7], 0, v14
	v_cmp_ne_u32_e64 s[14:15], 0, v15
	;; [unrolled: 1-line block ×4, first 2 shown]
	s_bcnt1_i32_b64 s6, s[6:7]
	s_bcnt1_i32_b64 s7, s[14:15]
	;; [unrolled: 1-line block ×4, first 2 shown]
	s_add_u32 s6, s6, s72
	s_addc_u32 s16, 0, s73
	s_add_u32 s6, s6, s7
	s_addc_u32 s7, s16, 0
	s_add_u32 s6, s6, s14
	v_add_co_u32_e32 v4, vcc, s3, v4
	s_addc_u32 s7, s7, 0
	v_addc_co_u32_e32 v5, vcc, 0, v5, vcc
	s_add_u32 s72, s6, s15
	v_cmp_le_u64_e32 vcc, s[82:83], v[4:5]
	s_addc_u32 s73, s7, 0
	v_add_u32_e32 v45, v45, v44
	v_pk_mov_b32 v[8:9], s[84:85], s[84:85] op_sel:[0,1]
	v_pk_mov_b32 v[10:11], s[80:81], s[80:81] op_sel:[0,1]
	v_pk_mov_b32 v[12:13], s[78:79], s[78:79] op_sel:[0,1]
	s_or_b64 s[4:5], vcc, s[4:5]
	v_pk_mov_b32 v[14:15], s[72:73], s[72:73] op_sel:[0,1]
	s_andn2_b64 exec, exec, s[4:5]
	s_cbranch_execnz .LBB180_56
; %bb.57:                               ;   in Loop: Header=BB180_6 Depth=1
	s_or_b64 exec, exec, s[4:5]
.LBB180_58:                             ;   in Loop: Header=BB180_6 Depth=1
	s_or_b64 exec, exec, s[12:13]
	v_add_u32_e32 v20, s82, v0
	v_cmp_gt_u32_e32 vcc, s2, v20
	s_and_saveexec_b64 s[4:5], vcc
	s_cbranch_execz .LBB180_62
; %bb.59:                               ;   in Loop: Header=BB180_6 Depth=1
	s_and_b32 s82, s2, 0x7fffffff
	v_readlane_b32 s2, v62, 44
	s_and_b32 s12, s2, 0xfe
	v_lshlrev_b32_e32 v38, 3, v20
	v_lshlrev_b32_e32 v39, 3, v2
	s_mov_b64 s[2:3], 0
	v_pk_mov_b32 v[4:5], v[20:21], v[20:21] op_sel:[0,1]
.LBB180_60:                             ;   Parent Loop BB180_6 Depth=1
                                        ; =>  This Inner Loop Header: Depth=2
	ds_read_b64 v[40:41], v38
	v_add_co_u32_e32 v4, vcc, v4, v2
	v_addc_co_u32_e32 v5, vcc, 0, v5, vcc
	s_waitcnt lgkmcnt(0)
	v_ashrrev_i32_e32 v20, 31, v41
	v_or_b32_e32 v42, 0x80000000, v20
	v_xor_b32_e32 v20, v20, v40
	v_cmp_o_f64_e64 s[6:7], v[40:41], v[40:41]
	v_xor_b32_e32 v41, v42, v41
	v_cndmask_b32_e64 v40, -1, v20, s[6:7]
	v_cndmask_b32_e64 v41, -1, v41, s[6:7]
	v_and_b32_e32 v42, v40, v34
	v_and_b32_e32 v43, v41, v35
	v_lshrrev_b64 v[40:41], s12, v[40:41]
	v_and_b32_e32 v20, 3, v40
	v_cmp_eq_u64_e64 s[6:7], v[42:43], v[32:33]
	v_cmp_eq_u64_e64 s[14:15], 0, v[20:21]
	;; [unrolled: 1-line block ×3, first 2 shown]
	s_and_b64 s[14:15], s[6:7], s[14:15]
	v_cmp_eq_u64_e64 s[18:19], 2, v[20:21]
	v_cmp_eq_u64_e64 s[20:21], 3, v[20:21]
	v_cndmask_b32_e64 v20, 0, 1, s[14:15]
	s_and_b64 s[14:15], s[6:7], s[16:17]
	v_cndmask_b32_e64 v40, 0, 1, s[14:15]
	s_and_b64 s[14:15], s[6:7], s[18:19]
	s_and_b64 s[6:7], s[6:7], s[20:21]
	v_cndmask_b32_e64 v41, 0, 1, s[14:15]
	v_cndmask_b32_e64 v42, 0, 1, s[6:7]
	v_cmp_ne_u32_e64 s[6:7], 0, v20
	v_cmp_ne_u32_e64 s[14:15], 0, v40
	;; [unrolled: 1-line block ×4, first 2 shown]
	v_cmp_le_u64_e32 vcc, s[82:83], v[4:5]
	s_bcnt1_i32_b64 s6, s[6:7]
	s_bcnt1_i32_b64 s7, s[14:15]
	;; [unrolled: 1-line block ×4, first 2 shown]
	s_or_b64 s[2:3], vcc, s[2:3]
	v_add_co_u32_e32 v8, vcc, s6, v8
	v_addc_co_u32_e32 v9, vcc, 0, v9, vcc
	v_add_co_u32_e32 v10, vcc, s7, v10
	v_addc_co_u32_e32 v11, vcc, 0, v11, vcc
	;; [unrolled: 2-line block ×3, first 2 shown]
	v_add_co_u32_e32 v14, vcc, s14, v14
	v_add_u32_e32 v38, v38, v39
	v_addc_co_u32_e32 v15, vcc, 0, v15, vcc
	s_andn2_b64 exec, exec, s[2:3]
	s_cbranch_execnz .LBB180_60
; %bb.61:                               ;   in Loop: Header=BB180_6 Depth=1
	s_or_b64 exec, exec, s[2:3]
.LBB180_62:                             ;   in Loop: Header=BB180_6 Depth=1
	s_or_b64 exec, exec, s[4:5]
.LBB180_63:                             ;   in Loop: Header=BB180_6 Depth=1
	v_readlane_b32 s2, v62, 45
	s_lshl_b32 s4, s2, 6
	s_and_saveexec_b64 s[2:3], s[94:95]
	s_cbranch_execz .LBB180_65
; %bb.64:                               ;   in Loop: Header=BB180_6 Depth=1
	v_or_b32_e32 v2, s4, v48
	v_lshlrev_b32_e32 v2, 3, v2
	ds_write_b128 v2, v[8:11] offset:3072
	ds_write_b128 v2, v[12:15] offset:3088
.LBB180_65:                             ;   in Loop: Header=BB180_6 Depth=1
	s_or_b64 exec, exec, s[2:3]
	s_waitcnt lgkmcnt(0)
	s_barrier
	s_and_saveexec_b64 s[2:3], s[90:91]
	s_cbranch_execz .LBB180_77
; %bb.66:                               ;   in Loop: Header=BB180_6 Depth=1
	v_readlane_b32 s6, v62, 26
	v_readlane_b32 s7, v62, 27
	s_andn2_b64 vcc, exec, s[6:7]
	s_waitcnt vmcnt(0)
	v_pk_mov_b32 v[4:5], 0, 0
	s_cbranch_vccnz .LBB180_76
; %bb.67:                               ;   in Loop: Header=BB180_6 Depth=1
	v_readlane_b32 s6, v62, 35
	v_readlane_b32 s7, v62, 36
	s_andn2_b64 vcc, exec, s[6:7]
	s_cbranch_vccnz .LBB180_72
; %bb.68:                               ;   in Loop: Header=BB180_6 Depth=1
	v_readlane_b32 s5, v62, 45
	v_lshl_add_u32 v2, s5, 9, v52
	s_mov_b32 s5, 0
	v_pk_mov_b32 v[4:5], 0, 0
.LBB180_69:                             ;   Parent Loop BB180_6 Depth=1
                                        ; =>  This Inner Loop Header: Depth=2
	ds_read2_b64 v[8:11], v2 offset1:4
	ds_read2_b64 v[12:15], v2 offset0:8 offset1:12
	ds_read2_b64 v[38:41], v2 offset0:16 offset1:20
	;; [unrolled: 1-line block ×3, first 2 shown]
	s_add_i32 s5, s5, 8
	s_waitcnt lgkmcnt(3)
	v_add_co_u32_e32 v4, vcc, v8, v4
	v_addc_co_u32_e32 v5, vcc, v9, v5, vcc
	v_add_co_u32_e32 v4, vcc, v10, v4
	v_addc_co_u32_e32 v5, vcc, v11, v5, vcc
	s_waitcnt lgkmcnt(2)
	v_add_co_u32_e32 v4, vcc, v12, v4
	v_addc_co_u32_e32 v5, vcc, v13, v5, vcc
	v_add_co_u32_e32 v4, vcc, v14, v4
	v_addc_co_u32_e32 v5, vcc, v15, v5, vcc
	;; [unrolled: 5-line block ×3, first 2 shown]
	s_waitcnt lgkmcnt(0)
	v_add_co_u32_e32 v4, vcc, v42, v4
	v_addc_co_u32_e32 v5, vcc, v43, v5, vcc
	v_add_co_u32_e32 v4, vcc, v44, v4
	v_add_u32_e32 v2, 0x100, v2
	s_cmp_eq_u32 s1, s5
	v_addc_co_u32_e32 v5, vcc, v45, v5, vcc
	s_cbranch_scc0 .LBB180_69
; %bb.70:                               ;   in Loop: Header=BB180_6 Depth=1
	s_mov_b32 s5, s1
	s_branch .LBB180_73
.LBB180_71:                             ;   in Loop: Header=BB180_6 Depth=1
                                        ; implicit-def: $vgpr4_vgpr5
	s_branch .LBB180_39
.LBB180_72:                             ;   in Loop: Header=BB180_6 Depth=1
	s_mov_b32 s5, 0
	v_pk_mov_b32 v[4:5], 0, 0
.LBB180_73:                             ;   in Loop: Header=BB180_6 Depth=1
	v_readlane_b32 s6, v62, 38
	v_readlane_b32 s7, v62, 39
	s_andn2_b64 vcc, exec, s[6:7]
	s_cbranch_vccnz .LBB180_76
; %bb.74:                               ;   in Loop: Header=BB180_6 Depth=1
	v_readlane_b32 s6, v62, 45
	s_lshl_b32 s6, s6, 9
	s_lshl_b32 s5, s5, 5
	s_add_i32 s6, s6, s5
	v_add_u32_e32 v2, s6, v52
	v_readlane_b32 s5, v62, 37
.LBB180_75:                             ;   Parent Loop BB180_6 Depth=1
                                        ; =>  This Inner Loop Header: Depth=2
	ds_read_b64 v[8:9], v2
	s_add_i32 s5, s5, -1
	v_add_u32_e32 v2, 32, v2
	s_cmp_lg_u32 s5, 0
	s_waitcnt lgkmcnt(0)
	v_add_co_u32_e32 v4, vcc, v8, v4
	v_addc_co_u32_e32 v5, vcc, v9, v5, vcc
	s_cbranch_scc1 .LBB180_75
.LBB180_76:                             ;   in Loop: Header=BB180_6 Depth=1
	v_add_lshl_u32 v2, s4, v47, 3
	ds_write_b64 v2, v[4:5] offset:3072
.LBB180_77:                             ;   in Loop: Header=BB180_6 Depth=1
	s_or_b64 exec, exec, s[2:3]
	s_lshl_b32 s2, s4, 3
	v_mov_b32_e32 v2, s2
	s_waitcnt lgkmcnt(0)
	s_barrier
	ds_read_b128 v[8:11], v2 offset:3072
	ds_read_b128 v[12:15], v2 offset:3088
	v_readlane_b32 s2, v62, 44
	s_and_b32 s82, s2, 0xfe
	v_readlane_b32 s2, v62, 18
	s_lshl_b64 s[18:19], 3, s82
	v_readlane_b32 s3, v62, 19
	s_waitcnt lgkmcnt(1)
	v_readfirstlane_b32 s17, v9
	v_readfirstlane_b32 s16, v8
	;; [unrolled: 1-line block ×4, first 2 shown]
	s_waitcnt lgkmcnt(0)
	v_readfirstlane_b32 s27, v13
	v_readfirstlane_b32 s26, v12
	;; [unrolled: 1-line block ×4, first 2 shown]
	s_not_b64 s[20:21], s[18:19]
	s_andn2_b64 vcc, exec, s[2:3]
	v_cmp_eq_u64_e64 s[14:15], 1, v[36:37]
	s_cbranch_vccnz .LBB180_93
; %bb.78:                               ;   in Loop: Header=BB180_6 Depth=1
	s_cmp_eq_u64 s[16:17], 1
	s_cselect_b64 s[2:3], -1, 0
	s_and_b64 s[2:3], s[2:3], s[14:15]
	s_mov_b64 s[6:7], -1
	v_pk_mov_b32 v[12:13], v[32:33], v[32:33] op_sel:[0,1]
	v_pk_mov_b32 v[14:15], v[34:35], v[34:35] op_sel:[0,1]
	;; [unrolled: 1-line block ×3, first 2 shown]
                                        ; implicit-def: $sgpr24_sgpr25
                                        ; implicit-def: $sgpr40_sgpr41
                                        ; implicit-def: $sgpr38_sgpr39
	s_and_saveexec_b64 s[4:5], s[2:3]
	s_cbranch_execz .LBB180_115
; %bb.79:                               ;   in Loop: Header=BB180_6 Depth=1
	s_waitcnt vmcnt(0)
	ds_read_b64 v[4:5], v21 offset:5120
	v_readlane_b32 s8, v62, 24
	v_readlane_b32 s9, v62, 25
	s_waitcnt lgkmcnt(0)
	s_barrier
	v_readfirstlane_b32 s12, v4
	v_readfirstlane_b32 s13, v5
	s_and_saveexec_b64 s[6:7], s[8:9]
	s_cbranch_execz .LBB180_81
; %bb.80:                               ;   in Loop: Header=BB180_6 Depth=1
	v_mov_b32_e32 v20, v21
	ds_write_b64 v50, v[20:21]
.LBB180_81:                             ;   in Loop: Header=BB180_6 Depth=1
	s_or_b64 exec, exec, s[6:7]
	v_and_b32_e32 v13, s21, v33
	v_and_b32_e32 v12, s20, v32
	v_or_b32_e32 v15, s19, v35
	v_or_b32_e32 v14, s18, v34
	s_cmp_eq_u64 s[12:13], 0
	s_waitcnt lgkmcnt(0)
	s_barrier
	s_cbranch_scc1 .LBB180_98
; %bb.82:                               ;   in Loop: Header=BB180_6 Depth=1
	v_readlane_b32 s6, v62, 28
	s_add_u32 s34, s6, s12
	v_readlane_b32 s6, v62, 30
	s_addc_u32 s7, s6, s13
	s_mov_b32 s6, s83
	s_cmp_lg_u64 s[6:7], 0
	s_cbranch_scc0 .LBB180_142
; %bb.83:                               ;   in Loop: Header=BB180_6 Depth=1
	v_cvt_f32_u32_e32 v2, s33
	s_sub_u32 s6, 0, s33
	s_subb_u32 s24, 0, 0
	v_mac_f32_e32 v2, 0, v53
	v_rcp_f32_e32 v2, v2
	v_mul_f32_e32 v2, 0x5f7ffffc, v2
	v_mul_f32_e32 v4, 0x2f800000, v2
	v_trunc_f32_e32 v4, v4
	v_mac_f32_e32 v2, 0xcf800000, v4
	v_cvt_u32_f32_e32 v4, v4
	v_cvt_u32_f32_e32 v2, v2
	v_readfirstlane_b32 s25, v4
	v_readfirstlane_b32 s35, v2
	s_mul_i32 s36, s6, s25
	s_mul_hi_u32 s38, s6, s35
	s_mul_i32 s37, s24, s35
	s_add_i32 s36, s38, s36
	s_mul_i32 s39, s6, s35
	s_add_i32 s36, s36, s37
	s_mul_hi_u32 s38, s35, s39
	s_mul_hi_u32 s37, s35, s36
	s_mul_i32 s35, s35, s36
	s_add_u32 s35, s38, s35
	s_addc_u32 s37, 0, s37
	s_mul_hi_u32 s40, s25, s39
	s_mul_i32 s39, s25, s39
	s_add_u32 s35, s35, s39
	s_mul_hi_u32 s38, s25, s36
	s_addc_u32 s35, s37, s40
	s_addc_u32 s37, s38, 0
	s_mul_i32 s36, s25, s36
	s_add_u32 s35, s35, s36
	s_addc_u32 s36, 0, s37
	v_add_co_u32_e32 v2, vcc, s35, v2
	s_cmp_lg_u64 vcc, 0
	s_addc_u32 s25, s25, s36
	v_readfirstlane_b32 s36, v2
	s_mul_i32 s35, s6, s25
	s_mul_hi_u32 s37, s6, s36
	s_add_i32 s35, s37, s35
	s_mul_i32 s24, s24, s36
	s_add_i32 s35, s35, s24
	s_mul_i32 s6, s6, s36
	s_mul_hi_u32 s37, s25, s6
	s_mul_i32 s38, s25, s6
	s_mul_i32 s40, s36, s35
	s_mul_hi_u32 s6, s36, s6
	s_mul_hi_u32 s39, s36, s35
	s_add_u32 s6, s6, s40
	s_addc_u32 s36, 0, s39
	s_add_u32 s6, s6, s38
	s_mul_hi_u32 s24, s25, s35
	s_addc_u32 s6, s36, s37
	s_addc_u32 s24, s24, 0
	s_mul_i32 s35, s25, s35
	s_add_u32 s6, s6, s35
	s_addc_u32 s24, 0, s24
	v_add_co_u32_e32 v2, vcc, s6, v2
	s_cmp_lg_u64 vcc, 0
	s_addc_u32 s6, s25, s24
	v_readfirstlane_b32 s35, v2
	s_mul_i32 s25, s34, s6
	s_mul_hi_u32 s36, s34, s35
	s_mul_hi_u32 s24, s34, s6
	s_add_u32 s25, s36, s25
	s_addc_u32 s24, 0, s24
	s_mul_hi_u32 s37, s7, s35
	s_mul_i32 s35, s7, s35
	s_add_u32 s25, s25, s35
	s_mul_hi_u32 s36, s7, s6
	s_addc_u32 s24, s24, s37
	s_addc_u32 s25, s36, 0
	s_mul_i32 s6, s7, s6
	s_add_u32 s6, s24, s6
	s_addc_u32 s24, 0, s25
	s_mul_hi_u32 s25, s33, s6
	s_mul_i32 s6, s33, s6
	s_mul_i32 s24, s33, s24
	v_mov_b32_e32 v2, s6
	s_add_i32 s25, s25, s24
	v_sub_co_u32_e32 v2, vcc, s34, v2
	s_cmp_lg_u64 vcc, 0
	s_subb_u32 s6, s7, s25
	v_subrev_co_u32_e32 v4, vcc, s33, v2
	s_cmp_lg_u64 vcc, 0
	s_subb_u32 s24, s6, 0
	v_subrev_co_u32_e32 v5, vcc, s33, v4
	s_cmp_lg_u64 vcc, 0
	s_subb_u32 s25, s24, 0
	v_cmp_le_u32_e32 vcc, s33, v4
	s_cmp_eq_u32 s24, 0
	v_cndmask_b32_e64 v8, 0, -1, vcc
	s_cselect_b64 vcc, -1, 0
	v_cndmask_b32_e32 v8, -1, v8, vcc
	v_mov_b32_e32 v9, s24
	v_mov_b32_e32 v10, s25
	v_cmp_ne_u32_e32 vcc, 0, v8
	v_cndmask_b32_e32 v8, v9, v10, vcc
	v_cndmask_b32_e32 v4, v4, v5, vcc
	v_cmp_le_u32_e32 vcc, s33, v2
	s_cmp_eq_u32 s6, 0
	v_cndmask_b32_e64 v5, 0, -1, vcc
	s_cselect_b64 vcc, -1, 0
	v_cndmask_b32_e32 v5, -1, v5, vcc
	v_mov_b32_e32 v9, s6
	v_cmp_ne_u32_e32 vcc, 0, v5
	v_cndmask_b32_e32 v5, v9, v8, vcc
	v_cndmask_b32_e32 v4, v2, v4, vcc
	s_cbranch_execnz .LBB180_85
.LBB180_84:                             ;   in Loop: Header=BB180_6 Depth=1
	v_cvt_f32_u32_e32 v2, s33
	s_sub_i32 s6, 0, s33
	v_rcp_iflag_f32_e32 v2, v2
	v_mul_f32_e32 v2, 0x4f7ffffe, v2
	v_cvt_u32_f32_e32 v2, v2
	v_mul_lo_u32 v4, s6, v2
	v_mul_hi_u32 v4, v2, v4
	v_add_u32_e32 v2, v2, v4
	v_mul_hi_u32 v2, s34, v2
	v_mul_lo_u32 v2, v2, s33
	v_sub_u32_e32 v2, s34, v2
	v_subrev_u32_e32 v4, s33, v2
	v_cmp_le_u32_e32 vcc, s33, v2
	v_cndmask_b32_e32 v2, v2, v4, vcc
	v_subrev_u32_e32 v4, s33, v2
	v_cmp_le_u32_e32 vcc, s33, v2
	v_cndmask_b32_e32 v20, v2, v4, vcc
	v_pk_mov_b32 v[4:5], v[20:21], v[20:21] op_sel:[0,1]
.LBB180_85:                             ;   in Loop: Header=BB180_6 Depth=1
	v_mov_b32_e32 v2, s7
	v_sub_co_u32_e32 v38, vcc, s34, v4
	v_subb_co_u32_e32 v39, vcc, v2, v5, vcc
	v_cmp_gt_u64_e32 vcc, v[38:39], v[0:1]
	s_mov_b64 s[6:7], 0
                                        ; implicit-def: $vgpr10_vgpr11
	s_and_saveexec_b64 s[24:25], vcc
	s_cbranch_execz .LBB180_100
; %bb.86:                               ;   in Loop: Header=BB180_6 Depth=1
	s_mov_b64 s[36:37], 0
	v_mov_b32_e32 v20, v49
	v_pk_mov_b32 v[40:41], v[0:1], v[0:1] op_sel:[0,1]
                                        ; implicit-def: $sgpr34_sgpr35
	s_branch .LBB180_88
.LBB180_87:                             ;   in Loop: Header=BB180_88 Depth=2
	s_or_b64 exec, exec, s[6:7]
	s_waitcnt lgkmcnt(0)
	s_barrier
	ds_read_b128 v[8:11], v21 offset:3072
	v_mov_b32_e32 v2, s0
	v_add_co_u32_e64 v40, s[6:7], s33, v40
	v_addc_co_u32_e64 v41, s[6:7], v41, v2, s[6:7]
	s_waitcnt lgkmcnt(0)
	v_cmp_neq_f64_e32 vcc, 0, v[8:9]
	v_cmp_ge_u64_e64 s[6:7], v[40:41], v[38:39]
	s_or_b64 s[6:7], s[6:7], vcc
	s_and_b64 s[6:7], exec, s[6:7]
	s_or_b64 s[36:37], s[6:7], s[36:37]
	s_andn2_b64 s[6:7], s[34:35], exec
	s_and_b64 s[34:35], vcc, exec
	v_add_u32_e32 v20, s88, v20
	s_or_b64 s[34:35], s[6:7], s[34:35]
	s_barrier
	s_andn2_b64 exec, exec, s[36:37]
	s_cbranch_execz .LBB180_99
.LBB180_88:                             ;   Parent Loop BB180_6 Depth=1
                                        ; =>  This Inner Loop Header: Depth=2
	v_cmp_gt_u64_e32 vcc, s[12:13], v[40:41]
	v_pk_mov_b32 v[4:5], 0, 0
	s_and_saveexec_b64 s[6:7], vcc
	s_cbranch_execz .LBB180_90
; %bb.89:                               ;   in Loop: Header=BB180_88 Depth=2
	ds_read_b64 v[4:5], v20
.LBB180_90:                             ;   in Loop: Header=BB180_88 Depth=2
	s_or_b64 exec, exec, s[6:7]
	s_and_saveexec_b64 s[6:7], vcc
	s_cbranch_execz .LBB180_87
; %bb.91:                               ;   in Loop: Header=BB180_88 Depth=2
	s_waitcnt lgkmcnt(0)
	v_ashrrev_i32_e32 v2, 31, v5
	v_or_b32_e32 v8, 0x80000000, v2
	v_xor_b32_e32 v8, v8, v5
	v_xor_b32_e32 v2, v2, v4
	v_cmp_o_f64_e32 vcc, v[4:5], v[4:5]
	v_cndmask_b32_e32 v8, -1, v8, vcc
	v_cndmask_b32_e32 v2, -1, v2, vcc
	v_and_b32_e32 v9, v8, v15
	v_and_b32_e32 v8, v2, v14
	v_cmp_eq_u64_e32 vcc, v[8:9], v[12:13]
	s_and_b64 exec, exec, vcc
	s_cbranch_execz .LBB180_87
; %bb.92:                               ;   in Loop: Header=BB180_88 Depth=2
	v_mov_b32_e32 v2, v21
	ds_write_b128 v21, v[2:5] offset:3072
	s_branch .LBB180_87
.LBB180_93:                             ;   in Loop: Header=BB180_6 Depth=1
	s_mov_b64 s[36:37], 0
	s_mov_b64 s[34:35], 0
                                        ; implicit-def: $sgpr38_sgpr39
                                        ; implicit-def: $sgpr40_sgpr41
                                        ; implicit-def: $sgpr24_sgpr25
                                        ; implicit-def: $vgpr2
                                        ; implicit-def: $vgpr38_vgpr39
                                        ; implicit-def: $vgpr12_vgpr13
                                        ; implicit-def: $vgpr14_vgpr15
                                        ; implicit-def: $vgpr10_vgpr11
	s_cbranch_execnz .LBB180_279
.LBB180_94:                             ;   in Loop: Header=BB180_6 Depth=1
	s_mov_b64 s[14:15], s[24:25]
	s_mov_b64 s[42:43], s[24:25]
	s_and_saveexec_b64 s[2:3], s[36:37]
	s_cbranch_execnz .LBB180_475
	s_branch .LBB180_476
.LBB180_95:                             ;   in Loop: Header=BB180_6 Depth=1
	s_or_b64 exec, exec, s[4:5]
	s_waitcnt lgkmcnt(0)
	s_barrier
	s_mov_b64 s[4:5], exec
	v_readlane_b32 s6, v62, 8
	v_readlane_b32 s7, v62, 9
	s_and_b64 s[6:7], s[4:5], s[6:7]
	s_mov_b64 exec, s[6:7]
	s_cbranch_execz .LBB180_97
; %bb.96:                               ;   in Loop: Header=BB180_6 Depth=1
	s_waitcnt vmcnt(0)
	ds_read_b32 v4, v21 offset:5144
	s_waitcnt lgkmcnt(0)
	v_ashrrev_i32_e32 v5, 31, v4
	ds_write_b64 v21, v[4:5] offset:5120
.LBB180_97:                             ;   in Loop: Header=BB180_6 Depth=1
	s_or_b64 exec, exec, s[4:5]
	s_waitcnt lgkmcnt(0)
	s_barrier
	s_mov_b64 s[4:5], -1
	s_and_b64 vcc, exec, s[2:3]
	s_cbranch_vccnz .LBB180_24
	s_branch .LBB180_34
.LBB180_98:                             ;   in Loop: Header=BB180_6 Depth=1
	s_mov_b64 s[24:25], -1
	s_mov_b64 s[6:7], 0
                                        ; implicit-def: $sgpr38_sgpr39
                                        ; implicit-def: $vgpr10_vgpr11
	s_mov_b64 s[40:41], s[24:25]
	s_cbranch_execnz .LBB180_101
	s_branch .LBB180_114
.LBB180_99:                             ;   in Loop: Header=BB180_6 Depth=1
	s_or_b64 exec, exec, s[36:37]
	s_and_b64 s[6:7], s[34:35], exec
.LBB180_100:                            ;   in Loop: Header=BB180_6 Depth=1
	s_or_b64 exec, exec, s[24:25]
	s_mov_b64 s[38:39], -1
	s_mov_b64 s[24:25], 0
	s_mov_b64 s[40:41], s[24:25]
	s_branch .LBB180_114
.LBB180_101:                            ;   in Loop: Header=BB180_6 Depth=1
	v_readlane_b32 s8, v62, 31
	v_readlane_b32 s9, v62, 32
	s_mov_b32 s8, s83
	s_cmp_lg_u64 s[8:9], 0
	v_writelane_b32 v62, s8, 31
	v_writelane_b32 v62, s9, 32
	s_cbranch_scc0 .LBB180_143
; %bb.102:                              ;   in Loop: Header=BB180_6 Depth=1
	v_cvt_f32_u32_e32 v2, s33
	s_sub_u32 s6, 0, s33
	s_subb_u32 s7, 0, 0
	v_readlane_b32 s8, v62, 29
	v_mac_f32_e32 v2, 0, v53
	v_rcp_f32_e32 v2, v2
	v_mul_f32_e32 v2, 0x5f7ffffc, v2
	v_mul_f32_e32 v4, 0x2f800000, v2
	v_trunc_f32_e32 v4, v4
	v_mac_f32_e32 v2, 0xcf800000, v4
	v_cvt_u32_f32_e32 v4, v4
	v_cvt_u32_f32_e32 v2, v2
	v_readfirstlane_b32 s12, v4
	v_readfirstlane_b32 s13, v2
	s_mul_i32 s24, s6, s12
	s_mul_hi_u32 s34, s6, s13
	s_mul_i32 s25, s7, s13
	s_add_i32 s24, s34, s24
	s_mul_i32 s35, s6, s13
	s_add_i32 s24, s24, s25
	s_mul_hi_u32 s34, s13, s35
	s_mul_hi_u32 s25, s13, s24
	s_mul_i32 s13, s13, s24
	s_add_u32 s13, s34, s13
	s_addc_u32 s25, 0, s25
	s_mul_hi_u32 s36, s12, s35
	s_mul_i32 s35, s12, s35
	s_add_u32 s13, s13, s35
	s_mul_hi_u32 s34, s12, s24
	s_addc_u32 s13, s25, s36
	s_addc_u32 s25, s34, 0
	s_mul_i32 s24, s12, s24
	s_add_u32 s13, s13, s24
	s_addc_u32 s24, 0, s25
	v_add_co_u32_e32 v2, vcc, s13, v2
	s_cmp_lg_u64 vcc, 0
	s_addc_u32 s12, s12, s24
	v_readfirstlane_b32 s24, v2
	s_mul_i32 s13, s6, s12
	s_mul_hi_u32 s25, s6, s24
	s_add_i32 s13, s25, s13
	s_mul_i32 s7, s7, s24
	s_add_i32 s13, s13, s7
	s_mul_i32 s6, s6, s24
	s_mul_hi_u32 s25, s12, s6
	s_mul_i32 s34, s12, s6
	s_mul_i32 s36, s24, s13
	s_mul_hi_u32 s6, s24, s6
	s_mul_hi_u32 s35, s24, s13
	s_add_u32 s6, s6, s36
	s_addc_u32 s24, 0, s35
	s_add_u32 s6, s6, s34
	s_mul_hi_u32 s7, s12, s13
	s_addc_u32 s6, s24, s25
	s_addc_u32 s7, s7, 0
	s_mul_i32 s13, s12, s13
	s_add_u32 s6, s6, s13
	s_addc_u32 s7, 0, s7
	v_add_co_u32_e32 v2, vcc, s6, v2
	s_cmp_lg_u64 vcc, 0
	s_addc_u32 s6, s12, s7
	v_readfirstlane_b32 s13, v2
	s_mul_i32 s12, s8, s6
	s_mul_hi_u32 s24, s8, s13
	s_mul_hi_u32 s7, s8, s6
	s_add_u32 s12, s24, s12
	s_addc_u32 s7, 0, s7
	s_mul_hi_u32 s25, s9, s13
	s_mul_i32 s13, s9, s13
	s_add_u32 s12, s12, s13
	s_mul_hi_u32 s24, s9, s6
	s_addc_u32 s7, s7, s25
	s_addc_u32 s12, s24, 0
	s_mul_i32 s6, s9, s6
	s_add_u32 s6, s7, s6
	s_addc_u32 s7, 0, s12
	s_mul_hi_u32 s12, s33, s6
	s_mul_i32 s6, s33, s6
	s_mul_i32 s7, s33, s7
	v_mov_b32_e32 v2, s6
	s_add_i32 s12, s12, s7
	v_sub_co_u32_e32 v2, vcc, s8, v2
	s_cmp_lg_u64 vcc, 0
	s_subb_u32 s6, s9, s12
	v_subrev_co_u32_e32 v4, vcc, s33, v2
	s_cmp_lg_u64 vcc, 0
	s_subb_u32 s7, s6, 0
	v_subrev_co_u32_e32 v5, vcc, s33, v4
	s_cmp_lg_u64 vcc, 0
	s_subb_u32 s12, s7, 0
	v_cmp_le_u32_e32 vcc, s33, v4
	s_cmp_eq_u32 s7, 0
	v_cndmask_b32_e64 v8, 0, -1, vcc
	s_cselect_b64 vcc, -1, 0
	v_cndmask_b32_e32 v8, -1, v8, vcc
	v_mov_b32_e32 v9, s7
	v_mov_b32_e32 v10, s12
	v_cmp_ne_u32_e32 vcc, 0, v8
	v_cndmask_b32_e32 v8, v9, v10, vcc
	v_cndmask_b32_e32 v4, v4, v5, vcc
	v_cmp_le_u32_e32 vcc, s33, v2
	s_cmp_eq_u32 s6, 0
	v_cndmask_b32_e64 v5, 0, -1, vcc
	s_cselect_b64 vcc, -1, 0
	v_cndmask_b32_e32 v5, -1, v5, vcc
	v_mov_b32_e32 v9, s6
	v_cmp_ne_u32_e32 vcc, 0, v5
	v_cndmask_b32_e32 v5, v9, v8, vcc
	v_cndmask_b32_e32 v4, v2, v4, vcc
	s_cbranch_execnz .LBB180_104
.LBB180_103:                            ;   in Loop: Header=BB180_6 Depth=1
	v_cvt_f32_u32_e32 v2, s33
	s_sub_i32 s6, 0, s33
	v_rcp_iflag_f32_e32 v2, v2
	v_mul_f32_e32 v2, 0x4f7ffffe, v2
	v_cvt_u32_f32_e32 v2, v2
	v_mul_lo_u32 v4, s6, v2
	v_mul_hi_u32 v4, v2, v4
	v_add_u32_e32 v2, v2, v4
	v_readlane_b32 s6, v62, 29
	v_mul_hi_u32 v2, s6, v2
	v_mul_lo_u32 v2, v2, s33
	v_sub_u32_e32 v2, s6, v2
	v_subrev_u32_e32 v4, s33, v2
	v_cmp_le_u32_e32 vcc, s33, v2
	v_cndmask_b32_e32 v2, v2, v4, vcc
	v_subrev_u32_e32 v4, s33, v2
	v_cmp_le_u32_e32 vcc, s33, v2
	v_cndmask_b32_e32 v20, v2, v4, vcc
	v_pk_mov_b32 v[4:5], v[20:21], v[20:21] op_sel:[0,1]
.LBB180_104:                            ;   in Loop: Header=BB180_6 Depth=1
	v_readlane_b32 s6, v62, 31
	v_readlane_b32 s7, v62, 32
	;; [unrolled: 1-line block ×3, first 2 shown]
	v_mov_b32_e32 v2, s7
	v_sub_co_u32_e32 v38, vcc, s6, v4
	v_subb_co_u32_e32 v39, vcc, v2, v5, vcc
	v_cmp_gt_u64_e32 vcc, v[38:39], v[0:1]
	s_mov_b64 s[6:7], 0
                                        ; implicit-def: $vgpr10_vgpr11
	s_and_saveexec_b64 s[12:13], vcc
	s_cbranch_execz .LBB180_113
; %bb.105:                              ;   in Loop: Header=BB180_6 Depth=1
	s_mov_b64 s[34:35], 0
	v_pk_mov_b32 v[40:41], v[18:19], v[18:19] op_sel:[0,1]
	v_pk_mov_b32 v[42:43], v[0:1], v[0:1] op_sel:[0,1]
                                        ; implicit-def: $sgpr24_sgpr25
	s_branch .LBB180_107
.LBB180_106:                            ;   in Loop: Header=BB180_107 Depth=2
	s_or_b64 exec, exec, s[6:7]
	s_waitcnt lgkmcnt(0)
	s_barrier
	ds_read_b128 v[8:11], v21 offset:3072
	v_mov_b32_e32 v2, s0
	v_add_co_u32_e64 v42, s[6:7], s33, v42
	v_addc_co_u32_e64 v43, s[6:7], v43, v2, s[6:7]
	s_waitcnt lgkmcnt(0)
	v_cmp_neq_f64_e32 vcc, 0, v[8:9]
	v_cmp_ge_u64_e64 s[6:7], v[42:43], v[38:39]
	s_or_b64 s[36:37], s[6:7], vcc
	v_mov_b32_e32 v2, s61
	v_add_co_u32_e64 v40, s[6:7], s60, v40
	v_addc_co_u32_e64 v41, s[6:7], v41, v2, s[6:7]
	s_and_b64 s[6:7], exec, s[36:37]
	s_or_b64 s[34:35], s[6:7], s[34:35]
	s_andn2_b64 s[6:7], s[24:25], exec
	s_and_b64 s[24:25], vcc, exec
	s_or_b64 s[24:25], s[6:7], s[24:25]
	s_barrier
	s_andn2_b64 exec, exec, s[34:35]
	s_cbranch_execz .LBB180_112
.LBB180_107:                            ;   Parent Loop BB180_6 Depth=1
                                        ; =>  This Inner Loop Header: Depth=2
	v_cmp_gt_u64_e32 vcc, s[56:57], v[42:43]
	s_waitcnt vmcnt(0)
	v_pk_mov_b32 v[4:5], 0, 0
	s_and_saveexec_b64 s[6:7], vcc
	s_cbranch_execz .LBB180_109
; %bb.108:                              ;   in Loop: Header=BB180_107 Depth=2
	global_load_dwordx2 v[4:5], v[40:41], off
.LBB180_109:                            ;   in Loop: Header=BB180_107 Depth=2
	s_or_b64 exec, exec, s[6:7]
	s_and_saveexec_b64 s[6:7], vcc
	s_cbranch_execz .LBB180_106
; %bb.110:                              ;   in Loop: Header=BB180_107 Depth=2
	s_waitcnt vmcnt(0)
	v_ashrrev_i32_e32 v2, 31, v5
	v_or_b32_e32 v8, 0x80000000, v2
	v_xor_b32_e32 v8, v8, v5
	v_xor_b32_e32 v2, v2, v4
	v_cmp_o_f64_e32 vcc, v[4:5], v[4:5]
	v_cndmask_b32_e32 v8, -1, v8, vcc
	v_cndmask_b32_e32 v2, -1, v2, vcc
	v_and_b32_e32 v9, v8, v15
	v_and_b32_e32 v8, v2, v14
	v_cmp_eq_u64_e32 vcc, v[8:9], v[12:13]
	s_and_b64 exec, exec, vcc
	s_cbranch_execz .LBB180_106
; %bb.111:                              ;   in Loop: Header=BB180_107 Depth=2
	v_mov_b32_e32 v2, v21
	ds_write_b128 v21, v[2:5] offset:3072
	s_branch .LBB180_106
.LBB180_112:                            ;   in Loop: Header=BB180_6 Depth=1
	s_or_b64 exec, exec, s[34:35]
	s_and_b64 s[6:7], s[24:25], exec
.LBB180_113:                            ;   in Loop: Header=BB180_6 Depth=1
	s_or_b64 exec, exec, s[12:13]
	s_mov_b64 s[40:41], -1
	s_mov_b64 s[24:25], 0
	s_mov_b64 s[38:39], 0
.LBB180_114:                            ;   in Loop: Header=BB180_6 Depth=1
	s_orn2_b64 s[6:7], s[6:7], exec
.LBB180_115:                            ;   in Loop: Header=BB180_6 Depth=1
	s_or_b64 exec, exec, s[4:5]
	s_mov_b64 s[42:43], 0
	s_mov_b64 s[36:37], 0
	;; [unrolled: 1-line block ×3, first 2 shown]
                                        ; implicit-def: $vgpr2
                                        ; implicit-def: $vgpr38_vgpr39
	s_and_saveexec_b64 s[44:45], s[6:7]
	s_cbranch_execz .LBB180_278
; %bb.116:                              ;   in Loop: Header=BB180_6 Depth=1
	s_waitcnt vmcnt(0)
	v_mov_b32_e32 v38, 1
	s_xor_b64 s[4:5], s[2:3], -1
	s_mov_b64 s[6:7], 0
	v_mov_b32_e32 v39, 0
	v_mov_b32_e32 v2, 1
	s_and_saveexec_b64 s[2:3], s[4:5]
	s_cbranch_execz .LBB180_126
; %bb.117:                              ;   in Loop: Header=BB180_6 Depth=1
	v_cmp_ge_u64_e32 vcc, s[16:17], v[36:37]
                                        ; implicit-def: $sgpr12
                                        ; implicit-def: $sgpr4_sgpr5
	s_and_saveexec_b64 s[6:7], vcc
	s_xor_b64 s[6:7], exec, s[6:7]
	s_cbranch_execz .LBB180_123
; %bb.118:                              ;   in Loop: Header=BB180_6 Depth=1
	ds_read_b64 v[4:5], v21 offset:5120
	s_waitcnt lgkmcnt(0)
	v_cmp_ne_u64_e32 vcc, 0, v[4:5]
	s_cbranch_vccnz .LBB180_122
; %bb.119:                              ;   in Loop: Header=BB180_6 Depth=1
	s_mov_b64 s[4:5], exec
	v_readlane_b32 s12, v62, 8
	v_readlane_b32 s13, v62, 9
	s_and_b64 s[12:13], s[4:5], s[12:13]
	s_mov_b64 exec, s[12:13]
	s_cbranch_execz .LBB180_121
; %bb.120:                              ;   in Loop: Header=BB180_6 Depth=1
	v_pk_mov_b32 v[4:5], s[16:17], s[16:17] op_sel:[0,1]
	ds_write_b64 v21, v[4:5] offset:5128
.LBB180_121:                            ;   in Loop: Header=BB180_6 Depth=1
	s_or_b64 exec, exec, s[4:5]
	s_waitcnt lgkmcnt(0)
	s_barrier
.LBB180_122:                            ;   in Loop: Header=BB180_6 Depth=1
	v_and_b32_e32 v13, s21, v13
	v_and_b32_e32 v12, s20, v12
	v_or_b32_e32 v15, s19, v15
	v_or_b32_e32 v14, s18, v14
	s_mov_b64 s[4:5], 0
	s_mov_b32 s12, 8
.LBB180_123:                            ;   in Loop: Header=BB180_6 Depth=1
	s_or_saveexec_b64 s[6:7], s[6:7]
	v_mov_b32_e32 v2, s12
	v_pk_mov_b32 v[38:39], v[36:37], v[36:37] op_sel:[0,1]
	s_xor_b64 exec, exec, s[6:7]
; %bb.124:                              ;   in Loop: Header=BB180_6 Depth=1
	v_mov_b32_e32 v2, s17
	v_subrev_co_u32_e32 v38, vcc, s16, v36
	v_subb_co_u32_e32 v39, vcc, v37, v2, vcc
	v_mov_b32_e32 v2, 0
	s_or_b64 s[4:5], s[4:5], exec
; %bb.125:                              ;   in Loop: Header=BB180_6 Depth=1
	s_or_b64 exec, exec, s[6:7]
	s_and_b64 s[6:7], s[4:5], exec
.LBB180_126:                            ;   in Loop: Header=BB180_6 Depth=1
	s_or_b64 exec, exec, s[2:3]
	s_mov_b64 s[36:37], -1
                                        ; implicit-def: $sgpr2_sgpr3
                                        ; implicit-def: $sgpr4_sgpr5
                                        ; implicit-def: $sgpr12_sgpr13
	s_and_saveexec_b64 s[34:35], s[6:7]
	s_xor_b64 s[34:35], exec, s[34:35]
	s_cbranch_execz .LBB180_275
; %bb.127:                              ;   in Loop: Header=BB180_6 Depth=1
	s_cmp_eq_u64 s[22:23], 1
	s_cselect_b64 s[2:3], -1, 0
	v_cmp_eq_u64_e32 vcc, 1, v[38:39]
	s_and_b64 s[2:3], s[2:3], vcc
	s_mov_b64 s[12:13], -1
                                        ; implicit-def: $sgpr36_sgpr37
                                        ; implicit-def: $sgpr48_sgpr49
                                        ; implicit-def: $sgpr46_sgpr47
	s_and_saveexec_b64 s[4:5], s[2:3]
	s_cbranch_execz .LBB180_161
; %bb.128:                              ;   in Loop: Header=BB180_6 Depth=1
	ds_read_b64 v[4:5], v21 offset:5120
	v_readlane_b32 s8, v62, 24
	v_readlane_b32 s9, v62, 25
	s_waitcnt lgkmcnt(0)
	s_barrier
	v_readfirstlane_b32 s12, v4
	v_readfirstlane_b32 s13, v5
	s_and_saveexec_b64 s[6:7], s[8:9]
	s_cbranch_execz .LBB180_130
; %bb.129:                              ;   in Loop: Header=BB180_6 Depth=1
	v_mov_b32_e32 v20, v21
	ds_write_b64 v50, v[20:21]
.LBB180_130:                            ;   in Loop: Header=BB180_6 Depth=1
	s_or_b64 exec, exec, s[6:7]
	s_lshl_b64 s[6:7], 1, s82
	v_and_b32_e32 v2, s21, v13
	v_and_b32_e32 v4, s20, v12
	v_or_b32_e32 v13, s7, v2
	v_or_b32_e32 v12, s6, v4
	v_or_b32_e32 v15, s19, v15
	v_or_b32_e32 v14, s18, v14
	s_cmp_eq_u64 s[12:13], 0
	s_waitcnt lgkmcnt(0)
	s_barrier
	s_cbranch_scc1 .LBB180_144
; %bb.131:                              ;   in Loop: Header=BB180_6 Depth=1
	v_readlane_b32 s6, v62, 28
	s_add_u32 s46, s6, s12
	v_readlane_b32 s6, v62, 30
	s_addc_u32 s7, s6, s13
	s_mov_b32 s6, s83
	s_cmp_lg_u64 s[6:7], 0
	s_cbranch_scc0 .LBB180_188
; %bb.132:                              ;   in Loop: Header=BB180_6 Depth=1
	v_cvt_f32_u32_e32 v2, s33
	s_sub_u32 s6, 0, s33
	s_subb_u32 s36, 0, 0
	v_mac_f32_e32 v2, 0, v53
	v_rcp_f32_e32 v2, v2
	v_mul_f32_e32 v2, 0x5f7ffffc, v2
	v_mul_f32_e32 v4, 0x2f800000, v2
	v_trunc_f32_e32 v4, v4
	v_mac_f32_e32 v2, 0xcf800000, v4
	v_cvt_u32_f32_e32 v4, v4
	v_cvt_u32_f32_e32 v2, v2
	v_readfirstlane_b32 s37, v4
	v_readfirstlane_b32 s47, v2
	s_mul_i32 s48, s6, s37
	s_mul_hi_u32 s50, s6, s47
	s_mul_i32 s49, s36, s47
	s_add_i32 s48, s50, s48
	s_mul_i32 s51, s6, s47
	s_add_i32 s48, s48, s49
	s_mul_hi_u32 s50, s47, s51
	s_mul_hi_u32 s49, s47, s48
	s_mul_i32 s47, s47, s48
	s_add_u32 s47, s50, s47
	s_addc_u32 s49, 0, s49
	s_mul_hi_u32 s52, s37, s51
	s_mul_i32 s51, s37, s51
	s_add_u32 s47, s47, s51
	s_mul_hi_u32 s50, s37, s48
	s_addc_u32 s47, s49, s52
	s_addc_u32 s49, s50, 0
	s_mul_i32 s48, s37, s48
	s_add_u32 s47, s47, s48
	s_addc_u32 s48, 0, s49
	v_add_co_u32_e32 v2, vcc, s47, v2
	s_cmp_lg_u64 vcc, 0
	s_addc_u32 s37, s37, s48
	v_readfirstlane_b32 s48, v2
	s_mul_i32 s47, s6, s37
	s_mul_hi_u32 s49, s6, s48
	s_add_i32 s47, s49, s47
	s_mul_i32 s36, s36, s48
	s_add_i32 s47, s47, s36
	s_mul_i32 s6, s6, s48
	s_mul_hi_u32 s49, s37, s6
	s_mul_i32 s50, s37, s6
	s_mul_i32 s52, s48, s47
	s_mul_hi_u32 s6, s48, s6
	s_mul_hi_u32 s51, s48, s47
	s_add_u32 s6, s6, s52
	s_addc_u32 s48, 0, s51
	s_add_u32 s6, s6, s50
	s_mul_hi_u32 s36, s37, s47
	s_addc_u32 s6, s48, s49
	s_addc_u32 s36, s36, 0
	s_mul_i32 s47, s37, s47
	s_add_u32 s6, s6, s47
	s_addc_u32 s36, 0, s36
	v_add_co_u32_e32 v2, vcc, s6, v2
	s_cmp_lg_u64 vcc, 0
	s_addc_u32 s6, s37, s36
	v_readfirstlane_b32 s47, v2
	s_mul_i32 s37, s46, s6
	s_mul_hi_u32 s48, s46, s47
	s_mul_hi_u32 s36, s46, s6
	s_add_u32 s37, s48, s37
	s_addc_u32 s36, 0, s36
	s_mul_hi_u32 s49, s7, s47
	s_mul_i32 s47, s7, s47
	s_add_u32 s37, s37, s47
	s_mul_hi_u32 s48, s7, s6
	s_addc_u32 s36, s36, s49
	s_addc_u32 s37, s48, 0
	s_mul_i32 s6, s7, s6
	s_add_u32 s6, s36, s6
	s_addc_u32 s36, 0, s37
	s_mul_hi_u32 s37, s33, s6
	s_mul_i32 s6, s33, s6
	s_mul_i32 s36, s33, s36
	v_mov_b32_e32 v2, s6
	s_add_i32 s37, s37, s36
	v_sub_co_u32_e32 v2, vcc, s46, v2
	s_cmp_lg_u64 vcc, 0
	s_subb_u32 s6, s7, s37
	v_subrev_co_u32_e32 v4, vcc, s33, v2
	s_cmp_lg_u64 vcc, 0
	s_subb_u32 s36, s6, 0
	v_subrev_co_u32_e32 v5, vcc, s33, v4
	s_cmp_lg_u64 vcc, 0
	s_subb_u32 s37, s36, 0
	v_cmp_le_u32_e32 vcc, s33, v4
	s_cmp_eq_u32 s36, 0
	v_cndmask_b32_e64 v8, 0, -1, vcc
	s_cselect_b64 vcc, -1, 0
	v_cndmask_b32_e32 v8, -1, v8, vcc
	v_mov_b32_e32 v9, s36
	v_mov_b32_e32 v10, s37
	v_cmp_ne_u32_e32 vcc, 0, v8
	v_cndmask_b32_e32 v8, v9, v10, vcc
	v_cndmask_b32_e32 v4, v4, v5, vcc
	v_cmp_le_u32_e32 vcc, s33, v2
	s_cmp_eq_u32 s6, 0
	v_cndmask_b32_e64 v5, 0, -1, vcc
	s_cselect_b64 vcc, -1, 0
	v_cndmask_b32_e32 v5, -1, v5, vcc
	v_mov_b32_e32 v9, s6
	v_cmp_ne_u32_e32 vcc, 0, v5
	v_cndmask_b32_e32 v5, v9, v8, vcc
	v_cndmask_b32_e32 v4, v2, v4, vcc
	s_cbranch_execnz .LBB180_134
.LBB180_133:                            ;   in Loop: Header=BB180_6 Depth=1
	v_cvt_f32_u32_e32 v2, s33
	s_sub_i32 s6, 0, s33
	v_rcp_iflag_f32_e32 v2, v2
	v_mul_f32_e32 v2, 0x4f7ffffe, v2
	v_cvt_u32_f32_e32 v2, v2
	v_mul_lo_u32 v4, s6, v2
	v_mul_hi_u32 v4, v2, v4
	v_add_u32_e32 v2, v2, v4
	v_mul_hi_u32 v2, s46, v2
	v_mul_lo_u32 v2, v2, s33
	v_sub_u32_e32 v2, s46, v2
	v_subrev_u32_e32 v4, s33, v2
	v_cmp_le_u32_e32 vcc, s33, v2
	v_cndmask_b32_e32 v2, v2, v4, vcc
	v_subrev_u32_e32 v4, s33, v2
	v_cmp_le_u32_e32 vcc, s33, v2
	v_cndmask_b32_e32 v20, v2, v4, vcc
	v_pk_mov_b32 v[4:5], v[20:21], v[20:21] op_sel:[0,1]
.LBB180_134:                            ;   in Loop: Header=BB180_6 Depth=1
	v_mov_b32_e32 v2, s7
	v_sub_co_u32_e32 v40, vcc, s46, v4
	v_subb_co_u32_e32 v41, vcc, v2, v5, vcc
	v_cmp_gt_u64_e32 vcc, v[40:41], v[0:1]
	s_mov_b64 s[6:7], 0
                                        ; implicit-def: $vgpr10_vgpr11
	s_and_saveexec_b64 s[36:37], vcc
	s_cbranch_execz .LBB180_146
; %bb.135:                              ;   in Loop: Header=BB180_6 Depth=1
	s_mov_b64 s[48:49], 0
	v_mov_b32_e32 v20, v49
	v_pk_mov_b32 v[42:43], v[0:1], v[0:1] op_sel:[0,1]
                                        ; implicit-def: $sgpr46_sgpr47
	s_branch .LBB180_137
.LBB180_136:                            ;   in Loop: Header=BB180_137 Depth=2
	s_or_b64 exec, exec, s[6:7]
	s_waitcnt lgkmcnt(0)
	s_barrier
	ds_read_b128 v[8:11], v21 offset:3072
	v_mov_b32_e32 v2, s0
	v_add_co_u32_e64 v42, s[6:7], s33, v42
	v_addc_co_u32_e64 v43, s[6:7], v43, v2, s[6:7]
	s_waitcnt lgkmcnt(0)
	v_cmp_neq_f64_e32 vcc, 0, v[8:9]
	v_cmp_ge_u64_e64 s[6:7], v[42:43], v[40:41]
	s_or_b64 s[6:7], s[6:7], vcc
	s_and_b64 s[6:7], exec, s[6:7]
	s_or_b64 s[48:49], s[6:7], s[48:49]
	s_andn2_b64 s[6:7], s[46:47], exec
	s_and_b64 s[46:47], vcc, exec
	v_add_u32_e32 v20, s88, v20
	s_or_b64 s[46:47], s[6:7], s[46:47]
	s_barrier
	s_andn2_b64 exec, exec, s[48:49]
	s_cbranch_execz .LBB180_145
.LBB180_137:                            ;   Parent Loop BB180_6 Depth=1
                                        ; =>  This Inner Loop Header: Depth=2
	v_cmp_gt_u64_e32 vcc, s[12:13], v[42:43]
	v_pk_mov_b32 v[4:5], 0, 0
	s_and_saveexec_b64 s[6:7], vcc
	s_cbranch_execz .LBB180_139
; %bb.138:                              ;   in Loop: Header=BB180_137 Depth=2
	ds_read_b64 v[4:5], v20
.LBB180_139:                            ;   in Loop: Header=BB180_137 Depth=2
	s_or_b64 exec, exec, s[6:7]
	s_and_saveexec_b64 s[6:7], vcc
	s_cbranch_execz .LBB180_136
; %bb.140:                              ;   in Loop: Header=BB180_137 Depth=2
	s_waitcnt lgkmcnt(0)
	v_ashrrev_i32_e32 v2, 31, v5
	v_or_b32_e32 v8, 0x80000000, v2
	v_xor_b32_e32 v8, v8, v5
	v_xor_b32_e32 v2, v2, v4
	v_cmp_o_f64_e32 vcc, v[4:5], v[4:5]
	v_cndmask_b32_e32 v8, -1, v8, vcc
	v_cndmask_b32_e32 v2, -1, v2, vcc
	v_and_b32_e32 v9, v8, v15
	v_and_b32_e32 v8, v2, v14
	v_cmp_eq_u64_e32 vcc, v[8:9], v[12:13]
	s_and_b64 exec, exec, vcc
	s_cbranch_execz .LBB180_136
; %bb.141:                              ;   in Loop: Header=BB180_137 Depth=2
	v_mov_b32_e32 v2, v21
	ds_write_b128 v21, v[2:5] offset:3072
	s_branch .LBB180_136
.LBB180_142:                            ;   in Loop: Header=BB180_6 Depth=1
                                        ; implicit-def: $vgpr4_vgpr5
	s_branch .LBB180_84
.LBB180_143:                            ;   in Loop: Header=BB180_6 Depth=1
                                        ; implicit-def: $vgpr4_vgpr5
	s_branch .LBB180_103
.LBB180_144:                            ;   in Loop: Header=BB180_6 Depth=1
	s_mov_b64 s[36:37], -1
	s_mov_b64 s[6:7], 0
                                        ; implicit-def: $sgpr46_sgpr47
                                        ; implicit-def: $vgpr10_vgpr11
	s_mov_b64 s[48:49], s[36:37]
	s_cbranch_execnz .LBB180_147
	s_branch .LBB180_160
.LBB180_145:                            ;   in Loop: Header=BB180_6 Depth=1
	s_or_b64 exec, exec, s[48:49]
	s_and_b64 s[6:7], s[46:47], exec
.LBB180_146:                            ;   in Loop: Header=BB180_6 Depth=1
	s_or_b64 exec, exec, s[36:37]
	s_mov_b64 s[46:47], -1
	s_mov_b64 s[36:37], 0
	s_mov_b64 s[48:49], s[36:37]
	s_branch .LBB180_160
.LBB180_147:                            ;   in Loop: Header=BB180_6 Depth=1
	v_readlane_b32 s8, v62, 31
	v_readlane_b32 s9, v62, 32
	s_mov_b32 s8, s83
	s_cmp_lg_u64 s[8:9], 0
	v_writelane_b32 v62, s8, 31
	v_writelane_b32 v62, s9, 32
	s_cbranch_scc0 .LBB180_189
; %bb.148:                              ;   in Loop: Header=BB180_6 Depth=1
	v_cvt_f32_u32_e32 v2, s33
	s_sub_u32 s6, 0, s33
	s_subb_u32 s7, 0, 0
	v_readlane_b32 s8, v62, 29
	v_mac_f32_e32 v2, 0, v53
	v_rcp_f32_e32 v2, v2
	v_mul_f32_e32 v2, 0x5f7ffffc, v2
	v_mul_f32_e32 v4, 0x2f800000, v2
	v_trunc_f32_e32 v4, v4
	v_mac_f32_e32 v2, 0xcf800000, v4
	v_cvt_u32_f32_e32 v4, v4
	v_cvt_u32_f32_e32 v2, v2
	v_readfirstlane_b32 s12, v4
	v_readfirstlane_b32 s13, v2
	s_mul_i32 s36, s6, s12
	s_mul_hi_u32 s46, s6, s13
	s_mul_i32 s37, s7, s13
	s_add_i32 s36, s46, s36
	s_mul_i32 s47, s6, s13
	s_add_i32 s36, s36, s37
	s_mul_hi_u32 s46, s13, s47
	s_mul_hi_u32 s37, s13, s36
	s_mul_i32 s13, s13, s36
	s_add_u32 s13, s46, s13
	s_addc_u32 s37, 0, s37
	s_mul_hi_u32 s48, s12, s47
	s_mul_i32 s47, s12, s47
	s_add_u32 s13, s13, s47
	s_mul_hi_u32 s46, s12, s36
	s_addc_u32 s13, s37, s48
	s_addc_u32 s37, s46, 0
	s_mul_i32 s36, s12, s36
	s_add_u32 s13, s13, s36
	s_addc_u32 s36, 0, s37
	v_add_co_u32_e32 v2, vcc, s13, v2
	s_cmp_lg_u64 vcc, 0
	s_addc_u32 s12, s12, s36
	v_readfirstlane_b32 s36, v2
	s_mul_i32 s13, s6, s12
	s_mul_hi_u32 s37, s6, s36
	s_add_i32 s13, s37, s13
	s_mul_i32 s7, s7, s36
	s_add_i32 s13, s13, s7
	s_mul_i32 s6, s6, s36
	s_mul_hi_u32 s37, s12, s6
	s_mul_i32 s46, s12, s6
	s_mul_i32 s48, s36, s13
	s_mul_hi_u32 s6, s36, s6
	s_mul_hi_u32 s47, s36, s13
	s_add_u32 s6, s6, s48
	s_addc_u32 s36, 0, s47
	s_add_u32 s6, s6, s46
	s_mul_hi_u32 s7, s12, s13
	s_addc_u32 s6, s36, s37
	s_addc_u32 s7, s7, 0
	s_mul_i32 s13, s12, s13
	s_add_u32 s6, s6, s13
	s_addc_u32 s7, 0, s7
	v_add_co_u32_e32 v2, vcc, s6, v2
	s_cmp_lg_u64 vcc, 0
	s_addc_u32 s6, s12, s7
	v_readfirstlane_b32 s13, v2
	s_mul_i32 s12, s8, s6
	s_mul_hi_u32 s36, s8, s13
	s_mul_hi_u32 s7, s8, s6
	s_add_u32 s12, s36, s12
	s_addc_u32 s7, 0, s7
	s_mul_hi_u32 s37, s9, s13
	s_mul_i32 s13, s9, s13
	s_add_u32 s12, s12, s13
	s_mul_hi_u32 s36, s9, s6
	s_addc_u32 s7, s7, s37
	s_addc_u32 s12, s36, 0
	s_mul_i32 s6, s9, s6
	s_add_u32 s6, s7, s6
	s_addc_u32 s7, 0, s12
	s_mul_hi_u32 s12, s33, s6
	s_mul_i32 s6, s33, s6
	s_mul_i32 s7, s33, s7
	v_mov_b32_e32 v2, s6
	s_add_i32 s12, s12, s7
	v_sub_co_u32_e32 v2, vcc, s8, v2
	s_cmp_lg_u64 vcc, 0
	s_subb_u32 s6, s9, s12
	v_subrev_co_u32_e32 v4, vcc, s33, v2
	s_cmp_lg_u64 vcc, 0
	s_subb_u32 s7, s6, 0
	v_subrev_co_u32_e32 v5, vcc, s33, v4
	s_cmp_lg_u64 vcc, 0
	s_subb_u32 s12, s7, 0
	v_cmp_le_u32_e32 vcc, s33, v4
	s_cmp_eq_u32 s7, 0
	v_cndmask_b32_e64 v8, 0, -1, vcc
	s_cselect_b64 vcc, -1, 0
	v_cndmask_b32_e32 v8, -1, v8, vcc
	v_mov_b32_e32 v9, s7
	v_mov_b32_e32 v10, s12
	v_cmp_ne_u32_e32 vcc, 0, v8
	v_cndmask_b32_e32 v8, v9, v10, vcc
	v_cndmask_b32_e32 v4, v4, v5, vcc
	v_cmp_le_u32_e32 vcc, s33, v2
	s_cmp_eq_u32 s6, 0
	v_cndmask_b32_e64 v5, 0, -1, vcc
	s_cselect_b64 vcc, -1, 0
	v_cndmask_b32_e32 v5, -1, v5, vcc
	v_mov_b32_e32 v9, s6
	v_cmp_ne_u32_e32 vcc, 0, v5
	v_cndmask_b32_e32 v5, v9, v8, vcc
	v_cndmask_b32_e32 v4, v2, v4, vcc
	s_cbranch_execnz .LBB180_150
.LBB180_149:                            ;   in Loop: Header=BB180_6 Depth=1
	v_cvt_f32_u32_e32 v2, s33
	s_sub_i32 s6, 0, s33
	v_rcp_iflag_f32_e32 v2, v2
	v_mul_f32_e32 v2, 0x4f7ffffe, v2
	v_cvt_u32_f32_e32 v2, v2
	v_mul_lo_u32 v4, s6, v2
	v_mul_hi_u32 v4, v2, v4
	v_add_u32_e32 v2, v2, v4
	v_readlane_b32 s6, v62, 29
	v_mul_hi_u32 v2, s6, v2
	v_mul_lo_u32 v2, v2, s33
	v_sub_u32_e32 v2, s6, v2
	v_subrev_u32_e32 v4, s33, v2
	v_cmp_le_u32_e32 vcc, s33, v2
	v_cndmask_b32_e32 v2, v2, v4, vcc
	v_subrev_u32_e32 v4, s33, v2
	v_cmp_le_u32_e32 vcc, s33, v2
	v_cndmask_b32_e32 v20, v2, v4, vcc
	v_pk_mov_b32 v[4:5], v[20:21], v[20:21] op_sel:[0,1]
.LBB180_150:                            ;   in Loop: Header=BB180_6 Depth=1
	v_readlane_b32 s6, v62, 31
	v_readlane_b32 s7, v62, 32
	;; [unrolled: 1-line block ×3, first 2 shown]
	v_mov_b32_e32 v2, s7
	v_sub_co_u32_e32 v40, vcc, s6, v4
	v_subb_co_u32_e32 v41, vcc, v2, v5, vcc
	v_cmp_gt_u64_e32 vcc, v[40:41], v[0:1]
	s_mov_b64 s[6:7], 0
                                        ; implicit-def: $vgpr10_vgpr11
	s_and_saveexec_b64 s[12:13], vcc
	s_cbranch_execz .LBB180_159
; %bb.151:                              ;   in Loop: Header=BB180_6 Depth=1
	s_mov_b64 s[46:47], 0
	v_pk_mov_b32 v[42:43], v[18:19], v[18:19] op_sel:[0,1]
	v_pk_mov_b32 v[44:45], v[0:1], v[0:1] op_sel:[0,1]
                                        ; implicit-def: $sgpr36_sgpr37
	s_branch .LBB180_153
.LBB180_152:                            ;   in Loop: Header=BB180_153 Depth=2
	s_or_b64 exec, exec, s[6:7]
	s_waitcnt lgkmcnt(0)
	s_barrier
	ds_read_b128 v[8:11], v21 offset:3072
	v_mov_b32_e32 v2, s0
	v_add_co_u32_e64 v44, s[6:7], s33, v44
	v_addc_co_u32_e64 v45, s[6:7], v45, v2, s[6:7]
	s_waitcnt lgkmcnt(0)
	v_cmp_neq_f64_e32 vcc, 0, v[8:9]
	v_cmp_ge_u64_e64 s[6:7], v[44:45], v[40:41]
	s_or_b64 s[48:49], s[6:7], vcc
	v_mov_b32_e32 v2, s61
	v_add_co_u32_e64 v42, s[6:7], s60, v42
	v_addc_co_u32_e64 v43, s[6:7], v43, v2, s[6:7]
	s_and_b64 s[6:7], exec, s[48:49]
	s_or_b64 s[46:47], s[6:7], s[46:47]
	s_andn2_b64 s[6:7], s[36:37], exec
	s_and_b64 s[36:37], vcc, exec
	s_or_b64 s[36:37], s[6:7], s[36:37]
	s_barrier
	s_andn2_b64 exec, exec, s[46:47]
	s_cbranch_execz .LBB180_158
.LBB180_153:                            ;   Parent Loop BB180_6 Depth=1
                                        ; =>  This Inner Loop Header: Depth=2
	v_cmp_gt_u64_e32 vcc, s[56:57], v[44:45]
	s_waitcnt vmcnt(0)
	v_pk_mov_b32 v[4:5], 0, 0
	s_and_saveexec_b64 s[6:7], vcc
	s_cbranch_execz .LBB180_155
; %bb.154:                              ;   in Loop: Header=BB180_153 Depth=2
	global_load_dwordx2 v[4:5], v[42:43], off
.LBB180_155:                            ;   in Loop: Header=BB180_153 Depth=2
	s_or_b64 exec, exec, s[6:7]
	s_and_saveexec_b64 s[6:7], vcc
	s_cbranch_execz .LBB180_152
; %bb.156:                              ;   in Loop: Header=BB180_153 Depth=2
	s_waitcnt vmcnt(0)
	v_ashrrev_i32_e32 v2, 31, v5
	v_or_b32_e32 v8, 0x80000000, v2
	v_xor_b32_e32 v8, v8, v5
	v_xor_b32_e32 v2, v2, v4
	v_cmp_o_f64_e32 vcc, v[4:5], v[4:5]
	v_cndmask_b32_e32 v8, -1, v8, vcc
	v_cndmask_b32_e32 v2, -1, v2, vcc
	v_and_b32_e32 v9, v8, v15
	v_and_b32_e32 v8, v2, v14
	v_cmp_eq_u64_e32 vcc, v[8:9], v[12:13]
	s_and_b64 exec, exec, vcc
	s_cbranch_execz .LBB180_152
; %bb.157:                              ;   in Loop: Header=BB180_153 Depth=2
	v_mov_b32_e32 v2, v21
	ds_write_b128 v21, v[2:5] offset:3072
	s_branch .LBB180_152
.LBB180_158:                            ;   in Loop: Header=BB180_6 Depth=1
	s_or_b64 exec, exec, s[46:47]
	s_and_b64 s[6:7], s[36:37], exec
.LBB180_159:                            ;   in Loop: Header=BB180_6 Depth=1
	s_or_b64 exec, exec, s[12:13]
	s_mov_b64 s[48:49], -1
	s_mov_b64 s[36:37], 0
	s_mov_b64 s[46:47], 0
.LBB180_160:                            ;   in Loop: Header=BB180_6 Depth=1
	s_orn2_b64 s[12:13], s[6:7], exec
.LBB180_161:                            ;   in Loop: Header=BB180_6 Depth=1
	s_or_b64 exec, exec, s[4:5]
	s_mov_b64 s[6:7], 0
                                        ; implicit-def: $vgpr2
	s_and_saveexec_b64 s[50:51], s[12:13]
	s_cbranch_execz .LBB180_274
; %bb.162:                              ;   in Loop: Header=BB180_6 Depth=1
	v_mov_b32_e32 v40, 1
	s_xor_b64 s[4:5], s[2:3], -1
	v_mov_b32_e32 v41, 0
	v_mov_b32_e32 v2, 1
	s_and_saveexec_b64 s[2:3], s[4:5]
	s_cbranch_execz .LBB180_172
; %bb.163:                              ;   in Loop: Header=BB180_6 Depth=1
	v_cmp_ge_u64_e32 vcc, s[22:23], v[38:39]
                                        ; implicit-def: $sgpr12
                                        ; implicit-def: $sgpr4_sgpr5
	s_and_saveexec_b64 s[6:7], vcc
	s_xor_b64 s[6:7], exec, s[6:7]
	s_cbranch_execz .LBB180_169
; %bb.164:                              ;   in Loop: Header=BB180_6 Depth=1
	s_waitcnt vmcnt(0)
	ds_read_b64 v[4:5], v21 offset:5120
	s_waitcnt lgkmcnt(0)
	v_cmp_ne_u64_e32 vcc, 0, v[4:5]
	s_cbranch_vccnz .LBB180_168
; %bb.165:                              ;   in Loop: Header=BB180_6 Depth=1
	s_mov_b64 s[4:5], exec
	v_readlane_b32 s12, v62, 8
	v_readlane_b32 s13, v62, 9
	s_and_b64 s[12:13], s[4:5], s[12:13]
	s_mov_b64 exec, s[12:13]
	s_cbranch_execz .LBB180_167
; %bb.166:                              ;   in Loop: Header=BB180_6 Depth=1
	v_pk_mov_b32 v[4:5], s[22:23], s[22:23] op_sel:[0,1]
	ds_write_b64 v21, v[4:5] offset:5128
.LBB180_167:                            ;   in Loop: Header=BB180_6 Depth=1
	s_or_b64 exec, exec, s[4:5]
	s_waitcnt lgkmcnt(0)
	s_barrier
.LBB180_168:                            ;   in Loop: Header=BB180_6 Depth=1
	s_lshl_b64 s[4:5], 1, s82
	v_and_b32_e32 v2, s21, v13
	v_and_b32_e32 v4, s20, v12
	v_or_b32_e32 v13, s5, v2
	v_or_b32_e32 v12, s4, v4
	;; [unrolled: 1-line block ×4, first 2 shown]
	s_mov_b64 s[4:5], 0
	s_mov_b32 s12, 8
.LBB180_169:                            ;   in Loop: Header=BB180_6 Depth=1
	s_or_saveexec_b64 s[6:7], s[6:7]
	v_mov_b32_e32 v2, s12
	s_xor_b64 exec, exec, s[6:7]
; %bb.170:                              ;   in Loop: Header=BB180_6 Depth=1
	v_mov_b32_e32 v2, s23
	v_subrev_co_u32_e32 v38, vcc, s22, v38
	v_subb_co_u32_e32 v39, vcc, v39, v2, vcc
	v_mov_b32_e32 v2, 0
	s_or_b64 s[4:5], s[4:5], exec
; %bb.171:                              ;   in Loop: Header=BB180_6 Depth=1
	s_or_b64 exec, exec, s[6:7]
	s_and_b64 s[6:7], s[4:5], exec
	v_pk_mov_b32 v[40:41], v[38:39], v[38:39] op_sel:[0,1]
.LBB180_172:                            ;   in Loop: Header=BB180_6 Depth=1
	s_or_b64 exec, exec, s[2:3]
	s_mov_b64 s[2:3], -1
                                        ; implicit-def: $sgpr4_sgpr5
                                        ; implicit-def: $sgpr12_sgpr13
                                        ; implicit-def: $sgpr72_sgpr73
	s_and_saveexec_b64 s[52:53], s[6:7]
	s_cbranch_execz .LBB180_273
; %bb.173:                              ;   in Loop: Header=BB180_6 Depth=1
	s_cmp_eq_u64 s[26:27], 1
	s_cselect_b64 s[2:3], -1, 0
	v_cmp_eq_u64_e32 vcc, 1, v[40:41]
	s_and_b64 s[12:13], s[2:3], vcc
	s_mov_b64 s[72:73], -1
                                        ; implicit-def: $sgpr2_sgpr3
                                        ; implicit-def: $sgpr54_sgpr55
                                        ; implicit-def: $sgpr8_sgpr9
	s_and_saveexec_b64 s[4:5], s[12:13]
	s_cbranch_execz .LBB180_207
; %bb.174:                              ;   in Loop: Header=BB180_6 Depth=1
	s_waitcnt vmcnt(0)
	ds_read_b64 v[4:5], v21 offset:5120
	v_readlane_b32 s8, v62, 24
	v_readlane_b32 s9, v62, 25
	s_waitcnt lgkmcnt(0)
	s_barrier
	v_readfirstlane_b32 s2, v4
	v_readfirstlane_b32 s3, v5
	s_and_saveexec_b64 s[6:7], s[8:9]
	s_cbranch_execz .LBB180_176
; %bb.175:                              ;   in Loop: Header=BB180_6 Depth=1
	v_mov_b32_e32 v20, v21
	ds_write_b64 v50, v[20:21]
.LBB180_176:                            ;   in Loop: Header=BB180_6 Depth=1
	s_or_b64 exec, exec, s[6:7]
	s_lshl_b64 s[6:7], 2, s82
	v_and_b32_e32 v2, s21, v13
	v_and_b32_e32 v4, s20, v12
	v_or_b32_e32 v13, s7, v2
	v_or_b32_e32 v12, s6, v4
	v_or_b32_e32 v15, s19, v15
	v_or_b32_e32 v14, s18, v14
	s_cmp_eq_u64 s[2:3], 0
	s_waitcnt lgkmcnt(0)
	s_barrier
	s_cbranch_scc1 .LBB180_190
; %bb.177:                              ;   in Loop: Header=BB180_6 Depth=1
	v_readlane_b32 s6, v62, 28
	s_add_u32 s72, s6, s2
	v_readlane_b32 s6, v62, 30
	s_addc_u32 s7, s6, s3
	s_mov_b32 s6, s83
	s_cmp_lg_u64 s[6:7], 0
	s_cbranch_scc0 .LBB180_225
; %bb.178:                              ;   in Loop: Header=BB180_6 Depth=1
	v_cvt_f32_u32_e32 v2, s33
	s_sub_u32 s6, 0, s33
	s_subb_u32 s54, 0, 0
	v_mac_f32_e32 v2, 0, v53
	v_rcp_f32_e32 v2, v2
	v_mul_f32_e32 v2, 0x5f7ffffc, v2
	v_mul_f32_e32 v4, 0x2f800000, v2
	v_trunc_f32_e32 v4, v4
	v_mac_f32_e32 v2, 0xcf800000, v4
	v_cvt_u32_f32_e32 v4, v4
	v_cvt_u32_f32_e32 v2, v2
	v_readfirstlane_b32 s55, v4
	v_readfirstlane_b32 s73, v2
	s_mul_i32 s78, s6, s55
	s_mul_hi_u32 s80, s6, s73
	s_mul_i32 s79, s54, s73
	s_add_i32 s78, s80, s78
	s_mul_i32 s81, s6, s73
	s_add_i32 s78, s78, s79
	s_mul_hi_u32 s80, s73, s81
	s_mul_hi_u32 s79, s73, s78
	s_mul_i32 s73, s73, s78
	s_add_u32 s73, s80, s73
	s_addc_u32 s79, 0, s79
	s_mul_hi_u32 s84, s55, s81
	s_mul_i32 s81, s55, s81
	s_add_u32 s73, s73, s81
	s_mul_hi_u32 s80, s55, s78
	s_addc_u32 s73, s79, s84
	s_addc_u32 s79, s80, 0
	s_mul_i32 s78, s55, s78
	s_add_u32 s73, s73, s78
	s_addc_u32 s78, 0, s79
	v_add_co_u32_e32 v2, vcc, s73, v2
	s_cmp_lg_u64 vcc, 0
	s_addc_u32 s55, s55, s78
	v_readfirstlane_b32 s78, v2
	s_mul_i32 s73, s6, s55
	s_mul_hi_u32 s79, s6, s78
	s_add_i32 s73, s79, s73
	s_mul_i32 s54, s54, s78
	s_add_i32 s73, s73, s54
	s_mul_i32 s6, s6, s78
	s_mul_hi_u32 s79, s55, s6
	s_mul_i32 s80, s55, s6
	s_mul_i32 s84, s78, s73
	s_mul_hi_u32 s6, s78, s6
	s_mul_hi_u32 s81, s78, s73
	s_add_u32 s6, s6, s84
	s_addc_u32 s78, 0, s81
	s_add_u32 s6, s6, s80
	s_mul_hi_u32 s54, s55, s73
	s_addc_u32 s6, s78, s79
	s_addc_u32 s54, s54, 0
	s_mul_i32 s73, s55, s73
	s_add_u32 s6, s6, s73
	s_addc_u32 s54, 0, s54
	v_add_co_u32_e32 v2, vcc, s6, v2
	s_cmp_lg_u64 vcc, 0
	s_addc_u32 s6, s55, s54
	v_readfirstlane_b32 s73, v2
	s_mul_i32 s55, s72, s6
	s_mul_hi_u32 s78, s72, s73
	s_mul_hi_u32 s54, s72, s6
	s_add_u32 s55, s78, s55
	s_addc_u32 s54, 0, s54
	s_mul_hi_u32 s79, s7, s73
	s_mul_i32 s73, s7, s73
	s_add_u32 s55, s55, s73
	s_mul_hi_u32 s78, s7, s6
	s_addc_u32 s54, s54, s79
	s_addc_u32 s55, s78, 0
	s_mul_i32 s6, s7, s6
	s_add_u32 s6, s54, s6
	s_addc_u32 s54, 0, s55
	s_mul_hi_u32 s55, s33, s6
	s_mul_i32 s6, s33, s6
	s_mul_i32 s54, s33, s54
	v_mov_b32_e32 v2, s6
	s_add_i32 s55, s55, s54
	v_sub_co_u32_e32 v2, vcc, s72, v2
	s_cmp_lg_u64 vcc, 0
	s_subb_u32 s6, s7, s55
	v_subrev_co_u32_e32 v4, vcc, s33, v2
	s_cmp_lg_u64 vcc, 0
	s_subb_u32 s54, s6, 0
	v_subrev_co_u32_e32 v5, vcc, s33, v4
	s_cmp_lg_u64 vcc, 0
	s_subb_u32 s55, s54, 0
	v_cmp_le_u32_e32 vcc, s33, v4
	s_cmp_eq_u32 s54, 0
	v_cndmask_b32_e64 v8, 0, -1, vcc
	s_cselect_b64 vcc, -1, 0
	v_cndmask_b32_e32 v8, -1, v8, vcc
	v_mov_b32_e32 v9, s54
	v_mov_b32_e32 v10, s55
	v_cmp_ne_u32_e32 vcc, 0, v8
	v_cndmask_b32_e32 v8, v9, v10, vcc
	v_cndmask_b32_e32 v4, v4, v5, vcc
	v_cmp_le_u32_e32 vcc, s33, v2
	s_cmp_eq_u32 s6, 0
	v_cndmask_b32_e64 v5, 0, -1, vcc
	s_cselect_b64 vcc, -1, 0
	v_cndmask_b32_e32 v5, -1, v5, vcc
	v_mov_b32_e32 v9, s6
	v_cmp_ne_u32_e32 vcc, 0, v5
	v_cndmask_b32_e32 v5, v9, v8, vcc
	v_cndmask_b32_e32 v4, v2, v4, vcc
	s_cbranch_execnz .LBB180_180
.LBB180_179:                            ;   in Loop: Header=BB180_6 Depth=1
	v_cvt_f32_u32_e32 v2, s33
	s_sub_i32 s6, 0, s33
	v_rcp_iflag_f32_e32 v2, v2
	v_mul_f32_e32 v2, 0x4f7ffffe, v2
	v_cvt_u32_f32_e32 v2, v2
	v_mul_lo_u32 v4, s6, v2
	v_mul_hi_u32 v4, v2, v4
	v_add_u32_e32 v2, v2, v4
	v_mul_hi_u32 v2, s72, v2
	v_mul_lo_u32 v2, v2, s33
	v_sub_u32_e32 v2, s72, v2
	v_subrev_u32_e32 v4, s33, v2
	v_cmp_le_u32_e32 vcc, s33, v2
	v_cndmask_b32_e32 v2, v2, v4, vcc
	v_subrev_u32_e32 v4, s33, v2
	v_cmp_le_u32_e32 vcc, s33, v2
	v_cndmask_b32_e32 v20, v2, v4, vcc
	v_pk_mov_b32 v[4:5], v[20:21], v[20:21] op_sel:[0,1]
.LBB180_180:                            ;   in Loop: Header=BB180_6 Depth=1
	v_mov_b32_e32 v2, s7
	v_sub_co_u32_e32 v38, vcc, s72, v4
	v_subb_co_u32_e32 v39, vcc, v2, v5, vcc
	v_cmp_gt_u64_e32 vcc, v[38:39], v[0:1]
	s_mov_b64 s[6:7], 0
                                        ; implicit-def: $vgpr10_vgpr11
	s_and_saveexec_b64 s[54:55], vcc
	s_cbranch_execz .LBB180_192
; %bb.181:                              ;   in Loop: Header=BB180_6 Depth=1
	s_mov_b64 s[78:79], 0
	v_mov_b32_e32 v20, v49
	v_pk_mov_b32 v[42:43], v[0:1], v[0:1] op_sel:[0,1]
                                        ; implicit-def: $sgpr72_sgpr73
	s_branch .LBB180_183
.LBB180_182:                            ;   in Loop: Header=BB180_183 Depth=2
	s_or_b64 exec, exec, s[6:7]
	s_waitcnt lgkmcnt(0)
	s_barrier
	ds_read_b128 v[8:11], v21 offset:3072
	v_mov_b32_e32 v2, s0
	v_add_co_u32_e64 v42, s[6:7], s33, v42
	v_addc_co_u32_e64 v43, s[6:7], v43, v2, s[6:7]
	s_waitcnt lgkmcnt(0)
	v_cmp_neq_f64_e32 vcc, 0, v[8:9]
	v_cmp_ge_u64_e64 s[6:7], v[42:43], v[38:39]
	s_or_b64 s[6:7], s[6:7], vcc
	s_and_b64 s[6:7], exec, s[6:7]
	s_or_b64 s[78:79], s[6:7], s[78:79]
	s_andn2_b64 s[6:7], s[72:73], exec
	s_and_b64 s[72:73], vcc, exec
	v_add_u32_e32 v20, s88, v20
	s_or_b64 s[72:73], s[6:7], s[72:73]
	s_barrier
	s_andn2_b64 exec, exec, s[78:79]
	s_cbranch_execz .LBB180_191
.LBB180_183:                            ;   Parent Loop BB180_6 Depth=1
                                        ; =>  This Inner Loop Header: Depth=2
	v_cmp_gt_u64_e32 vcc, s[2:3], v[42:43]
	v_pk_mov_b32 v[4:5], 0, 0
	s_and_saveexec_b64 s[6:7], vcc
	s_cbranch_execz .LBB180_185
; %bb.184:                              ;   in Loop: Header=BB180_183 Depth=2
	ds_read_b64 v[4:5], v20
.LBB180_185:                            ;   in Loop: Header=BB180_183 Depth=2
	s_or_b64 exec, exec, s[6:7]
	s_and_saveexec_b64 s[6:7], vcc
	s_cbranch_execz .LBB180_182
; %bb.186:                              ;   in Loop: Header=BB180_183 Depth=2
	s_waitcnt lgkmcnt(0)
	v_ashrrev_i32_e32 v2, 31, v5
	v_or_b32_e32 v8, 0x80000000, v2
	v_xor_b32_e32 v8, v8, v5
	v_xor_b32_e32 v2, v2, v4
	v_cmp_o_f64_e32 vcc, v[4:5], v[4:5]
	v_cndmask_b32_e32 v8, -1, v8, vcc
	v_cndmask_b32_e32 v2, -1, v2, vcc
	v_and_b32_e32 v9, v8, v15
	v_and_b32_e32 v8, v2, v14
	v_cmp_eq_u64_e32 vcc, v[8:9], v[12:13]
	s_and_b64 exec, exec, vcc
	s_cbranch_execz .LBB180_182
; %bb.187:                              ;   in Loop: Header=BB180_183 Depth=2
	v_mov_b32_e32 v2, v21
	ds_write_b128 v21, v[2:5] offset:3072
	s_branch .LBB180_182
.LBB180_188:                            ;   in Loop: Header=BB180_6 Depth=1
                                        ; implicit-def: $vgpr4_vgpr5
	s_branch .LBB180_133
.LBB180_189:                            ;   in Loop: Header=BB180_6 Depth=1
                                        ; implicit-def: $vgpr4_vgpr5
	s_branch .LBB180_149
.LBB180_190:                            ;   in Loop: Header=BB180_6 Depth=1
	s_mov_b64 s[2:3], -1
	s_mov_b64 s[6:7], 0
                                        ; implicit-def: $sgpr8_sgpr9
                                        ; implicit-def: $vgpr10_vgpr11
	s_mov_b64 s[54:55], s[2:3]
	s_cbranch_execnz .LBB180_193
	s_branch .LBB180_206
.LBB180_191:                            ;   in Loop: Header=BB180_6 Depth=1
	s_or_b64 exec, exec, s[78:79]
	s_and_b64 s[6:7], s[72:73], exec
.LBB180_192:                            ;   in Loop: Header=BB180_6 Depth=1
	s_or_b64 exec, exec, s[54:55]
	s_mov_b64 s[8:9], -1
	s_mov_b64 s[2:3], 0
	s_mov_b64 s[54:55], s[2:3]
	s_branch .LBB180_206
.LBB180_193:                            ;   in Loop: Header=BB180_6 Depth=1
	v_readlane_b32 s8, v62, 31
	v_readlane_b32 s9, v62, 32
	s_mov_b32 s8, s83
	s_cmp_lg_u64 s[8:9], 0
	v_writelane_b32 v62, s8, 31
	v_writelane_b32 v62, s9, 32
	s_cbranch_scc0 .LBB180_226
; %bb.194:                              ;   in Loop: Header=BB180_6 Depth=1
	v_cvt_f32_u32_e32 v2, s33
	s_sub_u32 s2, 0, s33
	s_subb_u32 s3, 0, 0
	v_readlane_b32 s8, v62, 29
	v_mac_f32_e32 v2, 0, v53
	v_rcp_f32_e32 v2, v2
	v_mul_f32_e32 v2, 0x5f7ffffc, v2
	v_mul_f32_e32 v4, 0x2f800000, v2
	v_trunc_f32_e32 v4, v4
	v_mac_f32_e32 v2, 0xcf800000, v4
	v_cvt_u32_f32_e32 v4, v4
	v_cvt_u32_f32_e32 v2, v2
	v_readfirstlane_b32 s6, v4
	v_readfirstlane_b32 s7, v2
	s_mul_i32 s54, s2, s6
	s_mul_hi_u32 s72, s2, s7
	s_mul_i32 s55, s3, s7
	s_add_i32 s54, s72, s54
	s_mul_i32 s73, s2, s7
	s_add_i32 s54, s54, s55
	s_mul_hi_u32 s72, s7, s73
	s_mul_hi_u32 s55, s7, s54
	s_mul_i32 s7, s7, s54
	s_add_u32 s7, s72, s7
	s_addc_u32 s55, 0, s55
	s_mul_hi_u32 s78, s6, s73
	s_mul_i32 s73, s6, s73
	s_add_u32 s7, s7, s73
	s_mul_hi_u32 s72, s6, s54
	s_addc_u32 s7, s55, s78
	s_addc_u32 s55, s72, 0
	s_mul_i32 s54, s6, s54
	s_add_u32 s7, s7, s54
	s_addc_u32 s54, 0, s55
	v_add_co_u32_e32 v2, vcc, s7, v2
	s_cmp_lg_u64 vcc, 0
	s_addc_u32 s6, s6, s54
	v_readfirstlane_b32 s54, v2
	s_mul_i32 s7, s2, s6
	s_mul_hi_u32 s55, s2, s54
	s_add_i32 s7, s55, s7
	s_mul_i32 s3, s3, s54
	s_add_i32 s7, s7, s3
	s_mul_i32 s2, s2, s54
	s_mul_hi_u32 s55, s6, s2
	s_mul_i32 s72, s6, s2
	s_mul_i32 s78, s54, s7
	s_mul_hi_u32 s2, s54, s2
	s_mul_hi_u32 s73, s54, s7
	s_add_u32 s2, s2, s78
	s_addc_u32 s54, 0, s73
	s_add_u32 s2, s2, s72
	s_mul_hi_u32 s3, s6, s7
	s_addc_u32 s2, s54, s55
	s_addc_u32 s3, s3, 0
	s_mul_i32 s7, s6, s7
	s_add_u32 s2, s2, s7
	s_addc_u32 s3, 0, s3
	v_add_co_u32_e32 v2, vcc, s2, v2
	s_cmp_lg_u64 vcc, 0
	s_addc_u32 s2, s6, s3
	v_readfirstlane_b32 s7, v2
	s_mul_i32 s6, s8, s2
	s_mul_hi_u32 s54, s8, s7
	s_mul_hi_u32 s3, s8, s2
	s_add_u32 s6, s54, s6
	s_addc_u32 s3, 0, s3
	s_mul_hi_u32 s55, s9, s7
	s_mul_i32 s7, s9, s7
	s_add_u32 s6, s6, s7
	s_mul_hi_u32 s54, s9, s2
	s_addc_u32 s3, s3, s55
	s_addc_u32 s6, s54, 0
	s_mul_i32 s2, s9, s2
	s_add_u32 s2, s3, s2
	s_addc_u32 s3, 0, s6
	s_mul_hi_u32 s6, s33, s2
	s_mul_i32 s2, s33, s2
	s_mul_i32 s3, s33, s3
	v_mov_b32_e32 v2, s2
	s_add_i32 s6, s6, s3
	v_sub_co_u32_e32 v2, vcc, s8, v2
	s_cmp_lg_u64 vcc, 0
	s_subb_u32 s2, s9, s6
	v_subrev_co_u32_e32 v4, vcc, s33, v2
	s_cmp_lg_u64 vcc, 0
	s_subb_u32 s3, s2, 0
	v_subrev_co_u32_e32 v5, vcc, s33, v4
	s_cmp_lg_u64 vcc, 0
	s_subb_u32 s6, s3, 0
	v_cmp_le_u32_e32 vcc, s33, v4
	s_cmp_eq_u32 s3, 0
	v_cndmask_b32_e64 v8, 0, -1, vcc
	s_cselect_b64 vcc, -1, 0
	v_cndmask_b32_e32 v8, -1, v8, vcc
	v_mov_b32_e32 v9, s3
	v_mov_b32_e32 v10, s6
	v_cmp_ne_u32_e32 vcc, 0, v8
	v_cndmask_b32_e32 v8, v9, v10, vcc
	v_cndmask_b32_e32 v4, v4, v5, vcc
	v_cmp_le_u32_e32 vcc, s33, v2
	s_cmp_eq_u32 s2, 0
	v_cndmask_b32_e64 v5, 0, -1, vcc
	s_cselect_b64 vcc, -1, 0
	v_cndmask_b32_e32 v5, -1, v5, vcc
	v_mov_b32_e32 v9, s2
	v_cmp_ne_u32_e32 vcc, 0, v5
	v_cndmask_b32_e32 v5, v9, v8, vcc
	v_cndmask_b32_e32 v4, v2, v4, vcc
	s_cbranch_execnz .LBB180_196
.LBB180_195:                            ;   in Loop: Header=BB180_6 Depth=1
	v_cvt_f32_u32_e32 v2, s33
	s_sub_i32 s2, 0, s33
	v_rcp_iflag_f32_e32 v2, v2
	v_mul_f32_e32 v2, 0x4f7ffffe, v2
	v_cvt_u32_f32_e32 v2, v2
	v_mul_lo_u32 v4, s2, v2
	v_mul_hi_u32 v4, v2, v4
	v_add_u32_e32 v2, v2, v4
	v_readlane_b32 s2, v62, 29
	v_mul_hi_u32 v2, s2, v2
	v_mul_lo_u32 v2, v2, s33
	v_sub_u32_e32 v2, s2, v2
	v_subrev_u32_e32 v4, s33, v2
	v_cmp_le_u32_e32 vcc, s33, v2
	v_cndmask_b32_e32 v2, v2, v4, vcc
	v_subrev_u32_e32 v4, s33, v2
	v_cmp_le_u32_e32 vcc, s33, v2
	v_cndmask_b32_e32 v20, v2, v4, vcc
	v_pk_mov_b32 v[4:5], v[20:21], v[20:21] op_sel:[0,1]
.LBB180_196:                            ;   in Loop: Header=BB180_6 Depth=1
	v_readlane_b32 s2, v62, 31
	v_readlane_b32 s3, v62, 32
	;; [unrolled: 1-line block ×3, first 2 shown]
	v_mov_b32_e32 v2, s3
	v_sub_co_u32_e32 v38, vcc, s2, v4
	v_subb_co_u32_e32 v39, vcc, v2, v5, vcc
	v_cmp_gt_u64_e32 vcc, v[38:39], v[0:1]
	s_mov_b64 s[6:7], 0
                                        ; implicit-def: $vgpr10_vgpr11
	s_and_saveexec_b64 s[2:3], vcc
	s_cbranch_execz .LBB180_205
; %bb.197:                              ;   in Loop: Header=BB180_6 Depth=1
	s_mov_b64 s[72:73], 0
	v_pk_mov_b32 v[42:43], v[18:19], v[18:19] op_sel:[0,1]
	v_pk_mov_b32 v[44:45], v[0:1], v[0:1] op_sel:[0,1]
                                        ; implicit-def: $sgpr54_sgpr55
	s_branch .LBB180_199
.LBB180_198:                            ;   in Loop: Header=BB180_199 Depth=2
	s_or_b64 exec, exec, s[6:7]
	s_waitcnt lgkmcnt(0)
	s_barrier
	ds_read_b128 v[8:11], v21 offset:3072
	v_mov_b32_e32 v2, s0
	v_add_co_u32_e64 v44, s[6:7], s33, v44
	v_addc_co_u32_e64 v45, s[6:7], v45, v2, s[6:7]
	s_waitcnt lgkmcnt(0)
	v_cmp_neq_f64_e32 vcc, 0, v[8:9]
	v_cmp_ge_u64_e64 s[6:7], v[44:45], v[38:39]
	s_or_b64 s[78:79], s[6:7], vcc
	v_mov_b32_e32 v2, s61
	v_add_co_u32_e64 v42, s[6:7], s60, v42
	v_addc_co_u32_e64 v43, s[6:7], v43, v2, s[6:7]
	s_and_b64 s[6:7], exec, s[78:79]
	s_or_b64 s[72:73], s[6:7], s[72:73]
	s_andn2_b64 s[6:7], s[54:55], exec
	s_and_b64 s[54:55], vcc, exec
	s_or_b64 s[54:55], s[6:7], s[54:55]
	s_barrier
	s_andn2_b64 exec, exec, s[72:73]
	s_cbranch_execz .LBB180_204
.LBB180_199:                            ;   Parent Loop BB180_6 Depth=1
                                        ; =>  This Inner Loop Header: Depth=2
	v_cmp_gt_u64_e32 vcc, s[56:57], v[44:45]
	s_waitcnt vmcnt(0)
	v_pk_mov_b32 v[4:5], 0, 0
	s_and_saveexec_b64 s[6:7], vcc
	s_cbranch_execz .LBB180_201
; %bb.200:                              ;   in Loop: Header=BB180_199 Depth=2
	global_load_dwordx2 v[4:5], v[42:43], off
.LBB180_201:                            ;   in Loop: Header=BB180_199 Depth=2
	s_or_b64 exec, exec, s[6:7]
	s_and_saveexec_b64 s[6:7], vcc
	s_cbranch_execz .LBB180_198
; %bb.202:                              ;   in Loop: Header=BB180_199 Depth=2
	s_waitcnt vmcnt(0)
	v_ashrrev_i32_e32 v2, 31, v5
	v_or_b32_e32 v8, 0x80000000, v2
	v_xor_b32_e32 v8, v8, v5
	v_xor_b32_e32 v2, v2, v4
	v_cmp_o_f64_e32 vcc, v[4:5], v[4:5]
	v_cndmask_b32_e32 v8, -1, v8, vcc
	v_cndmask_b32_e32 v2, -1, v2, vcc
	v_and_b32_e32 v9, v8, v15
	v_and_b32_e32 v8, v2, v14
	v_cmp_eq_u64_e32 vcc, v[8:9], v[12:13]
	s_and_b64 exec, exec, vcc
	s_cbranch_execz .LBB180_198
; %bb.203:                              ;   in Loop: Header=BB180_199 Depth=2
	v_mov_b32_e32 v2, v21
	ds_write_b128 v21, v[2:5] offset:3072
	s_branch .LBB180_198
.LBB180_204:                            ;   in Loop: Header=BB180_6 Depth=1
	s_or_b64 exec, exec, s[72:73]
	s_and_b64 s[6:7], s[54:55], exec
.LBB180_205:                            ;   in Loop: Header=BB180_6 Depth=1
	s_or_b64 exec, exec, s[2:3]
	s_mov_b64 s[54:55], -1
	s_mov_b64 s[2:3], 0
	s_mov_b64 s[8:9], 0
.LBB180_206:                            ;   in Loop: Header=BB180_6 Depth=1
	s_orn2_b64 s[72:73], s[6:7], exec
.LBB180_207:                            ;   in Loop: Header=BB180_6 Depth=1
	s_or_b64 exec, exec, s[4:5]
	s_mov_b64 s[6:7], 0
                                        ; implicit-def: $vgpr2
	s_and_saveexec_b64 s[4:5], s[72:73]
	s_cbranch_execz .LBB180_272
; %bb.208:                              ;   in Loop: Header=BB180_6 Depth=1
	v_mov_b32_e32 v38, 1
	s_xor_b64 s[12:13], s[12:13], -1
	s_mov_b64 s[80:81], 0
	v_mov_b32_e32 v39, 0
	v_mov_b32_e32 v2, 1
	s_and_saveexec_b64 s[6:7], s[12:13]
	s_cbranch_execz .LBB180_218
; %bb.209:                              ;   in Loop: Header=BB180_6 Depth=1
	v_cmp_ge_u64_e32 vcc, s[26:27], v[40:41]
                                        ; implicit-def: $sgpr78
                                        ; implicit-def: $sgpr12_sgpr13
	s_and_saveexec_b64 s[72:73], vcc
	s_xor_b64 s[72:73], exec, s[72:73]
	s_cbranch_execz .LBB180_215
; %bb.210:                              ;   in Loop: Header=BB180_6 Depth=1
	s_waitcnt vmcnt(0)
	ds_read_b64 v[4:5], v21 offset:5120
	s_waitcnt lgkmcnt(0)
	v_cmp_ne_u64_e32 vcc, 0, v[4:5]
	s_cbranch_vccnz .LBB180_214
; %bb.211:                              ;   in Loop: Header=BB180_6 Depth=1
	v_readlane_b32 s68, v62, 8
	v_readlane_b32 s69, v62, 9
	s_and_saveexec_b64 s[12:13], s[68:69]
	s_cbranch_execz .LBB180_213
; %bb.212:                              ;   in Loop: Header=BB180_6 Depth=1
	v_pk_mov_b32 v[4:5], s[26:27], s[26:27] op_sel:[0,1]
	ds_write_b64 v21, v[4:5] offset:5128
.LBB180_213:                            ;   in Loop: Header=BB180_6 Depth=1
	s_or_b64 exec, exec, s[12:13]
	s_waitcnt lgkmcnt(0)
	s_barrier
.LBB180_214:                            ;   in Loop: Header=BB180_6 Depth=1
	s_lshl_b64 s[12:13], 2, s82
	v_and_b32_e32 v2, s21, v13
	v_and_b32_e32 v4, s20, v12
	v_or_b32_e32 v13, s13, v2
	v_or_b32_e32 v12, s12, v4
	;; [unrolled: 1-line block ×4, first 2 shown]
	s_mov_b64 s[12:13], 0
	s_mov_b32 s78, 8
.LBB180_215:                            ;   in Loop: Header=BB180_6 Depth=1
	s_or_saveexec_b64 s[72:73], s[72:73]
	v_mov_b32_e32 v2, s78
	s_xor_b64 exec, exec, s[72:73]
; %bb.216:                              ;   in Loop: Header=BB180_6 Depth=1
	v_mov_b32_e32 v2, s27
	v_subrev_co_u32_e32 v40, vcc, s26, v40
	v_subb_co_u32_e32 v41, vcc, v41, v2, vcc
	v_mov_b32_e32 v2, 0
	s_or_b64 s[12:13], s[12:13], exec
; %bb.217:                              ;   in Loop: Header=BB180_6 Depth=1
	s_or_b64 exec, exec, s[72:73]
	s_and_b64 s[80:81], s[12:13], exec
	v_pk_mov_b32 v[38:39], v[40:41], v[40:41] op_sel:[0,1]
.LBB180_218:                            ;   in Loop: Header=BB180_6 Depth=1
	s_or_b64 exec, exec, s[6:7]
	s_mov_b64 s[12:13], -1
                                        ; implicit-def: $sgpr6_sgpr7
                                        ; implicit-def: $sgpr78_sgpr79
                                        ; implicit-def: $sgpr72_sgpr73
	s_and_saveexec_b64 vcc, s[80:81]
	s_cbranch_execz .LBB180_271
; %bb.219:                              ;   in Loop: Header=BB180_6 Depth=1
	v_writelane_b32 v62, vcc_lo, 52
	s_cmp_eq_u64 s[28:29], 1
	v_writelane_b32 v62, vcc_hi, 53
	s_cselect_b64 s[6:7], -1, 0
	v_cmp_eq_u64_e32 vcc, 1, v[38:39]
	s_mov_b64 s[68:69], s[8:9]
	s_and_b64 s[8:9], s[6:7], vcc
	s_mov_b64 s[80:81], -1
	v_writelane_b32 v62, s8, 54
                                        ; implicit-def: $sgpr6_sgpr7
                                        ; implicit-def: $sgpr78_sgpr79
                                        ; implicit-def: $sgpr72_sgpr73
	v_writelane_b32 v62, s9, 55
	s_and_saveexec_b64 s[12:13], s[8:9]
	s_cbranch_execz .LBB180_258
; %bb.220:                              ;   in Loop: Header=BB180_6 Depth=1
	s_waitcnt vmcnt(0)
	ds_read_b64 v[4:5], v21 offset:5120
	v_readlane_b32 s8, v62, 24
	v_readlane_b32 s9, v62, 25
	s_waitcnt lgkmcnt(0)
	s_barrier
	v_readfirstlane_b32 s72, v4
	v_readfirstlane_b32 s73, v5
	s_and_saveexec_b64 s[6:7], s[8:9]
	s_cbranch_execz .LBB180_222
; %bb.221:                              ;   in Loop: Header=BB180_6 Depth=1
	v_mov_b32_e32 v20, v21
	ds_write_b64 v50, v[20:21]
.LBB180_222:                            ;   in Loop: Header=BB180_6 Depth=1
	s_or_b64 exec, exec, s[6:7]
	v_or_b32_e32 v13, s19, v13
	v_or_b32_e32 v12, s18, v12
	;; [unrolled: 1-line block ×4, first 2 shown]
	s_cmp_eq_u64 s[72:73], 0
	s_waitcnt lgkmcnt(0)
	s_barrier
	s_cbranch_scc1 .LBB180_227
; %bb.223:                              ;   in Loop: Header=BB180_6 Depth=1
	v_readlane_b32 s6, v62, 28
	s_add_u32 s80, s6, s72
	v_readlane_b32 s6, v62, 30
	s_addc_u32 s7, s6, s73
	s_mov_b32 s6, s83
	s_mov_b64 s[8:9], s[90:91]
	s_cmp_lg_u64 s[6:7], 0
	s_cbranch_scc0 .LBB180_228
; %bb.224:                              ;   in Loop: Header=BB180_6 Depth=1
	v_cvt_f32_u32_e32 v2, s33
	s_sub_u32 s6, 0, s33
	s_subb_u32 s78, 0, 0
	v_mac_f32_e32 v2, 0, v53
	v_rcp_f32_e32 v2, v2
	v_mul_f32_e32 v2, 0x5f7ffffc, v2
	v_mul_f32_e32 v4, 0x2f800000, v2
	v_trunc_f32_e32 v4, v4
	v_mac_f32_e32 v2, 0xcf800000, v4
	v_cvt_u32_f32_e32 v4, v4
	v_cvt_u32_f32_e32 v2, v2
	v_readfirstlane_b32 s79, v4
	v_readfirstlane_b32 s81, v2
	s_mul_i32 s84, s6, s79
	s_mul_hi_u32 s89, s6, s81
	s_mul_i32 s85, s78, s81
	s_add_i32 s84, s89, s84
	s_mul_i32 s90, s6, s81
	s_add_i32 s84, s84, s85
	s_mul_hi_u32 s89, s81, s90
	s_mul_hi_u32 s85, s81, s84
	s_mul_i32 s81, s81, s84
	s_add_u32 s81, s89, s81
	s_addc_u32 s85, 0, s85
	s_mul_hi_u32 s91, s79, s90
	s_mul_i32 s90, s79, s90
	s_add_u32 s81, s81, s90
	s_mul_hi_u32 s89, s79, s84
	s_addc_u32 s81, s85, s91
	s_addc_u32 s85, s89, 0
	s_mul_i32 s84, s79, s84
	s_add_u32 s81, s81, s84
	s_addc_u32 s84, 0, s85
	v_add_co_u32_e32 v2, vcc, s81, v2
	s_cmp_lg_u64 vcc, 0
	s_addc_u32 s79, s79, s84
	v_readfirstlane_b32 s84, v2
	s_mul_i32 s81, s6, s79
	s_mul_hi_u32 s85, s6, s84
	s_add_i32 s81, s85, s81
	s_mul_i32 s78, s78, s84
	s_add_i32 s81, s81, s78
	s_mul_i32 s6, s6, s84
	s_mul_hi_u32 s85, s79, s6
	s_mul_i32 s89, s79, s6
	s_mul_i32 s91, s84, s81
	s_mul_hi_u32 s6, s84, s6
	s_mul_hi_u32 s90, s84, s81
	s_add_u32 s6, s6, s91
	s_addc_u32 s84, 0, s90
	s_add_u32 s6, s6, s89
	s_mul_hi_u32 s78, s79, s81
	s_addc_u32 s6, s84, s85
	s_addc_u32 s78, s78, 0
	s_mul_i32 s81, s79, s81
	s_add_u32 s6, s6, s81
	s_addc_u32 s78, 0, s78
	v_add_co_u32_e32 v2, vcc, s6, v2
	s_cmp_lg_u64 vcc, 0
	s_addc_u32 s6, s79, s78
	v_readfirstlane_b32 s81, v2
	s_mul_i32 s79, s80, s6
	s_mul_hi_u32 s84, s80, s81
	s_mul_hi_u32 s78, s80, s6
	s_add_u32 s79, s84, s79
	s_addc_u32 s78, 0, s78
	s_mul_hi_u32 s85, s7, s81
	s_mul_i32 s81, s7, s81
	s_add_u32 s79, s79, s81
	s_mul_hi_u32 s84, s7, s6
	s_addc_u32 s78, s78, s85
	s_addc_u32 s79, s84, 0
	s_mul_i32 s6, s7, s6
	s_add_u32 s6, s78, s6
	s_addc_u32 s78, 0, s79
	s_mul_hi_u32 s79, s33, s6
	s_mul_i32 s6, s33, s6
	s_mul_i32 s78, s33, s78
	v_mov_b32_e32 v2, s6
	s_add_i32 s79, s79, s78
	v_sub_co_u32_e32 v2, vcc, s80, v2
	s_cmp_lg_u64 vcc, 0
	s_subb_u32 s6, s7, s79
	v_subrev_co_u32_e32 v4, vcc, s33, v2
	s_cmp_lg_u64 vcc, 0
	s_subb_u32 s78, s6, 0
	v_subrev_co_u32_e32 v5, vcc, s33, v4
	s_cmp_lg_u64 vcc, 0
	s_subb_u32 s79, s78, 0
	v_cmp_le_u32_e32 vcc, s33, v4
	s_cmp_eq_u32 s78, 0
	v_cndmask_b32_e64 v8, 0, -1, vcc
	s_cselect_b64 vcc, -1, 0
	v_cndmask_b32_e32 v8, -1, v8, vcc
	v_mov_b32_e32 v9, s78
	v_mov_b32_e32 v10, s79
	v_cmp_ne_u32_e32 vcc, 0, v8
	v_cndmask_b32_e32 v8, v9, v10, vcc
	v_cndmask_b32_e32 v4, v4, v5, vcc
	v_cmp_le_u32_e32 vcc, s33, v2
	s_cmp_eq_u32 s6, 0
	v_cndmask_b32_e64 v5, 0, -1, vcc
	s_cselect_b64 vcc, -1, 0
	v_cndmask_b32_e32 v5, -1, v5, vcc
	v_mov_b32_e32 v9, s6
	v_cmp_ne_u32_e32 vcc, 0, v5
	v_cndmask_b32_e32 v5, v9, v8, vcc
	v_cndmask_b32_e32 v4, v2, v4, vcc
	s_mov_b64 s[78:79], 0
	s_branch .LBB180_229
.LBB180_225:                            ;   in Loop: Header=BB180_6 Depth=1
                                        ; implicit-def: $vgpr4_vgpr5
	s_branch .LBB180_179
.LBB180_226:                            ;   in Loop: Header=BB180_6 Depth=1
                                        ; implicit-def: $vgpr4_vgpr5
	s_branch .LBB180_195
.LBB180_227:                            ;   in Loop: Header=BB180_6 Depth=1
	s_mov_b64 s[6:7], -1
	s_mov_b64 s[80:81], 0
                                        ; implicit-def: $sgpr72_sgpr73
                                        ; implicit-def: $vgpr10_vgpr11
	s_branch .LBB180_241
.LBB180_228:                            ;   in Loop: Header=BB180_6 Depth=1
	s_mov_b64 s[78:79], -1
                                        ; implicit-def: $vgpr4_vgpr5
.LBB180_229:                            ;   in Loop: Header=BB180_6 Depth=1
	s_andn2_b64 vcc, exec, s[78:79]
	s_cbranch_vccnz .LBB180_231
; %bb.230:                              ;   in Loop: Header=BB180_6 Depth=1
	v_cvt_f32_u32_e32 v2, s33
	s_sub_i32 s6, 0, s33
	v_rcp_iflag_f32_e32 v2, v2
	v_mul_f32_e32 v2, 0x4f7ffffe, v2
	v_cvt_u32_f32_e32 v2, v2
	v_mul_lo_u32 v4, s6, v2
	v_mul_hi_u32 v4, v2, v4
	v_add_u32_e32 v2, v2, v4
	v_mul_hi_u32 v2, s80, v2
	v_mul_lo_u32 v2, v2, s33
	v_sub_u32_e32 v2, s80, v2
	v_subrev_u32_e32 v4, s33, v2
	v_cmp_le_u32_e32 vcc, s33, v2
	v_cndmask_b32_e32 v2, v2, v4, vcc
	v_subrev_u32_e32 v4, s33, v2
	v_cmp_le_u32_e32 vcc, s33, v2
	v_cndmask_b32_e32 v20, v2, v4, vcc
	v_pk_mov_b32 v[4:5], v[20:21], v[20:21] op_sel:[0,1]
.LBB180_231:                            ;   in Loop: Header=BB180_6 Depth=1
	v_mov_b32_e32 v2, s7
	v_sub_co_u32_e32 v40, vcc, s80, v4
	v_subb_co_u32_e32 v41, vcc, v2, v5, vcc
	v_cmp_gt_u64_e32 vcc, v[40:41], v[0:1]
	s_mov_b64 s[80:81], 0
                                        ; implicit-def: $vgpr10_vgpr11
	s_and_saveexec_b64 s[78:79], vcc
	s_cbranch_execz .LBB180_240
; %bb.232:                              ;   in Loop: Header=BB180_6 Depth=1
	s_mov_b64 s[84:85], 0
	v_mov_b32_e32 v20, v49
	v_pk_mov_b32 v[42:43], v[0:1], v[0:1] op_sel:[0,1]
                                        ; implicit-def: $sgpr80_sgpr81
	s_branch .LBB180_234
.LBB180_233:                            ;   in Loop: Header=BB180_234 Depth=2
	s_or_b64 exec, exec, s[6:7]
	s_waitcnt lgkmcnt(0)
	s_barrier
	ds_read_b128 v[8:11], v21 offset:3072
	v_mov_b32_e32 v2, s0
	v_add_co_u32_e64 v42, s[6:7], s33, v42
	v_addc_co_u32_e64 v43, s[6:7], v43, v2, s[6:7]
	s_waitcnt lgkmcnt(0)
	v_cmp_neq_f64_e32 vcc, 0, v[8:9]
	v_cmp_ge_u64_e64 s[6:7], v[42:43], v[40:41]
	s_or_b64 s[6:7], s[6:7], vcc
	s_and_b64 s[6:7], exec, s[6:7]
	s_or_b64 s[84:85], s[6:7], s[84:85]
	s_andn2_b64 s[6:7], s[80:81], exec
	s_and_b64 s[80:81], vcc, exec
	v_add_u32_e32 v20, s88, v20
	s_or_b64 s[80:81], s[6:7], s[80:81]
	s_barrier
	s_andn2_b64 exec, exec, s[84:85]
	s_cbranch_execz .LBB180_239
.LBB180_234:                            ;   Parent Loop BB180_6 Depth=1
                                        ; =>  This Inner Loop Header: Depth=2
	v_cmp_gt_u64_e32 vcc, s[72:73], v[42:43]
	v_pk_mov_b32 v[4:5], 0, 0
	s_and_saveexec_b64 s[6:7], vcc
	s_cbranch_execz .LBB180_236
; %bb.235:                              ;   in Loop: Header=BB180_234 Depth=2
	ds_read_b64 v[4:5], v20
.LBB180_236:                            ;   in Loop: Header=BB180_234 Depth=2
	s_or_b64 exec, exec, s[6:7]
	s_and_saveexec_b64 s[6:7], vcc
	s_cbranch_execz .LBB180_233
; %bb.237:                              ;   in Loop: Header=BB180_234 Depth=2
	s_waitcnt lgkmcnt(0)
	v_ashrrev_i32_e32 v2, 31, v5
	v_or_b32_e32 v8, 0x80000000, v2
	v_xor_b32_e32 v8, v8, v5
	v_xor_b32_e32 v2, v2, v4
	v_cmp_o_f64_e32 vcc, v[4:5], v[4:5]
	v_cndmask_b32_e32 v8, -1, v8, vcc
	v_cndmask_b32_e32 v2, -1, v2, vcc
	v_and_b32_e32 v9, v8, v15
	v_and_b32_e32 v8, v2, v14
	v_cmp_eq_u64_e32 vcc, v[8:9], v[12:13]
	s_and_b64 exec, exec, vcc
	s_cbranch_execz .LBB180_233
; %bb.238:                              ;   in Loop: Header=BB180_234 Depth=2
	v_mov_b32_e32 v2, v21
	ds_write_b128 v21, v[2:5] offset:3072
	s_branch .LBB180_233
.LBB180_239:                            ;   in Loop: Header=BB180_6 Depth=1
	s_or_b64 exec, exec, s[84:85]
	s_and_b64 s[80:81], s[80:81], exec
.LBB180_240:                            ;   in Loop: Header=BB180_6 Depth=1
	s_or_b64 exec, exec, s[78:79]
	s_mov_b64 s[90:91], s[8:9]
	s_mov_b64 s[72:73], -1
	s_mov_b64 s[6:7], 0
.LBB180_241:                            ;   in Loop: Header=BB180_6 Depth=1
	s_and_b64 vcc, exec, s[6:7]
	s_mov_b64 s[78:79], s[6:7]
	s_cbranch_vccz .LBB180_257
; %bb.242:                              ;   in Loop: Header=BB180_6 Depth=1
	v_readlane_b32 s8, v62, 31
	v_readlane_b32 s9, v62, 32
	s_mov_b32 s8, s83
	s_cmp_lg_u64 s[8:9], 0
	v_writelane_b32 v62, s8, 31
	v_writelane_b32 v62, s9, 32
	s_cbranch_scc0 .LBB180_244
; %bb.243:                              ;   in Loop: Header=BB180_6 Depth=1
	v_cvt_f32_u32_e32 v2, s33
	s_sub_u32 s6, 0, s33
	s_subb_u32 s7, 0, 0
	v_readlane_b32 s8, v62, 29
	v_mac_f32_e32 v2, 0, v53
	v_rcp_f32_e32 v2, v2
	v_mul_f32_e32 v2, 0x5f7ffffc, v2
	v_mul_f32_e32 v4, 0x2f800000, v2
	v_trunc_f32_e32 v4, v4
	v_mac_f32_e32 v2, 0xcf800000, v4
	v_cvt_u32_f32_e32 v4, v4
	v_cvt_u32_f32_e32 v2, v2
	v_readfirstlane_b32 s72, v4
	v_readfirstlane_b32 s73, v2
	s_mul_i32 s78, s6, s72
	s_mul_hi_u32 s80, s6, s73
	s_mul_i32 s79, s7, s73
	s_add_i32 s78, s80, s78
	s_mul_i32 s81, s6, s73
	s_add_i32 s78, s78, s79
	s_mul_hi_u32 s80, s73, s81
	s_mul_hi_u32 s79, s73, s78
	s_mul_i32 s73, s73, s78
	s_add_u32 s73, s80, s73
	s_addc_u32 s79, 0, s79
	s_mul_hi_u32 s84, s72, s81
	s_mul_i32 s81, s72, s81
	s_add_u32 s73, s73, s81
	s_mul_hi_u32 s80, s72, s78
	s_addc_u32 s73, s79, s84
	s_addc_u32 s79, s80, 0
	s_mul_i32 s78, s72, s78
	s_add_u32 s73, s73, s78
	s_addc_u32 s78, 0, s79
	v_add_co_u32_e32 v2, vcc, s73, v2
	s_cmp_lg_u64 vcc, 0
	s_addc_u32 s72, s72, s78
	v_readfirstlane_b32 s78, v2
	s_mul_i32 s73, s6, s72
	s_mul_hi_u32 s79, s6, s78
	s_add_i32 s73, s79, s73
	s_mul_i32 s7, s7, s78
	s_add_i32 s73, s73, s7
	s_mul_i32 s6, s6, s78
	s_mul_hi_u32 s79, s72, s6
	s_mul_i32 s80, s72, s6
	s_mul_i32 s84, s78, s73
	s_mul_hi_u32 s6, s78, s6
	s_mul_hi_u32 s81, s78, s73
	s_add_u32 s6, s6, s84
	s_addc_u32 s78, 0, s81
	s_add_u32 s6, s6, s80
	s_mul_hi_u32 s7, s72, s73
	s_addc_u32 s6, s78, s79
	s_addc_u32 s7, s7, 0
	s_mul_i32 s73, s72, s73
	s_add_u32 s6, s6, s73
	s_addc_u32 s7, 0, s7
	v_add_co_u32_e32 v2, vcc, s6, v2
	s_cmp_lg_u64 vcc, 0
	s_addc_u32 s6, s72, s7
	v_readfirstlane_b32 s73, v2
	s_mul_i32 s72, s8, s6
	s_mul_hi_u32 s78, s8, s73
	s_mul_hi_u32 s7, s8, s6
	s_add_u32 s72, s78, s72
	s_addc_u32 s7, 0, s7
	s_mul_hi_u32 s79, s9, s73
	s_mul_i32 s73, s9, s73
	s_add_u32 s72, s72, s73
	s_mul_hi_u32 s78, s9, s6
	s_addc_u32 s7, s7, s79
	s_addc_u32 s72, s78, 0
	s_mul_i32 s6, s9, s6
	s_add_u32 s6, s7, s6
	s_addc_u32 s7, 0, s72
	s_mul_hi_u32 s72, s33, s6
	s_mul_i32 s6, s33, s6
	s_mul_i32 s7, s33, s7
	v_mov_b32_e32 v2, s6
	s_add_i32 s72, s72, s7
	v_sub_co_u32_e32 v2, vcc, s8, v2
	s_cmp_lg_u64 vcc, 0
	s_subb_u32 s6, s9, s72
	v_subrev_co_u32_e32 v4, vcc, s33, v2
	s_cmp_lg_u64 vcc, 0
	s_subb_u32 s7, s6, 0
	v_subrev_co_u32_e32 v5, vcc, s33, v4
	s_cmp_lg_u64 vcc, 0
	s_subb_u32 s72, s7, 0
	v_cmp_le_u32_e32 vcc, s33, v4
	s_cmp_eq_u32 s7, 0
	v_cndmask_b32_e64 v8, 0, -1, vcc
	s_cselect_b64 vcc, -1, 0
	v_cndmask_b32_e32 v8, -1, v8, vcc
	v_mov_b32_e32 v9, s7
	v_mov_b32_e32 v10, s72
	v_cmp_ne_u32_e32 vcc, 0, v8
	v_cndmask_b32_e32 v8, v9, v10, vcc
	v_cndmask_b32_e32 v4, v4, v5, vcc
	v_cmp_le_u32_e32 vcc, s33, v2
	s_cmp_eq_u32 s6, 0
	v_cndmask_b32_e64 v5, 0, -1, vcc
	s_cselect_b64 vcc, -1, 0
	v_cndmask_b32_e32 v5, -1, v5, vcc
	v_mov_b32_e32 v9, s6
	v_cmp_ne_u32_e32 vcc, 0, v5
	v_cndmask_b32_e32 v5, v9, v8, vcc
	v_cndmask_b32_e32 v4, v2, v4, vcc
	s_mov_b64 s[6:7], 0
	s_branch .LBB180_245
.LBB180_244:                            ;   in Loop: Header=BB180_6 Depth=1
	s_mov_b64 s[6:7], -1
                                        ; implicit-def: $vgpr4_vgpr5
.LBB180_245:                            ;   in Loop: Header=BB180_6 Depth=1
	s_andn2_b64 vcc, exec, s[6:7]
	s_cbranch_vccnz .LBB180_247
; %bb.246:                              ;   in Loop: Header=BB180_6 Depth=1
	v_cvt_f32_u32_e32 v2, s33
	s_sub_i32 s6, 0, s33
	v_rcp_iflag_f32_e32 v2, v2
	v_mul_f32_e32 v2, 0x4f7ffffe, v2
	v_cvt_u32_f32_e32 v2, v2
	v_mul_lo_u32 v4, s6, v2
	v_mul_hi_u32 v4, v2, v4
	v_add_u32_e32 v2, v2, v4
	v_readlane_b32 s6, v62, 29
	v_mul_hi_u32 v2, s6, v2
	v_mul_lo_u32 v2, v2, s33
	v_sub_u32_e32 v2, s6, v2
	v_subrev_u32_e32 v4, s33, v2
	v_cmp_le_u32_e32 vcc, s33, v2
	v_cndmask_b32_e32 v2, v2, v4, vcc
	v_subrev_u32_e32 v4, s33, v2
	v_cmp_le_u32_e32 vcc, s33, v2
	v_cndmask_b32_e32 v20, v2, v4, vcc
	v_pk_mov_b32 v[4:5], v[20:21], v[20:21] op_sel:[0,1]
.LBB180_247:                            ;   in Loop: Header=BB180_6 Depth=1
	v_readlane_b32 s6, v62, 31
	v_readlane_b32 s7, v62, 32
	;; [unrolled: 1-line block ×3, first 2 shown]
	v_mov_b32_e32 v2, s7
	v_sub_co_u32_e32 v40, vcc, s6, v4
	v_subb_co_u32_e32 v41, vcc, v2, v5, vcc
	v_cmp_gt_u64_e32 vcc, v[40:41], v[0:1]
	s_mov_b64 s[80:81], 0
                                        ; implicit-def: $vgpr10_vgpr11
	s_and_saveexec_b64 s[72:73], vcc
	s_cbranch_execz .LBB180_256
; %bb.248:                              ;   in Loop: Header=BB180_6 Depth=1
	v_pk_mov_b32 v[42:43], v[18:19], v[18:19] op_sel:[0,1]
	v_pk_mov_b32 v[44:45], v[0:1], v[0:1] op_sel:[0,1]
                                        ; implicit-def: $sgpr78_sgpr79
	s_branch .LBB180_250
.LBB180_249:                            ;   in Loop: Header=BB180_250 Depth=2
	s_or_b64 exec, exec, s[6:7]
	s_waitcnt lgkmcnt(0)
	s_barrier
	ds_read_b128 v[8:11], v21 offset:3072
	v_mov_b32_e32 v2, s0
	v_add_co_u32_e64 v44, s[6:7], s33, v44
	v_addc_co_u32_e64 v45, s[6:7], v45, v2, s[6:7]
	s_waitcnt lgkmcnt(0)
	v_cmp_neq_f64_e32 vcc, 0, v[8:9]
	v_cmp_ge_u64_e64 s[6:7], v[44:45], v[40:41]
	s_or_b64 s[84:85], s[6:7], vcc
	v_mov_b32_e32 v2, s61
	v_add_co_u32_e64 v42, s[6:7], s60, v42
	v_addc_co_u32_e64 v43, s[6:7], v43, v2, s[6:7]
	s_and_b64 s[6:7], exec, s[84:85]
	s_or_b64 s[80:81], s[6:7], s[80:81]
	s_andn2_b64 s[6:7], s[78:79], exec
	s_and_b64 s[78:79], vcc, exec
	s_or_b64 s[78:79], s[6:7], s[78:79]
	s_barrier
	s_andn2_b64 exec, exec, s[80:81]
	s_cbranch_execz .LBB180_255
.LBB180_250:                            ;   Parent Loop BB180_6 Depth=1
                                        ; =>  This Inner Loop Header: Depth=2
	v_cmp_gt_u64_e32 vcc, s[56:57], v[44:45]
	s_waitcnt vmcnt(0)
	v_pk_mov_b32 v[4:5], 0, 0
	s_and_saveexec_b64 s[6:7], vcc
	s_cbranch_execz .LBB180_252
; %bb.251:                              ;   in Loop: Header=BB180_250 Depth=2
	global_load_dwordx2 v[4:5], v[42:43], off
.LBB180_252:                            ;   in Loop: Header=BB180_250 Depth=2
	s_or_b64 exec, exec, s[6:7]
	s_and_saveexec_b64 s[6:7], vcc
	s_cbranch_execz .LBB180_249
; %bb.253:                              ;   in Loop: Header=BB180_250 Depth=2
	s_waitcnt vmcnt(0)
	v_ashrrev_i32_e32 v2, 31, v5
	v_or_b32_e32 v8, 0x80000000, v2
	v_xor_b32_e32 v8, v8, v5
	v_xor_b32_e32 v2, v2, v4
	v_cmp_o_f64_e32 vcc, v[4:5], v[4:5]
	v_cndmask_b32_e32 v8, -1, v8, vcc
	v_cndmask_b32_e32 v2, -1, v2, vcc
	v_and_b32_e32 v9, v8, v15
	v_and_b32_e32 v8, v2, v14
	v_cmp_eq_u64_e32 vcc, v[8:9], v[12:13]
	s_and_b64 exec, exec, vcc
	s_cbranch_execz .LBB180_249
; %bb.254:                              ;   in Loop: Header=BB180_250 Depth=2
	v_mov_b32_e32 v2, v21
	ds_write_b128 v21, v[2:5] offset:3072
	s_branch .LBB180_249
.LBB180_255:                            ;   in Loop: Header=BB180_6 Depth=1
	s_or_b64 exec, exec, s[80:81]
	s_and_b64 s[80:81], s[78:79], exec
.LBB180_256:                            ;   in Loop: Header=BB180_6 Depth=1
	s_or_b64 exec, exec, s[72:73]
	s_mov_b64 s[78:79], -1
	s_mov_b64 s[6:7], 0
	s_mov_b64 s[72:73], 0
.LBB180_257:                            ;   in Loop: Header=BB180_6 Depth=1
	s_orn2_b64 s[80:81], s[80:81], exec
.LBB180_258:                            ;   in Loop: Header=BB180_6 Depth=1
	s_or_b64 exec, exec, s[12:13]
	s_mov_b64 s[84:85], 0
                                        ; implicit-def: $vgpr2
                                        ; implicit-def: $vgpr4_vgpr5
	s_and_saveexec_b64 s[12:13], s[80:81]
	v_readlane_b32 vcc_lo, v62, 52
	s_mov_b64 s[8:9], s[68:69]
	v_readlane_b32 vcc_hi, v62, 53
	s_cbranch_execz .LBB180_270
; %bb.259:                              ;   in Loop: Header=BB180_6 Depth=1
	v_readlane_b32 s80, v62, 54
	v_readlane_b32 s81, v62, 55
	s_waitcnt vmcnt(0)
	v_mov_b32_e32 v4, 1
	s_xor_b64 s[84:85], s[80:81], -1
	v_mov_b32_e32 v2, 1
	v_mov_b32_e32 v5, 0
	s_and_saveexec_b64 s[80:81], s[84:85]
	s_cbranch_execz .LBB180_269
; %bb.260:                              ;   in Loop: Header=BB180_6 Depth=1
	s_mov_b64 s[8:9], s[90:91]
	v_cmp_ge_u64_e32 vcc, s[28:29], v[38:39]
                                        ; implicit-def: $sgpr89
	s_and_saveexec_b64 s[84:85], vcc
	s_xor_b64 s[84:85], exec, s[84:85]
	s_cbranch_execz .LBB180_266
; %bb.261:                              ;   in Loop: Header=BB180_6 Depth=1
	ds_read_b64 v[4:5], v21 offset:5120
	s_waitcnt lgkmcnt(0)
	v_cmp_ne_u64_e32 vcc, 0, v[4:5]
	s_cbranch_vccnz .LBB180_265
; %bb.262:                              ;   in Loop: Header=BB180_6 Depth=1
	s_mov_b64 vcc, s[94:95]
	s_mov_b64 s[90:91], exec
	v_readlane_b32 s94, v62, 8
	v_readlane_b32 s95, v62, 9
	s_and_b64 s[94:95], s[90:91], s[94:95]
	s_mov_b64 exec, s[94:95]
	s_cbranch_execz .LBB180_264
; %bb.263:                              ;   in Loop: Header=BB180_6 Depth=1
	v_pk_mov_b32 v[4:5], s[28:29], s[28:29] op_sel:[0,1]
	ds_write_b64 v21, v[4:5] offset:5128
.LBB180_264:                            ;   in Loop: Header=BB180_6 Depth=1
	s_or_b64 exec, exec, s[90:91]
	s_mov_b64 s[94:95], vcc
	s_waitcnt lgkmcnt(0)
	s_barrier
.LBB180_265:                            ;   in Loop: Header=BB180_6 Depth=1
	v_or_b32_e32 v13, s19, v13
	v_or_b32_e32 v12, s18, v12
	v_or_b32_e32 v15, s19, v15
	v_or_b32_e32 v14, s18, v14
	s_mov_b32 s89, 8
.LBB180_266:                            ;   in Loop: Header=BB180_6 Depth=1
	s_or_saveexec_b64 s[84:85], s[84:85]
	v_mov_b32_e32 v2, s89
	s_xor_b64 exec, exec, s[84:85]
; %bb.267:                              ;   in Loop: Header=BB180_6 Depth=1
	v_mov_b32_e32 v2, s29
	v_subrev_co_u32_e32 v38, vcc, s28, v38
	v_subb_co_u32_e32 v39, vcc, v39, v2, vcc
	v_mov_b32_e32 v2, 8
; %bb.268:                              ;   in Loop: Header=BB180_6 Depth=1
	s_or_b64 exec, exec, s[84:85]
	v_readlane_b32 vcc_lo, v62, 52
	v_pk_mov_b32 v[4:5], v[38:39], v[38:39] op_sel:[0,1]
	s_mov_b64 s[90:91], s[8:9]
	s_mov_b64 s[8:9], s[68:69]
	v_readlane_b32 vcc_hi, v62, 53
.LBB180_269:                            ;   in Loop: Header=BB180_6 Depth=1
	s_or_b64 exec, exec, s[80:81]
	s_mov_b64 s[84:85], exec
.LBB180_270:                            ;   in Loop: Header=BB180_6 Depth=1
	s_or_b64 exec, exec, s[12:13]
	s_orn2_b64 s[12:13], s[84:85], exec
	s_waitcnt vmcnt(0)
	v_pk_mov_b32 v[38:39], v[4:5], v[4:5] op_sel:[0,1]
.LBB180_271:                            ;   in Loop: Header=BB180_6 Depth=1
	s_or_b64 exec, exec, vcc
	s_andn2_b64 s[2:3], s[2:3], exec
	s_and_b64 s[6:7], s[6:7], exec
	s_or_b64 s[2:3], s[2:3], s[6:7]
	s_andn2_b64 s[6:7], s[54:55], exec
	s_and_b64 s[54:55], s[78:79], exec
	s_or_b64 s[54:55], s[6:7], s[54:55]
	;; [unrolled: 3-line block ×3, first 2 shown]
	s_and_b64 s[6:7], s[12:13], exec
	v_pk_mov_b32 v[40:41], v[38:39], v[38:39] op_sel:[0,1]
.LBB180_272:                            ;   in Loop: Header=BB180_6 Depth=1
	s_or_b64 exec, exec, s[4:5]
	s_and_b64 s[72:73], s[2:3], exec
	s_and_b64 s[12:13], s[54:55], exec
	;; [unrolled: 1-line block ×3, first 2 shown]
	s_orn2_b64 s[2:3], s[6:7], exec
.LBB180_273:                            ;   in Loop: Header=BB180_6 Depth=1
	s_or_b64 exec, exec, s[52:53]
	s_andn2_b64 s[6:7], s[36:37], exec
	s_and_b64 s[36:37], s[72:73], exec
	s_or_b64 s[36:37], s[6:7], s[36:37]
	s_andn2_b64 s[6:7], s[48:49], exec
	s_and_b64 s[12:13], s[12:13], exec
	s_or_b64 s[48:49], s[6:7], s[12:13]
	;; [unrolled: 3-line block ×3, first 2 shown]
	s_and_b64 s[6:7], s[2:3], exec
	v_pk_mov_b32 v[38:39], v[40:41], v[40:41] op_sel:[0,1]
.LBB180_274:                            ;   in Loop: Header=BB180_6 Depth=1
	s_or_b64 exec, exec, s[50:51]
	s_and_b64 s[12:13], s[36:37], exec
	s_and_b64 s[4:5], s[48:49], exec
	s_and_b64 s[2:3], s[46:47], exec
	s_orn2_b64 s[36:37], s[6:7], exec
.LBB180_275:                            ;   in Loop: Header=BB180_6 Depth=1
	s_or_b64 exec, exec, s[34:35]
	s_mov_b64 s[6:7], 0
	s_mov_b64 s[34:35], 0
	s_and_saveexec_b64 s[46:47], s[36:37]
	s_xor_b64 s[36:37], exec, s[46:47]
; %bb.276:                              ;   in Loop: Header=BB180_6 Depth=1
	v_cmp_eq_u32_e32 vcc, 8, v2
	v_cmp_ne_u32_e64 s[6:7], 8, v2
	s_andn2_b64 s[12:13], s[12:13], exec
	s_andn2_b64 s[4:5], s[4:5], exec
	;; [unrolled: 1-line block ×3, first 2 shown]
	s_and_b64 s[34:35], s[6:7], exec
	s_and_b64 s[6:7], vcc, exec
; %bb.277:                              ;   in Loop: Header=BB180_6 Depth=1
	s_or_b64 exec, exec, s[36:37]
	s_andn2_b64 s[24:25], s[24:25], exec
	s_and_b64 s[12:13], s[12:13], exec
	s_or_b64 s[24:25], s[24:25], s[12:13]
	s_andn2_b64 s[12:13], s[40:41], exec
	s_and_b64 s[4:5], s[4:5], exec
	s_or_b64 s[40:41], s[12:13], s[4:5]
	;; [unrolled: 3-line block ×3, first 2 shown]
	s_and_b64 s[34:35], s[34:35], exec
	s_and_b64 s[36:37], s[6:7], exec
.LBB180_278:                            ;   in Loop: Header=BB180_6 Depth=1
	s_or_b64 exec, exec, s[44:45]
	s_and_b64 vcc, exec, s[42:43]
	s_cbranch_vccz .LBB180_94
.LBB180_279:                            ;   in Loop: Header=BB180_6 Depth=1
	s_cmp_eq_u64 s[28:29], 1
	s_cselect_b64 s[2:3], -1, 0
	s_and_b64 s[2:3], s[2:3], s[14:15]
	s_mov_b64 s[6:7], -1
                                        ; implicit-def: $sgpr14_sgpr15
                                        ; implicit-def: $sgpr42_sgpr43
                                        ; implicit-def: $sgpr24_sgpr25
	s_and_saveexec_b64 s[4:5], s[2:3]
	s_cbranch_execz .LBB180_311
; %bb.280:                              ;   in Loop: Header=BB180_6 Depth=1
	s_waitcnt vmcnt(0)
	ds_read_b64 v[4:5], v21 offset:5120
	v_readlane_b32 s8, v62, 24
	v_readlane_b32 s9, v62, 25
	s_waitcnt lgkmcnt(0)
	s_barrier
	v_readfirstlane_b32 s12, v4
	v_readfirstlane_b32 s13, v5
	s_and_saveexec_b64 s[6:7], s[8:9]
	s_cbranch_execz .LBB180_282
; %bb.281:                              ;   in Loop: Header=BB180_6 Depth=1
	v_mov_b32_e32 v20, v21
	ds_write_b64 v50, v[20:21]
.LBB180_282:                            ;   in Loop: Header=BB180_6 Depth=1
	s_or_b64 exec, exec, s[6:7]
	v_or_b32_e32 v33, s19, v33
	v_or_b32_e32 v32, s18, v32
	;; [unrolled: 1-line block ×4, first 2 shown]
	s_cmp_eq_u64 s[12:13], 0
	s_waitcnt lgkmcnt(0)
	s_barrier
	s_cbranch_scc1 .LBB180_294
; %bb.283:                              ;   in Loop: Header=BB180_6 Depth=1
	v_readlane_b32 s6, v62, 28
	s_add_u32 s24, s6, s12
	v_readlane_b32 s6, v62, 30
	s_addc_u32 s7, s6, s13
	s_mov_b32 s6, s83
	s_cmp_lg_u64 s[6:7], 0
	s_cbranch_scc0 .LBB180_338
; %bb.284:                              ;   in Loop: Header=BB180_6 Depth=1
	v_cvt_f32_u32_e32 v2, s33
	s_sub_u32 s6, 0, s33
	s_subb_u32 s14, 0, 0
	v_mac_f32_e32 v2, 0, v53
	v_rcp_f32_e32 v2, v2
	v_mul_f32_e32 v2, 0x5f7ffffc, v2
	v_mul_f32_e32 v4, 0x2f800000, v2
	v_trunc_f32_e32 v4, v4
	v_mac_f32_e32 v2, 0xcf800000, v4
	v_cvt_u32_f32_e32 v4, v4
	v_cvt_u32_f32_e32 v2, v2
	v_readfirstlane_b32 s15, v4
	v_readfirstlane_b32 s25, v2
	s_mul_i32 s38, s6, s15
	s_mul_hi_u32 s40, s6, s25
	s_mul_i32 s39, s14, s25
	s_add_i32 s38, s40, s38
	s_mul_i32 s41, s6, s25
	s_add_i32 s38, s38, s39
	s_mul_hi_u32 s40, s25, s41
	s_mul_hi_u32 s39, s25, s38
	s_mul_i32 s25, s25, s38
	s_add_u32 s25, s40, s25
	s_addc_u32 s39, 0, s39
	s_mul_hi_u32 s42, s15, s41
	s_mul_i32 s41, s15, s41
	s_add_u32 s25, s25, s41
	s_mul_hi_u32 s40, s15, s38
	s_addc_u32 s25, s39, s42
	s_addc_u32 s39, s40, 0
	s_mul_i32 s38, s15, s38
	s_add_u32 s25, s25, s38
	s_addc_u32 s38, 0, s39
	v_add_co_u32_e32 v2, vcc, s25, v2
	s_cmp_lg_u64 vcc, 0
	s_addc_u32 s15, s15, s38
	v_readfirstlane_b32 s38, v2
	s_mul_i32 s25, s6, s15
	s_mul_hi_u32 s39, s6, s38
	s_add_i32 s25, s39, s25
	s_mul_i32 s14, s14, s38
	s_add_i32 s25, s25, s14
	s_mul_i32 s6, s6, s38
	s_mul_hi_u32 s39, s15, s6
	s_mul_i32 s40, s15, s6
	s_mul_i32 s42, s38, s25
	s_mul_hi_u32 s6, s38, s6
	s_mul_hi_u32 s41, s38, s25
	s_add_u32 s6, s6, s42
	s_addc_u32 s38, 0, s41
	s_add_u32 s6, s6, s40
	s_mul_hi_u32 s14, s15, s25
	s_addc_u32 s6, s38, s39
	s_addc_u32 s14, s14, 0
	s_mul_i32 s25, s15, s25
	s_add_u32 s6, s6, s25
	s_addc_u32 s14, 0, s14
	v_add_co_u32_e32 v2, vcc, s6, v2
	s_cmp_lg_u64 vcc, 0
	s_addc_u32 s6, s15, s14
	v_readfirstlane_b32 s25, v2
	s_mul_i32 s15, s24, s6
	s_mul_hi_u32 s38, s24, s25
	s_mul_hi_u32 s14, s24, s6
	s_add_u32 s15, s38, s15
	s_addc_u32 s14, 0, s14
	s_mul_hi_u32 s39, s7, s25
	s_mul_i32 s25, s7, s25
	s_add_u32 s15, s15, s25
	s_mul_hi_u32 s38, s7, s6
	s_addc_u32 s14, s14, s39
	s_addc_u32 s15, s38, 0
	s_mul_i32 s6, s7, s6
	s_add_u32 s6, s14, s6
	s_addc_u32 s14, 0, s15
	s_mul_hi_u32 s15, s33, s6
	s_mul_i32 s6, s33, s6
	s_mul_i32 s14, s33, s14
	v_mov_b32_e32 v2, s6
	s_add_i32 s15, s15, s14
	v_sub_co_u32_e32 v2, vcc, s24, v2
	s_cmp_lg_u64 vcc, 0
	s_subb_u32 s6, s7, s15
	v_subrev_co_u32_e32 v4, vcc, s33, v2
	s_cmp_lg_u64 vcc, 0
	s_subb_u32 s14, s6, 0
	v_subrev_co_u32_e32 v5, vcc, s33, v4
	s_cmp_lg_u64 vcc, 0
	s_subb_u32 s15, s14, 0
	v_cmp_le_u32_e32 vcc, s33, v4
	s_cmp_eq_u32 s14, 0
	v_cndmask_b32_e64 v6, 0, -1, vcc
	s_cselect_b64 vcc, -1, 0
	v_cndmask_b32_e32 v6, -1, v6, vcc
	v_mov_b32_e32 v7, s14
	v_mov_b32_e32 v8, s15
	v_cmp_ne_u32_e32 vcc, 0, v6
	v_cndmask_b32_e32 v6, v7, v8, vcc
	v_cndmask_b32_e32 v4, v4, v5, vcc
	v_cmp_le_u32_e32 vcc, s33, v2
	s_cmp_eq_u32 s6, 0
	v_cndmask_b32_e64 v5, 0, -1, vcc
	s_cselect_b64 vcc, -1, 0
	v_cndmask_b32_e32 v5, -1, v5, vcc
	v_mov_b32_e32 v7, s6
	v_cmp_ne_u32_e32 vcc, 0, v5
	v_cndmask_b32_e32 v5, v7, v6, vcc
	v_cndmask_b32_e32 v4, v2, v4, vcc
	s_cbranch_execnz .LBB180_286
.LBB180_285:                            ;   in Loop: Header=BB180_6 Depth=1
	v_cvt_f32_u32_e32 v2, s33
	s_sub_i32 s6, 0, s33
	v_rcp_iflag_f32_e32 v2, v2
	v_mul_f32_e32 v2, 0x4f7ffffe, v2
	v_cvt_u32_f32_e32 v2, v2
	v_mul_lo_u32 v4, s6, v2
	v_mul_hi_u32 v4, v2, v4
	v_add_u32_e32 v2, v2, v4
	v_mul_hi_u32 v2, s24, v2
	v_mul_lo_u32 v2, v2, s33
	v_sub_u32_e32 v2, s24, v2
	v_subrev_u32_e32 v4, s33, v2
	v_cmp_le_u32_e32 vcc, s33, v2
	v_cndmask_b32_e32 v2, v2, v4, vcc
	v_subrev_u32_e32 v4, s33, v2
	v_cmp_le_u32_e32 vcc, s33, v2
	v_cndmask_b32_e32 v20, v2, v4, vcc
	v_pk_mov_b32 v[4:5], v[20:21], v[20:21] op_sel:[0,1]
.LBB180_286:                            ;   in Loop: Header=BB180_6 Depth=1
	v_mov_b32_e32 v2, s7
	v_sub_co_u32_e32 v8, vcc, s24, v4
	v_subb_co_u32_e32 v9, vcc, v2, v5, vcc
	v_cmp_gt_u64_e32 vcc, v[8:9], v[0:1]
	s_mov_b64 s[6:7], 0
                                        ; implicit-def: $vgpr6_vgpr7
	s_and_saveexec_b64 s[14:15], vcc
	s_cbranch_execz .LBB180_296
; %bb.287:                              ;   in Loop: Header=BB180_6 Depth=1
	s_mov_b64 s[38:39], 0
	v_mov_b32_e32 v12, v49
	v_pk_mov_b32 v[10:11], v[0:1], v[0:1] op_sel:[0,1]
                                        ; implicit-def: $sgpr24_sgpr25
	s_branch .LBB180_289
.LBB180_288:                            ;   in Loop: Header=BB180_289 Depth=2
	s_or_b64 exec, exec, s[6:7]
	s_waitcnt lgkmcnt(0)
	s_barrier
	ds_read_b128 v[4:7], v21 offset:3072
	v_mov_b32_e32 v2, s0
	v_add_co_u32_e64 v10, s[6:7], s33, v10
	v_addc_co_u32_e64 v11, s[6:7], v11, v2, s[6:7]
	s_waitcnt lgkmcnt(0)
	v_cmp_neq_f64_e32 vcc, 0, v[4:5]
	v_cmp_ge_u64_e64 s[6:7], v[10:11], v[8:9]
	s_or_b64 s[6:7], s[6:7], vcc
	s_and_b64 s[6:7], exec, s[6:7]
	s_or_b64 s[38:39], s[6:7], s[38:39]
	s_andn2_b64 s[6:7], s[24:25], exec
	s_and_b64 s[24:25], vcc, exec
	v_add_u32_e32 v12, s88, v12
	s_or_b64 s[24:25], s[6:7], s[24:25]
	s_barrier
	s_andn2_b64 exec, exec, s[38:39]
	s_cbranch_execz .LBB180_295
.LBB180_289:                            ;   Parent Loop BB180_6 Depth=1
                                        ; =>  This Inner Loop Header: Depth=2
	v_cmp_gt_u64_e32 vcc, s[12:13], v[10:11]
	v_pk_mov_b32 v[4:5], 0, 0
	s_and_saveexec_b64 s[6:7], vcc
	s_cbranch_execz .LBB180_291
; %bb.290:                              ;   in Loop: Header=BB180_289 Depth=2
	ds_read_b64 v[4:5], v12
.LBB180_291:                            ;   in Loop: Header=BB180_289 Depth=2
	s_or_b64 exec, exec, s[6:7]
	s_and_saveexec_b64 s[6:7], vcc
	s_cbranch_execz .LBB180_288
; %bb.292:                              ;   in Loop: Header=BB180_289 Depth=2
	s_waitcnt lgkmcnt(0)
	v_ashrrev_i32_e32 v2, 31, v5
	v_or_b32_e32 v6, 0x80000000, v2
	v_xor_b32_e32 v6, v6, v5
	v_xor_b32_e32 v2, v2, v4
	v_cmp_o_f64_e32 vcc, v[4:5], v[4:5]
	v_cndmask_b32_e32 v6, -1, v6, vcc
	v_cndmask_b32_e32 v2, -1, v2, vcc
	v_and_b32_e32 v7, v6, v35
	v_and_b32_e32 v6, v2, v34
	v_cmp_eq_u64_e32 vcc, v[6:7], v[32:33]
	s_and_b64 exec, exec, vcc
	s_cbranch_execz .LBB180_288
; %bb.293:                              ;   in Loop: Header=BB180_289 Depth=2
	v_mov_b32_e32 v2, v21
	ds_write_b128 v21, v[2:5] offset:3072
	s_branch .LBB180_288
.LBB180_294:                            ;   in Loop: Header=BB180_6 Depth=1
	s_mov_b64 s[14:15], -1
	s_mov_b64 s[6:7], 0
                                        ; implicit-def: $sgpr42_sgpr43
                                        ; implicit-def: $vgpr6_vgpr7
	s_mov_b64 s[24:25], s[14:15]
	s_cbranch_execnz .LBB180_297
	s_branch .LBB180_310
.LBB180_295:                            ;   in Loop: Header=BB180_6 Depth=1
	s_or_b64 exec, exec, s[38:39]
	s_and_b64 s[6:7], s[24:25], exec
.LBB180_296:                            ;   in Loop: Header=BB180_6 Depth=1
	s_or_b64 exec, exec, s[14:15]
	s_mov_b64 s[14:15], 0
	s_mov_b64 s[42:43], -1
	s_mov_b64 s[24:25], s[14:15]
	s_branch .LBB180_310
.LBB180_297:                            ;   in Loop: Header=BB180_6 Depth=1
	v_readlane_b32 s8, v62, 31
	v_readlane_b32 s9, v62, 32
	s_mov_b32 s8, s83
	s_mov_b32 s7, s9
	s_cmp_lg_u64 s[8:9], 0
	v_writelane_b32 v62, s6, 31
	v_writelane_b32 v62, s7, 32
	s_cbranch_scc0 .LBB180_339
; %bb.298:                              ;   in Loop: Header=BB180_6 Depth=1
	v_cvt_f32_u32_e32 v2, s33
	s_sub_u32 s6, 0, s33
	s_subb_u32 s7, 0, 0
	v_readlane_b32 s8, v62, 29
	v_mac_f32_e32 v2, 0, v53
	v_rcp_f32_e32 v2, v2
	v_mul_f32_e32 v2, 0x5f7ffffc, v2
	v_mul_f32_e32 v4, 0x2f800000, v2
	v_trunc_f32_e32 v4, v4
	v_mac_f32_e32 v2, 0xcf800000, v4
	v_cvt_u32_f32_e32 v4, v4
	v_cvt_u32_f32_e32 v2, v2
	v_readfirstlane_b32 s12, v4
	v_readfirstlane_b32 s13, v2
	s_mul_i32 s14, s6, s12
	s_mul_hi_u32 s24, s6, s13
	s_mul_i32 s15, s7, s13
	s_add_i32 s14, s24, s14
	s_mul_i32 s25, s6, s13
	s_add_i32 s14, s14, s15
	s_mul_hi_u32 s24, s13, s25
	s_mul_hi_u32 s15, s13, s14
	s_mul_i32 s13, s13, s14
	s_add_u32 s13, s24, s13
	s_addc_u32 s15, 0, s15
	s_mul_hi_u32 s38, s12, s25
	s_mul_i32 s25, s12, s25
	s_add_u32 s13, s13, s25
	s_mul_hi_u32 s24, s12, s14
	s_addc_u32 s13, s15, s38
	s_addc_u32 s15, s24, 0
	s_mul_i32 s14, s12, s14
	s_add_u32 s13, s13, s14
	s_addc_u32 s14, 0, s15
	v_add_co_u32_e32 v2, vcc, s13, v2
	s_cmp_lg_u64 vcc, 0
	s_addc_u32 s12, s12, s14
	v_readfirstlane_b32 s14, v2
	s_mul_i32 s13, s6, s12
	s_mul_hi_u32 s15, s6, s14
	s_add_i32 s13, s15, s13
	s_mul_i32 s7, s7, s14
	s_add_i32 s13, s13, s7
	s_mul_i32 s6, s6, s14
	s_mul_hi_u32 s15, s12, s6
	s_mul_i32 s24, s12, s6
	s_mul_i32 s38, s14, s13
	s_mul_hi_u32 s6, s14, s6
	s_mul_hi_u32 s25, s14, s13
	s_add_u32 s6, s6, s38
	s_addc_u32 s14, 0, s25
	s_add_u32 s6, s6, s24
	s_mul_hi_u32 s7, s12, s13
	s_addc_u32 s6, s14, s15
	s_addc_u32 s7, s7, 0
	s_mul_i32 s13, s12, s13
	s_add_u32 s6, s6, s13
	s_addc_u32 s7, 0, s7
	v_add_co_u32_e32 v2, vcc, s6, v2
	s_cmp_lg_u64 vcc, 0
	s_addc_u32 s6, s12, s7
	v_readfirstlane_b32 s13, v2
	s_mul_i32 s12, s8, s6
	s_mul_hi_u32 s14, s8, s13
	s_add_u32 s12, s14, s12
	v_readlane_b32 s14, v62, 31
	v_readlane_b32 s24, v62, 31
	;; [unrolled: 1-line block ×4, first 2 shown]
	s_mul_hi_u32 s14, s15, s6
	s_mul_hi_u32 s15, s25, s13
	v_readlane_b32 s24, v62, 31
	s_mul_hi_u32 s7, s8, s6
	v_readlane_b32 s25, v62, 32
	s_addc_u32 s7, 0, s7
	s_mul_i32 s13, s25, s13
	s_add_u32 s12, s12, s13
	s_addc_u32 s7, s7, s15
	s_addc_u32 s12, s14, 0
	v_readlane_b32 s14, v62, 31
	v_readlane_b32 s15, v62, 32
	s_mul_i32 s6, s15, s6
	s_add_u32 s6, s7, s6
	s_addc_u32 s7, 0, s12
	s_mul_hi_u32 s12, s33, s6
	s_mul_i32 s6, s33, s6
	s_mul_i32 s7, s33, s7
	v_mov_b32_e32 v2, s6
	s_add_i32 s12, s12, s7
	v_sub_co_u32_e32 v2, vcc, s8, v2
	s_cmp_lg_u64 vcc, 0
	s_subb_u32 s6, s15, s12
	v_subrev_co_u32_e32 v4, vcc, s33, v2
	s_cmp_lg_u64 vcc, 0
	s_subb_u32 s7, s6, 0
	v_subrev_co_u32_e32 v5, vcc, s33, v4
	s_cmp_lg_u64 vcc, 0
	s_subb_u32 s12, s7, 0
	v_cmp_le_u32_e32 vcc, s33, v4
	s_cmp_eq_u32 s7, 0
	v_cndmask_b32_e64 v6, 0, -1, vcc
	s_cselect_b64 vcc, -1, 0
	v_cndmask_b32_e32 v6, -1, v6, vcc
	v_mov_b32_e32 v7, s7
	v_mov_b32_e32 v8, s12
	v_cmp_ne_u32_e32 vcc, 0, v6
	v_cndmask_b32_e32 v6, v7, v8, vcc
	v_cndmask_b32_e32 v4, v4, v5, vcc
	v_cmp_le_u32_e32 vcc, s33, v2
	s_cmp_eq_u32 s6, 0
	v_cndmask_b32_e64 v5, 0, -1, vcc
	s_cselect_b64 vcc, -1, 0
	v_cndmask_b32_e32 v5, -1, v5, vcc
	v_mov_b32_e32 v7, s6
	v_cmp_ne_u32_e32 vcc, 0, v5
	s_mov_b32 s9, s15
	v_cndmask_b32_e32 v5, v7, v6, vcc
	v_cndmask_b32_e32 v4, v2, v4, vcc
	s_cbranch_execnz .LBB180_300
.LBB180_299:                            ;   in Loop: Header=BB180_6 Depth=1
	v_cvt_f32_u32_e32 v2, s33
	s_sub_i32 s6, 0, s33
	v_rcp_iflag_f32_e32 v2, v2
	v_mul_f32_e32 v2, 0x4f7ffffe, v2
	v_cvt_u32_f32_e32 v2, v2
	v_mul_lo_u32 v4, s6, v2
	v_mul_hi_u32 v4, v2, v4
	v_add_u32_e32 v2, v2, v4
	v_readlane_b32 s6, v62, 29
	v_mul_hi_u32 v2, s6, v2
	v_mul_lo_u32 v2, v2, s33
	v_sub_u32_e32 v2, s6, v2
	v_subrev_u32_e32 v4, s33, v2
	v_cmp_le_u32_e32 vcc, s33, v2
	v_cndmask_b32_e32 v2, v2, v4, vcc
	v_subrev_u32_e32 v4, s33, v2
	v_cmp_le_u32_e32 vcc, s33, v2
	v_cndmask_b32_e32 v20, v2, v4, vcc
	v_pk_mov_b32 v[4:5], v[20:21], v[20:21] op_sel:[0,1]
.LBB180_300:                            ;   in Loop: Header=BB180_6 Depth=1
	v_readlane_b32 s6, v62, 29
	v_mov_b32_e32 v2, s9
	v_sub_co_u32_e32 v8, vcc, s6, v4
	v_subb_co_u32_e32 v9, vcc, v2, v5, vcc
	v_cmp_gt_u64_e32 vcc, v[8:9], v[0:1]
	s_mov_b64 s[6:7], 0
                                        ; implicit-def: $vgpr6_vgpr7
	s_and_saveexec_b64 s[12:13], vcc
	s_cbranch_execz .LBB180_309
; %bb.301:                              ;   in Loop: Header=BB180_6 Depth=1
	s_mov_b64 s[24:25], 0
	v_pk_mov_b32 v[10:11], v[18:19], v[18:19] op_sel:[0,1]
	v_pk_mov_b32 v[12:13], v[0:1], v[0:1] op_sel:[0,1]
                                        ; implicit-def: $sgpr14_sgpr15
	s_branch .LBB180_303
.LBB180_302:                            ;   in Loop: Header=BB180_303 Depth=2
	s_or_b64 exec, exec, s[6:7]
	s_waitcnt lgkmcnt(0)
	s_barrier
	s_waitcnt vmcnt(0)
	ds_read_b128 v[4:7], v21 offset:3072
	v_mov_b32_e32 v2, s0
	v_add_co_u32_e64 v12, s[6:7], s33, v12
	v_addc_co_u32_e64 v13, s[6:7], v13, v2, s[6:7]
	s_waitcnt lgkmcnt(0)
	v_cmp_neq_f64_e32 vcc, 0, v[4:5]
	v_cmp_ge_u64_e64 s[6:7], v[12:13], v[8:9]
	s_or_b64 s[38:39], s[6:7], vcc
	v_mov_b32_e32 v2, s61
	v_add_co_u32_e64 v10, s[6:7], s60, v10
	v_addc_co_u32_e64 v11, s[6:7], v11, v2, s[6:7]
	s_and_b64 s[6:7], exec, s[38:39]
	s_or_b64 s[24:25], s[6:7], s[24:25]
	s_andn2_b64 s[6:7], s[14:15], exec
	s_and_b64 s[14:15], vcc, exec
	s_or_b64 s[14:15], s[6:7], s[14:15]
	s_barrier
	s_andn2_b64 exec, exec, s[24:25]
	s_cbranch_execz .LBB180_308
.LBB180_303:                            ;   Parent Loop BB180_6 Depth=1
                                        ; =>  This Inner Loop Header: Depth=2
	v_cmp_gt_u64_e32 vcc, s[56:57], v[12:13]
	v_pk_mov_b32 v[4:5], 0, 0
	s_and_saveexec_b64 s[6:7], vcc
	s_cbranch_execz .LBB180_305
; %bb.304:                              ;   in Loop: Header=BB180_303 Depth=2
	global_load_dwordx2 v[4:5], v[10:11], off
.LBB180_305:                            ;   in Loop: Header=BB180_303 Depth=2
	s_or_b64 exec, exec, s[6:7]
	s_and_saveexec_b64 s[6:7], vcc
	s_cbranch_execz .LBB180_302
; %bb.306:                              ;   in Loop: Header=BB180_303 Depth=2
	s_waitcnt vmcnt(0)
	v_ashrrev_i32_e32 v2, 31, v5
	v_or_b32_e32 v6, 0x80000000, v2
	v_xor_b32_e32 v6, v6, v5
	v_xor_b32_e32 v2, v2, v4
	v_cmp_o_f64_e32 vcc, v[4:5], v[4:5]
	v_cndmask_b32_e32 v6, -1, v6, vcc
	v_cndmask_b32_e32 v2, -1, v2, vcc
	v_and_b32_e32 v7, v6, v35
	v_and_b32_e32 v6, v2, v34
	v_cmp_eq_u64_e32 vcc, v[6:7], v[32:33]
	s_and_b64 exec, exec, vcc
	s_cbranch_execz .LBB180_302
; %bb.307:                              ;   in Loop: Header=BB180_303 Depth=2
	v_mov_b32_e32 v2, v21
	ds_write_b128 v21, v[2:5] offset:3072
	s_branch .LBB180_302
.LBB180_308:                            ;   in Loop: Header=BB180_6 Depth=1
	s_or_b64 exec, exec, s[24:25]
	s_and_b64 s[6:7], s[14:15], exec
.LBB180_309:                            ;   in Loop: Header=BB180_6 Depth=1
	s_or_b64 exec, exec, s[12:13]
	s_mov_b64 s[42:43], 0
	s_mov_b64 s[14:15], -1
	s_mov_b64 s[24:25], 0
.LBB180_310:                            ;   in Loop: Header=BB180_6 Depth=1
	s_orn2_b64 s[6:7], s[6:7], exec
.LBB180_311:                            ;   in Loop: Header=BB180_6 Depth=1
	s_or_b64 exec, exec, s[4:5]
                                        ; implicit-def: $vgpr2
                                        ; implicit-def: $vgpr38_vgpr39
                                        ; implicit-def: $vgpr12_vgpr13
                                        ; implicit-def: $vgpr14_vgpr15
                                        ; implicit-def: $vgpr10_vgpr11
	s_and_saveexec_b64 s[38:39], s[6:7]
	s_cbranch_execz .LBB180_474
; %bb.312:                              ;   in Loop: Header=BB180_6 Depth=1
	s_waitcnt vmcnt(0)
	v_mov_b32_e32 v38, 1
	s_xor_b64 s[4:5], s[2:3], -1
	s_mov_b64 s[6:7], 0
	v_mov_b32_e32 v39, 0
	v_mov_b32_e32 v2, 1
	s_and_saveexec_b64 s[2:3], s[4:5]
	s_cbranch_execz .LBB180_322
; %bb.313:                              ;   in Loop: Header=BB180_6 Depth=1
	v_cmp_ge_u64_e32 vcc, s[28:29], v[36:37]
                                        ; implicit-def: $sgpr12
                                        ; implicit-def: $sgpr4_sgpr5
	s_and_saveexec_b64 s[6:7], vcc
	s_xor_b64 s[6:7], exec, s[6:7]
	s_cbranch_execz .LBB180_319
; %bb.314:                              ;   in Loop: Header=BB180_6 Depth=1
	ds_read_b64 v[4:5], v21 offset:5120
	s_waitcnt lgkmcnt(0)
	v_cmp_ne_u64_e32 vcc, 0, v[4:5]
	s_cbranch_vccnz .LBB180_318
; %bb.315:                              ;   in Loop: Header=BB180_6 Depth=1
	s_mov_b64 s[4:5], exec
	v_readlane_b32 s12, v62, 8
	v_readlane_b32 s13, v62, 9
	s_and_b64 s[12:13], s[4:5], s[12:13]
	s_mov_b64 exec, s[12:13]
	s_cbranch_execz .LBB180_317
; %bb.316:                              ;   in Loop: Header=BB180_6 Depth=1
	v_pk_mov_b32 v[4:5], s[28:29], s[28:29] op_sel:[0,1]
	ds_write_b64 v21, v[4:5] offset:5128
.LBB180_317:                            ;   in Loop: Header=BB180_6 Depth=1
	s_or_b64 exec, exec, s[4:5]
	s_waitcnt lgkmcnt(0)
	s_barrier
.LBB180_318:                            ;   in Loop: Header=BB180_6 Depth=1
	v_or_b32_e32 v33, s19, v33
	v_or_b32_e32 v32, s18, v32
	;; [unrolled: 1-line block ×4, first 2 shown]
	s_mov_b64 s[4:5], 0
	s_mov_b32 s12, 5
.LBB180_319:                            ;   in Loop: Header=BB180_6 Depth=1
	s_or_saveexec_b64 s[6:7], s[6:7]
	v_mov_b32_e32 v2, s12
	s_xor_b64 exec, exec, s[6:7]
; %bb.320:                              ;   in Loop: Header=BB180_6 Depth=1
	v_mov_b32_e32 v2, s29
	v_subrev_co_u32_e32 v36, vcc, s28, v36
	v_subb_co_u32_e32 v37, vcc, v37, v2, vcc
	v_mov_b32_e32 v2, 0
	s_or_b64 s[4:5], s[4:5], exec
; %bb.321:                              ;   in Loop: Header=BB180_6 Depth=1
	s_or_b64 exec, exec, s[6:7]
	s_and_b64 s[6:7], s[4:5], exec
	v_pk_mov_b32 v[38:39], v[36:37], v[36:37] op_sel:[0,1]
.LBB180_322:                            ;   in Loop: Header=BB180_6 Depth=1
	s_or_b64 exec, exec, s[2:3]
	s_mov_b64 s[40:41], -1
                                        ; implicit-def: $sgpr2_sgpr3
                                        ; implicit-def: $sgpr4_sgpr5
                                        ; implicit-def: $sgpr12_sgpr13
	s_and_saveexec_b64 s[28:29], s[6:7]
	s_xor_b64 s[28:29], exec, s[28:29]
	s_cbranch_execz .LBB180_471
; %bb.323:                              ;   in Loop: Header=BB180_6 Depth=1
	s_cmp_eq_u64 s[26:27], 1
	s_cselect_b64 s[2:3], -1, 0
	v_cmp_eq_u64_e32 vcc, 1, v[38:39]
	s_and_b64 s[2:3], s[2:3], vcc
	s_mov_b64 s[12:13], -1
                                        ; implicit-def: $sgpr40_sgpr41
                                        ; implicit-def: $sgpr44_sgpr45
                                        ; implicit-def: $sgpr46_sgpr47
	s_and_saveexec_b64 s[4:5], s[2:3]
	s_cbranch_execz .LBB180_357
; %bb.324:                              ;   in Loop: Header=BB180_6 Depth=1
	ds_read_b64 v[4:5], v21 offset:5120
	v_readlane_b32 s8, v62, 24
	v_readlane_b32 s9, v62, 25
	s_waitcnt lgkmcnt(0)
	s_barrier
	v_readfirstlane_b32 s12, v4
	v_readfirstlane_b32 s13, v5
	s_and_saveexec_b64 s[6:7], s[8:9]
	s_cbranch_execz .LBB180_326
; %bb.325:                              ;   in Loop: Header=BB180_6 Depth=1
	v_mov_b32_e32 v20, v21
	ds_write_b64 v50, v[20:21]
.LBB180_326:                            ;   in Loop: Header=BB180_6 Depth=1
	s_or_b64 exec, exec, s[6:7]
	s_lshl_b64 s[6:7], 2, s82
	v_and_b32_e32 v2, s21, v33
	v_and_b32_e32 v4, s20, v32
	v_or_b32_e32 v33, s7, v2
	v_or_b32_e32 v32, s6, v4
	;; [unrolled: 1-line block ×4, first 2 shown]
	s_cmp_eq_u64 s[12:13], 0
	s_waitcnt lgkmcnt(0)
	s_barrier
	s_cbranch_scc1 .LBB180_340
; %bb.327:                              ;   in Loop: Header=BB180_6 Depth=1
	v_readlane_b32 s6, v62, 28
	s_add_u32 s44, s6, s12
	v_readlane_b32 s6, v62, 30
	s_addc_u32 s7, s6, s13
	s_mov_b32 s6, s83
	s_cmp_lg_u64 s[6:7], 0
	s_cbranch_scc0 .LBB180_384
; %bb.328:                              ;   in Loop: Header=BB180_6 Depth=1
	v_cvt_f32_u32_e32 v2, s33
	s_sub_u32 s6, 0, s33
	s_subb_u32 s40, 0, 0
	v_mac_f32_e32 v2, 0, v53
	v_rcp_f32_e32 v2, v2
	v_mul_f32_e32 v2, 0x5f7ffffc, v2
	v_mul_f32_e32 v4, 0x2f800000, v2
	v_trunc_f32_e32 v4, v4
	v_mac_f32_e32 v2, 0xcf800000, v4
	v_cvt_u32_f32_e32 v4, v4
	v_cvt_u32_f32_e32 v2, v2
	v_readfirstlane_b32 s41, v4
	v_readfirstlane_b32 s45, v2
	s_mul_i32 s46, s6, s41
	s_mul_hi_u32 s48, s6, s45
	s_mul_i32 s47, s40, s45
	s_add_i32 s46, s48, s46
	s_mul_i32 s49, s6, s45
	s_add_i32 s46, s46, s47
	s_mul_hi_u32 s48, s45, s49
	s_mul_hi_u32 s47, s45, s46
	s_mul_i32 s45, s45, s46
	s_add_u32 s45, s48, s45
	s_addc_u32 s47, 0, s47
	s_mul_hi_u32 s50, s41, s49
	s_mul_i32 s49, s41, s49
	s_add_u32 s45, s45, s49
	s_mul_hi_u32 s48, s41, s46
	s_addc_u32 s45, s47, s50
	s_addc_u32 s47, s48, 0
	s_mul_i32 s46, s41, s46
	s_add_u32 s45, s45, s46
	s_addc_u32 s46, 0, s47
	v_add_co_u32_e32 v2, vcc, s45, v2
	s_cmp_lg_u64 vcc, 0
	s_addc_u32 s41, s41, s46
	v_readfirstlane_b32 s46, v2
	s_mul_i32 s45, s6, s41
	s_mul_hi_u32 s47, s6, s46
	s_add_i32 s45, s47, s45
	s_mul_i32 s40, s40, s46
	s_add_i32 s45, s45, s40
	s_mul_i32 s6, s6, s46
	s_mul_hi_u32 s47, s41, s6
	s_mul_i32 s48, s41, s6
	s_mul_i32 s50, s46, s45
	s_mul_hi_u32 s6, s46, s6
	s_mul_hi_u32 s49, s46, s45
	s_add_u32 s6, s6, s50
	s_addc_u32 s46, 0, s49
	s_add_u32 s6, s6, s48
	s_mul_hi_u32 s40, s41, s45
	s_addc_u32 s6, s46, s47
	s_addc_u32 s40, s40, 0
	s_mul_i32 s45, s41, s45
	s_add_u32 s6, s6, s45
	s_addc_u32 s40, 0, s40
	v_add_co_u32_e32 v2, vcc, s6, v2
	s_cmp_lg_u64 vcc, 0
	s_addc_u32 s6, s41, s40
	v_readfirstlane_b32 s45, v2
	s_mul_i32 s41, s44, s6
	s_mul_hi_u32 s46, s44, s45
	s_mul_hi_u32 s40, s44, s6
	s_add_u32 s41, s46, s41
	s_addc_u32 s40, 0, s40
	s_mul_hi_u32 s47, s7, s45
	s_mul_i32 s45, s7, s45
	s_add_u32 s41, s41, s45
	s_mul_hi_u32 s46, s7, s6
	s_addc_u32 s40, s40, s47
	s_addc_u32 s41, s46, 0
	s_mul_i32 s6, s7, s6
	s_add_u32 s6, s40, s6
	s_addc_u32 s40, 0, s41
	s_mul_hi_u32 s41, s33, s6
	s_mul_i32 s6, s33, s6
	s_mul_i32 s40, s33, s40
	v_mov_b32_e32 v2, s6
	s_add_i32 s41, s41, s40
	v_sub_co_u32_e32 v2, vcc, s44, v2
	s_cmp_lg_u64 vcc, 0
	s_subb_u32 s6, s7, s41
	v_subrev_co_u32_e32 v4, vcc, s33, v2
	s_cmp_lg_u64 vcc, 0
	s_subb_u32 s40, s6, 0
	v_subrev_co_u32_e32 v5, vcc, s33, v4
	s_cmp_lg_u64 vcc, 0
	s_subb_u32 s41, s40, 0
	v_cmp_le_u32_e32 vcc, s33, v4
	s_cmp_eq_u32 s40, 0
	v_cndmask_b32_e64 v6, 0, -1, vcc
	s_cselect_b64 vcc, -1, 0
	v_cndmask_b32_e32 v6, -1, v6, vcc
	v_mov_b32_e32 v7, s40
	v_mov_b32_e32 v8, s41
	v_cmp_ne_u32_e32 vcc, 0, v6
	v_cndmask_b32_e32 v6, v7, v8, vcc
	v_cndmask_b32_e32 v4, v4, v5, vcc
	v_cmp_le_u32_e32 vcc, s33, v2
	s_cmp_eq_u32 s6, 0
	v_cndmask_b32_e64 v5, 0, -1, vcc
	s_cselect_b64 vcc, -1, 0
	v_cndmask_b32_e32 v5, -1, v5, vcc
	v_mov_b32_e32 v7, s6
	v_cmp_ne_u32_e32 vcc, 0, v5
	v_cndmask_b32_e32 v5, v7, v6, vcc
	v_cndmask_b32_e32 v4, v2, v4, vcc
	s_cbranch_execnz .LBB180_330
.LBB180_329:                            ;   in Loop: Header=BB180_6 Depth=1
	v_cvt_f32_u32_e32 v2, s33
	s_sub_i32 s6, 0, s33
	v_rcp_iflag_f32_e32 v2, v2
	v_mul_f32_e32 v2, 0x4f7ffffe, v2
	v_cvt_u32_f32_e32 v2, v2
	v_mul_lo_u32 v4, s6, v2
	v_mul_hi_u32 v4, v2, v4
	v_add_u32_e32 v2, v2, v4
	v_mul_hi_u32 v2, s44, v2
	v_mul_lo_u32 v2, v2, s33
	v_sub_u32_e32 v2, s44, v2
	v_subrev_u32_e32 v4, s33, v2
	v_cmp_le_u32_e32 vcc, s33, v2
	v_cndmask_b32_e32 v2, v2, v4, vcc
	v_subrev_u32_e32 v4, s33, v2
	v_cmp_le_u32_e32 vcc, s33, v2
	v_cndmask_b32_e32 v20, v2, v4, vcc
	v_pk_mov_b32 v[4:5], v[20:21], v[20:21] op_sel:[0,1]
.LBB180_330:                            ;   in Loop: Header=BB180_6 Depth=1
	v_mov_b32_e32 v2, s7
	v_sub_co_u32_e32 v8, vcc, s44, v4
	v_subb_co_u32_e32 v9, vcc, v2, v5, vcc
	v_cmp_gt_u64_e32 vcc, v[8:9], v[0:1]
	s_mov_b64 s[6:7], 0
                                        ; implicit-def: $vgpr6_vgpr7
	s_and_saveexec_b64 s[40:41], vcc
	s_cbranch_execz .LBB180_342
; %bb.331:                              ;   in Loop: Header=BB180_6 Depth=1
	s_mov_b64 s[46:47], 0
	v_mov_b32_e32 v12, v49
	v_pk_mov_b32 v[10:11], v[0:1], v[0:1] op_sel:[0,1]
                                        ; implicit-def: $sgpr44_sgpr45
	s_branch .LBB180_333
.LBB180_332:                            ;   in Loop: Header=BB180_333 Depth=2
	s_or_b64 exec, exec, s[6:7]
	s_waitcnt lgkmcnt(0)
	s_barrier
	ds_read_b128 v[4:7], v21 offset:3072
	v_mov_b32_e32 v2, s0
	v_add_co_u32_e64 v10, s[6:7], s33, v10
	v_addc_co_u32_e64 v11, s[6:7], v11, v2, s[6:7]
	s_waitcnt lgkmcnt(0)
	v_cmp_neq_f64_e32 vcc, 0, v[4:5]
	v_cmp_ge_u64_e64 s[6:7], v[10:11], v[8:9]
	s_or_b64 s[6:7], s[6:7], vcc
	s_and_b64 s[6:7], exec, s[6:7]
	s_or_b64 s[46:47], s[6:7], s[46:47]
	s_andn2_b64 s[6:7], s[44:45], exec
	s_and_b64 s[44:45], vcc, exec
	v_add_u32_e32 v12, s88, v12
	s_or_b64 s[44:45], s[6:7], s[44:45]
	s_barrier
	s_andn2_b64 exec, exec, s[46:47]
	s_cbranch_execz .LBB180_341
.LBB180_333:                            ;   Parent Loop BB180_6 Depth=1
                                        ; =>  This Inner Loop Header: Depth=2
	v_cmp_gt_u64_e32 vcc, s[12:13], v[10:11]
	v_pk_mov_b32 v[4:5], 0, 0
	s_and_saveexec_b64 s[6:7], vcc
	s_cbranch_execz .LBB180_335
; %bb.334:                              ;   in Loop: Header=BB180_333 Depth=2
	ds_read_b64 v[4:5], v12
.LBB180_335:                            ;   in Loop: Header=BB180_333 Depth=2
	s_or_b64 exec, exec, s[6:7]
	s_and_saveexec_b64 s[6:7], vcc
	s_cbranch_execz .LBB180_332
; %bb.336:                              ;   in Loop: Header=BB180_333 Depth=2
	s_waitcnt lgkmcnt(0)
	v_ashrrev_i32_e32 v2, 31, v5
	v_or_b32_e32 v6, 0x80000000, v2
	v_xor_b32_e32 v6, v6, v5
	v_xor_b32_e32 v2, v2, v4
	v_cmp_o_f64_e32 vcc, v[4:5], v[4:5]
	v_cndmask_b32_e32 v6, -1, v6, vcc
	v_cndmask_b32_e32 v2, -1, v2, vcc
	v_and_b32_e32 v7, v6, v35
	v_and_b32_e32 v6, v2, v34
	v_cmp_eq_u64_e32 vcc, v[6:7], v[32:33]
	s_and_b64 exec, exec, vcc
	s_cbranch_execz .LBB180_332
; %bb.337:                              ;   in Loop: Header=BB180_333 Depth=2
	v_mov_b32_e32 v2, v21
	ds_write_b128 v21, v[2:5] offset:3072
	s_branch .LBB180_332
.LBB180_338:                            ;   in Loop: Header=BB180_6 Depth=1
                                        ; implicit-def: $vgpr4_vgpr5
	s_branch .LBB180_285
.LBB180_339:                            ;   in Loop: Header=BB180_6 Depth=1
                                        ; implicit-def: $vgpr4_vgpr5
	s_branch .LBB180_299
.LBB180_340:                            ;   in Loop: Header=BB180_6 Depth=1
	s_mov_b64 s[40:41], -1
	s_mov_b64 s[6:7], 0
                                        ; implicit-def: $sgpr44_sgpr45
                                        ; implicit-def: $vgpr6_vgpr7
	s_mov_b64 s[46:47], s[40:41]
	s_cbranch_execnz .LBB180_343
	s_branch .LBB180_356
.LBB180_341:                            ;   in Loop: Header=BB180_6 Depth=1
	s_or_b64 exec, exec, s[46:47]
	s_and_b64 s[6:7], s[44:45], exec
.LBB180_342:                            ;   in Loop: Header=BB180_6 Depth=1
	s_or_b64 exec, exec, s[40:41]
	s_mov_b64 s[40:41], 0
	s_mov_b64 s[44:45], -1
	s_mov_b64 s[46:47], s[40:41]
	s_branch .LBB180_356
.LBB180_343:                            ;   in Loop: Header=BB180_6 Depth=1
	v_readlane_b32 s8, v62, 31
	v_readlane_b32 s9, v62, 32
	s_mov_b32 s8, s83
	s_cmp_lg_u64 s[8:9], 0
	v_writelane_b32 v62, s8, 31
	v_writelane_b32 v62, s9, 32
	s_cbranch_scc0 .LBB180_385
; %bb.344:                              ;   in Loop: Header=BB180_6 Depth=1
	v_cvt_f32_u32_e32 v2, s33
	s_sub_u32 s6, 0, s33
	s_subb_u32 s7, 0, 0
	v_readlane_b32 s8, v62, 29
	v_mac_f32_e32 v2, 0, v53
	v_rcp_f32_e32 v2, v2
	v_mul_f32_e32 v2, 0x5f7ffffc, v2
	v_mul_f32_e32 v4, 0x2f800000, v2
	v_trunc_f32_e32 v4, v4
	v_mac_f32_e32 v2, 0xcf800000, v4
	v_cvt_u32_f32_e32 v4, v4
	v_cvt_u32_f32_e32 v2, v2
	v_readfirstlane_b32 s12, v4
	v_readfirstlane_b32 s13, v2
	s_mul_i32 s40, s6, s12
	s_mul_hi_u32 s44, s6, s13
	s_mul_i32 s41, s7, s13
	s_add_i32 s40, s44, s40
	s_mul_i32 s45, s6, s13
	s_add_i32 s40, s40, s41
	s_mul_hi_u32 s44, s13, s45
	s_mul_hi_u32 s41, s13, s40
	s_mul_i32 s13, s13, s40
	s_add_u32 s13, s44, s13
	s_addc_u32 s41, 0, s41
	s_mul_hi_u32 s46, s12, s45
	s_mul_i32 s45, s12, s45
	s_add_u32 s13, s13, s45
	s_mul_hi_u32 s44, s12, s40
	s_addc_u32 s13, s41, s46
	s_addc_u32 s41, s44, 0
	s_mul_i32 s40, s12, s40
	s_add_u32 s13, s13, s40
	s_addc_u32 s40, 0, s41
	v_add_co_u32_e32 v2, vcc, s13, v2
	s_cmp_lg_u64 vcc, 0
	s_addc_u32 s12, s12, s40
	v_readfirstlane_b32 s40, v2
	s_mul_i32 s13, s6, s12
	s_mul_hi_u32 s41, s6, s40
	s_add_i32 s13, s41, s13
	s_mul_i32 s7, s7, s40
	s_add_i32 s13, s13, s7
	s_mul_i32 s6, s6, s40
	s_mul_hi_u32 s41, s12, s6
	s_mul_i32 s44, s12, s6
	s_mul_i32 s46, s40, s13
	s_mul_hi_u32 s6, s40, s6
	s_mul_hi_u32 s45, s40, s13
	s_add_u32 s6, s6, s46
	s_addc_u32 s40, 0, s45
	s_add_u32 s6, s6, s44
	s_mul_hi_u32 s7, s12, s13
	s_addc_u32 s6, s40, s41
	s_addc_u32 s7, s7, 0
	s_mul_i32 s13, s12, s13
	s_add_u32 s6, s6, s13
	s_addc_u32 s7, 0, s7
	v_add_co_u32_e32 v2, vcc, s6, v2
	s_cmp_lg_u64 vcc, 0
	s_addc_u32 s6, s12, s7
	v_readfirstlane_b32 s13, v2
	s_mul_i32 s12, s8, s6
	s_mul_hi_u32 s40, s8, s13
	s_mul_hi_u32 s7, s8, s6
	s_add_u32 s12, s40, s12
	s_addc_u32 s7, 0, s7
	s_mul_hi_u32 s41, s9, s13
	s_mul_i32 s13, s9, s13
	s_add_u32 s12, s12, s13
	s_mul_hi_u32 s40, s9, s6
	s_addc_u32 s7, s7, s41
	s_addc_u32 s12, s40, 0
	s_mul_i32 s6, s9, s6
	s_add_u32 s6, s7, s6
	s_addc_u32 s7, 0, s12
	s_mul_hi_u32 s12, s33, s6
	s_mul_i32 s6, s33, s6
	s_mul_i32 s7, s33, s7
	v_mov_b32_e32 v2, s6
	s_add_i32 s12, s12, s7
	v_sub_co_u32_e32 v2, vcc, s8, v2
	s_cmp_lg_u64 vcc, 0
	s_subb_u32 s6, s9, s12
	v_subrev_co_u32_e32 v4, vcc, s33, v2
	s_cmp_lg_u64 vcc, 0
	s_subb_u32 s7, s6, 0
	v_subrev_co_u32_e32 v5, vcc, s33, v4
	s_cmp_lg_u64 vcc, 0
	s_subb_u32 s12, s7, 0
	v_cmp_le_u32_e32 vcc, s33, v4
	s_cmp_eq_u32 s7, 0
	v_cndmask_b32_e64 v6, 0, -1, vcc
	s_cselect_b64 vcc, -1, 0
	v_cndmask_b32_e32 v6, -1, v6, vcc
	v_mov_b32_e32 v7, s7
	v_mov_b32_e32 v8, s12
	v_cmp_ne_u32_e32 vcc, 0, v6
	v_cndmask_b32_e32 v6, v7, v8, vcc
	v_cndmask_b32_e32 v4, v4, v5, vcc
	v_cmp_le_u32_e32 vcc, s33, v2
	s_cmp_eq_u32 s6, 0
	v_cndmask_b32_e64 v5, 0, -1, vcc
	s_cselect_b64 vcc, -1, 0
	v_cndmask_b32_e32 v5, -1, v5, vcc
	v_mov_b32_e32 v7, s6
	v_cmp_ne_u32_e32 vcc, 0, v5
	v_cndmask_b32_e32 v5, v7, v6, vcc
	v_cndmask_b32_e32 v4, v2, v4, vcc
	s_cbranch_execnz .LBB180_346
.LBB180_345:                            ;   in Loop: Header=BB180_6 Depth=1
	v_cvt_f32_u32_e32 v2, s33
	s_sub_i32 s6, 0, s33
	v_rcp_iflag_f32_e32 v2, v2
	v_mul_f32_e32 v2, 0x4f7ffffe, v2
	v_cvt_u32_f32_e32 v2, v2
	v_mul_lo_u32 v4, s6, v2
	v_mul_hi_u32 v4, v2, v4
	v_add_u32_e32 v2, v2, v4
	v_readlane_b32 s6, v62, 29
	v_mul_hi_u32 v2, s6, v2
	v_mul_lo_u32 v2, v2, s33
	v_sub_u32_e32 v2, s6, v2
	v_subrev_u32_e32 v4, s33, v2
	v_cmp_le_u32_e32 vcc, s33, v2
	v_cndmask_b32_e32 v2, v2, v4, vcc
	v_subrev_u32_e32 v4, s33, v2
	v_cmp_le_u32_e32 vcc, s33, v2
	v_cndmask_b32_e32 v20, v2, v4, vcc
	v_pk_mov_b32 v[4:5], v[20:21], v[20:21] op_sel:[0,1]
.LBB180_346:                            ;   in Loop: Header=BB180_6 Depth=1
	v_readlane_b32 s6, v62, 31
	v_readlane_b32 s7, v62, 32
	;; [unrolled: 1-line block ×3, first 2 shown]
	v_mov_b32_e32 v2, s7
	v_sub_co_u32_e32 v8, vcc, s6, v4
	v_subb_co_u32_e32 v9, vcc, v2, v5, vcc
	v_cmp_gt_u64_e32 vcc, v[8:9], v[0:1]
	s_mov_b64 s[6:7], 0
                                        ; implicit-def: $vgpr6_vgpr7
	s_and_saveexec_b64 s[12:13], vcc
	s_cbranch_execz .LBB180_355
; %bb.347:                              ;   in Loop: Header=BB180_6 Depth=1
	s_mov_b64 s[44:45], 0
	v_pk_mov_b32 v[10:11], v[18:19], v[18:19] op_sel:[0,1]
	v_pk_mov_b32 v[12:13], v[0:1], v[0:1] op_sel:[0,1]
                                        ; implicit-def: $sgpr40_sgpr41
	s_branch .LBB180_349
.LBB180_348:                            ;   in Loop: Header=BB180_349 Depth=2
	s_or_b64 exec, exec, s[6:7]
	s_waitcnt lgkmcnt(0)
	s_barrier
	s_waitcnt vmcnt(0)
	ds_read_b128 v[4:7], v21 offset:3072
	v_mov_b32_e32 v2, s0
	v_add_co_u32_e64 v12, s[6:7], s33, v12
	v_addc_co_u32_e64 v13, s[6:7], v13, v2, s[6:7]
	s_waitcnt lgkmcnt(0)
	v_cmp_neq_f64_e32 vcc, 0, v[4:5]
	v_cmp_ge_u64_e64 s[6:7], v[12:13], v[8:9]
	s_or_b64 s[46:47], s[6:7], vcc
	v_mov_b32_e32 v2, s61
	v_add_co_u32_e64 v10, s[6:7], s60, v10
	v_addc_co_u32_e64 v11, s[6:7], v11, v2, s[6:7]
	s_and_b64 s[6:7], exec, s[46:47]
	s_or_b64 s[44:45], s[6:7], s[44:45]
	s_andn2_b64 s[6:7], s[40:41], exec
	s_and_b64 s[40:41], vcc, exec
	s_or_b64 s[40:41], s[6:7], s[40:41]
	s_barrier
	s_andn2_b64 exec, exec, s[44:45]
	s_cbranch_execz .LBB180_354
.LBB180_349:                            ;   Parent Loop BB180_6 Depth=1
                                        ; =>  This Inner Loop Header: Depth=2
	v_cmp_gt_u64_e32 vcc, s[56:57], v[12:13]
	v_pk_mov_b32 v[4:5], 0, 0
	s_and_saveexec_b64 s[6:7], vcc
	s_cbranch_execz .LBB180_351
; %bb.350:                              ;   in Loop: Header=BB180_349 Depth=2
	global_load_dwordx2 v[4:5], v[10:11], off
.LBB180_351:                            ;   in Loop: Header=BB180_349 Depth=2
	s_or_b64 exec, exec, s[6:7]
	s_and_saveexec_b64 s[6:7], vcc
	s_cbranch_execz .LBB180_348
; %bb.352:                              ;   in Loop: Header=BB180_349 Depth=2
	s_waitcnt vmcnt(0)
	v_ashrrev_i32_e32 v2, 31, v5
	v_or_b32_e32 v6, 0x80000000, v2
	v_xor_b32_e32 v6, v6, v5
	v_xor_b32_e32 v2, v2, v4
	v_cmp_o_f64_e32 vcc, v[4:5], v[4:5]
	v_cndmask_b32_e32 v6, -1, v6, vcc
	v_cndmask_b32_e32 v2, -1, v2, vcc
	v_and_b32_e32 v7, v6, v35
	v_and_b32_e32 v6, v2, v34
	v_cmp_eq_u64_e32 vcc, v[6:7], v[32:33]
	s_and_b64 exec, exec, vcc
	s_cbranch_execz .LBB180_348
; %bb.353:                              ;   in Loop: Header=BB180_349 Depth=2
	v_mov_b32_e32 v2, v21
	ds_write_b128 v21, v[2:5] offset:3072
	s_branch .LBB180_348
.LBB180_354:                            ;   in Loop: Header=BB180_6 Depth=1
	s_or_b64 exec, exec, s[44:45]
	s_and_b64 s[6:7], s[40:41], exec
.LBB180_355:                            ;   in Loop: Header=BB180_6 Depth=1
	s_or_b64 exec, exec, s[12:13]
	s_mov_b64 s[44:45], 0
	s_mov_b64 s[40:41], -1
	s_mov_b64 s[46:47], 0
.LBB180_356:                            ;   in Loop: Header=BB180_6 Depth=1
	s_orn2_b64 s[12:13], s[6:7], exec
.LBB180_357:                            ;   in Loop: Header=BB180_6 Depth=1
	s_or_b64 exec, exec, s[4:5]
	s_mov_b64 s[6:7], 0
                                        ; implicit-def: $vgpr2
	s_and_saveexec_b64 s[48:49], s[12:13]
	s_cbranch_execz .LBB180_470
; %bb.358:                              ;   in Loop: Header=BB180_6 Depth=1
	v_mov_b32_e32 v8, 1
	s_xor_b64 s[4:5], s[2:3], -1
	v_mov_b32_e32 v9, 0
	v_mov_b32_e32 v2, 1
	s_and_saveexec_b64 s[2:3], s[4:5]
	s_cbranch_execz .LBB180_368
; %bb.359:                              ;   in Loop: Header=BB180_6 Depth=1
	v_cmp_ge_u64_e32 vcc, s[26:27], v[38:39]
                                        ; implicit-def: $sgpr12
                                        ; implicit-def: $sgpr4_sgpr5
	s_and_saveexec_b64 s[6:7], vcc
	s_xor_b64 s[6:7], exec, s[6:7]
	s_cbranch_execz .LBB180_365
; %bb.360:                              ;   in Loop: Header=BB180_6 Depth=1
	ds_read_b64 v[4:5], v21 offset:5120
	s_waitcnt lgkmcnt(0)
	v_cmp_ne_u64_e32 vcc, 0, v[4:5]
	s_cbranch_vccnz .LBB180_364
; %bb.361:                              ;   in Loop: Header=BB180_6 Depth=1
	s_mov_b64 s[4:5], exec
	v_readlane_b32 s12, v62, 8
	v_readlane_b32 s13, v62, 9
	s_and_b64 s[12:13], s[4:5], s[12:13]
	s_mov_b64 exec, s[12:13]
	s_cbranch_execz .LBB180_363
; %bb.362:                              ;   in Loop: Header=BB180_6 Depth=1
	v_pk_mov_b32 v[4:5], s[26:27], s[26:27] op_sel:[0,1]
	ds_write_b64 v21, v[4:5] offset:5128
.LBB180_363:                            ;   in Loop: Header=BB180_6 Depth=1
	s_or_b64 exec, exec, s[4:5]
	s_waitcnt lgkmcnt(0)
	s_barrier
.LBB180_364:                            ;   in Loop: Header=BB180_6 Depth=1
	s_lshl_b64 s[4:5], 2, s82
	v_and_b32_e32 v2, s21, v33
	v_and_b32_e32 v4, s20, v32
	v_or_b32_e32 v33, s5, v2
	v_or_b32_e32 v32, s4, v4
	;; [unrolled: 1-line block ×4, first 2 shown]
	s_mov_b64 s[4:5], 0
	s_mov_b32 s12, 5
.LBB180_365:                            ;   in Loop: Header=BB180_6 Depth=1
	s_or_saveexec_b64 s[6:7], s[6:7]
	v_mov_b32_e32 v2, s12
	s_xor_b64 exec, exec, s[6:7]
; %bb.366:                              ;   in Loop: Header=BB180_6 Depth=1
	v_mov_b32_e32 v2, s27
	v_subrev_co_u32_e32 v38, vcc, s26, v38
	v_subb_co_u32_e32 v39, vcc, v39, v2, vcc
	v_mov_b32_e32 v2, 0
	s_or_b64 s[4:5], s[4:5], exec
; %bb.367:                              ;   in Loop: Header=BB180_6 Depth=1
	s_or_b64 exec, exec, s[6:7]
	s_and_b64 s[6:7], s[4:5], exec
	v_pk_mov_b32 v[8:9], v[38:39], v[38:39] op_sel:[0,1]
.LBB180_368:                            ;   in Loop: Header=BB180_6 Depth=1
	s_or_b64 exec, exec, s[2:3]
	s_mov_b64 s[2:3], -1
                                        ; implicit-def: $sgpr4_sgpr5
                                        ; implicit-def: $sgpr12_sgpr13
                                        ; implicit-def: $sgpr52_sgpr53
	s_and_saveexec_b64 s[26:27], s[6:7]
	s_cbranch_execz .LBB180_469
; %bb.369:                              ;   in Loop: Header=BB180_6 Depth=1
	s_cmp_eq_u64 s[22:23], 1
	s_cselect_b64 s[2:3], -1, 0
	v_cmp_eq_u64_e32 vcc, 1, v[8:9]
	s_and_b64 s[12:13], s[2:3], vcc
	s_mov_b64 s[54:55], -1
                                        ; implicit-def: $sgpr2_sgpr3
                                        ; implicit-def: $sgpr50_sgpr51
                                        ; implicit-def: $sgpr4_sgpr5
	s_and_saveexec_b64 s[52:53], s[12:13]
	s_cbranch_execz .LBB180_403
; %bb.370:                              ;   in Loop: Header=BB180_6 Depth=1
	ds_read_b64 v[4:5], v21 offset:5120
	s_waitcnt lgkmcnt(0)
	s_barrier
	v_readfirstlane_b32 s2, v4
	v_readfirstlane_b32 s3, v5
	s_mov_b64 s[4:5], exec
	v_readlane_b32 s6, v62, 24
	v_readlane_b32 s7, v62, 25
	s_and_b64 s[6:7], s[4:5], s[6:7]
	s_mov_b64 exec, s[6:7]
	s_cbranch_execz .LBB180_372
; %bb.371:                              ;   in Loop: Header=BB180_6 Depth=1
	v_mov_b32_e32 v20, v21
	ds_write_b64 v50, v[20:21]
.LBB180_372:                            ;   in Loop: Header=BB180_6 Depth=1
	s_or_b64 exec, exec, s[4:5]
	s_lshl_b64 s[4:5], 1, s82
	v_and_b32_e32 v2, s21, v33
	v_and_b32_e32 v4, s20, v32
	v_or_b32_e32 v33, s5, v2
	v_or_b32_e32 v32, s4, v4
	;; [unrolled: 1-line block ×4, first 2 shown]
	s_cmp_eq_u64 s[2:3], 0
	s_waitcnt lgkmcnt(0)
	s_barrier
	s_cbranch_scc1 .LBB180_386
; %bb.373:                              ;   in Loop: Header=BB180_6 Depth=1
	v_readlane_b32 s4, v62, 28
	s_add_u32 s50, s4, s2
	v_readlane_b32 s4, v62, 30
	s_addc_u32 s5, s4, s3
	s_mov_b32 s4, s83
	s_cmp_lg_u64 s[4:5], 0
	s_cbranch_scc0 .LBB180_421
; %bb.374:                              ;   in Loop: Header=BB180_6 Depth=1
	v_cvt_f32_u32_e32 v2, s33
	s_sub_u32 s4, 0, s33
	s_subb_u32 s6, 0, 0
	v_mac_f32_e32 v2, 0, v53
	v_rcp_f32_e32 v2, v2
	v_mul_f32_e32 v2, 0x5f7ffffc, v2
	v_mul_f32_e32 v4, 0x2f800000, v2
	v_trunc_f32_e32 v4, v4
	v_mac_f32_e32 v2, 0xcf800000, v4
	v_cvt_u32_f32_e32 v4, v4
	v_cvt_u32_f32_e32 v2, v2
	v_readfirstlane_b32 s7, v4
	v_readfirstlane_b32 s51, v2
	s_mul_i32 s54, s4, s7
	s_mul_hi_u32 s72, s4, s51
	s_mul_i32 s55, s6, s51
	s_add_i32 s54, s72, s54
	s_mul_i32 s73, s4, s51
	s_add_i32 s54, s54, s55
	s_mul_hi_u32 s72, s51, s73
	s_mul_hi_u32 s55, s51, s54
	s_mul_i32 s51, s51, s54
	s_add_u32 s51, s72, s51
	s_addc_u32 s55, 0, s55
	s_mul_hi_u32 s78, s7, s73
	s_mul_i32 s73, s7, s73
	s_add_u32 s51, s51, s73
	s_mul_hi_u32 s72, s7, s54
	s_addc_u32 s51, s55, s78
	s_addc_u32 s55, s72, 0
	s_mul_i32 s54, s7, s54
	s_add_u32 s51, s51, s54
	s_addc_u32 s54, 0, s55
	v_add_co_u32_e32 v2, vcc, s51, v2
	s_cmp_lg_u64 vcc, 0
	s_addc_u32 s7, s7, s54
	v_readfirstlane_b32 s54, v2
	s_mul_i32 s51, s4, s7
	s_mul_hi_u32 s55, s4, s54
	s_add_i32 s51, s55, s51
	s_mul_i32 s6, s6, s54
	s_add_i32 s51, s51, s6
	s_mul_i32 s4, s4, s54
	s_mul_hi_u32 s55, s7, s4
	s_mul_i32 s72, s7, s4
	s_mul_i32 s78, s54, s51
	s_mul_hi_u32 s4, s54, s4
	s_mul_hi_u32 s73, s54, s51
	s_add_u32 s4, s4, s78
	s_addc_u32 s54, 0, s73
	s_add_u32 s4, s4, s72
	s_mul_hi_u32 s6, s7, s51
	s_addc_u32 s4, s54, s55
	s_addc_u32 s6, s6, 0
	s_mul_i32 s51, s7, s51
	s_add_u32 s4, s4, s51
	s_addc_u32 s6, 0, s6
	v_add_co_u32_e32 v2, vcc, s4, v2
	s_cmp_lg_u64 vcc, 0
	s_addc_u32 s4, s7, s6
	v_readfirstlane_b32 s51, v2
	s_mul_i32 s7, s50, s4
	s_mul_hi_u32 s54, s50, s51
	s_mul_hi_u32 s6, s50, s4
	s_add_u32 s7, s54, s7
	s_addc_u32 s6, 0, s6
	s_mul_hi_u32 s55, s5, s51
	s_mul_i32 s51, s5, s51
	s_add_u32 s7, s7, s51
	s_mul_hi_u32 s54, s5, s4
	s_addc_u32 s6, s6, s55
	s_addc_u32 s7, s54, 0
	s_mul_i32 s4, s5, s4
	s_add_u32 s4, s6, s4
	s_addc_u32 s6, 0, s7
	s_mul_hi_u32 s7, s33, s4
	s_mul_i32 s4, s33, s4
	s_mul_i32 s6, s33, s6
	v_mov_b32_e32 v2, s4
	s_add_i32 s7, s7, s6
	v_sub_co_u32_e32 v2, vcc, s50, v2
	s_cmp_lg_u64 vcc, 0
	s_subb_u32 s4, s5, s7
	v_subrev_co_u32_e32 v4, vcc, s33, v2
	s_cmp_lg_u64 vcc, 0
	s_subb_u32 s6, s4, 0
	v_subrev_co_u32_e32 v5, vcc, s33, v4
	s_cmp_lg_u64 vcc, 0
	s_subb_u32 s7, s6, 0
	v_cmp_le_u32_e32 vcc, s33, v4
	s_cmp_eq_u32 s6, 0
	v_cndmask_b32_e64 v6, 0, -1, vcc
	s_cselect_b64 vcc, -1, 0
	v_cndmask_b32_e32 v6, -1, v6, vcc
	v_mov_b32_e32 v7, s6
	v_mov_b32_e32 v10, s7
	v_cmp_ne_u32_e32 vcc, 0, v6
	v_cndmask_b32_e32 v6, v7, v10, vcc
	v_cndmask_b32_e32 v4, v4, v5, vcc
	v_cmp_le_u32_e32 vcc, s33, v2
	s_cmp_eq_u32 s4, 0
	v_cndmask_b32_e64 v5, 0, -1, vcc
	s_cselect_b64 vcc, -1, 0
	v_cndmask_b32_e32 v5, -1, v5, vcc
	v_mov_b32_e32 v7, s4
	v_cmp_ne_u32_e32 vcc, 0, v5
	v_cndmask_b32_e32 v5, v7, v6, vcc
	v_cndmask_b32_e32 v4, v2, v4, vcc
	s_cbranch_execnz .LBB180_376
.LBB180_375:                            ;   in Loop: Header=BB180_6 Depth=1
	v_cvt_f32_u32_e32 v2, s33
	s_sub_i32 s4, 0, s33
	v_rcp_iflag_f32_e32 v2, v2
	v_mul_f32_e32 v2, 0x4f7ffffe, v2
	v_cvt_u32_f32_e32 v2, v2
	v_mul_lo_u32 v4, s4, v2
	v_mul_hi_u32 v4, v2, v4
	v_add_u32_e32 v2, v2, v4
	v_mul_hi_u32 v2, s50, v2
	v_mul_lo_u32 v2, v2, s33
	v_sub_u32_e32 v2, s50, v2
	v_subrev_u32_e32 v4, s33, v2
	v_cmp_le_u32_e32 vcc, s33, v2
	v_cndmask_b32_e32 v2, v2, v4, vcc
	v_subrev_u32_e32 v4, s33, v2
	v_cmp_le_u32_e32 vcc, s33, v2
	v_cndmask_b32_e32 v20, v2, v4, vcc
	v_pk_mov_b32 v[4:5], v[20:21], v[20:21] op_sel:[0,1]
.LBB180_376:                            ;   in Loop: Header=BB180_6 Depth=1
	v_mov_b32_e32 v2, s5
	v_sub_co_u32_e32 v10, vcc, s50, v4
	v_subb_co_u32_e32 v11, vcc, v2, v5, vcc
	v_cmp_gt_u64_e32 vcc, v[10:11], v[0:1]
	s_mov_b64 s[6:7], 0
                                        ; implicit-def: $vgpr6_vgpr7
	s_and_saveexec_b64 s[4:5], vcc
	s_cbranch_execz .LBB180_388
; %bb.377:                              ;   in Loop: Header=BB180_6 Depth=1
	s_mov_b64 s[54:55], 0
	v_mov_b32_e32 v14, v49
	v_pk_mov_b32 v[12:13], v[0:1], v[0:1] op_sel:[0,1]
                                        ; implicit-def: $sgpr50_sgpr51
	s_branch .LBB180_379
.LBB180_378:                            ;   in Loop: Header=BB180_379 Depth=2
	s_or_b64 exec, exec, s[6:7]
	s_waitcnt lgkmcnt(0)
	s_barrier
	ds_read_b128 v[4:7], v21 offset:3072
	v_mov_b32_e32 v2, s0
	v_add_co_u32_e64 v12, s[6:7], s33, v12
	v_addc_co_u32_e64 v13, s[6:7], v13, v2, s[6:7]
	s_waitcnt lgkmcnt(0)
	v_cmp_neq_f64_e32 vcc, 0, v[4:5]
	v_cmp_ge_u64_e64 s[6:7], v[12:13], v[10:11]
	s_or_b64 s[6:7], s[6:7], vcc
	s_and_b64 s[6:7], exec, s[6:7]
	s_or_b64 s[54:55], s[6:7], s[54:55]
	s_andn2_b64 s[6:7], s[50:51], exec
	s_and_b64 s[50:51], vcc, exec
	v_add_u32_e32 v14, s88, v14
	s_or_b64 s[50:51], s[6:7], s[50:51]
	s_barrier
	s_andn2_b64 exec, exec, s[54:55]
	s_cbranch_execz .LBB180_387
.LBB180_379:                            ;   Parent Loop BB180_6 Depth=1
                                        ; =>  This Inner Loop Header: Depth=2
	v_cmp_gt_u64_e32 vcc, s[2:3], v[12:13]
	v_pk_mov_b32 v[4:5], 0, 0
	s_and_saveexec_b64 s[6:7], vcc
	s_cbranch_execz .LBB180_381
; %bb.380:                              ;   in Loop: Header=BB180_379 Depth=2
	ds_read_b64 v[4:5], v14
.LBB180_381:                            ;   in Loop: Header=BB180_379 Depth=2
	s_or_b64 exec, exec, s[6:7]
	s_and_saveexec_b64 s[6:7], vcc
	s_cbranch_execz .LBB180_378
; %bb.382:                              ;   in Loop: Header=BB180_379 Depth=2
	s_waitcnt lgkmcnt(0)
	v_ashrrev_i32_e32 v2, 31, v5
	v_or_b32_e32 v6, 0x80000000, v2
	v_xor_b32_e32 v6, v6, v5
	v_xor_b32_e32 v2, v2, v4
	v_cmp_o_f64_e32 vcc, v[4:5], v[4:5]
	v_cndmask_b32_e32 v6, -1, v6, vcc
	v_cndmask_b32_e32 v2, -1, v2, vcc
	v_and_b32_e32 v7, v6, v35
	v_and_b32_e32 v6, v2, v34
	v_cmp_eq_u64_e32 vcc, v[6:7], v[32:33]
	s_and_b64 exec, exec, vcc
	s_cbranch_execz .LBB180_378
; %bb.383:                              ;   in Loop: Header=BB180_379 Depth=2
	v_mov_b32_e32 v2, v21
	ds_write_b128 v21, v[2:5] offset:3072
	s_branch .LBB180_378
.LBB180_384:                            ;   in Loop: Header=BB180_6 Depth=1
                                        ; implicit-def: $vgpr4_vgpr5
	s_branch .LBB180_329
.LBB180_385:                            ;   in Loop: Header=BB180_6 Depth=1
                                        ; implicit-def: $vgpr4_vgpr5
	s_branch .LBB180_345
.LBB180_386:                            ;   in Loop: Header=BB180_6 Depth=1
	s_mov_b64 s[2:3], -1
	s_mov_b64 s[6:7], 0
                                        ; implicit-def: $sgpr50_sgpr51
                                        ; implicit-def: $vgpr6_vgpr7
	s_mov_b64 s[4:5], s[2:3]
	s_cbranch_execnz .LBB180_389
	s_branch .LBB180_402
.LBB180_387:                            ;   in Loop: Header=BB180_6 Depth=1
	s_or_b64 exec, exec, s[54:55]
	s_and_b64 s[6:7], s[50:51], exec
.LBB180_388:                            ;   in Loop: Header=BB180_6 Depth=1
	s_or_b64 exec, exec, s[4:5]
	s_mov_b64 s[2:3], 0
	s_mov_b64 s[50:51], -1
	s_mov_b64 s[4:5], s[2:3]
	s_branch .LBB180_402
.LBB180_389:                            ;   in Loop: Header=BB180_6 Depth=1
	v_readlane_b32 s8, v62, 31
	v_readlane_b32 s9, v62, 32
	s_mov_b32 s8, s83
	s_cmp_lg_u64 s[8:9], 0
	v_writelane_b32 v62, s8, 31
	v_writelane_b32 v62, s9, 32
	s_cbranch_scc0 .LBB180_422
; %bb.390:                              ;   in Loop: Header=BB180_6 Depth=1
	v_cvt_f32_u32_e32 v2, s33
	s_sub_u32 s2, 0, s33
	s_subb_u32 s3, 0, 0
	v_readlane_b32 s8, v62, 29
	v_mac_f32_e32 v2, 0, v53
	v_rcp_f32_e32 v2, v2
	v_mul_f32_e32 v2, 0x5f7ffffc, v2
	v_mul_f32_e32 v4, 0x2f800000, v2
	v_trunc_f32_e32 v4, v4
	v_mac_f32_e32 v2, 0xcf800000, v4
	v_cvt_u32_f32_e32 v4, v4
	v_cvt_u32_f32_e32 v2, v2
	v_readfirstlane_b32 s4, v4
	v_readfirstlane_b32 s5, v2
	s_mul_i32 s6, s2, s4
	s_mul_hi_u32 s50, s2, s5
	s_mul_i32 s7, s3, s5
	s_add_i32 s6, s50, s6
	s_mul_i32 s51, s2, s5
	s_add_i32 s6, s6, s7
	s_mul_hi_u32 s50, s5, s51
	s_mul_hi_u32 s7, s5, s6
	s_mul_i32 s5, s5, s6
	s_add_u32 s5, s50, s5
	s_addc_u32 s7, 0, s7
	s_mul_hi_u32 s54, s4, s51
	s_mul_i32 s51, s4, s51
	s_add_u32 s5, s5, s51
	s_mul_hi_u32 s50, s4, s6
	s_addc_u32 s5, s7, s54
	s_addc_u32 s7, s50, 0
	s_mul_i32 s6, s4, s6
	s_add_u32 s5, s5, s6
	s_addc_u32 s6, 0, s7
	v_add_co_u32_e32 v2, vcc, s5, v2
	s_cmp_lg_u64 vcc, 0
	s_addc_u32 s4, s4, s6
	v_readfirstlane_b32 s6, v2
	s_mul_i32 s5, s2, s4
	s_mul_hi_u32 s7, s2, s6
	s_add_i32 s5, s7, s5
	s_mul_i32 s3, s3, s6
	s_add_i32 s5, s5, s3
	s_mul_i32 s2, s2, s6
	s_mul_hi_u32 s7, s4, s2
	s_mul_i32 s50, s4, s2
	s_mul_i32 s54, s6, s5
	s_mul_hi_u32 s2, s6, s2
	s_mul_hi_u32 s51, s6, s5
	s_add_u32 s2, s2, s54
	s_addc_u32 s6, 0, s51
	s_add_u32 s2, s2, s50
	s_mul_hi_u32 s3, s4, s5
	s_addc_u32 s2, s6, s7
	s_addc_u32 s3, s3, 0
	s_mul_i32 s5, s4, s5
	s_add_u32 s2, s2, s5
	s_addc_u32 s3, 0, s3
	v_add_co_u32_e32 v2, vcc, s2, v2
	s_cmp_lg_u64 vcc, 0
	s_addc_u32 s2, s4, s3
	v_readfirstlane_b32 s5, v2
	s_mul_i32 s4, s8, s2
	s_mul_hi_u32 s6, s8, s5
	s_mul_hi_u32 s3, s8, s2
	s_add_u32 s4, s6, s4
	s_addc_u32 s3, 0, s3
	s_mul_hi_u32 s7, s9, s5
	s_mul_i32 s5, s9, s5
	s_add_u32 s4, s4, s5
	s_mul_hi_u32 s6, s9, s2
	s_addc_u32 s3, s3, s7
	s_addc_u32 s4, s6, 0
	s_mul_i32 s2, s9, s2
	s_add_u32 s2, s3, s2
	s_addc_u32 s3, 0, s4
	s_mul_hi_u32 s4, s33, s2
	s_mul_i32 s2, s33, s2
	s_mul_i32 s3, s33, s3
	v_mov_b32_e32 v2, s2
	s_add_i32 s4, s4, s3
	v_sub_co_u32_e32 v2, vcc, s8, v2
	s_cmp_lg_u64 vcc, 0
	s_subb_u32 s2, s9, s4
	v_subrev_co_u32_e32 v4, vcc, s33, v2
	s_cmp_lg_u64 vcc, 0
	s_subb_u32 s3, s2, 0
	v_subrev_co_u32_e32 v5, vcc, s33, v4
	s_cmp_lg_u64 vcc, 0
	s_subb_u32 s4, s3, 0
	v_cmp_le_u32_e32 vcc, s33, v4
	s_cmp_eq_u32 s3, 0
	v_cndmask_b32_e64 v6, 0, -1, vcc
	s_cselect_b64 vcc, -1, 0
	v_cndmask_b32_e32 v6, -1, v6, vcc
	v_mov_b32_e32 v7, s3
	v_mov_b32_e32 v10, s4
	v_cmp_ne_u32_e32 vcc, 0, v6
	v_cndmask_b32_e32 v6, v7, v10, vcc
	v_cndmask_b32_e32 v4, v4, v5, vcc
	v_cmp_le_u32_e32 vcc, s33, v2
	s_cmp_eq_u32 s2, 0
	v_cndmask_b32_e64 v5, 0, -1, vcc
	s_cselect_b64 vcc, -1, 0
	v_cndmask_b32_e32 v5, -1, v5, vcc
	v_mov_b32_e32 v7, s2
	v_cmp_ne_u32_e32 vcc, 0, v5
	v_cndmask_b32_e32 v5, v7, v6, vcc
	v_cndmask_b32_e32 v4, v2, v4, vcc
	s_cbranch_execnz .LBB180_392
.LBB180_391:                            ;   in Loop: Header=BB180_6 Depth=1
	v_cvt_f32_u32_e32 v2, s33
	s_sub_i32 s2, 0, s33
	v_rcp_iflag_f32_e32 v2, v2
	v_mul_f32_e32 v2, 0x4f7ffffe, v2
	v_cvt_u32_f32_e32 v2, v2
	v_mul_lo_u32 v4, s2, v2
	v_mul_hi_u32 v4, v2, v4
	v_add_u32_e32 v2, v2, v4
	v_readlane_b32 s2, v62, 29
	v_mul_hi_u32 v2, s2, v2
	v_mul_lo_u32 v2, v2, s33
	v_sub_u32_e32 v2, s2, v2
	v_subrev_u32_e32 v4, s33, v2
	v_cmp_le_u32_e32 vcc, s33, v2
	v_cndmask_b32_e32 v2, v2, v4, vcc
	v_subrev_u32_e32 v4, s33, v2
	v_cmp_le_u32_e32 vcc, s33, v2
	v_cndmask_b32_e32 v20, v2, v4, vcc
	v_pk_mov_b32 v[4:5], v[20:21], v[20:21] op_sel:[0,1]
.LBB180_392:                            ;   in Loop: Header=BB180_6 Depth=1
	v_readlane_b32 s2, v62, 31
	v_readlane_b32 s3, v62, 32
	;; [unrolled: 1-line block ×3, first 2 shown]
	v_mov_b32_e32 v2, s3
	v_sub_co_u32_e32 v10, vcc, s2, v4
	v_subb_co_u32_e32 v11, vcc, v2, v5, vcc
	v_cmp_gt_u64_e32 vcc, v[10:11], v[0:1]
	s_mov_b64 s[6:7], 0
                                        ; implicit-def: $vgpr6_vgpr7
	s_and_saveexec_b64 s[2:3], vcc
	s_cbranch_execz .LBB180_401
; %bb.393:                              ;   in Loop: Header=BB180_6 Depth=1
	s_mov_b64 s[50:51], 0
	v_pk_mov_b32 v[12:13], v[18:19], v[18:19] op_sel:[0,1]
	v_pk_mov_b32 v[14:15], v[0:1], v[0:1] op_sel:[0,1]
                                        ; implicit-def: $sgpr4_sgpr5
	s_branch .LBB180_395
.LBB180_394:                            ;   in Loop: Header=BB180_395 Depth=2
	s_or_b64 exec, exec, s[6:7]
	s_waitcnt lgkmcnt(0)
	s_barrier
	s_waitcnt vmcnt(0)
	ds_read_b128 v[4:7], v21 offset:3072
	v_mov_b32_e32 v2, s0
	v_add_co_u32_e64 v14, s[6:7], s33, v14
	v_addc_co_u32_e64 v15, s[6:7], v15, v2, s[6:7]
	s_waitcnt lgkmcnt(0)
	v_cmp_neq_f64_e32 vcc, 0, v[4:5]
	v_cmp_ge_u64_e64 s[6:7], v[14:15], v[10:11]
	s_or_b64 s[54:55], s[6:7], vcc
	v_mov_b32_e32 v2, s61
	v_add_co_u32_e64 v12, s[6:7], s60, v12
	v_addc_co_u32_e64 v13, s[6:7], v13, v2, s[6:7]
	s_and_b64 s[6:7], exec, s[54:55]
	s_or_b64 s[50:51], s[6:7], s[50:51]
	s_andn2_b64 s[4:5], s[4:5], exec
	s_and_b64 s[6:7], vcc, exec
	s_or_b64 s[4:5], s[4:5], s[6:7]
	s_barrier
	s_andn2_b64 exec, exec, s[50:51]
	s_cbranch_execz .LBB180_400
.LBB180_395:                            ;   Parent Loop BB180_6 Depth=1
                                        ; =>  This Inner Loop Header: Depth=2
	v_cmp_gt_u64_e32 vcc, s[56:57], v[14:15]
	v_pk_mov_b32 v[4:5], 0, 0
	s_and_saveexec_b64 s[6:7], vcc
	s_cbranch_execz .LBB180_397
; %bb.396:                              ;   in Loop: Header=BB180_395 Depth=2
	global_load_dwordx2 v[4:5], v[12:13], off
.LBB180_397:                            ;   in Loop: Header=BB180_395 Depth=2
	s_or_b64 exec, exec, s[6:7]
	s_and_saveexec_b64 s[6:7], vcc
	s_cbranch_execz .LBB180_394
; %bb.398:                              ;   in Loop: Header=BB180_395 Depth=2
	s_waitcnt vmcnt(0)
	v_ashrrev_i32_e32 v2, 31, v5
	v_or_b32_e32 v6, 0x80000000, v2
	v_xor_b32_e32 v6, v6, v5
	v_xor_b32_e32 v2, v2, v4
	v_cmp_o_f64_e32 vcc, v[4:5], v[4:5]
	v_cndmask_b32_e32 v6, -1, v6, vcc
	v_cndmask_b32_e32 v2, -1, v2, vcc
	v_and_b32_e32 v7, v6, v35
	v_and_b32_e32 v6, v2, v34
	v_cmp_eq_u64_e32 vcc, v[6:7], v[32:33]
	s_and_b64 exec, exec, vcc
	s_cbranch_execz .LBB180_394
; %bb.399:                              ;   in Loop: Header=BB180_395 Depth=2
	v_mov_b32_e32 v2, v21
	ds_write_b128 v21, v[2:5] offset:3072
	s_branch .LBB180_394
.LBB180_400:                            ;   in Loop: Header=BB180_6 Depth=1
	s_or_b64 exec, exec, s[50:51]
	s_and_b64 s[6:7], s[4:5], exec
.LBB180_401:                            ;   in Loop: Header=BB180_6 Depth=1
	s_or_b64 exec, exec, s[2:3]
	s_mov_b64 s[50:51], 0
	s_mov_b64 s[2:3], -1
	s_mov_b64 s[4:5], 0
.LBB180_402:                            ;   in Loop: Header=BB180_6 Depth=1
	s_orn2_b64 s[54:55], s[6:7], exec
.LBB180_403:                            ;   in Loop: Header=BB180_6 Depth=1
	s_or_b64 exec, exec, s[52:53]
	s_mov_b64 s[6:7], 0
                                        ; implicit-def: $vgpr2
	s_and_saveexec_b64 s[52:53], s[54:55]
	s_cbranch_execz .LBB180_468
; %bb.404:                              ;   in Loop: Header=BB180_6 Depth=1
	v_mov_b32_e32 v10, 1
	s_xor_b64 s[12:13], s[12:13], -1
	s_mov_b64 s[54:55], 0
	v_mov_b32_e32 v11, 0
	v_mov_b32_e32 v2, 1
	s_and_saveexec_b64 s[6:7], s[12:13]
	s_cbranch_execz .LBB180_414
; %bb.405:                              ;   in Loop: Header=BB180_6 Depth=1
	v_cmp_ge_u64_e32 vcc, s[22:23], v[8:9]
                                        ; implicit-def: $sgpr72
                                        ; implicit-def: $sgpr12_sgpr13
	s_and_saveexec_b64 s[54:55], vcc
	s_xor_b64 s[54:55], exec, s[54:55]
	s_cbranch_execz .LBB180_411
; %bb.406:                              ;   in Loop: Header=BB180_6 Depth=1
	ds_read_b64 v[4:5], v21 offset:5120
	s_waitcnt lgkmcnt(0)
	v_cmp_ne_u64_e32 vcc, 0, v[4:5]
	s_cbranch_vccnz .LBB180_410
; %bb.407:                              ;   in Loop: Header=BB180_6 Depth=1
	v_readlane_b32 s68, v62, 8
	v_readlane_b32 s69, v62, 9
	s_and_saveexec_b64 s[12:13], s[68:69]
	s_cbranch_execz .LBB180_409
; %bb.408:                              ;   in Loop: Header=BB180_6 Depth=1
	v_pk_mov_b32 v[4:5], s[22:23], s[22:23] op_sel:[0,1]
	ds_write_b64 v21, v[4:5] offset:5128
.LBB180_409:                            ;   in Loop: Header=BB180_6 Depth=1
	s_or_b64 exec, exec, s[12:13]
	s_waitcnt lgkmcnt(0)
	s_barrier
.LBB180_410:                            ;   in Loop: Header=BB180_6 Depth=1
	s_lshl_b64 s[12:13], 1, s82
	v_and_b32_e32 v2, s21, v33
	v_and_b32_e32 v4, s20, v32
	v_or_b32_e32 v33, s13, v2
	v_or_b32_e32 v32, s12, v4
	;; [unrolled: 1-line block ×4, first 2 shown]
	s_mov_b64 s[12:13], 0
	s_mov_b32 s72, 5
.LBB180_411:                            ;   in Loop: Header=BB180_6 Depth=1
	s_or_saveexec_b64 s[54:55], s[54:55]
	v_mov_b32_e32 v2, s72
	s_xor_b64 exec, exec, s[54:55]
; %bb.412:                              ;   in Loop: Header=BB180_6 Depth=1
	v_mov_b32_e32 v2, s23
	v_subrev_co_u32_e32 v8, vcc, s22, v8
	v_subb_co_u32_e32 v9, vcc, v9, v2, vcc
	v_mov_b32_e32 v2, 0
	s_or_b64 s[12:13], s[12:13], exec
; %bb.413:                              ;   in Loop: Header=BB180_6 Depth=1
	s_or_b64 exec, exec, s[54:55]
	s_and_b64 s[54:55], s[12:13], exec
	v_pk_mov_b32 v[10:11], v[8:9], v[8:9] op_sel:[0,1]
.LBB180_414:                            ;   in Loop: Header=BB180_6 Depth=1
	s_or_b64 exec, exec, s[6:7]
	s_mov_b64 s[12:13], -1
                                        ; implicit-def: $sgpr6_sgpr7
                                        ; implicit-def: $sgpr72_sgpr73
                                        ; implicit-def: $sgpr78_sgpr79
	s_and_saveexec_b64 s[22:23], s[54:55]
	s_cbranch_execz .LBB180_467
; %bb.415:                              ;   in Loop: Header=BB180_6 Depth=1
	s_cmp_eq_u64 s[16:17], 1
	s_cselect_b64 s[6:7], -1, 0
	v_cmp_eq_u64_e32 vcc, 1, v[10:11]
	s_and_b64 s[12:13], s[6:7], vcc
	s_mov_b64 s[80:81], -1
                                        ; implicit-def: $sgpr6_sgpr7
                                        ; implicit-def: $sgpr72_sgpr73
                                        ; implicit-def: $sgpr78_sgpr79
	s_and_saveexec_b64 s[54:55], s[12:13]
	s_cbranch_execz .LBB180_454
; %bb.416:                              ;   in Loop: Header=BB180_6 Depth=1
	ds_read_b64 v[4:5], v21 offset:5120
	v_readlane_b32 s8, v62, 24
	v_readlane_b32 s9, v62, 25
	s_waitcnt lgkmcnt(0)
	s_barrier
	v_readfirstlane_b32 s72, v4
	v_readfirstlane_b32 s73, v5
	s_and_saveexec_b64 s[6:7], s[8:9]
	s_cbranch_execz .LBB180_418
; %bb.417:                              ;   in Loop: Header=BB180_6 Depth=1
	v_mov_b32_e32 v20, v21
	ds_write_b64 v50, v[20:21]
.LBB180_418:                            ;   in Loop: Header=BB180_6 Depth=1
	s_or_b64 exec, exec, s[6:7]
	v_and_b32_e32 v33, s21, v33
	v_and_b32_e32 v32, s20, v32
	v_or_b32_e32 v35, s19, v35
	v_or_b32_e32 v34, s18, v34
	s_cmp_eq_u64 s[72:73], 0
	s_waitcnt lgkmcnt(0)
	s_barrier
	s_cbranch_scc1 .LBB180_423
; %bb.419:                              ;   in Loop: Header=BB180_6 Depth=1
	v_readlane_b32 s6, v62, 28
	s_add_u32 s80, s6, s72
	v_readlane_b32 s6, v62, 30
	s_addc_u32 s7, s6, s73
	s_mov_b32 s6, s83
	s_mov_b64 s[8:9], s[90:91]
	s_cmp_lg_u64 s[6:7], 0
	s_cbranch_scc0 .LBB180_424
; %bb.420:                              ;   in Loop: Header=BB180_6 Depth=1
	v_cvt_f32_u32_e32 v2, s33
	s_sub_u32 s6, 0, s33
	s_subb_u32 s78, 0, 0
	v_mac_f32_e32 v2, 0, v53
	v_rcp_f32_e32 v2, v2
	v_mul_f32_e32 v2, 0x5f7ffffc, v2
	v_mul_f32_e32 v4, 0x2f800000, v2
	v_trunc_f32_e32 v4, v4
	v_mac_f32_e32 v2, 0xcf800000, v4
	v_cvt_u32_f32_e32 v4, v4
	v_cvt_u32_f32_e32 v2, v2
	v_readfirstlane_b32 s79, v4
	v_readfirstlane_b32 s81, v2
	s_mul_i32 s82, s6, s79
	s_mul_hi_u32 s85, s6, s81
	s_mul_i32 s84, s78, s81
	s_add_i32 s82, s85, s82
	s_mul_i32 s89, s6, s81
	s_add_i32 s82, s82, s84
	s_mul_hi_u32 s85, s81, s89
	s_mul_hi_u32 s84, s81, s82
	s_mul_i32 s81, s81, s82
	s_add_u32 s81, s85, s81
	s_addc_u32 s84, 0, s84
	s_mul_hi_u32 s90, s79, s89
	s_mul_i32 s89, s79, s89
	s_add_u32 s81, s81, s89
	s_mul_hi_u32 s85, s79, s82
	s_addc_u32 s81, s84, s90
	s_addc_u32 s84, s85, 0
	s_mul_i32 s82, s79, s82
	s_add_u32 s81, s81, s82
	s_addc_u32 s82, 0, s84
	v_add_co_u32_e32 v2, vcc, s81, v2
	s_cmp_lg_u64 vcc, 0
	s_addc_u32 s79, s79, s82
	v_readfirstlane_b32 s82, v2
	s_mul_i32 s81, s6, s79
	s_mul_hi_u32 s84, s6, s82
	s_add_i32 s81, s84, s81
	s_mul_i32 s78, s78, s82
	s_add_i32 s81, s81, s78
	s_mul_i32 s6, s6, s82
	s_mul_hi_u32 s84, s79, s6
	s_mul_i32 s85, s79, s6
	s_mul_i32 s90, s82, s81
	s_mul_hi_u32 s6, s82, s6
	s_mul_hi_u32 s89, s82, s81
	s_add_u32 s6, s6, s90
	s_addc_u32 s82, 0, s89
	s_add_u32 s6, s6, s85
	s_mul_hi_u32 s78, s79, s81
	s_addc_u32 s6, s82, s84
	s_addc_u32 s78, s78, 0
	s_mul_i32 s81, s79, s81
	s_add_u32 s6, s6, s81
	s_addc_u32 s78, 0, s78
	v_add_co_u32_e32 v2, vcc, s6, v2
	s_cmp_lg_u64 vcc, 0
	s_addc_u32 s6, s79, s78
	v_readfirstlane_b32 s81, v2
	s_mul_i32 s79, s80, s6
	s_mul_hi_u32 s82, s80, s81
	s_mul_hi_u32 s78, s80, s6
	s_add_u32 s79, s82, s79
	s_addc_u32 s78, 0, s78
	s_mul_hi_u32 s84, s7, s81
	s_mul_i32 s81, s7, s81
	s_add_u32 s79, s79, s81
	s_mul_hi_u32 s82, s7, s6
	s_addc_u32 s78, s78, s84
	s_addc_u32 s79, s82, 0
	s_mul_i32 s6, s7, s6
	s_add_u32 s6, s78, s6
	s_addc_u32 s78, 0, s79
	s_mul_hi_u32 s79, s33, s6
	s_mul_i32 s6, s33, s6
	s_mul_i32 s78, s33, s78
	v_mov_b32_e32 v2, s6
	s_add_i32 s79, s79, s78
	v_sub_co_u32_e32 v2, vcc, s80, v2
	s_cmp_lg_u64 vcc, 0
	s_subb_u32 s6, s7, s79
	v_subrev_co_u32_e32 v4, vcc, s33, v2
	s_cmp_lg_u64 vcc, 0
	s_subb_u32 s78, s6, 0
	v_subrev_co_u32_e32 v5, vcc, s33, v4
	s_cmp_lg_u64 vcc, 0
	s_subb_u32 s79, s78, 0
	v_cmp_le_u32_e32 vcc, s33, v4
	s_cmp_eq_u32 s78, 0
	v_cndmask_b32_e64 v6, 0, -1, vcc
	s_cselect_b64 vcc, -1, 0
	v_cndmask_b32_e32 v6, -1, v6, vcc
	v_mov_b32_e32 v7, s78
	v_mov_b32_e32 v8, s79
	v_cmp_ne_u32_e32 vcc, 0, v6
	v_cndmask_b32_e32 v6, v7, v8, vcc
	v_cndmask_b32_e32 v4, v4, v5, vcc
	v_cmp_le_u32_e32 vcc, s33, v2
	s_cmp_eq_u32 s6, 0
	v_cndmask_b32_e64 v5, 0, -1, vcc
	s_cselect_b64 vcc, -1, 0
	v_cndmask_b32_e32 v5, -1, v5, vcc
	v_mov_b32_e32 v7, s6
	v_cmp_ne_u32_e32 vcc, 0, v5
	v_cndmask_b32_e32 v5, v7, v6, vcc
	v_cndmask_b32_e32 v4, v2, v4, vcc
	s_mov_b64 s[78:79], 0
	s_branch .LBB180_425
.LBB180_421:                            ;   in Loop: Header=BB180_6 Depth=1
                                        ; implicit-def: $vgpr4_vgpr5
	s_branch .LBB180_375
.LBB180_422:                            ;   in Loop: Header=BB180_6 Depth=1
                                        ; implicit-def: $vgpr4_vgpr5
	s_branch .LBB180_391
.LBB180_423:                            ;   in Loop: Header=BB180_6 Depth=1
	s_mov_b64 s[6:7], -1
	s_mov_b64 s[80:81], 0
                                        ; implicit-def: $sgpr72_sgpr73
                                        ; implicit-def: $vgpr6_vgpr7
	s_branch .LBB180_437
.LBB180_424:                            ;   in Loop: Header=BB180_6 Depth=1
	s_mov_b64 s[78:79], -1
                                        ; implicit-def: $vgpr4_vgpr5
.LBB180_425:                            ;   in Loop: Header=BB180_6 Depth=1
	s_andn2_b64 vcc, exec, s[78:79]
	s_cbranch_vccnz .LBB180_427
; %bb.426:                              ;   in Loop: Header=BB180_6 Depth=1
	v_cvt_f32_u32_e32 v2, s33
	s_sub_i32 s6, 0, s33
	v_rcp_iflag_f32_e32 v2, v2
	v_mul_f32_e32 v2, 0x4f7ffffe, v2
	v_cvt_u32_f32_e32 v2, v2
	v_mul_lo_u32 v4, s6, v2
	v_mul_hi_u32 v4, v2, v4
	v_add_u32_e32 v2, v2, v4
	v_mul_hi_u32 v2, s80, v2
	v_mul_lo_u32 v2, v2, s33
	v_sub_u32_e32 v2, s80, v2
	v_subrev_u32_e32 v4, s33, v2
	v_cmp_le_u32_e32 vcc, s33, v2
	v_cndmask_b32_e32 v2, v2, v4, vcc
	v_subrev_u32_e32 v4, s33, v2
	v_cmp_le_u32_e32 vcc, s33, v2
	v_cndmask_b32_e32 v20, v2, v4, vcc
	v_pk_mov_b32 v[4:5], v[20:21], v[20:21] op_sel:[0,1]
.LBB180_427:                            ;   in Loop: Header=BB180_6 Depth=1
	v_mov_b32_e32 v2, s7
	v_sub_co_u32_e32 v8, vcc, s80, v4
	v_subb_co_u32_e32 v9, vcc, v2, v5, vcc
	v_cmp_gt_u64_e32 vcc, v[8:9], v[0:1]
	s_mov_b64 s[80:81], 0
                                        ; implicit-def: $vgpr6_vgpr7
	s_and_saveexec_b64 s[78:79], vcc
	s_cbranch_execz .LBB180_436
; %bb.428:                              ;   in Loop: Header=BB180_6 Depth=1
	s_mov_b64 s[84:85], 0
	v_mov_b32_e32 v14, v49
	v_pk_mov_b32 v[12:13], v[0:1], v[0:1] op_sel:[0,1]
                                        ; implicit-def: $sgpr80_sgpr81
	s_branch .LBB180_430
.LBB180_429:                            ;   in Loop: Header=BB180_430 Depth=2
	s_or_b64 exec, exec, s[6:7]
	s_waitcnt lgkmcnt(0)
	s_barrier
	ds_read_b128 v[4:7], v21 offset:3072
	v_mov_b32_e32 v2, s0
	v_add_co_u32_e64 v12, s[6:7], s33, v12
	v_addc_co_u32_e64 v13, s[6:7], v13, v2, s[6:7]
	s_waitcnt lgkmcnt(0)
	v_cmp_neq_f64_e32 vcc, 0, v[4:5]
	v_cmp_ge_u64_e64 s[6:7], v[12:13], v[8:9]
	s_or_b64 s[6:7], s[6:7], vcc
	s_and_b64 s[6:7], exec, s[6:7]
	s_or_b64 s[84:85], s[6:7], s[84:85]
	s_andn2_b64 s[6:7], s[80:81], exec
	s_and_b64 s[80:81], vcc, exec
	v_add_u32_e32 v14, s88, v14
	s_or_b64 s[80:81], s[6:7], s[80:81]
	s_barrier
	s_andn2_b64 exec, exec, s[84:85]
	s_cbranch_execz .LBB180_435
.LBB180_430:                            ;   Parent Loop BB180_6 Depth=1
                                        ; =>  This Inner Loop Header: Depth=2
	v_cmp_gt_u64_e32 vcc, s[72:73], v[12:13]
	v_pk_mov_b32 v[4:5], 0, 0
	s_and_saveexec_b64 s[6:7], vcc
	s_cbranch_execz .LBB180_432
; %bb.431:                              ;   in Loop: Header=BB180_430 Depth=2
	ds_read_b64 v[4:5], v14
.LBB180_432:                            ;   in Loop: Header=BB180_430 Depth=2
	s_or_b64 exec, exec, s[6:7]
	s_and_saveexec_b64 s[6:7], vcc
	s_cbranch_execz .LBB180_429
; %bb.433:                              ;   in Loop: Header=BB180_430 Depth=2
	s_waitcnt lgkmcnt(0)
	v_ashrrev_i32_e32 v2, 31, v5
	v_or_b32_e32 v6, 0x80000000, v2
	v_xor_b32_e32 v6, v6, v5
	v_xor_b32_e32 v2, v2, v4
	v_cmp_o_f64_e32 vcc, v[4:5], v[4:5]
	v_cndmask_b32_e32 v6, -1, v6, vcc
	v_cndmask_b32_e32 v2, -1, v2, vcc
	v_and_b32_e32 v7, v6, v35
	v_and_b32_e32 v6, v2, v34
	v_cmp_eq_u64_e32 vcc, v[6:7], v[32:33]
	s_and_b64 exec, exec, vcc
	s_cbranch_execz .LBB180_429
; %bb.434:                              ;   in Loop: Header=BB180_430 Depth=2
	v_mov_b32_e32 v2, v21
	ds_write_b128 v21, v[2:5] offset:3072
	s_branch .LBB180_429
.LBB180_435:                            ;   in Loop: Header=BB180_6 Depth=1
	s_or_b64 exec, exec, s[84:85]
	s_and_b64 s[80:81], s[80:81], exec
.LBB180_436:                            ;   in Loop: Header=BB180_6 Depth=1
	s_or_b64 exec, exec, s[78:79]
	s_mov_b64 s[90:91], s[8:9]
	s_mov_b64 s[6:7], 0
	s_mov_b64 s[72:73], -1
.LBB180_437:                            ;   in Loop: Header=BB180_6 Depth=1
	s_and_b64 vcc, exec, s[6:7]
	s_mov_b64 s[78:79], s[6:7]
	s_cbranch_vccz .LBB180_453
; %bb.438:                              ;   in Loop: Header=BB180_6 Depth=1
	v_readlane_b32 s8, v62, 31
	v_readlane_b32 s9, v62, 32
	s_mov_b32 s8, s83
	s_cmp_lg_u64 s[8:9], 0
	v_writelane_b32 v62, s8, 31
	v_writelane_b32 v62, s9, 32
	s_cbranch_scc0 .LBB180_440
; %bb.439:                              ;   in Loop: Header=BB180_6 Depth=1
	v_cvt_f32_u32_e32 v2, s33
	s_sub_u32 s6, 0, s33
	s_subb_u32 s7, 0, 0
	v_readlane_b32 s8, v62, 29
	v_mac_f32_e32 v2, 0, v53
	v_rcp_f32_e32 v2, v2
	v_mul_f32_e32 v2, 0x5f7ffffc, v2
	v_mul_f32_e32 v4, 0x2f800000, v2
	v_trunc_f32_e32 v4, v4
	v_mac_f32_e32 v2, 0xcf800000, v4
	v_cvt_u32_f32_e32 v4, v4
	v_cvt_u32_f32_e32 v2, v2
	v_readfirstlane_b32 s72, v4
	v_readfirstlane_b32 s73, v2
	s_mul_i32 s78, s6, s72
	s_mul_hi_u32 s80, s6, s73
	s_mul_i32 s79, s7, s73
	s_add_i32 s78, s80, s78
	s_mul_i32 s81, s6, s73
	s_add_i32 s78, s78, s79
	s_mul_hi_u32 s80, s73, s81
	s_mul_hi_u32 s79, s73, s78
	s_mul_i32 s73, s73, s78
	s_add_u32 s73, s80, s73
	s_addc_u32 s79, 0, s79
	s_mul_hi_u32 s82, s72, s81
	s_mul_i32 s81, s72, s81
	s_add_u32 s73, s73, s81
	s_mul_hi_u32 s80, s72, s78
	s_addc_u32 s73, s79, s82
	s_addc_u32 s79, s80, 0
	s_mul_i32 s78, s72, s78
	s_add_u32 s73, s73, s78
	s_addc_u32 s78, 0, s79
	v_add_co_u32_e32 v2, vcc, s73, v2
	s_cmp_lg_u64 vcc, 0
	s_addc_u32 s72, s72, s78
	v_readfirstlane_b32 s78, v2
	s_mul_i32 s73, s6, s72
	s_mul_hi_u32 s79, s6, s78
	s_add_i32 s73, s79, s73
	s_mul_i32 s7, s7, s78
	s_add_i32 s73, s73, s7
	s_mul_i32 s6, s6, s78
	s_mul_hi_u32 s79, s72, s6
	s_mul_i32 s80, s72, s6
	s_mul_i32 s82, s78, s73
	s_mul_hi_u32 s6, s78, s6
	s_mul_hi_u32 s81, s78, s73
	s_add_u32 s6, s6, s82
	s_addc_u32 s78, 0, s81
	s_add_u32 s6, s6, s80
	s_mul_hi_u32 s7, s72, s73
	s_addc_u32 s6, s78, s79
	s_addc_u32 s7, s7, 0
	s_mul_i32 s73, s72, s73
	s_add_u32 s6, s6, s73
	s_addc_u32 s7, 0, s7
	v_add_co_u32_e32 v2, vcc, s6, v2
	s_cmp_lg_u64 vcc, 0
	s_addc_u32 s6, s72, s7
	v_readfirstlane_b32 s73, v2
	s_mul_i32 s72, s8, s6
	s_mul_hi_u32 s78, s8, s73
	s_mul_hi_u32 s7, s8, s6
	s_add_u32 s72, s78, s72
	s_addc_u32 s7, 0, s7
	s_mul_hi_u32 s79, s9, s73
	s_mul_i32 s73, s9, s73
	s_add_u32 s72, s72, s73
	s_mul_hi_u32 s78, s9, s6
	s_addc_u32 s7, s7, s79
	s_addc_u32 s72, s78, 0
	s_mul_i32 s6, s9, s6
	s_add_u32 s6, s7, s6
	s_addc_u32 s7, 0, s72
	s_mul_hi_u32 s72, s33, s6
	s_mul_i32 s6, s33, s6
	s_mul_i32 s7, s33, s7
	v_mov_b32_e32 v2, s6
	s_add_i32 s72, s72, s7
	v_sub_co_u32_e32 v2, vcc, s8, v2
	s_cmp_lg_u64 vcc, 0
	s_subb_u32 s6, s9, s72
	v_subrev_co_u32_e32 v4, vcc, s33, v2
	s_cmp_lg_u64 vcc, 0
	s_subb_u32 s7, s6, 0
	v_subrev_co_u32_e32 v5, vcc, s33, v4
	s_cmp_lg_u64 vcc, 0
	s_subb_u32 s72, s7, 0
	v_cmp_le_u32_e32 vcc, s33, v4
	s_cmp_eq_u32 s7, 0
	v_cndmask_b32_e64 v6, 0, -1, vcc
	s_cselect_b64 vcc, -1, 0
	v_cndmask_b32_e32 v6, -1, v6, vcc
	v_mov_b32_e32 v7, s7
	v_mov_b32_e32 v8, s72
	v_cmp_ne_u32_e32 vcc, 0, v6
	v_cndmask_b32_e32 v6, v7, v8, vcc
	v_cndmask_b32_e32 v4, v4, v5, vcc
	v_cmp_le_u32_e32 vcc, s33, v2
	s_cmp_eq_u32 s6, 0
	v_cndmask_b32_e64 v5, 0, -1, vcc
	s_cselect_b64 vcc, -1, 0
	v_cndmask_b32_e32 v5, -1, v5, vcc
	v_mov_b32_e32 v7, s6
	v_cmp_ne_u32_e32 vcc, 0, v5
	v_cndmask_b32_e32 v5, v7, v6, vcc
	v_cndmask_b32_e32 v4, v2, v4, vcc
	s_mov_b64 s[6:7], 0
	s_branch .LBB180_441
.LBB180_440:                            ;   in Loop: Header=BB180_6 Depth=1
	s_mov_b64 s[6:7], -1
                                        ; implicit-def: $vgpr4_vgpr5
.LBB180_441:                            ;   in Loop: Header=BB180_6 Depth=1
	s_andn2_b64 vcc, exec, s[6:7]
	s_cbranch_vccnz .LBB180_443
; %bb.442:                              ;   in Loop: Header=BB180_6 Depth=1
	v_cvt_f32_u32_e32 v2, s33
	s_sub_i32 s6, 0, s33
	v_rcp_iflag_f32_e32 v2, v2
	v_mul_f32_e32 v2, 0x4f7ffffe, v2
	v_cvt_u32_f32_e32 v2, v2
	v_mul_lo_u32 v4, s6, v2
	v_mul_hi_u32 v4, v2, v4
	v_add_u32_e32 v2, v2, v4
	v_readlane_b32 s6, v62, 29
	v_mul_hi_u32 v2, s6, v2
	v_mul_lo_u32 v2, v2, s33
	v_sub_u32_e32 v2, s6, v2
	v_subrev_u32_e32 v4, s33, v2
	v_cmp_le_u32_e32 vcc, s33, v2
	v_cndmask_b32_e32 v2, v2, v4, vcc
	v_subrev_u32_e32 v4, s33, v2
	v_cmp_le_u32_e32 vcc, s33, v2
	v_cndmask_b32_e32 v20, v2, v4, vcc
	v_pk_mov_b32 v[4:5], v[20:21], v[20:21] op_sel:[0,1]
.LBB180_443:                            ;   in Loop: Header=BB180_6 Depth=1
	v_readlane_b32 s6, v62, 31
	v_readlane_b32 s7, v62, 32
	;; [unrolled: 1-line block ×3, first 2 shown]
	v_mov_b32_e32 v2, s7
	v_sub_co_u32_e32 v8, vcc, s6, v4
	v_subb_co_u32_e32 v9, vcc, v2, v5, vcc
	v_cmp_gt_u64_e32 vcc, v[8:9], v[0:1]
	s_mov_b64 s[80:81], 0
                                        ; implicit-def: $vgpr6_vgpr7
	s_and_saveexec_b64 s[72:73], vcc
	s_cbranch_execz .LBB180_452
; %bb.444:                              ;   in Loop: Header=BB180_6 Depth=1
	v_pk_mov_b32 v[12:13], v[18:19], v[18:19] op_sel:[0,1]
	v_pk_mov_b32 v[14:15], v[0:1], v[0:1] op_sel:[0,1]
                                        ; implicit-def: $sgpr78_sgpr79
	s_branch .LBB180_446
.LBB180_445:                            ;   in Loop: Header=BB180_446 Depth=2
	s_or_b64 exec, exec, s[6:7]
	s_waitcnt lgkmcnt(0)
	s_barrier
	s_waitcnt vmcnt(0)
	ds_read_b128 v[4:7], v21 offset:3072
	v_mov_b32_e32 v2, s0
	v_add_co_u32_e64 v14, s[6:7], s33, v14
	v_addc_co_u32_e64 v15, s[6:7], v15, v2, s[6:7]
	s_waitcnt lgkmcnt(0)
	v_cmp_neq_f64_e32 vcc, 0, v[4:5]
	v_cmp_ge_u64_e64 s[6:7], v[14:15], v[8:9]
	s_or_b64 s[84:85], s[6:7], vcc
	v_mov_b32_e32 v2, s61
	v_add_co_u32_e64 v12, s[6:7], s60, v12
	v_addc_co_u32_e64 v13, s[6:7], v13, v2, s[6:7]
	s_and_b64 s[6:7], exec, s[84:85]
	s_or_b64 s[80:81], s[6:7], s[80:81]
	s_andn2_b64 s[6:7], s[78:79], exec
	s_and_b64 s[78:79], vcc, exec
	s_or_b64 s[78:79], s[6:7], s[78:79]
	s_barrier
	s_andn2_b64 exec, exec, s[80:81]
	s_cbranch_execz .LBB180_451
.LBB180_446:                            ;   Parent Loop BB180_6 Depth=1
                                        ; =>  This Inner Loop Header: Depth=2
	v_cmp_gt_u64_e32 vcc, s[56:57], v[14:15]
	v_pk_mov_b32 v[4:5], 0, 0
	s_and_saveexec_b64 s[6:7], vcc
	s_cbranch_execz .LBB180_448
; %bb.447:                              ;   in Loop: Header=BB180_446 Depth=2
	global_load_dwordx2 v[4:5], v[12:13], off
.LBB180_448:                            ;   in Loop: Header=BB180_446 Depth=2
	s_or_b64 exec, exec, s[6:7]
	s_and_saveexec_b64 s[6:7], vcc
	s_cbranch_execz .LBB180_445
; %bb.449:                              ;   in Loop: Header=BB180_446 Depth=2
	s_waitcnt vmcnt(0)
	v_ashrrev_i32_e32 v2, 31, v5
	v_or_b32_e32 v6, 0x80000000, v2
	v_xor_b32_e32 v6, v6, v5
	v_xor_b32_e32 v2, v2, v4
	v_cmp_o_f64_e32 vcc, v[4:5], v[4:5]
	v_cndmask_b32_e32 v6, -1, v6, vcc
	v_cndmask_b32_e32 v2, -1, v2, vcc
	v_and_b32_e32 v7, v6, v35
	v_and_b32_e32 v6, v2, v34
	v_cmp_eq_u64_e32 vcc, v[6:7], v[32:33]
	s_and_b64 exec, exec, vcc
	s_cbranch_execz .LBB180_445
; %bb.450:                              ;   in Loop: Header=BB180_446 Depth=2
	v_mov_b32_e32 v2, v21
	ds_write_b128 v21, v[2:5] offset:3072
	s_branch .LBB180_445
.LBB180_451:                            ;   in Loop: Header=BB180_6 Depth=1
	s_or_b64 exec, exec, s[80:81]
	s_and_b64 s[80:81], s[78:79], exec
.LBB180_452:                            ;   in Loop: Header=BB180_6 Depth=1
	s_or_b64 exec, exec, s[72:73]
	s_mov_b64 s[72:73], 0
	s_mov_b64 s[6:7], -1
	s_mov_b64 s[78:79], 0
.LBB180_453:                            ;   in Loop: Header=BB180_6 Depth=1
	s_orn2_b64 s[80:81], s[80:81], exec
.LBB180_454:                            ;   in Loop: Header=BB180_6 Depth=1
	s_or_b64 exec, exec, s[54:55]
	s_mov_b64 s[84:85], 0
                                        ; implicit-def: $vgpr2
                                        ; implicit-def: $vgpr4_vgpr5
	s_and_saveexec_b64 s[54:55], s[80:81]
	s_cbranch_execz .LBB180_466
; %bb.455:                              ;   in Loop: Header=BB180_6 Depth=1
	v_mov_b32_e32 v4, 1
	s_xor_b64 s[80:81], s[12:13], -1
	v_mov_b32_e32 v2, 1
	v_mov_b32_e32 v5, 0
	s_and_saveexec_b64 s[12:13], s[80:81]
	s_cbranch_execz .LBB180_465
; %bb.456:                              ;   in Loop: Header=BB180_6 Depth=1
	v_cmp_ge_u64_e32 vcc, s[16:17], v[10:11]
                                        ; implicit-def: $sgpr82
	s_and_saveexec_b64 s[80:81], vcc
	s_xor_b64 s[80:81], exec, s[80:81]
	s_cbranch_execz .LBB180_462
; %bb.457:                              ;   in Loop: Header=BB180_6 Depth=1
	ds_read_b64 v[4:5], v21 offset:5120
	s_waitcnt lgkmcnt(0)
	v_cmp_ne_u64_e32 vcc, 0, v[4:5]
	s_cbranch_vccnz .LBB180_461
; %bb.458:                              ;   in Loop: Header=BB180_6 Depth=1
	v_readlane_b32 s68, v62, 8
	s_mov_b64 s[8:9], s[90:91]
	v_readlane_b32 s69, v62, 9
	s_and_saveexec_b64 s[84:85], s[68:69]
	s_cbranch_execz .LBB180_460
; %bb.459:                              ;   in Loop: Header=BB180_6 Depth=1
	v_pk_mov_b32 v[4:5], s[16:17], s[16:17] op_sel:[0,1]
	ds_write_b64 v21, v[4:5] offset:5128
.LBB180_460:                            ;   in Loop: Header=BB180_6 Depth=1
	s_or_b64 exec, exec, s[84:85]
	s_mov_b64 s[90:91], s[8:9]
	s_waitcnt lgkmcnt(0)
	s_barrier
.LBB180_461:                            ;   in Loop: Header=BB180_6 Depth=1
	v_and_b32_e32 v33, s21, v33
	v_and_b32_e32 v32, s20, v32
	v_or_b32_e32 v35, s19, v35
	v_or_b32_e32 v34, s18, v34
	s_mov_b32 s82, 5
.LBB180_462:                            ;   in Loop: Header=BB180_6 Depth=1
	s_or_saveexec_b64 s[18:19], s[80:81]
	v_mov_b32_e32 v2, s82
	s_xor_b64 exec, exec, s[18:19]
; %bb.463:                              ;   in Loop: Header=BB180_6 Depth=1
	v_mov_b32_e32 v2, s17
	v_subrev_co_u32_e32 v10, vcc, s16, v10
	v_subb_co_u32_e32 v11, vcc, v11, v2, vcc
	v_mov_b32_e32 v2, 5
; %bb.464:                              ;   in Loop: Header=BB180_6 Depth=1
	s_or_b64 exec, exec, s[18:19]
	v_pk_mov_b32 v[4:5], v[10:11], v[10:11] op_sel:[0,1]
.LBB180_465:                            ;   in Loop: Header=BB180_6 Depth=1
	s_or_b64 exec, exec, s[12:13]
	s_mov_b64 s[84:85], exec
.LBB180_466:                            ;   in Loop: Header=BB180_6 Depth=1
	s_or_b64 exec, exec, s[54:55]
	s_orn2_b64 s[12:13], s[84:85], exec
	v_pk_mov_b32 v[10:11], v[4:5], v[4:5] op_sel:[0,1]
.LBB180_467:                            ;   in Loop: Header=BB180_6 Depth=1
	s_or_b64 exec, exec, s[22:23]
	s_andn2_b64 s[2:3], s[2:3], exec
	s_and_b64 s[6:7], s[6:7], exec
	s_or_b64 s[2:3], s[2:3], s[6:7]
	s_andn2_b64 s[6:7], s[50:51], exec
	s_and_b64 s[16:17], s[72:73], exec
	s_or_b64 s[50:51], s[6:7], s[16:17]
	;; [unrolled: 3-line block ×3, first 2 shown]
	s_and_b64 s[6:7], s[12:13], exec
	v_pk_mov_b32 v[8:9], v[10:11], v[10:11] op_sel:[0,1]
.LBB180_468:                            ;   in Loop: Header=BB180_6 Depth=1
	s_or_b64 exec, exec, s[52:53]
	s_and_b64 s[52:53], s[2:3], exec
	s_and_b64 s[12:13], s[50:51], exec
	;; [unrolled: 1-line block ×3, first 2 shown]
	s_orn2_b64 s[2:3], s[6:7], exec
.LBB180_469:                            ;   in Loop: Header=BB180_6 Depth=1
	s_or_b64 exec, exec, s[26:27]
	s_andn2_b64 s[6:7], s[40:41], exec
	s_and_b64 s[16:17], s[52:53], exec
	s_or_b64 s[40:41], s[6:7], s[16:17]
	s_andn2_b64 s[6:7], s[44:45], exec
	s_and_b64 s[12:13], s[12:13], exec
	s_or_b64 s[44:45], s[6:7], s[12:13]
	;; [unrolled: 3-line block ×3, first 2 shown]
	s_and_b64 s[6:7], s[2:3], exec
	v_pk_mov_b32 v[38:39], v[8:9], v[8:9] op_sel:[0,1]
.LBB180_470:                            ;   in Loop: Header=BB180_6 Depth=1
	s_or_b64 exec, exec, s[48:49]
	s_and_b64 s[12:13], s[40:41], exec
	s_and_b64 s[4:5], s[44:45], exec
	;; [unrolled: 1-line block ×3, first 2 shown]
	s_orn2_b64 s[40:41], s[6:7], exec
.LBB180_471:                            ;   in Loop: Header=BB180_6 Depth=1
	s_or_b64 exec, exec, s[28:29]
	s_mov_b64 s[6:7], s[36:37]
	s_mov_b64 s[16:17], s[34:35]
	s_and_saveexec_b64 s[18:19], s[40:41]
; %bb.472:                              ;   in Loop: Header=BB180_6 Depth=1
	v_cmp_ne_u32_e64 s[6:7], 5, v2
	v_cmp_eq_u32_e32 vcc, 5, v2
	s_andn2_b64 s[16:17], s[34:35], exec
	s_and_b64 s[6:7], s[6:7], exec
	s_or_b64 s[16:17], s[16:17], s[6:7]
	s_andn2_b64 s[6:7], s[36:37], exec
	s_and_b64 s[20:21], vcc, exec
	s_andn2_b64 s[12:13], s[12:13], exec
	s_andn2_b64 s[4:5], s[4:5], exec
	;; [unrolled: 1-line block ×3, first 2 shown]
	s_or_b64 s[6:7], s[6:7], s[20:21]
; %bb.473:                              ;   in Loop: Header=BB180_6 Depth=1
	s_or_b64 exec, exec, s[18:19]
	s_andn2_b64 s[14:15], s[14:15], exec
	s_and_b64 s[12:13], s[12:13], exec
	s_or_b64 s[14:15], s[14:15], s[12:13]
	s_andn2_b64 s[12:13], s[42:43], exec
	s_and_b64 s[4:5], s[4:5], exec
	s_or_b64 s[42:43], s[12:13], s[4:5]
	;; [unrolled: 3-line block ×5, first 2 shown]
	v_pk_mov_b32 v[12:13], v[32:33], v[32:33] op_sel:[0,1]
	v_pk_mov_b32 v[14:15], v[34:35], v[34:35] op_sel:[0,1]
	;; [unrolled: 1-line block ×3, first 2 shown]
.LBB180_474:                            ;   in Loop: Header=BB180_6 Depth=1
	s_or_b64 exec, exec, s[38:39]
	s_mov_b64 s[40:41], s[24:25]
	s_mov_b64 s[38:39], s[24:25]
	s_and_saveexec_b64 s[2:3], s[36:37]
.LBB180_475:                            ;   in Loop: Header=BB180_6 Depth=1
	v_mov_b32_e32 v2, 0
	s_andn2_b64 s[24:25], s[24:25], exec
	s_andn2_b64 s[14:15], s[14:15], exec
	;; [unrolled: 1-line block ×5, first 2 shown]
	s_or_b64 s[34:35], s[34:35], exec
.LBB180_476:                            ;   in Loop: Header=BB180_6 Depth=1
	s_or_b64 exec, exec, s[2:3]
	s_andn2_b64 s[2:3], s[86:87], exec
	s_and_b64 s[6:7], s[24:25], exec
	s_or_b64 s[86:87], s[2:3], s[6:7]
	s_andn2_b64 s[2:3], s[10:11], exec
	s_and_b64 s[6:7], s[14:15], exec
	s_or_b64 s[10:11], s[2:3], s[6:7]
	v_readlane_b32 s2, v62, 50
	v_readlane_b32 s3, v62, 51
	s_andn2_b64 s[2:3], s[2:3], exec
	s_and_b64 s[6:7], s[42:43], exec
	s_or_b64 s[36:37], s[2:3], s[6:7]
	v_readlane_b32 s2, v62, 48
	v_readlane_b32 s3, v62, 49
	;; [unrolled: 5-line block ×3, first 2 shown]
	s_andn2_b64 s[2:3], s[2:3], exec
	s_and_b64 s[6:7], s[38:39], exec
	s_mov_b64 s[4:5], -1
	s_or_b64 s[26:27], s[2:3], s[6:7]
                                        ; implicit-def: $vgpr34_vgpr35
                                        ; implicit-def: $vgpr32_vgpr33
                                        ; implicit-def: $vgpr36_vgpr37
                                        ; implicit-def: $vgpr6_vgpr7
	s_and_saveexec_b64 s[2:3], s[34:35]
	s_xor_b64 s[2:3], exec, s[2:3]
	s_cbranch_execz .LBB180_5
; %bb.477:                              ;   in Loop: Header=BB180_6 Depth=1
	v_cmp_eq_u32_e32 vcc, 0, v2
	s_mov_b64 s[6:7], -1
	s_and_saveexec_b64 s[12:13], vcc
	s_cbranch_execz .LBB180_4
; %bb.478:                              ;   in Loop: Header=BB180_6 Depth=1
	v_readlane_b32 s4, v62, 45
	s_xor_b32 s4, s4, 1
	v_writelane_b32 v62, s4, 45
	v_readlane_b32 s4, v62, 44
	s_add_i32 s14, s4, -2
	s_cmp_eq_u32 s4, 0
	s_cselect_b64 s[4:5], -1, 0
	s_xor_b64 s[6:7], exec, -1
	s_orn2_b64 s[4:5], s[4:5], exec
	v_writelane_b32 v62, s14, 44
	s_branch .LBB180_4
.LBB180_479:
	s_or_b64 exec, exec, s[74:75]
	s_xor_b64 s[4:5], s[92:93], -1
	s_xor_b64 s[14:15], s[64:65], -1
	;; [unrolled: 1-line block ×5, first 2 shown]
	s_mov_b64 s[8:9], 0
	s_and_saveexec_b64 s[10:11], s[6:7]
	s_xor_b64 s[6:7], exec, s[10:11]
	s_cbranch_execnz .LBB180_484
; %bb.480:
	s_andn2_saveexec_b64 s[0:1], s[6:7]
	s_cbranch_execnz .LBB180_503
.LBB180_481:
	s_or_b64 exec, exec, s[0:1]
	s_and_saveexec_b64 s[0:1], s[8:9]
.LBB180_482:
	; divergent unreachable
.LBB180_483:
	s_endpgm
.LBB180_484:
	s_mov_b64 s[10:11], 0
	s_and_saveexec_b64 s[8:9], s[12:13]
	s_xor_b64 s[8:9], exec, s[8:9]
	s_cbranch_execz .LBB180_501
; %bb.485:
	s_mov_b64 s[12:13], 0
	s_and_saveexec_b64 s[10:11], s[14:15]
	s_xor_b64 s[10:11], exec, s[10:11]
	s_cbranch_execz .LBB180_499
; %bb.486:
	;; [unrolled: 5-line block ×3, first 2 shown]
	s_and_saveexec_b64 s[4:5], s[2:3]
	s_xor_b64 s[2:3], exec, s[4:5]
; %bb.488:
	v_lshrrev_b32_e32 v2, 31, v13
	v_add_co_u32_e32 v2, vcc, -1, v2
	v_addc_co_u32_e64 v3, s[4:5], 0, -1, vcc
	v_or_b32_e32 v3, 0x80000000, v3
	v_xor_b32_e32 v11, v3, v13
	v_xor_b32_e32 v10, v2, v12
; %bb.489:
	s_or_b64 exec, exec, s[2:3]
	s_mov_b64 s[2:3], exec
	v_readlane_b32 s20, v62, 10
	v_readlane_b32 s21, v62, 11
	s_load_dwordx2 s[38:39], s[20:21], 0x0
	v_readlane_b32 s4, v62, 8
	v_readlane_b32 s5, v62, 9
	;; [unrolled: 1-line block ×3, first 2 shown]
	s_and_b64 s[4:5], s[2:3], s[4:5]
	v_readlane_b32 s41, v62, 17
	s_mov_b64 exec, s[4:5]
	s_cbranch_execz .LBB180_491
; %bb.490:
	v_mov_b32_e32 v2, 0
	v_mov_b32_e32 v3, v2
	ds_write_b64 v2, v[2:3] offset:5136
.LBB180_491:
	s_or_b64 exec, exec, s[2:3]
	s_waitcnt vmcnt(0)
	v_pk_mov_b32 v[4:5], 0, 0
	s_waitcnt lgkmcnt(0)
	s_barrier
	s_mov_b64 s[2:3], exec
	v_readlane_b32 s4, v62, 22
	v_readlane_b32 s5, v62, 23
	s_and_b64 s[4:5], s[2:3], s[4:5]
	s_mov_b64 exec, s[4:5]
	s_cbranch_execz .LBB180_493
; %bb.492:
	global_load_dwordx2 v[4:5], v[18:19], off
.LBB180_493:
	s_or_b64 exec, exec, s[2:3]
	v_readlane_b32 s4, v62, 4
	s_add_u32 s1, s56, 63
	v_readlane_b32 s2, v62, 12
	v_readlane_b32 s5, v62, 5
	;; [unrolled: 1-line block ×3, first 2 shown]
	s_addc_u32 s15, s57, 0
	s_and_b32 s14, s1, 0xffffffc0
	v_readlane_b32 s3, v62, 13
	s_mov_b32 s16, s2
	s_mul_i32 s1, s5, s2
	s_mul_hi_u32 s2, s4, s2
	v_readlane_b32 s19, v62, 1
	s_add_i32 s3, s2, s1
	s_mul_i32 s2, s4, s16
	s_mul_i32 s1, s19, s16
	s_mul_hi_u32 s4, s18, s16
	s_add_i32 s5, s4, s1
	s_mul_i32 s4, s18, s16
	s_lshl_b64 s[2:3], s[2:3], 3
	v_readlane_b32 s16, v62, 6
	v_readlane_b32 s17, v62, 7
	s_add_u32 s1, s16, s2
	s_addc_u32 s46, s17, s3
	s_load_dwordx2 s[16:17], s[20:21], 0x368
	s_load_dwordx2 s[18:19], s[20:21], 0x510
	v_ashrrev_i32_e32 v2, 31, v11
	v_or_b32_e32 v3, 0x80000000, v2
	s_lshl_b64 s[2:3], s[4:5], 3
	v_readlane_b32 s4, v62, 2
	v_xor_b32_e32 v3, v3, v11
	v_xor_b32_e32 v2, v2, v10
	v_cmp_o_f64_e32 vcc, v[10:11], v[10:11]
	v_readlane_b32 s5, v62, 3
	s_add_u32 s47, s4, s2
	v_cndmask_b32_e32 v3, -1, v3, vcc
	v_cndmask_b32_e32 v2, -1, v2, vcc
	s_addc_u32 s48, s5, s3
	v_cmp_gt_u64_e32 vcc, s[14:15], v[0:1]
	s_mov_b64 s[22:23], -1
	s_mov_b64 s[2:3], 0
	v_add_u32_e32 v24, s33, v0
	s_mov_b64 s[4:5], 0
	s_and_saveexec_b64 s[20:21], vcc
	s_cbranch_execnz .LBB180_504
; %bb.494:
	s_or_b64 exec, exec, s[20:21]
	s_and_saveexec_b64 s[20:21], s[22:23]
	s_cbranch_execnz .LBB180_521
.LBB180_495:
	s_or_b64 exec, exec, s[20:21]
	s_and_saveexec_b64 s[0:1], s[4:5]
	s_xor_b64 s[0:1], exec, s[0:1]
	s_cbranch_execnz .LBB180_545
.LBB180_496:
	s_or_b64 exec, exec, s[0:1]
	s_and_b64 s[14:15], s[2:3], exec
.LBB180_497:
	s_andn2_saveexec_b64 s[0:1], s[12:13]
	s_cbranch_execnz .LBB180_548
.LBB180_498:
	s_or_b64 exec, exec, s[0:1]
	s_and_b64 s[12:13], s[14:15], exec
.LBB180_499:
	s_andn2_saveexec_b64 s[0:1], s[10:11]
	s_cbranch_execnz .LBB180_547
.LBB180_500:
	s_or_b64 exec, exec, s[0:1]
	s_and_b64 s[10:11], s[12:13], exec
.LBB180_501:
	s_andn2_saveexec_b64 s[0:1], s[8:9]
	s_cbranch_execnz .LBB180_546
.LBB180_502:
	s_or_b64 exec, exec, s[0:1]
	s_and_b64 s[8:9], s[10:11], exec
	s_andn2_saveexec_b64 s[0:1], s[6:7]
	s_cbranch_execz .LBB180_481
.LBB180_503:
	s_or_b64 s[8:9], s[8:9], exec
	s_trap 2
	s_or_b64 exec, exec, s[0:1]
	s_and_saveexec_b64 s[0:1], s[8:9]
	s_cbranch_execnz .LBB180_482
	s_branch .LBB180_483
.LBB180_504:
	v_mad_u64_u32 v[6:7], s[4:5], s62, v24, 0
	v_mov_b32_e32 v8, v7
	v_mad_u64_u32 v[8:9], s[4:5], s63, v24, v[8:9]
	v_readlane_b32 s4, v62, 14
	v_mov_b32_e32 v7, v8
	v_readlane_b32 s5, v62, 15
	s_add_u32 s4, s38, s4
	v_lshlrev_b64 v[6:7], 3, v[6:7]
	s_addc_u32 s5, s39, s5
	v_mov_b32_e32 v8, s5
	v_add_co_u32_e32 v6, vcc, s4, v6
	v_addc_co_u32_e32 v7, vcc, v8, v7, vcc
	s_mov_b64 s[22:23], 0
	v_mov_b32_e32 v25, s0
	v_mov_b32_e32 v9, 0
	v_pk_mov_b32 v[20:21], v[0:1], v[0:1] op_sel:[0,1]
                                        ; implicit-def: $sgpr24_sgpr25
                                        ; implicit-def: $vgpr14_vgpr15
	s_branch .LBB180_506
.LBB180_505:                            ;   in Loop: Header=BB180_506 Depth=1
	s_or_b64 exec, exec, s[26:27]
	s_xor_b64 s[26:27], s[30:31], -1
	s_and_b64 s[4:5], exec, s[4:5]
	s_or_b64 s[22:23], s[4:5], s[22:23]
	s_andn2_b64 s[4:5], s[24:25], exec
	s_and_b64 s[24:25], s[26:27], exec
	s_or_b64 s[24:25], s[4:5], s[24:25]
	s_waitcnt vmcnt(0)
	v_pk_mov_b32 v[4:5], v[12:13], v[12:13] op_sel:[0,1]
	v_pk_mov_b32 v[20:21], v[10:11], v[10:11] op_sel:[0,1]
	s_andn2_b64 exec, exec, s[22:23]
	s_cbranch_execz .LBB180_520
.LBB180_506:                            ; =>This Inner Loop Header: Depth=1
	v_add_co_u32_e32 v10, vcc, s33, v20
	v_addc_co_u32_e32 v11, vcc, v21, v25, vcc
	v_cmp_gt_u64_e32 vcc, s[56:57], v[10:11]
	v_pk_mov_b32 v[12:13], 0, 0
	s_and_saveexec_b64 s[4:5], vcc
	s_cbranch_execz .LBB180_508
; %bb.507:                              ;   in Loop: Header=BB180_506 Depth=1
	global_load_dwordx2 v[12:13], v[6:7], off
.LBB180_508:                            ;   in Loop: Header=BB180_506 Depth=1
	s_or_b64 exec, exec, s[4:5]
	v_cmp_gt_u64_e32 vcc, s[56:57], v[20:21]
	s_mov_b64 s[26:27], 0
	s_and_saveexec_b64 s[4:5], vcc
	s_cbranch_execz .LBB180_510
; %bb.509:                              ;   in Loop: Header=BB180_506 Depth=1
	s_waitcnt vmcnt(0)
	v_ashrrev_i32_e32 v8, 31, v5
	v_or_b32_e32 v22, 0x80000000, v8
	v_xor_b32_e32 v22, v22, v5
	v_xor_b32_e32 v8, v8, v4
	v_cmp_o_f64_e32 vcc, v[4:5], v[4:5]
	v_cndmask_b32_e32 v23, -1, v22, vcc
	v_cndmask_b32_e32 v22, -1, v8, vcc
	v_cmp_gt_u64_e32 vcc, v[22:23], v[2:3]
	v_cndmask_b32_e64 v8, 0, 1, vcc
	v_cmp_lt_u64_e32 vcc, v[22:23], v[2:3]
	v_cndmask_b32_e64 v22, 0, 1, vcc
	v_cndmask_b32_e64 v8, v22, v8, s[40:41]
	v_and_b32_e32 v8, 1, v8
	v_cmp_eq_u32_e32 vcc, 1, v8
	s_and_b64 s[26:27], vcc, exec
.LBB180_510:                            ;   in Loop: Header=BB180_506 Depth=1
	s_or_b64 exec, exec, s[4:5]
	v_cndmask_b32_e64 v8, 0, 1, s[26:27]
	v_cmp_ne_u32_e32 vcc, 0, v8
	s_cmp_lg_u64 vcc, 0
	s_cselect_b64 s[4:5], -1, 0
	s_and_b64 s[4:5], s[94:95], s[4:5]
	s_and_saveexec_b64 s[28:29], s[4:5]
	s_cbranch_execz .LBB180_514
; %bb.511:                              ;   in Loop: Header=BB180_506 Depth=1
	s_mov_b64 s[34:35], exec
	v_mbcnt_lo_u32_b32 v8, s34, 0
	v_mbcnt_hi_u32_b32 v22, s35, v8
	s_bcnt1_i32_b64 s36, vcc
	v_cmp_eq_u32_e64 s[4:5], 0, v22
                                        ; implicit-def: $vgpr14_vgpr15
	s_and_saveexec_b64 s[30:31], s[4:5]
	s_cbranch_execz .LBB180_513
; %bb.512:                              ;   in Loop: Header=BB180_506 Depth=1
	s_bcnt1_i32_b64 s4, s[34:35]
	s_mul_i32 s4, s36, s4
	v_mov_b32_e32 v8, s4
	s_waitcnt lgkmcnt(0)
	ds_add_rtn_u64 v[14:15], v9, v[8:9] offset:5136
.LBB180_513:                            ;   in Loop: Header=BB180_506 Depth=1
	s_or_b64 exec, exec, s[30:31]
	s_waitcnt lgkmcnt(0)
	v_readfirstlane_b32 s4, v15
	v_readfirstlane_b32 s5, v14
	v_mov_b32_e32 v14, s5
	v_mov_b32_e32 v15, s4
	v_mad_u64_u32 v[14:15], s[4:5], s36, v22, v[14:15]
.LBB180_514:                            ;   in Loop: Header=BB180_506 Depth=1
	s_or_b64 exec, exec, s[28:29]
	s_waitcnt lgkmcnt(0)
	ds_bpermute_b32 v14, v46, v14
	ds_bpermute_b32 v15, v46, v15
	s_mov_b64 s[4:5], -1
	s_mov_b64 s[34:35], -1
                                        ; implicit-def: $sgpr30_sgpr31
	s_and_saveexec_b64 s[28:29], s[26:27]
	s_cbranch_execz .LBB180_518
; %bb.515:                              ;   in Loop: Header=BB180_506 Depth=1
	v_and_b32_e32 v22, vcc_lo, v16
	v_and_b32_e32 v8, vcc_hi, v17
	v_bcnt_u32_b32 v22, v22, 0
	v_bcnt_u32_b32 v8, v8, v22
	s_waitcnt lgkmcnt(0)
	v_add_co_u32_e32 v22, vcc, v14, v8
	v_addc_co_u32_e32 v23, vcc, 0, v15, vcc
	v_cmp_gt_u64_e32 vcc, s[58:59], v[22:23]
	s_mov_b64 s[26:27], 0
	s_and_saveexec_b64 s[30:31], vcc
	s_cbranch_execz .LBB180_517
; %bb.516:                              ;   in Loop: Header=BB180_506 Depth=1
	v_mul_lo_u32 v8, v23, s16
	v_mul_lo_u32 v28, v22, s17
	v_mad_u64_u32 v[26:27], s[34:35], v22, s16, 0
	v_add3_u32 v27, v27, v28, v8
	v_mul_lo_u32 v8, v23, s18
	v_mul_lo_u32 v28, v22, s19
	v_mad_u64_u32 v[22:23], s[34:35], v22, s18, 0
	v_lshlrev_b64 v[26:27], 3, v[26:27]
	v_add3_u32 v23, v23, v28, v8
	v_mov_b32_e32 v8, s46
	v_add_co_u32_e32 v26, vcc, s1, v26
	v_addc_co_u32_e32 v27, vcc, v8, v27, vcc
	s_waitcnt vmcnt(0)
	global_store_dwordx2 v[26:27], v[4:5], off
	v_lshlrev_b64 v[4:5], 3, v[22:23]
	v_mov_b32_e32 v8, s48
	v_add_co_u32_e32 v4, vcc, s47, v4
	s_mov_b64 s[26:27], exec
	v_addc_co_u32_e32 v5, vcc, v8, v5, vcc
	global_store_dwordx2 v[4:5], v[20:21], off
.LBB180_517:                            ;   in Loop: Header=BB180_506 Depth=1
	s_or_b64 exec, exec, s[30:31]
	s_mov_b64 s[30:31], -1
	s_orn2_b64 s[34:35], s[26:27], exec
.LBB180_518:                            ;   in Loop: Header=BB180_506 Depth=1
	s_or_b64 exec, exec, s[28:29]
	s_and_saveexec_b64 s[26:27], s[34:35]
	s_cbranch_execz .LBB180_505
; %bb.519:                              ;   in Loop: Header=BB180_506 Depth=1
	s_waitcnt vmcnt(0)
	v_mov_b32_e32 v4, s61
	v_add_co_u32_e32 v6, vcc, s60, v6
	v_addc_co_u32_e32 v7, vcc, v7, v4, vcc
	v_cmp_le_u64_e32 vcc, s[14:15], v[10:11]
	s_andn2_b64 s[30:31], s[30:31], exec
	s_orn2_b64 s[4:5], vcc, exec
	s_branch .LBB180_505
.LBB180_520:
	s_or_b64 exec, exec, s[22:23]
	s_mov_b64 s[4:5], exec
	s_orn2_b64 s[22:23], s[24:25], exec
	s_or_b64 exec, exec, s[20:21]
	s_and_saveexec_b64 s[20:21], s[22:23]
	s_cbranch_execz .LBB180_495
.LBB180_521:
	v_pk_mov_b32 v[10:11], 0, 0
	s_waitcnt lgkmcnt(0)
	s_barrier
	s_mov_b64 s[2:3], exec
	v_readlane_b32 s22, v62, 22
	v_readlane_b32 s23, v62, 23
	s_and_b64 s[22:23], s[2:3], s[22:23]
	s_mov_b64 exec, s[22:23]
	s_cbranch_execz .LBB180_523
; %bb.522:
	global_load_dwordx2 v[10:11], v[18:19], off
.LBB180_523:
	s_or_b64 exec, exec, s[2:3]
	s_waitcnt vmcnt(0)
	v_mad_u64_u32 v[4:5], s[2:3], s62, v24, 0
	v_mov_b32_e32 v6, v5
	v_mad_u64_u32 v[6:7], s[2:3], s63, v24, v[6:7]
	v_readlane_b32 s2, v62, 14
	v_mov_b32_e32 v5, v6
	v_readlane_b32 s3, v62, 15
	s_add_u32 s2, s38, s2
	v_lshlrev_b64 v[4:5], 3, v[4:5]
	s_addc_u32 s3, s39, s3
	v_mov_b32_e32 v6, s3
	v_add_co_u32_e32 v4, vcc, s2, v4
	v_addc_co_u32_e32 v5, vcc, v6, v5, vcc
	s_mov_b64 s[22:23], 0
	v_mov_b32_e32 v7, 0
                                        ; implicit-def: $sgpr24_sgpr25
                                        ; implicit-def: $sgpr26_sgpr27
                                        ; implicit-def: $sgpr28_sgpr29
                                        ; implicit-def: $vgpr8_vgpr9
	s_branch .LBB180_526
.LBB180_524:                            ;   in Loop: Header=BB180_526 Depth=1
	s_or_b64 exec, exec, s[36:37]
	s_andn2_b64 s[28:29], s[28:29], exec
	s_and_b64 s[34:35], s[40:41], exec
	s_andn2_b64 s[26:27], s[26:27], exec
	s_and_b64 s[2:3], s[2:3], exec
	s_or_b64 s[28:29], s[28:29], s[34:35]
	s_or_b64 s[26:27], s[26:27], s[2:3]
	v_pk_mov_b32 v[0:1], v[12:13], v[12:13] op_sel:[0,1]
	v_pk_mov_b32 v[10:11], v[18:19], v[18:19] op_sel:[0,1]
.LBB180_525:                            ;   in Loop: Header=BB180_526 Depth=1
	s_or_b64 exec, exec, s[30:31]
	s_xor_b64 s[2:3], s[28:29], -1
	s_and_b64 s[30:31], exec, s[26:27]
	s_or_b64 s[22:23], s[30:31], s[22:23]
	s_andn2_b64 s[24:25], s[24:25], exec
	s_and_b64 s[2:3], s[2:3], exec
	s_or_b64 s[24:25], s[24:25], s[2:3]
	s_andn2_b64 exec, exec, s[22:23]
	s_cbranch_execz .LBB180_543
.LBB180_526:                            ; =>This Inner Loop Header: Depth=1
	v_cmp_gt_u64_e32 vcc, s[14:15], v[0:1]
	s_or_b64 s[28:29], s[28:29], exec
	s_or_b64 s[26:27], s[26:27], exec
	s_and_saveexec_b64 s[30:31], vcc
	s_cbranch_execz .LBB180_525
; %bb.527:                              ;   in Loop: Header=BB180_526 Depth=1
	v_mov_b32_e32 v6, s0
	v_add_co_u32_e32 v12, vcc, s33, v0
	v_addc_co_u32_e32 v13, vcc, v1, v6, vcc
	v_cmp_gt_u64_e32 vcc, s[56:57], v[12:13]
	v_pk_mov_b32 v[14:15], 0, 0
	s_and_saveexec_b64 s[2:3], vcc
	s_cbranch_execz .LBB180_529
; %bb.528:                              ;   in Loop: Header=BB180_526 Depth=1
	global_load_dwordx2 v[14:15], v[4:5], off
.LBB180_529:                            ;   in Loop: Header=BB180_526 Depth=1
	s_or_b64 exec, exec, s[2:3]
	v_cmp_gt_u64_e32 vcc, s[56:57], v[0:1]
	s_mov_b64 s[36:37], 0
	s_and_saveexec_b64 s[2:3], vcc
; %bb.530:                              ;   in Loop: Header=BB180_526 Depth=1
	v_ashrrev_i32_e32 v6, 31, v11
	v_or_b32_e32 v18, 0x80000000, v6
	v_xor_b32_e32 v18, v18, v11
	v_xor_b32_e32 v6, v6, v10
	v_cmp_o_f64_e32 vcc, v[10:11], v[10:11]
	v_cndmask_b32_e32 v19, -1, v18, vcc
	v_cndmask_b32_e32 v18, -1, v6, vcc
	v_cmp_eq_u64_e32 vcc, v[18:19], v[2:3]
	s_and_b64 s[36:37], vcc, exec
; %bb.531:                              ;   in Loop: Header=BB180_526 Depth=1
	s_or_b64 exec, exec, s[2:3]
	v_cndmask_b32_e64 v6, 0, 1, s[36:37]
	v_cmp_ne_u32_e32 vcc, 0, v6
	s_cmp_lg_u64 vcc, 0
	s_cselect_b64 s[2:3], -1, 0
	s_and_b64 s[2:3], s[94:95], s[2:3]
	s_and_saveexec_b64 s[34:35], s[2:3]
	s_cbranch_execz .LBB180_535
; %bb.532:                              ;   in Loop: Header=BB180_526 Depth=1
	s_mov_b64 s[40:41], exec
	v_mbcnt_lo_u32_b32 v6, s40, 0
	v_mbcnt_hi_u32_b32 v18, s41, v6
	s_bcnt1_i32_b64 s42, vcc
	v_cmp_eq_u32_e64 s[2:3], 0, v18
                                        ; implicit-def: $vgpr8_vgpr9
	s_and_saveexec_b64 s[38:39], s[2:3]
	s_cbranch_execz .LBB180_534
; %bb.533:                              ;   in Loop: Header=BB180_526 Depth=1
	s_bcnt1_i32_b64 s2, s[40:41]
	s_mul_i32 s2, s42, s2
	v_mov_b32_e32 v6, s2
	ds_add_rtn_u64 v[8:9], v7, v[6:7] offset:5136
.LBB180_534:                            ;   in Loop: Header=BB180_526 Depth=1
	s_or_b64 exec, exec, s[38:39]
	s_waitcnt lgkmcnt(0)
	v_readfirstlane_b32 s2, v9
	v_readfirstlane_b32 s3, v8
	v_mov_b32_e32 v8, s3
	v_mov_b32_e32 v9, s2
	v_mad_u64_u32 v[8:9], s[2:3], s42, v18, v[8:9]
.LBB180_535:                            ;   in Loop: Header=BB180_526 Depth=1
	s_or_b64 exec, exec, s[34:35]
	ds_bpermute_b32 v8, v46, v8
	ds_bpermute_b32 v9, v46, v9
	s_cmp_eq_u64 vcc, 0
	s_cselect_b64 s[34:35], -1, 0
	s_mov_b64 s[38:39], -1
	s_mov_b64 s[40:41], -1
	s_waitcnt lgkmcnt(0)
	v_cmp_gt_u64_e64 s[2:3], s[58:59], v[8:9]
	s_or_b64 s[34:35], s[34:35], s[2:3]
	s_waitcnt vmcnt(0)
	v_cndmask_b32_e64 v19, v11, v15, s[34:35]
	s_and_b64 s[42:43], s[36:37], s[34:35]
	v_cndmask_b32_e64 v18, v10, v14, s[34:35]
	s_mov_b64 s[2:3], -1
	s_and_saveexec_b64 s[36:37], s[42:43]
	s_cbranch_execz .LBB180_541
; %bb.536:                              ;   in Loop: Header=BB180_526 Depth=1
	v_and_b32_e32 v18, vcc_lo, v16
	v_and_b32_e32 v6, vcc_hi, v17
	v_bcnt_u32_b32 v18, v18, 0
	v_bcnt_u32_b32 v6, v6, v18
	v_mov_b32_e32 v19, s59
	v_sub_co_u32_e32 v18, vcc, s58, v8
	v_subb_co_u32_e32 v19, vcc, v19, v9, vcc
	v_cmp_le_u64_e64 s[38:39], v[18:19], v[6:7]
	v_cmp_gt_u64_e32 vcc, v[18:19], v[6:7]
	s_mov_b64 s[42:43], -1
	s_and_saveexec_b64 s[40:41], vcc
	s_cbranch_execz .LBB180_540
; %bb.537:                              ;   in Loop: Header=BB180_526 Depth=1
	v_add_co_u32_e32 v18, vcc, v8, v6
	v_addc_co_u32_e32 v19, vcc, 0, v9, vcc
	v_cmp_gt_u64_e32 vcc, s[58:59], v[18:19]
	s_mov_b64 s[44:45], s[38:39]
	s_and_saveexec_b64 s[42:43], vcc
	s_cbranch_execz .LBB180_539
; %bb.538:                              ;   in Loop: Header=BB180_526 Depth=1
	v_mul_lo_u32 v6, v19, s16
	v_mul_lo_u32 v22, v18, s17
	v_mad_u64_u32 v[20:21], s[44:45], v18, s16, 0
	v_add3_u32 v21, v21, v22, v6
	v_mul_lo_u32 v6, v19, s18
	v_mul_lo_u32 v22, v18, s19
	v_mad_u64_u32 v[18:19], s[44:45], v18, s18, 0
	v_lshlrev_b64 v[20:21], 3, v[20:21]
	v_add3_u32 v19, v19, v22, v6
	v_mov_b32_e32 v6, s46
	v_add_co_u32_e32 v20, vcc, s1, v20
	v_addc_co_u32_e32 v21, vcc, v6, v21, vcc
	global_store_dwordx2 v[20:21], v[10:11], off
	v_lshlrev_b64 v[10:11], 3, v[18:19]
	v_mov_b32_e32 v6, s48
	v_add_co_u32_e32 v10, vcc, s47, v10
	v_addc_co_u32_e32 v11, vcc, v6, v11, vcc
	s_or_b64 s[44:45], s[38:39], exec
	global_store_dwordx2 v[10:11], v[0:1], off
.LBB180_539:                            ;   in Loop: Header=BB180_526 Depth=1
	s_or_b64 exec, exec, s[42:43]
	s_andn2_b64 s[38:39], s[38:39], exec
	s_and_b64 s[44:45], s[44:45], exec
	s_xor_b64 s[42:43], exec, -1
	s_or_b64 s[38:39], s[38:39], s[44:45]
.LBB180_540:                            ;   in Loop: Header=BB180_526 Depth=1
	s_or_b64 exec, exec, s[40:41]
	s_orn2_b64 s[40:41], s[42:43], exec
	s_or_b64 s[34:35], s[34:35], exec
	s_orn2_b64 s[38:39], s[38:39], exec
	v_pk_mov_b32 v[18:19], v[14:15], v[14:15] op_sel:[0,1]
.LBB180_541:                            ;   in Loop: Header=BB180_526 Depth=1
	s_or_b64 exec, exec, s[36:37]
	s_and_saveexec_b64 s[36:37], s[38:39]
	s_cbranch_execz .LBB180_524
; %bb.542:                              ;   in Loop: Header=BB180_526 Depth=1
	s_xor_b64 s[2:3], s[34:35], -1
	v_mov_b32_e32 v0, s61
	v_add_co_u32_e32 v4, vcc, s60, v4
	v_addc_co_u32_e32 v5, vcc, v5, v0, vcc
	s_or_b64 s[40:41], s[40:41], exec
	s_orn2_b64 s[2:3], s[2:3], exec
	s_branch .LBB180_524
.LBB180_543:
	s_or_b64 exec, exec, s[22:23]
	s_mov_b64 s[0:1], 0
	s_and_saveexec_b64 s[2:3], s[24:25]
	s_xor_b64 s[2:3], exec, s[2:3]
	s_cbranch_execnz .LBB180_549
.LBB180_544:
	s_or_b64 exec, exec, s[2:3]
	s_and_b64 s[2:3], s[0:1], exec
	s_andn2_b64 s[4:5], s[4:5], exec
	s_or_b64 exec, exec, s[20:21]
	s_and_saveexec_b64 s[0:1], s[4:5]
	s_xor_b64 s[0:1], exec, s[0:1]
	s_cbranch_execz .LBB180_496
.LBB180_545:
	s_or_b64 s[2:3], s[2:3], exec
	s_trap 2
	s_branch .LBB180_496
.LBB180_546:
	s_or_b64 s[10:11], s[10:11], exec
	s_trap 2
	s_branch .LBB180_502
.LBB180_547:
	s_or_b64 s[12:13], s[12:13], exec
	s_trap 2
	s_branch .LBB180_500
.LBB180_548:
	s_trap 2
	s_or_b64 s[14:15], s[14:15], exec
	s_branch .LBB180_498
.LBB180_549:
	s_mov_b64 s[0:1], exec
	s_trap 2
	s_branch .LBB180_544
	.section	.rodata,"a",@progbits
	.p2align	6, 0x0
	.amdhsa_kernel _ZN2at6native6sbtopk10gatherTopKIdmLi1ELb0EEEvNS_4cuda6detail10TensorInfoIKT_T0_EES8_S8_bS8_S8_NS5_IS6_S8_EES8_NS5_IlS8_EES8_PS6_
		.amdhsa_group_segment_fixed_size 5152
		.amdhsa_private_segment_fixed_size 0
		.amdhsa_kernarg_size 1568
		.amdhsa_user_sgpr_count 6
		.amdhsa_user_sgpr_private_segment_buffer 1
		.amdhsa_user_sgpr_dispatch_ptr 0
		.amdhsa_user_sgpr_queue_ptr 0
		.amdhsa_user_sgpr_kernarg_segment_ptr 1
		.amdhsa_user_sgpr_dispatch_id 0
		.amdhsa_user_sgpr_flat_scratch_init 0
		.amdhsa_user_sgpr_kernarg_preload_length 0
		.amdhsa_user_sgpr_kernarg_preload_offset 0
		.amdhsa_user_sgpr_private_segment_size 0
		.amdhsa_uses_dynamic_stack 0
		.amdhsa_system_sgpr_private_segment_wavefront_offset 0
		.amdhsa_system_sgpr_workgroup_id_x 1
		.amdhsa_system_sgpr_workgroup_id_y 1
		.amdhsa_system_sgpr_workgroup_id_z 1
		.amdhsa_system_sgpr_workgroup_info 0
		.amdhsa_system_vgpr_workitem_id 0
		.amdhsa_next_free_vgpr 63
		.amdhsa_next_free_sgpr 96
		.amdhsa_accum_offset 64
		.amdhsa_reserve_vcc 1
		.amdhsa_reserve_flat_scratch 0
		.amdhsa_float_round_mode_32 0
		.amdhsa_float_round_mode_16_64 0
		.amdhsa_float_denorm_mode_32 3
		.amdhsa_float_denorm_mode_16_64 3
		.amdhsa_dx10_clamp 1
		.amdhsa_ieee_mode 1
		.amdhsa_fp16_overflow 0
		.amdhsa_tg_split 0
		.amdhsa_exception_fp_ieee_invalid_op 0
		.amdhsa_exception_fp_denorm_src 0
		.amdhsa_exception_fp_ieee_div_zero 0
		.amdhsa_exception_fp_ieee_overflow 0
		.amdhsa_exception_fp_ieee_underflow 0
		.amdhsa_exception_fp_ieee_inexact 0
		.amdhsa_exception_int_div_zero 0
	.end_amdhsa_kernel
	.section	.text._ZN2at6native6sbtopk10gatherTopKIdmLi1ELb0EEEvNS_4cuda6detail10TensorInfoIKT_T0_EES8_S8_bS8_S8_NS5_IS6_S8_EES8_NS5_IlS8_EES8_PS6_,"axG",@progbits,_ZN2at6native6sbtopk10gatherTopKIdmLi1ELb0EEEvNS_4cuda6detail10TensorInfoIKT_T0_EES8_S8_bS8_S8_NS5_IS6_S8_EES8_NS5_IlS8_EES8_PS6_,comdat
.Lfunc_end180:
	.size	_ZN2at6native6sbtopk10gatherTopKIdmLi1ELb0EEEvNS_4cuda6detail10TensorInfoIKT_T0_EES8_S8_bS8_S8_NS5_IS6_S8_EES8_NS5_IlS8_EES8_PS6_, .Lfunc_end180-_ZN2at6native6sbtopk10gatherTopKIdmLi1ELb0EEEvNS_4cuda6detail10TensorInfoIKT_T0_EES8_S8_bS8_S8_NS5_IS6_S8_EES8_NS5_IlS8_EES8_PS6_
                                        ; -- End function
	.section	.AMDGPU.csdata,"",@progbits
; Kernel info:
; codeLenInByte = 28196
; NumSgprs: 100
; NumVgprs: 63
; NumAgprs: 0
; TotalNumVgprs: 63
; ScratchSize: 0
; MemoryBound: 0
; FloatMode: 240
; IeeeMode: 1
; LDSByteSize: 5152 bytes/workgroup (compile time only)
; SGPRBlocks: 12
; VGPRBlocks: 7
; NumSGPRsForWavesPerEU: 100
; NumVGPRsForWavesPerEU: 63
; AccumOffset: 64
; Occupancy: 8
; WaveLimiterHint : 1
; COMPUTE_PGM_RSRC2:SCRATCH_EN: 0
; COMPUTE_PGM_RSRC2:USER_SGPR: 6
; COMPUTE_PGM_RSRC2:TRAP_HANDLER: 0
; COMPUTE_PGM_RSRC2:TGID_X_EN: 1
; COMPUTE_PGM_RSRC2:TGID_Y_EN: 1
; COMPUTE_PGM_RSRC2:TGID_Z_EN: 1
; COMPUTE_PGM_RSRC2:TIDIG_COMP_CNT: 0
; COMPUTE_PGM_RSRC3_GFX90A:ACCUM_OFFSET: 15
; COMPUTE_PGM_RSRC3_GFX90A:TG_SPLIT: 0
	.section	.text._ZN2at6native6mbtopk23computeBlockDigitCountsIdmmLi2EEEvNS_4cuda6detail10TensorInfoIKT_T0_EEjPjjS8_iijT1_PSB_Ps,"axG",@progbits,_ZN2at6native6mbtopk23computeBlockDigitCountsIdmmLi2EEEvNS_4cuda6detail10TensorInfoIKT_T0_EEjPjjS8_iijT1_PSB_Ps,comdat
	.protected	_ZN2at6native6mbtopk23computeBlockDigitCountsIdmmLi2EEEvNS_4cuda6detail10TensorInfoIKT_T0_EEjPjjS8_iijT1_PSB_Ps ; -- Begin function _ZN2at6native6mbtopk23computeBlockDigitCountsIdmmLi2EEEvNS_4cuda6detail10TensorInfoIKT_T0_EEjPjjS8_iijT1_PSB_Ps
	.globl	_ZN2at6native6mbtopk23computeBlockDigitCountsIdmmLi2EEEvNS_4cuda6detail10TensorInfoIKT_T0_EEjPjjS8_iijT1_PSB_Ps
	.p2align	8
	.type	_ZN2at6native6mbtopk23computeBlockDigitCountsIdmmLi2EEEvNS_4cuda6detail10TensorInfoIKT_T0_EEjPjjS8_iijT1_PSB_Ps,@function
_ZN2at6native6mbtopk23computeBlockDigitCountsIdmmLi2EEEvNS_4cuda6detail10TensorInfoIKT_T0_EEjPjjS8_iijT1_PSB_Ps: ; @_ZN2at6native6mbtopk23computeBlockDigitCountsIdmmLi2EEEvNS_4cuda6detail10TensorInfoIKT_T0_EEjPjjS8_iijT1_PSB_Ps
; %bb.0:
	s_load_dwordx4 s[0:3], s[4:5], 0x1c0
	s_load_dwordx2 s[10:11], s[4:5], 0x1e8
	s_waitcnt lgkmcnt(0)
	s_load_dword s3, s[4:5], 0x1b0
	s_mov_b32 s13, 0
	v_cvt_f32_u32_e32 v1, s2
	s_mul_i32 s8, s11, s8
	s_add_i32 s7, s8, s7
	s_mul_i32 s20, s7, s10
	v_rcp_iflag_f32_e32 v1, v1
	s_sub_i32 s9, 0, s2
	s_add_i32 s20, s20, s6
	v_mul_f32_e32 v1, 0x4f7ffffe, v1
	v_cvt_u32_f32_e32 v1, v1
	v_readfirstlane_b32 s6, v1
	s_mul_i32 s9, s9, s6
	s_mul_hi_u32 s7, s6, s9
	s_add_i32 s6, s6, s7
	s_mul_hi_u32 s6, s20, s6
	s_mul_i32 s7, s6, s2
	s_sub_i32 s7, s20, s7
	s_add_i32 s8, s6, 1
	s_sub_i32 s9, s7, s2
	s_cmp_ge_u32 s7, s2
	s_cselect_b32 s6, s8, s6
	s_cselect_b32 s7, s9, s7
	s_add_i32 s8, s6, 1
	s_cmp_ge_u32 s7, s2
	s_cselect_b32 s12, s8, s6
	s_waitcnt lgkmcnt(0)
	s_cmp_ge_u32 s12, s3
	s_cbranch_scc1 .LBB181_25
; %bb.1:
	s_load_dwordx4 s[8:11], s[4:5], 0x1d0
	s_load_dwordx2 s[14:15], s[4:5], 0x10
	s_load_dwordx2 s[6:7], s[4:5], 0x1e0
	s_lshl_b64 s[16:17], s[12:13], 3
	s_waitcnt lgkmcnt(0)
	s_add_u32 s10, s10, s16
	v_pk_mov_b32 v[2:3], s[14:15], s[14:15] op_sel:[0,1]
	v_cmp_lt_u64_e32 vcc, s[12:13], v[2:3]
	s_addc_u32 s11, s11, s17
	s_mov_b64 s[16:17], 0
	s_cbranch_vccnz .LBB181_3
; %bb.2:
	v_cvt_f32_u32_e32 v1, s14
	s_sub_i32 s3, 0, s14
	v_rcp_iflag_f32_e32 v1, v1
	v_mul_f32_e32 v1, 0x4f7ffffe, v1
	v_cvt_u32_f32_e32 v1, v1
	v_readfirstlane_b32 s13, v1
	s_mul_i32 s3, s3, s13
	s_mul_hi_u32 s3, s13, s3
	s_add_i32 s13, s13, s3
	s_mul_hi_u32 s3, s12, s13
	s_mul_i32 s16, s3, s14
	s_sub_i32 s16, s12, s16
	s_add_i32 s13, s3, 1
	s_sub_i32 s17, s16, s14
	s_cmp_ge_u32 s16, s14
	s_cselect_b32 s3, s13, s3
	s_cselect_b32 s16, s17, s16
	s_add_i32 s13, s3, 1
	s_cmp_ge_u32 s16, s14
	s_cselect_b32 s16, s13, s3
.LBB181_3:
	s_movk_i32 s3, 0x100
	v_cmp_gt_u32_e32 vcc, s3, v0
	v_lshlrev_b32_e32 v1, 2, v0
	s_and_saveexec_b64 s[18:19], vcc
	s_cbranch_execz .LBB181_5
; %bb.4:
	v_mov_b32_e32 v2, 0
	ds_write_b32 v1, v2
.LBB181_5:
	s_or_b64 exec, exec, s[18:19]
	s_load_dword s13, s[4:5], 0x1a0
	s_mul_i32 s3, s12, s2
	s_sub_i32 s3, s20, s3
	s_add_i32 s17, s3, 1
	s_mul_i32 s3, s1, s3
	s_lshl_b32 s18, s3, 8
	s_waitcnt lgkmcnt(0)
	s_sub_i32 s3, s13, s18
	s_add_u32 s3, s3, 0xff
	s_addc_u32 s19, 0, 0
	v_mov_b32_e32 v2, s3
	v_alignbit_b32 v2, s19, v2, 8
	s_cmp_lt_u32 s17, s2
	v_readfirstlane_b32 s2, v2
	s_cselect_b32 s17, s1, s2
	s_cmp_lt_i32 s17, 1
	s_mov_b32 s1, 0
	s_barrier
	s_cbranch_scc1 .LBB181_21
; %bb.6:
	s_load_dwordx2 s[2:3], s[10:11], 0x0
	s_load_dwordx2 s[22:23], s[4:5], 0x0
	s_load_dwordx4 s[24:27], s[4:5], 0xd0
	s_mul_i32 s10, s16, s15
	s_mul_hi_u32 s11, s16, s14
	s_add_i32 s11, s11, s10
	s_mul_i32 s10, s16, s14
	s_sub_u32 s10, s12, s10
	s_subb_u32 s11, 0, s11
	s_waitcnt lgkmcnt(0)
	s_mul_i32 s12, s10, s27
	s_mul_hi_u32 s14, s10, s26
	s_add_i32 s12, s14, s12
	s_mul_i32 s11, s11, s26
	s_add_i32 s11, s12, s11
	s_mul_i32 s12, s16, s25
	s_mul_hi_u32 s14, s16, s24
	s_add_i32 s15, s14, s12
	s_mul_i32 s14, s16, s24
	s_lshl_b64 s[14:15], s[14:15], 3
	s_mul_i32 s10, s10, s26
	s_add_u32 s12, s22, s14
	s_load_dwordx2 s[4:5], s[4:5], 0x1b8
	s_addc_u32 s15, s23, s15
	s_lshl_b64 s[10:11], s[10:11], 3
	s_add_u32 s14, s12, s10
	s_addc_u32 s15, s15, s11
	s_and_b32 s12, s0, 0xff
	s_cmp_eq_u32 s17, 1
	v_add_u32_e32 v4, s18, v0
	s_cbranch_scc1 .LBB181_16
; %bb.7:
	s_and_b32 s16, s17, 0x7ffffffe
	s_mov_b32 s18, 0
	v_mov_b32_e32 v5, 1
	v_mov_b32_e32 v6, 2
	;; [unrolled: 1-line block ×3, first 2 shown]
	s_branch .LBB181_9
.LBB181_8:                              ;   in Loop: Header=BB181_9 Depth=1
	s_or_b64 exec, exec, s[10:11]
	s_add_i32 s18, s18, 2
	s_cmp_eq_u32 s16, s18
	v_add_u32_e32 v7, 0x200, v7
	s_cbranch_scc1 .LBB181_15
.LBB181_9:                              ; =>This Inner Loop Header: Depth=1
	v_cmp_gt_u32_e64 s[0:1], s13, v7
	s_and_saveexec_b64 s[10:11], s[0:1]
	s_cbranch_execz .LBB181_12
; %bb.10:                               ;   in Loop: Header=BB181_9 Depth=1
	s_waitcnt lgkmcnt(0)
	v_mad_u64_u32 v[2:3], s[0:1], v7, s4, 0
	v_mov_b32_e32 v8, v3
	v_mad_u64_u32 v[8:9], s[0:1], v7, s5, v[8:9]
	v_mov_b32_e32 v3, v8
	v_lshlrev_b64 v[2:3], 3, v[2:3]
	v_mov_b32_e32 v8, s15
	v_add_co_u32_e64 v2, s[0:1], s14, v2
	v_addc_co_u32_e64 v3, s[0:1], v8, v3, s[0:1]
	global_load_dwordx2 v[2:3], v[2:3], off
	s_waitcnt vmcnt(0)
	v_ashrrev_i32_e32 v8, 31, v3
	v_or_b32_e32 v9, 0x80000000, v8
	v_xor_b32_e32 v8, v8, v2
	v_xor_b32_e32 v9, v9, v3
	v_cmp_o_f64_e64 s[0:1], v[2:3], v[2:3]
	v_cndmask_b32_e64 v3, -1, v9, s[0:1]
	v_cndmask_b32_e64 v2, -1, v8, s[0:1]
	v_xor_b32_e32 v8, s3, v3
	v_xor_b32_e32 v10, s2, v2
	v_and_b32_e32 v9, s9, v8
	v_and_b32_e32 v8, s8, v10
	v_cmp_eq_u64_e64 s[0:1], 0, v[8:9]
	s_and_b64 exec, exec, s[0:1]
	s_cbranch_execz .LBB181_12
; %bb.11:                               ;   in Loop: Header=BB181_9 Depth=1
	v_lshrrev_b64 v[2:3], s12, v[2:3]
	v_lshlrev_b32_sdwa v2, v6, v2 dst_sel:DWORD dst_unused:UNUSED_PAD src0_sel:DWORD src1_sel:BYTE_0
	ds_add_u32 v2, v5
.LBB181_12:                             ;   in Loop: Header=BB181_9 Depth=1
	s_or_b64 exec, exec, s[10:11]
	v_add_u32_e32 v2, 0x100, v7
	v_cmp_gt_u32_e64 s[0:1], s13, v2
	s_and_saveexec_b64 s[10:11], s[0:1]
	s_cbranch_execz .LBB181_8
; %bb.13:                               ;   in Loop: Header=BB181_9 Depth=1
	s_waitcnt lgkmcnt(0)
	v_mad_u64_u32 v[8:9], s[0:1], v2, s4, 0
	v_mov_b32_e32 v10, v9
	v_mad_u64_u32 v[2:3], s[0:1], v2, s5, v[10:11]
	v_mov_b32_e32 v9, v2
	v_lshlrev_b64 v[2:3], 3, v[8:9]
	v_mov_b32_e32 v8, s15
	v_add_co_u32_e64 v2, s[0:1], s14, v2
	v_addc_co_u32_e64 v3, s[0:1], v8, v3, s[0:1]
	global_load_dwordx2 v[2:3], v[2:3], off
	s_waitcnt vmcnt(0)
	v_ashrrev_i32_e32 v8, 31, v3
	v_or_b32_e32 v9, 0x80000000, v8
	v_xor_b32_e32 v8, v8, v2
	v_xor_b32_e32 v9, v9, v3
	v_cmp_o_f64_e64 s[0:1], v[2:3], v[2:3]
	v_cndmask_b32_e64 v3, -1, v9, s[0:1]
	v_cndmask_b32_e64 v2, -1, v8, s[0:1]
	v_xor_b32_e32 v8, s3, v3
	v_xor_b32_e32 v10, s2, v2
	v_and_b32_e32 v9, s9, v8
	v_and_b32_e32 v8, s8, v10
	v_cmp_eq_u64_e64 s[0:1], 0, v[8:9]
	s_and_b64 exec, exec, s[0:1]
	s_cbranch_execz .LBB181_8
; %bb.14:                               ;   in Loop: Header=BB181_9 Depth=1
	v_lshrrev_b64 v[2:3], s12, v[2:3]
	v_lshlrev_b32_sdwa v2, v6, v2 dst_sel:DWORD dst_unused:UNUSED_PAD src0_sel:DWORD src1_sel:BYTE_0
	ds_add_u32 v2, v5
	s_branch .LBB181_8
.LBB181_15:
	s_lshl_b32 s1, s16, 8
.LBB181_16:
	s_bitcmp0_b32 s17, 0
	s_cbranch_scc1 .LBB181_21
; %bb.17:
	v_add_u32_e32 v2, s1, v4
	v_cmp_gt_u32_e64 s[0:1], s13, v2
	s_and_saveexec_b64 s[10:11], s[0:1]
	s_cbranch_execz .LBB181_20
; %bb.18:
	s_waitcnt lgkmcnt(0)
	v_mad_u64_u32 v[4:5], s[0:1], v2, s4, 0
	v_mov_b32_e32 v6, v5
	v_mad_u64_u32 v[2:3], s[0:1], v2, s5, v[6:7]
	v_mov_b32_e32 v5, v2
	v_lshlrev_b64 v[2:3], 3, v[4:5]
	v_mov_b32_e32 v4, s15
	v_add_co_u32_e64 v2, s[0:1], s14, v2
	v_addc_co_u32_e64 v3, s[0:1], v4, v3, s[0:1]
	global_load_dwordx2 v[2:3], v[2:3], off
	s_waitcnt vmcnt(0)
	v_ashrrev_i32_e32 v4, 31, v3
	v_or_b32_e32 v5, 0x80000000, v4
	v_xor_b32_e32 v4, v4, v2
	v_xor_b32_e32 v5, v5, v3
	v_cmp_o_f64_e64 s[0:1], v[2:3], v[2:3]
	v_cndmask_b32_e64 v3, -1, v5, s[0:1]
	v_cndmask_b32_e64 v2, -1, v4, s[0:1]
	v_xor_b32_e32 v4, s3, v3
	v_xor_b32_e32 v6, s2, v2
	v_and_b32_e32 v5, s9, v4
	v_and_b32_e32 v4, s8, v6
	v_cmp_eq_u64_e64 s[0:1], 0, v[4:5]
	s_and_b64 exec, exec, s[0:1]
	s_cbranch_execz .LBB181_20
; %bb.19:
	v_lshrrev_b64 v[2:3], s12, v[2:3]
	v_mov_b32_e32 v3, 2
	v_lshlrev_b32_sdwa v2, v3, v2 dst_sel:DWORD dst_unused:UNUSED_PAD src0_sel:DWORD src1_sel:BYTE_0
	v_mov_b32_e32 v3, 1
	ds_add_u32 v2, v3
.LBB181_20:
	s_or_b64 exec, exec, s[10:11]
.LBB181_21:
	v_mov_b32_e32 v2, 0
	s_waitcnt lgkmcnt(0)
	s_barrier
	s_and_saveexec_b64 s[0:1], vcc
	s_cbranch_execz .LBB181_23
; %bb.22:
	ds_read_b32 v2, v1
.LBB181_23:
	s_or_b64 exec, exec, s[0:1]
	s_and_saveexec_b64 s[0:1], vcc
	s_cbranch_execz .LBB181_25
; %bb.24:
	v_lshl_or_b32 v0, s20, 8, v0
	v_mov_b32_e32 v1, 0
	v_lshlrev_b64 v[0:1], 1, v[0:1]
	v_mov_b32_e32 v3, s7
	v_add_co_u32_e32 v0, vcc, s6, v0
	v_addc_co_u32_e32 v1, vcc, v3, v1, vcc
	s_waitcnt lgkmcnt(0)
	global_store_short v[0:1], v2, off
.LBB181_25:
	s_endpgm
	.section	.rodata,"a",@progbits
	.p2align	6, 0x0
	.amdhsa_kernel _ZN2at6native6mbtopk23computeBlockDigitCountsIdmmLi2EEEvNS_4cuda6detail10TensorInfoIKT_T0_EEjPjjS8_iijT1_PSB_Ps
		.amdhsa_group_segment_fixed_size 1024
		.amdhsa_private_segment_fixed_size 0
		.amdhsa_kernarg_size 744
		.amdhsa_user_sgpr_count 6
		.amdhsa_user_sgpr_private_segment_buffer 1
		.amdhsa_user_sgpr_dispatch_ptr 0
		.amdhsa_user_sgpr_queue_ptr 0
		.amdhsa_user_sgpr_kernarg_segment_ptr 1
		.amdhsa_user_sgpr_dispatch_id 0
		.amdhsa_user_sgpr_flat_scratch_init 0
		.amdhsa_user_sgpr_kernarg_preload_length 0
		.amdhsa_user_sgpr_kernarg_preload_offset 0
		.amdhsa_user_sgpr_private_segment_size 0
		.amdhsa_uses_dynamic_stack 0
		.amdhsa_system_sgpr_private_segment_wavefront_offset 0
		.amdhsa_system_sgpr_workgroup_id_x 1
		.amdhsa_system_sgpr_workgroup_id_y 1
		.amdhsa_system_sgpr_workgroup_id_z 1
		.amdhsa_system_sgpr_workgroup_info 0
		.amdhsa_system_vgpr_workitem_id 0
		.amdhsa_next_free_vgpr 12
		.amdhsa_next_free_sgpr 28
		.amdhsa_accum_offset 12
		.amdhsa_reserve_vcc 1
		.amdhsa_reserve_flat_scratch 0
		.amdhsa_float_round_mode_32 0
		.amdhsa_float_round_mode_16_64 0
		.amdhsa_float_denorm_mode_32 3
		.amdhsa_float_denorm_mode_16_64 3
		.amdhsa_dx10_clamp 1
		.amdhsa_ieee_mode 1
		.amdhsa_fp16_overflow 0
		.amdhsa_tg_split 0
		.amdhsa_exception_fp_ieee_invalid_op 0
		.amdhsa_exception_fp_denorm_src 0
		.amdhsa_exception_fp_ieee_div_zero 0
		.amdhsa_exception_fp_ieee_overflow 0
		.amdhsa_exception_fp_ieee_underflow 0
		.amdhsa_exception_fp_ieee_inexact 0
		.amdhsa_exception_int_div_zero 0
	.end_amdhsa_kernel
	.section	.text._ZN2at6native6mbtopk23computeBlockDigitCountsIdmmLi2EEEvNS_4cuda6detail10TensorInfoIKT_T0_EEjPjjS8_iijT1_PSB_Ps,"axG",@progbits,_ZN2at6native6mbtopk23computeBlockDigitCountsIdmmLi2EEEvNS_4cuda6detail10TensorInfoIKT_T0_EEjPjjS8_iijT1_PSB_Ps,comdat
.Lfunc_end181:
	.size	_ZN2at6native6mbtopk23computeBlockDigitCountsIdmmLi2EEEvNS_4cuda6detail10TensorInfoIKT_T0_EEjPjjS8_iijT1_PSB_Ps, .Lfunc_end181-_ZN2at6native6mbtopk23computeBlockDigitCountsIdmmLi2EEEvNS_4cuda6detail10TensorInfoIKT_T0_EEjPjjS8_iijT1_PSB_Ps
                                        ; -- End function
	.section	.AMDGPU.csdata,"",@progbits
; Kernel info:
; codeLenInByte = 1292
; NumSgprs: 32
; NumVgprs: 12
; NumAgprs: 0
; TotalNumVgprs: 12
; ScratchSize: 0
; MemoryBound: 0
; FloatMode: 240
; IeeeMode: 1
; LDSByteSize: 1024 bytes/workgroup (compile time only)
; SGPRBlocks: 3
; VGPRBlocks: 1
; NumSGPRsForWavesPerEU: 32
; NumVGPRsForWavesPerEU: 12
; AccumOffset: 12
; Occupancy: 8
; WaveLimiterHint : 1
; COMPUTE_PGM_RSRC2:SCRATCH_EN: 0
; COMPUTE_PGM_RSRC2:USER_SGPR: 6
; COMPUTE_PGM_RSRC2:TRAP_HANDLER: 0
; COMPUTE_PGM_RSRC2:TGID_X_EN: 1
; COMPUTE_PGM_RSRC2:TGID_Y_EN: 1
; COMPUTE_PGM_RSRC2:TGID_Z_EN: 1
; COMPUTE_PGM_RSRC2:TIDIG_COMP_CNT: 0
; COMPUTE_PGM_RSRC3_GFX90A:ACCUM_OFFSET: 2
; COMPUTE_PGM_RSRC3_GFX90A:TG_SPLIT: 0
	.section	.text._ZN2at6native6mbtopk10gatherTopKIdmLi2EEEvNS_4cuda6detail10TensorInfoIKT_T0_EES8_S8_bjS8_NS5_IS6_S8_EES8_NS5_IlS8_EES8_jjPS6_PjSD_j,"axG",@progbits,_ZN2at6native6mbtopk10gatherTopKIdmLi2EEEvNS_4cuda6detail10TensorInfoIKT_T0_EES8_S8_bjS8_NS5_IS6_S8_EES8_NS5_IlS8_EES8_jjPS6_PjSD_j,comdat
	.protected	_ZN2at6native6mbtopk10gatherTopKIdmLi2EEEvNS_4cuda6detail10TensorInfoIKT_T0_EES8_S8_bjS8_NS5_IS6_S8_EES8_NS5_IlS8_EES8_jjPS6_PjSD_j ; -- Begin function _ZN2at6native6mbtopk10gatherTopKIdmLi2EEEvNS_4cuda6detail10TensorInfoIKT_T0_EES8_S8_bjS8_NS5_IS6_S8_EES8_NS5_IlS8_EES8_jjPS6_PjSD_j
	.globl	_ZN2at6native6mbtopk10gatherTopKIdmLi2EEEvNS_4cuda6detail10TensorInfoIKT_T0_EES8_S8_bjS8_NS5_IS6_S8_EES8_NS5_IlS8_EES8_jjPS6_PjSD_j
	.p2align	8
	.type	_ZN2at6native6mbtopk10gatherTopKIdmLi2EEEvNS_4cuda6detail10TensorInfoIKT_T0_EES8_S8_bjS8_NS5_IS6_S8_EES8_NS5_IlS8_EES8_jjPS6_PjSD_j,@function
_ZN2at6native6mbtopk10gatherTopKIdmLi2EEEvNS_4cuda6detail10TensorInfoIKT_T0_EES8_S8_bjS8_NS5_IS6_S8_EES8_NS5_IlS8_EES8_jjPS6_PjSD_j: ; @_ZN2at6native6mbtopk10gatherTopKIdmLi2EEEvNS_4cuda6detail10TensorInfoIKT_T0_EES8_S8_bjS8_NS5_IS6_S8_EES8_NS5_IlS8_EES8_jjPS6_PjSD_j
; %bb.0:
	s_load_dwordx2 s[0:1], s[4:5], 0x538
	s_load_dword s2, s[4:5], 0x530
	s_waitcnt lgkmcnt(0)
	s_mul_i32 s1, s1, s8
	s_add_i32 s1, s1, s7
	s_mul_i32 s0, s1, s0
	s_add_i32 s0, s0, s6
	s_cmp_ge_u32 s0, s2
	s_cbranch_scc1 .LBB182_48
; %bb.1:
	s_load_dwordx2 s[34:35], s[4:5], 0x510
	s_load_dwordx2 s[38:39], s[4:5], 0x1d0
	s_load_dwordx4 s[8:11], s[4:5], 0x1a0
	s_load_dwordx2 s[36:37], s[4:5], 0x10
	s_mov_b32 s7, 0
	s_waitcnt lgkmcnt(0)
	v_cvt_f32_u32_e32 v1, s35
	s_sub_i32 s2, 0, s35
	s_lshl_b32 s1, s34, 8
	v_rcp_iflag_f32_e32 v1, v1
	v_mul_f32_e32 v1, 0x4f7ffffe, v1
	v_cvt_u32_f32_e32 v1, v1
	v_readfirstlane_b32 s3, v1
	s_mul_i32 s2, s2, s3
	s_mul_hi_u32 s2, s3, s2
	s_add_i32 s3, s3, s2
	s_mul_hi_u32 s2, s0, s3
	s_mul_i32 s3, s2, s35
	s_sub_i32 s3, s0, s3
	s_add_i32 s6, s2, 1
	s_sub_i32 s12, s3, s35
	s_cmp_ge_u32 s3, s35
	s_cselect_b32 s2, s6, s2
	s_cselect_b32 s3, s12, s3
	s_add_i32 s6, s2, 1
	s_cmp_ge_u32 s3, s35
	s_cselect_b32 s6, s6, s2
	s_mul_i32 s20, s6, s35
	s_sub_i32 s28, s0, s20
	s_add_i32 s0, s28, 1
	s_cmp_lt_u32 s0, s35
	s_mul_i32 s33, s28, s1
	s_cbranch_scc1 .LBB182_3
; %bb.2:
	s_sub_u32 s0, s8, s33
	s_subb_u32 s1, s9, 0
	s_add_u32 s0, s0, 0xff
	s_addc_u32 s1, s1, 0
	s_ashr_i32 s2, s1, 31
	s_lshr_b32 s2, s2, 24
	s_add_u32 s0, s0, s2
	s_addc_u32 s1, s1, 0
	v_mov_b32_e32 v1, s0
	v_alignbit_b32 v1, s1, v1, 8
	v_readfirstlane_b32 s34, v1
.LBB182_3:
	s_load_dwordx2 s[40:41], s[4:5], 0x378
	v_pk_mov_b32 v[2:3], s[36:37], s[36:37] op_sel:[0,1]
	v_cmp_lt_u64_e32 vcc, s[6:7], v[2:3]
	s_mov_b64 s[44:45], 0
	s_mov_b64 s[42:43], 0
	s_cbranch_vccnz .LBB182_5
; %bb.4:
	v_cvt_f32_u32_e32 v1, s36
	s_sub_i32 s0, 0, s36
	v_rcp_iflag_f32_e32 v1, v1
	v_mul_f32_e32 v1, 0x4f7ffffe, v1
	v_cvt_u32_f32_e32 v1, v1
	v_readfirstlane_b32 s1, v1
	s_mul_i32 s0, s0, s1
	s_mul_hi_u32 s0, s1, s0
	s_add_i32 s1, s1, s0
	s_mul_hi_u32 s0, s6, s1
	s_mul_i32 s2, s0, s36
	s_sub_i32 s2, s6, s2
	s_add_i32 s1, s0, 1
	s_sub_i32 s3, s2, s36
	s_cmp_ge_u32 s2, s36
	s_cselect_b32 s0, s1, s0
	s_cselect_b32 s2, s3, s2
	s_add_i32 s1, s0, 1
	s_cmp_ge_u32 s2, s36
	s_cselect_b32 s42, s1, s0
.LBB182_5:
	v_pk_mov_b32 v[2:3], s[38:39], s[38:39] op_sel:[0,1]
	v_cmp_lt_u64_e32 vcc, s[6:7], v[2:3]
	s_cbranch_vccnz .LBB182_7
; %bb.6:
	v_cvt_f32_u32_e32 v1, s38
	s_sub_i32 s0, 0, s38
	v_rcp_iflag_f32_e32 v1, v1
	v_mul_f32_e32 v1, 0x4f7ffffe, v1
	v_cvt_u32_f32_e32 v1, v1
	v_readfirstlane_b32 s1, v1
	s_mul_i32 s0, s0, s1
	s_mul_hi_u32 s0, s1, s0
	s_add_i32 s1, s1, s0
	s_mul_hi_u32 s0, s6, s1
	s_mul_i32 s2, s0, s38
	s_sub_i32 s2, s6, s2
	s_add_i32 s1, s0, 1
	s_sub_i32 s3, s2, s38
	s_cmp_ge_u32 s2, s38
	s_cselect_b32 s0, s1, s0
	s_cselect_b32 s2, s3, s2
	s_add_i32 s1, s0, 1
	s_cmp_ge_u32 s2, s38
	s_cselect_b32 s44, s1, s0
.LBB182_7:
	s_waitcnt lgkmcnt(0)
	v_pk_mov_b32 v[2:3], s[40:41], s[40:41] op_sel:[0,1]
	v_cmp_lt_u64_e32 vcc, s[6:7], v[2:3]
	s_mov_b64 s[48:49], 0
	s_cbranch_vccnz .LBB182_9
; %bb.8:
	v_cvt_f32_u32_e32 v1, s40
	s_sub_i32 s0, 0, s40
	v_rcp_iflag_f32_e32 v1, v1
	v_mul_f32_e32 v1, 0x4f7ffffe, v1
	v_cvt_u32_f32_e32 v1, v1
	v_readfirstlane_b32 s1, v1
	s_mul_i32 s0, s0, s1
	s_mul_hi_u32 s0, s1, s0
	s_add_i32 s1, s1, s0
	s_mul_hi_u32 s0, s6, s1
	s_mul_i32 s2, s0, s40
	s_sub_i32 s2, s6, s2
	s_add_i32 s1, s0, 1
	s_sub_i32 s3, s2, s40
	s_cmp_ge_u32 s2, s40
	s_cselect_b32 s0, s1, s0
	s_cselect_b32 s2, s3, s2
	s_add_i32 s1, s0, 1
	s_cmp_ge_u32 s2, s40
	s_cselect_b32 s48, s1, s0
.LBB182_9:
	s_load_dwordx4 s[12:15], s[4:5], 0x518
	s_load_dwordx2 s[50:51], s[4:5], 0x0
	s_lshl_b64 s[0:1], s[6:7], 3
	s_mov_b32 s21, 0
	v_cmp_eq_u32_e64 s[2:3], 0, v0
	s_waitcnt lgkmcnt(0)
	s_add_u32 s0, s12, s0
	s_addc_u32 s1, s13, s1
	s_load_dwordx2 s[46:47], s[0:1], 0x0
	v_cmp_ne_u32_e64 s[0:1], 0, v0
	s_and_saveexec_b64 s[12:13], s[2:3]
	s_cbranch_execz .LBB182_25
; %bb.10:
	s_load_dwordx2 s[22:23], s[4:5], 0x528
	s_lshl_b64 s[24:25], s[20:21], 2
	s_add_u32 s16, s14, s24
	s_addc_u32 s17, s15, s25
	s_mov_b32 s20, 0
	s_waitcnt lgkmcnt(0)
	s_add_u32 s18, s22, s24
	s_addc_u32 s19, s23, s25
	s_cmp_lt_u32 s35, 4
	s_cbranch_scc1 .LBB182_22
; %bb.11:
	s_mov_b32 s29, 0
.LBB182_12:                             ; =>This Inner Loop Header: Depth=1
	s_add_u32 s16, s14, s24
	s_addc_u32 s17, s15, s25
	s_load_dwordx4 s[16:19], s[16:17], 0x0
	s_add_u32 s26, s22, s24
	s_addc_u32 s27, s23, s25
	s_cmp_ge_u32 s29, s28
	s_cbranch_scc0 .LBB182_19
; %bb.13:                               ;   in Loop: Header=BB182_12 Depth=1
	s_add_i32 s30, s29, 1
	s_cmp_ge_u32 s30, s28
	s_cbranch_scc0 .LBB182_20
.LBB182_14:                             ;   in Loop: Header=BB182_12 Depth=1
	s_add_i32 s30, s30, 1
	s_cmp_ge_u32 s30, s28
	s_cbranch_scc0 .LBB182_21
.LBB182_15:                             ;   in Loop: Header=BB182_12 Depth=1
	s_add_i32 s30, s30, 1
	s_cmp_ge_u32 s30, s28
	s_cbranch_scc1 .LBB182_17
.LBB182_16:                             ;   in Loop: Header=BB182_12 Depth=1
	s_load_dword s26, s[26:27], 0xc
	s_waitcnt lgkmcnt(0)
	s_add_i32 s21, s21, s19
	s_add_i32 s7, s26, s7
.LBB182_17:                             ;   in Loop: Header=BB182_12 Depth=1
	s_waitcnt lgkmcnt(0)
	s_add_i32 s16, s16, s20
	s_add_i32 s16, s16, s17
	;; [unrolled: 1-line block ×4, first 2 shown]
	s_add_u32 s14, s14, 16
	s_addc_u32 s15, s15, 0
	s_add_u32 s22, s22, 16
	s_addc_u32 s23, s23, 0
	s_add_i32 s27, s30, 4
	s_add_u32 s18, s22, s24
	s_addc_u32 s19, s23, s25
	s_add_u32 s16, s14, s24
	s_addc_u32 s17, s15, s25
	s_add_i32 s26, s30, 1
	s_cmp_ge_u32 s27, s35
	s_cbranch_scc1 .LBB182_23
; %bb.18:                               ;   in Loop: Header=BB182_12 Depth=1
	s_mov_b32 s29, s26
	s_branch .LBB182_12
.LBB182_19:                             ;   in Loop: Header=BB182_12 Depth=1
	s_load_dword s30, s[26:27], 0x0
	s_waitcnt lgkmcnt(0)
	s_add_i32 s21, s16, s21
	s_add_i32 s7, s30, s7
	;; [unrolled: 1-line block ×3, first 2 shown]
	s_cmp_ge_u32 s30, s28
	s_cbranch_scc1 .LBB182_14
.LBB182_20:                             ;   in Loop: Header=BB182_12 Depth=1
	s_load_dword s31, s[26:27], 0x4
	s_waitcnt lgkmcnt(0)
	s_add_i32 s21, s21, s17
	s_add_i32 s7, s31, s7
	;; [unrolled: 1-line block ×3, first 2 shown]
	s_cmp_ge_u32 s30, s28
	s_cbranch_scc1 .LBB182_15
.LBB182_21:                             ;   in Loop: Header=BB182_12 Depth=1
	s_load_dword s31, s[26:27], 0x8
	s_waitcnt lgkmcnt(0)
	s_add_i32 s21, s21, s18
	s_add_i32 s7, s31, s7
	;; [unrolled: 1-line block ×3, first 2 shown]
	s_cmp_ge_u32 s30, s28
	s_cbranch_scc0 .LBB182_16
	s_branch .LBB182_17
.LBB182_22:
	s_mov_b32 s14, 0
	s_cmp_ge_u32 s14, s35
	s_cbranch_scc0 .LBB182_46
	s_branch .LBB182_24
.LBB182_23:
	s_add_i32 s14, s29, 4
	s_cmp_ge_u32 s14, s35
	s_cbranch_scc0 .LBB182_46
.LBB182_24:
	v_mov_b32_e32 v2, s7
	v_mov_b32_e32 v3, s20
	;; [unrolled: 1-line block ×4, first 2 shown]
	ds_write_b96 v1, v[2:4] offset:1056
.LBB182_25:
	s_or_b64 exec, exec, s[12:13]
	s_load_dwordx4 s[12:15], s[4:5], 0x1b8
	s_load_dwordx4 s[24:27], s[4:5], 0xd0
	;; [unrolled: 1-line block ×5, first 2 shown]
	s_cmp_eq_u32 s34, 0
	s_waitcnt lgkmcnt(0)
	s_barrier
	s_cbranch_scc1 .LBB182_48
; %bb.26:
	s_mul_i32 s7, s44, s39
	s_mul_hi_u32 s35, s44, s38
	s_add_i32 s35, s35, s7
	s_mul_i32 s7, s44, s38
	s_sub_u32 s7, s6, s7
	s_subb_u32 s35, 0, s35
	s_mul_i32 s31, s7, s31
	s_mul_hi_u32 s38, s7, s30
	s_add_i32 s31, s38, s31
	s_mul_i32 s35, s35, s30
	s_mul_i32 s30, s7, s30
	;; [unrolled: 1-line block ×3, first 2 shown]
	s_mul_hi_u32 s29, s44, s28
	s_add_i32 s31, s31, s35
	s_add_i32 s29, s29, s7
	s_mul_i32 s7, s42, s37
	s_mul_hi_u32 s35, s42, s36
	s_add_i32 s35, s35, s7
	s_mul_i32 s7, s42, s36
	s_sub_u32 s7, s6, s7
	s_subb_u32 s35, 0, s35
	s_mul_i32 s27, s7, s27
	s_mul_hi_u32 s36, s7, s26
	s_add_i32 s27, s36, s27
	s_mul_i32 s35, s35, s26
	s_mul_i32 s26, s7, s26
	;; [unrolled: 1-line block ×3, first 2 shown]
	s_mul_hi_u32 s25, s42, s24
	s_add_i32 s27, s27, s35
	s_add_i32 s25, s25, s7
	s_mul_i32 s7, s48, s41
	s_mul_hi_u32 s35, s48, s40
	s_add_i32 s35, s35, s7
	s_mul_i32 s7, s48, s40
	s_sub_u32 s6, s6, s7
	s_subb_u32 s7, 0, s35
	s_mul_i32 s23, s6, s23
	s_mul_hi_u32 s35, s6, s22
	s_mul_i32 s24, s42, s24
	s_add_i32 s23, s35, s23
	s_mul_i32 s7, s7, s22
	s_mul_i32 s6, s6, s22
	;; [unrolled: 1-line block ×3, first 2 shown]
	s_mul_hi_u32 s22, s48, s20
	s_add_i32 s7, s23, s7
	s_add_i32 s21, s22, s21
	s_lshl_b64 s[22:23], s[24:25], 3
	s_add_u32 s24, s50, s22
	s_addc_u32 s25, s51, s23
	s_lshl_b64 s[22:23], s[26:27], 3
	s_mul_i32 s28, s44, s28
	s_add_u32 s22, s24, s22
	s_addc_u32 s23, s25, s23
	s_lshl_b64 s[24:25], s[28:29], 3
	s_add_u32 s24, s14, s24
	s_addc_u32 s25, s15, s25
	s_lshl_b64 s[14:15], s[30:31], 3
	s_mul_i32 s20, s48, s20
	s_add_u32 s24, s24, s14
	s_addc_u32 s25, s25, s15
	s_lshl_b64 s[14:15], s[20:21], 3
	s_add_u32 s14, s18, s14
	s_addc_u32 s15, s19, s15
	s_lshl_b64 s[6:7], s[6:7], 3
	v_mov_b32_e32 v1, 0
	s_add_u32 s26, s14, s6
	ds_read_b96 v[2:4], v1 offset:1056
	s_addc_u32 s27, s15, s7
	s_ashr_i32 s6, s47, 31
	s_or_b32 s7, s6, 0x80000000
	v_cmp_o_f64_e64 s[14:15], s[46:47], s[46:47]
	s_xor_b64 s[6:7], s[6:7], s[46:47]
	s_and_b64 s[14:15], s[14:15], exec
	s_cselect_b32 s15, s7, -1
	s_load_dword s7, s[4:5], 0x1b0
	s_load_dwordx2 s[18:19], s[4:5], 0x508
	s_waitcnt lgkmcnt(0)
	v_add_u32_e32 v2, v2, v3
	v_lshrrev_b32_e32 v3, 5, v0
	v_add_lshl_u32 v5, v3, v0, 2
	v_lshlrev_b32_e32 v3, 2, v0
	v_lshrrev_b32_e32 v6, 3, v0
	v_add_lshl_u32 v10, v6, v3, 2
	v_add_u32_e32 v3, -1, v0
	v_lshrrev_b32_e32 v6, 5, v3
	v_add_lshl_u32 v11, v6, v3, 2
	v_mbcnt_lo_u32_b32 v3, -1, 0
	s_cselect_b32 s14, s6, -1
	s_bitcmp1_b32 s7, 0
	v_mbcnt_hi_u32_b32 v12, -1, v3
	s_cselect_b64 s[4:5], -1, 0
	v_cmp_gt_u32_e64 s[6:7], 64, v0
	v_add_u32_e32 v0, s33, v0
	v_and_b32_e32 v13, 15, v12
	v_bfe_i32 v14, v12, 4, 1
	v_add_u32_e32 v15, -1, v12
	v_and_b32_e32 v16, 64, v12
                                        ; implicit-def: $vgpr6_vgpr7
	s_branch .LBB182_29
.LBB182_27:                             ;   in Loop: Header=BB182_29 Depth=1
	s_or_b64 exec, exec, s[20:21]
	v_add_u32_e32 v2, v3, v2
.LBB182_28:                             ;   in Loop: Header=BB182_29 Depth=1
	s_add_i32 s34, s34, -1
	v_add_u32_e32 v4, v17, v4
	s_cmp_lg_u32 s34, 0
	v_add_u32_e32 v0, 0x100, v0
	s_cbranch_scc0 .LBB182_48
.LBB182_29:                             ; =>This Inner Loop Header: Depth=1
	v_cmp_gt_u64_e32 vcc, s[8:9], v[0:1]
	v_mov_b32_e32 v3, v1
	v_mov_b32_e32 v8, v1
	s_and_saveexec_b64 s[20:21], vcc
	s_cbranch_execz .LBB182_31
; %bb.30:                               ;   in Loop: Header=BB182_29 Depth=1
	v_mad_u64_u32 v[6:7], s[28:29], v0, s12, 0
	v_mov_b32_e32 v8, v7
	v_mad_u64_u32 v[8:9], s[28:29], v0, s13, v[8:9]
	v_mov_b32_e32 v7, v8
	v_lshlrev_b64 v[6:7], 3, v[6:7]
	v_mov_b32_e32 v3, s23
	v_add_co_u32_e32 v6, vcc, s22, v6
	v_addc_co_u32_e32 v7, vcc, v3, v7, vcc
	global_load_dwordx2 v[6:7], v[6:7], off
	s_waitcnt vmcnt(0)
	v_ashrrev_i32_e32 v3, 31, v7
	v_or_b32_e32 v8, 0x80000000, v3
	v_xor_b32_e32 v3, v3, v6
	v_xor_b32_e32 v8, v8, v7
	v_cmp_o_f64_e32 vcc, v[6:7], v[6:7]
	v_cndmask_b32_e32 v9, -1, v8, vcc
	v_cndmask_b32_e32 v8, -1, v3, vcc
	v_cmp_lt_u64_e32 vcc, s[14:15], v[8:9]
	v_cndmask_b32_e64 v3, 0, 1, vcc
	v_cmp_gt_u64_e32 vcc, s[14:15], v[8:9]
	v_cndmask_b32_e64 v17, 0, 1, vcc
	v_cndmask_b32_e64 v3, v17, v3, s[4:5]
	v_cmp_eq_u64_e32 vcc, s[14:15], v[8:9]
	v_and_b32_e32 v3, 1, v3
	v_cndmask_b32_e64 v8, 0, 1, vcc
.LBB182_31:                             ;   in Loop: Header=BB182_29 Depth=1
	s_or_b64 exec, exec, s[20:21]
	ds_write_b32 v5, v3
	s_waitcnt lgkmcnt(0)
	s_barrier
	s_and_saveexec_b64 s[20:21], s[6:7]
	s_cbranch_execz .LBB182_33
; %bb.32:                               ;   in Loop: Header=BB182_29 Depth=1
	ds_read2_b32 v[18:19], v10 offset1:1
	ds_read2_b32 v[20:21], v10 offset0:2 offset1:3
	v_cmp_ne_u32_e32 vcc, 0, v13
	; wave barrier
	s_waitcnt lgkmcnt(1)
	v_add_u32_e32 v9, v19, v18
	s_waitcnt lgkmcnt(0)
	v_add3_u32 v9, v9, v20, v21
	s_nop 1
	v_mov_b32_dpp v17, v9 row_shr:1 row_mask:0xf bank_mask:0xf
	v_cndmask_b32_e32 v17, 0, v17, vcc
	v_add_u32_e32 v9, v17, v9
	v_cmp_lt_u32_e32 vcc, 1, v13
	s_nop 0
	v_mov_b32_dpp v17, v9 row_shr:2 row_mask:0xf bank_mask:0xf
	v_cndmask_b32_e32 v17, 0, v17, vcc
	v_add_u32_e32 v9, v9, v17
	v_cmp_lt_u32_e32 vcc, 3, v13
	;; [unrolled: 5-line block ×4, first 2 shown]
	s_nop 0
	v_mov_b32_dpp v17, v9 row_bcast:15 row_mask:0xf bank_mask:0xf
	v_and_b32_e32 v17, v14, v17
	v_add_u32_e32 v9, v9, v17
	s_nop 1
	v_mov_b32_dpp v17, v9 row_bcast:31 row_mask:0xf bank_mask:0xf
	v_cndmask_b32_e32 v17, 0, v17, vcc
	v_cmp_lt_i32_e32 vcc, v15, v16
	v_add_u32_e32 v9, v9, v17
	v_cndmask_b32_e32 v17, v15, v12, vcc
	v_lshlrev_b32_e32 v17, 2, v17
	ds_bpermute_b32 v9, v17, v9
	s_waitcnt lgkmcnt(0)
	v_add_u32_e32 v9, v9, v18
	v_cndmask_b32_e64 v9, v9, v3, s[2:3]
	ds_write_b32 v10, v9
	; wave barrier
	ds_read2_b32 v[18:19], v10 offset0:1 offset1:2
	ds_read_b32 v17, v10 offset:12
	s_waitcnt lgkmcnt(1)
	v_add_u32_e32 v9, v18, v9
	v_add_u32_e32 v18, v19, v9
	ds_write2_b32 v10, v9, v18 offset0:1 offset1:2
	s_waitcnt lgkmcnt(1)
	v_add_u32_e32 v9, v17, v18
	ds_write_b32 v10, v9 offset:12
.LBB182_33:                             ;   in Loop: Header=BB182_29 Depth=1
	s_or_b64 exec, exec, s[20:21]
	v_mov_b32_e32 v9, 0
	s_waitcnt lgkmcnt(0)
	s_barrier
	s_and_saveexec_b64 s[20:21], s[0:1]
	s_cbranch_execz .LBB182_35
; %bb.34:                               ;   in Loop: Header=BB182_29 Depth=1
	ds_read_b32 v9, v11
.LBB182_35:                             ;   in Loop: Header=BB182_29 Depth=1
	s_or_b64 exec, exec, s[20:21]
	ds_read_b32 v17, v1 offset:1048
	v_cmp_ne_u32_e32 vcc, 0, v3
	s_waitcnt lgkmcnt(0)
	s_barrier
	s_and_saveexec_b64 s[20:21], vcc
	s_cbranch_execz .LBB182_37
; %bb.36:                               ;   in Loop: Header=BB182_29 Depth=1
	v_add_u32_e32 v3, v9, v4
	v_mad_u64_u32 v[18:19], s[28:29], v3, s16, 0
	v_mov_b32_e32 v20, v19
	v_mad_u64_u32 v[20:21], s[28:29], v3, s17, v[20:21]
	v_mov_b32_e32 v19, v20
	v_lshlrev_b64 v[18:19], 3, v[18:19]
	v_mov_b32_e32 v9, s25
	v_add_co_u32_e32 v18, vcc, s24, v18
	v_addc_co_u32_e32 v19, vcc, v9, v19, vcc
	global_store_dwordx2 v[18:19], v[6:7], off
	v_mad_u64_u32 v[18:19], s[28:29], v3, s18, 0
	v_mov_b32_e32 v20, v19
	v_mad_u64_u32 v[20:21], s[28:29], v3, s19, v[20:21]
	v_mov_b32_e32 v19, v20
	v_lshlrev_b64 v[18:19], 3, v[18:19]
	v_mov_b32_e32 v3, s27
	v_add_co_u32_e32 v18, vcc, s26, v18
	v_addc_co_u32_e32 v19, vcc, v3, v19, vcc
	global_store_dwordx2 v[18:19], v[0:1], off
.LBB182_37:                             ;   in Loop: Header=BB182_29 Depth=1
	s_or_b64 exec, exec, s[20:21]
	v_mov_b32_e32 v3, v1
	v_cmp_le_u64_e32 vcc, s[10:11], v[2:3]
	s_cbranch_vccnz .LBB182_28
; %bb.38:                               ;   in Loop: Header=BB182_29 Depth=1
	ds_write_b32 v5, v8
	s_waitcnt lgkmcnt(0)
	s_barrier
	s_and_saveexec_b64 s[20:21], s[6:7]
	s_cbranch_execz .LBB182_40
; %bb.39:                               ;   in Loop: Header=BB182_29 Depth=1
	ds_read2_b32 v[18:19], v10 offset1:1
	ds_read2_b32 v[20:21], v10 offset0:2 offset1:3
	v_cmp_ne_u32_e32 vcc, 0, v13
	; wave barrier
	s_waitcnt lgkmcnt(1)
	v_add_u32_e32 v3, v19, v18
	s_waitcnt lgkmcnt(0)
	v_add3_u32 v3, v3, v20, v21
	s_nop 1
	v_mov_b32_dpp v9, v3 row_shr:1 row_mask:0xf bank_mask:0xf
	v_cndmask_b32_e32 v9, 0, v9, vcc
	v_add_u32_e32 v3, v9, v3
	v_cmp_lt_u32_e32 vcc, 1, v13
	s_nop 0
	v_mov_b32_dpp v9, v3 row_shr:2 row_mask:0xf bank_mask:0xf
	v_cndmask_b32_e32 v9, 0, v9, vcc
	v_add_u32_e32 v3, v3, v9
	v_cmp_lt_u32_e32 vcc, 3, v13
	;; [unrolled: 5-line block ×4, first 2 shown]
	s_nop 0
	v_mov_b32_dpp v9, v3 row_bcast:15 row_mask:0xf bank_mask:0xf
	v_and_b32_e32 v9, v14, v9
	v_add_u32_e32 v3, v3, v9
	s_nop 1
	v_mov_b32_dpp v9, v3 row_bcast:31 row_mask:0xf bank_mask:0xf
	v_cndmask_b32_e32 v9, 0, v9, vcc
	v_cmp_lt_i32_e32 vcc, v15, v16
	v_add_u32_e32 v3, v3, v9
	v_cndmask_b32_e32 v9, v15, v12, vcc
	v_lshlrev_b32_e32 v9, 2, v9
	ds_bpermute_b32 v3, v9, v3
	s_waitcnt lgkmcnt(0)
	v_add_u32_e32 v3, v3, v18
	v_cndmask_b32_e64 v3, v3, v8, s[2:3]
	ds_write_b32 v10, v3
	; wave barrier
	ds_read2_b32 v[18:19], v10 offset0:1 offset1:2
	ds_read_b32 v9, v10 offset:12
	s_waitcnt lgkmcnt(1)
	v_add_u32_e32 v3, v18, v3
	v_add_u32_e32 v18, v19, v3
	ds_write2_b32 v10, v3, v18 offset0:1 offset1:2
	s_waitcnt lgkmcnt(1)
	v_add_u32_e32 v3, v9, v18
	ds_write_b32 v10, v3 offset:12
.LBB182_40:                             ;   in Loop: Header=BB182_29 Depth=1
	s_or_b64 exec, exec, s[20:21]
	v_mov_b32_e32 v9, 0
	s_waitcnt lgkmcnt(0)
	s_barrier
	s_and_saveexec_b64 s[20:21], s[0:1]
	s_cbranch_execz .LBB182_42
; %bb.41:                               ;   in Loop: Header=BB182_29 Depth=1
	ds_read_b32 v9, v11
.LBB182_42:                             ;   in Loop: Header=BB182_29 Depth=1
	s_or_b64 exec, exec, s[20:21]
	ds_read_b32 v3, v1 offset:1048
	v_cmp_ne_u32_e32 vcc, 0, v8
	s_waitcnt lgkmcnt(0)
	s_barrier
	s_and_saveexec_b64 s[20:21], vcc
	s_cbranch_execz .LBB182_27
; %bb.43:                               ;   in Loop: Header=BB182_29 Depth=1
	v_add_u32_e32 v8, v9, v2
	v_mov_b32_e32 v9, v1
	v_cmp_gt_u64_e32 vcc, s[10:11], v[8:9]
	s_and_b64 exec, exec, vcc
	s_cbranch_execz .LBB182_27
; %bb.44:                               ;   in Loop: Header=BB182_29 Depth=1
	v_mad_u64_u32 v[18:19], s[28:29], v8, s16, 0
	v_mov_b32_e32 v20, v19
	v_mad_u64_u32 v[20:21], s[28:29], v8, s17, v[20:21]
	v_mov_b32_e32 v19, v20
	v_lshlrev_b64 v[18:19], 3, v[18:19]
	v_mov_b32_e32 v9, s25
	v_add_co_u32_e32 v18, vcc, s24, v18
	v_addc_co_u32_e32 v19, vcc, v9, v19, vcc
	global_store_dwordx2 v[18:19], v[6:7], off
	v_mad_u64_u32 v[18:19], s[28:29], v8, s18, 0
	v_mov_b32_e32 v20, v19
	v_mad_u64_u32 v[8:9], s[28:29], v8, s19, v[20:21]
	v_mov_b32_e32 v19, v8
	v_lshlrev_b64 v[8:9], 3, v[18:19]
	v_mov_b32_e32 v18, s27
	v_add_co_u32_e32 v8, vcc, s26, v8
	v_addc_co_u32_e32 v9, vcc, v18, v9, vcc
	global_store_dwordx2 v[8:9], v[0:1], off
	s_branch .LBB182_27
.LBB182_45:                             ;   in Loop: Header=BB182_46 Depth=1
	s_add_u32 s16, s16, 4
	s_addc_u32 s17, s17, 0
	s_waitcnt lgkmcnt(0)
	s_add_i32 s20, s15, s20
	s_add_u32 s18, s18, 4
	s_addc_u32 s19, s19, 0
	s_add_i32 s14, s14, 1
	s_cmp_lt_u32 s14, s35
	s_cbranch_scc0 .LBB182_24
.LBB182_46:                             ; =>This Inner Loop Header: Depth=1
	s_load_dword s15, s[16:17], 0x0
	s_cmp_ge_u32 s14, s28
	s_cbranch_scc1 .LBB182_45
; %bb.47:                               ;   in Loop: Header=BB182_46 Depth=1
	s_load_dword s22, s[18:19], 0x0
	s_waitcnt lgkmcnt(0)
	s_add_i32 s21, s15, s21
	s_add_i32 s7, s22, s7
	s_branch .LBB182_45
.LBB182_48:
	s_endpgm
	.section	.rodata,"a",@progbits
	.p2align	6, 0x0
	.amdhsa_kernel _ZN2at6native6mbtopk10gatherTopKIdmLi2EEEvNS_4cuda6detail10TensorInfoIKT_T0_EES8_S8_bjS8_NS5_IS6_S8_EES8_NS5_IlS8_EES8_jjPS6_PjSD_j
		.amdhsa_group_segment_fixed_size 1068
		.amdhsa_private_segment_fixed_size 0
		.amdhsa_kernarg_size 1592
		.amdhsa_user_sgpr_count 6
		.amdhsa_user_sgpr_private_segment_buffer 1
		.amdhsa_user_sgpr_dispatch_ptr 0
		.amdhsa_user_sgpr_queue_ptr 0
		.amdhsa_user_sgpr_kernarg_segment_ptr 1
		.amdhsa_user_sgpr_dispatch_id 0
		.amdhsa_user_sgpr_flat_scratch_init 0
		.amdhsa_user_sgpr_kernarg_preload_length 0
		.amdhsa_user_sgpr_kernarg_preload_offset 0
		.amdhsa_user_sgpr_private_segment_size 0
		.amdhsa_uses_dynamic_stack 0
		.amdhsa_system_sgpr_private_segment_wavefront_offset 0
		.amdhsa_system_sgpr_workgroup_id_x 1
		.amdhsa_system_sgpr_workgroup_id_y 1
		.amdhsa_system_sgpr_workgroup_id_z 1
		.amdhsa_system_sgpr_workgroup_info 0
		.amdhsa_system_vgpr_workitem_id 0
		.amdhsa_next_free_vgpr 22
		.amdhsa_next_free_sgpr 52
		.amdhsa_accum_offset 24
		.amdhsa_reserve_vcc 1
		.amdhsa_reserve_flat_scratch 0
		.amdhsa_float_round_mode_32 0
		.amdhsa_float_round_mode_16_64 0
		.amdhsa_float_denorm_mode_32 3
		.amdhsa_float_denorm_mode_16_64 3
		.amdhsa_dx10_clamp 1
		.amdhsa_ieee_mode 1
		.amdhsa_fp16_overflow 0
		.amdhsa_tg_split 0
		.amdhsa_exception_fp_ieee_invalid_op 0
		.amdhsa_exception_fp_denorm_src 0
		.amdhsa_exception_fp_ieee_div_zero 0
		.amdhsa_exception_fp_ieee_overflow 0
		.amdhsa_exception_fp_ieee_underflow 0
		.amdhsa_exception_fp_ieee_inexact 0
		.amdhsa_exception_int_div_zero 0
	.end_amdhsa_kernel
	.section	.text._ZN2at6native6mbtopk10gatherTopKIdmLi2EEEvNS_4cuda6detail10TensorInfoIKT_T0_EES8_S8_bjS8_NS5_IS6_S8_EES8_NS5_IlS8_EES8_jjPS6_PjSD_j,"axG",@progbits,_ZN2at6native6mbtopk10gatherTopKIdmLi2EEEvNS_4cuda6detail10TensorInfoIKT_T0_EES8_S8_bjS8_NS5_IS6_S8_EES8_NS5_IlS8_EES8_jjPS6_PjSD_j,comdat
.Lfunc_end182:
	.size	_ZN2at6native6mbtopk10gatherTopKIdmLi2EEEvNS_4cuda6detail10TensorInfoIKT_T0_EES8_S8_bjS8_NS5_IS6_S8_EES8_NS5_IlS8_EES8_jjPS6_PjSD_j, .Lfunc_end182-_ZN2at6native6mbtopk10gatherTopKIdmLi2EEEvNS_4cuda6detail10TensorInfoIKT_T0_EES8_S8_bjS8_NS5_IS6_S8_EES8_NS5_IlS8_EES8_jjPS6_PjSD_j
                                        ; -- End function
	.section	.AMDGPU.csdata,"",@progbits
; Kernel info:
; codeLenInByte = 2748
; NumSgprs: 56
; NumVgprs: 22
; NumAgprs: 0
; TotalNumVgprs: 22
; ScratchSize: 0
; MemoryBound: 0
; FloatMode: 240
; IeeeMode: 1
; LDSByteSize: 1068 bytes/workgroup (compile time only)
; SGPRBlocks: 6
; VGPRBlocks: 2
; NumSGPRsForWavesPerEU: 56
; NumVGPRsForWavesPerEU: 22
; AccumOffset: 24
; Occupancy: 8
; WaveLimiterHint : 1
; COMPUTE_PGM_RSRC2:SCRATCH_EN: 0
; COMPUTE_PGM_RSRC2:USER_SGPR: 6
; COMPUTE_PGM_RSRC2:TRAP_HANDLER: 0
; COMPUTE_PGM_RSRC2:TGID_X_EN: 1
; COMPUTE_PGM_RSRC2:TGID_Y_EN: 1
; COMPUTE_PGM_RSRC2:TGID_Z_EN: 1
; COMPUTE_PGM_RSRC2:TIDIG_COMP_CNT: 0
; COMPUTE_PGM_RSRC3_GFX90A:ACCUM_OFFSET: 5
; COMPUTE_PGM_RSRC3_GFX90A:TG_SPLIT: 0
	.section	.text._ZN2at6native6sbtopk10gatherTopKIdmLi2ELb0EEEvNS_4cuda6detail10TensorInfoIKT_T0_EES8_S8_bS8_S8_NS5_IS6_S8_EES8_NS5_IlS8_EES8_PS6_,"axG",@progbits,_ZN2at6native6sbtopk10gatherTopKIdmLi2ELb0EEEvNS_4cuda6detail10TensorInfoIKT_T0_EES8_S8_bS8_S8_NS5_IS6_S8_EES8_NS5_IlS8_EES8_PS6_,comdat
	.protected	_ZN2at6native6sbtopk10gatherTopKIdmLi2ELb0EEEvNS_4cuda6detail10TensorInfoIKT_T0_EES8_S8_bS8_S8_NS5_IS6_S8_EES8_NS5_IlS8_EES8_PS6_ ; -- Begin function _ZN2at6native6sbtopk10gatherTopKIdmLi2ELb0EEEvNS_4cuda6detail10TensorInfoIKT_T0_EES8_S8_bS8_S8_NS5_IS6_S8_EES8_NS5_IlS8_EES8_PS6_
	.globl	_ZN2at6native6sbtopk10gatherTopKIdmLi2ELb0EEEvNS_4cuda6detail10TensorInfoIKT_T0_EES8_S8_bS8_S8_NS5_IS6_S8_EES8_NS5_IlS8_EES8_PS6_
	.p2align	8
	.type	_ZN2at6native6sbtopk10gatherTopKIdmLi2ELb0EEEvNS_4cuda6detail10TensorInfoIKT_T0_EES8_S8_bS8_S8_NS5_IS6_S8_EES8_NS5_IlS8_EES8_PS6_,@function
_ZN2at6native6sbtopk10gatherTopKIdmLi2ELb0EEEvNS_4cuda6detail10TensorInfoIKT_T0_EES8_S8_bS8_S8_NS5_IS6_S8_EES8_NS5_IlS8_EES8_PS6_: ; @_ZN2at6native6sbtopk10gatherTopKIdmLi2ELb0EEEvNS_4cuda6detail10TensorInfoIKT_T0_EES8_S8_bS8_S8_NS5_IS6_S8_EES8_NS5_IlS8_EES8_PS6_
; %bb.0:
	s_load_dwordx4 s[56:59], s[4:5], 0x1b8
	s_load_dwordx2 s[10:11], s[4:5], 0x520
	s_add_u32 s20, s4, 0x520
	s_addc_u32 s21, s5, 0
	s_mov_b32 s23, 0
	s_waitcnt lgkmcnt(0)
	v_mov_b32_e32 v2, s56
	s_mul_i32 s0, s11, s8
	s_add_i32 s0, s0, s7
	s_mul_i32 s0, s0, s10
	v_mov_b32_e32 v3, s57
	s_add_i32 s22, s0, s6
	v_cmp_ge_u64_e32 vcc, s[22:23], v[2:3]
	s_cbranch_vccnz .LBB183_490
; %bb.1:
	s_load_dwordx2 s[8:9], s[4:5], 0x10
	s_load_dwordx2 s[16:17], s[4:5], 0x380
	;; [unrolled: 1-line block ×3, first 2 shown]
	s_mov_b64 s[0:1], 0
                                        ; implicit-def: $vgpr54 : SGPR spill to VGPR lane
	s_mov_b64 s[12:13], 0
	s_waitcnt lgkmcnt(0)
	v_pk_mov_b32 v[2:3], s[8:9], s[8:9] op_sel:[0,1]
	v_cmp_lt_u64_e32 vcc, s[22:23], v[2:3]
	v_writelane_b32 v54, s0, 0
	v_writelane_b32 v54, s1, 1
	s_cbranch_vccnz .LBB183_3
; %bb.2:
	v_cvt_f32_u32_e32 v1, s8
	s_sub_i32 s0, 0, s8
	v_rcp_iflag_f32_e32 v1, v1
	v_mul_f32_e32 v1, 0x4f7ffffe, v1
	v_cvt_u32_f32_e32 v1, v1
	v_readfirstlane_b32 s1, v1
	s_mul_i32 s0, s0, s1
	s_mul_hi_u32 s0, s1, s0
	s_add_i32 s1, s1, s0
	s_mul_hi_u32 s0, s22, s1
	s_mul_i32 s2, s0, s8
	s_sub_i32 s2, s22, s2
	s_add_i32 s1, s0, 1
	s_sub_i32 s3, s2, s8
	s_cmp_ge_u32 s2, s8
	s_cselect_b32 s0, s1, s0
	s_cselect_b32 s2, s3, s2
	s_add_i32 s1, s0, 1
	s_cmp_ge_u32 s2, s8
	s_cselect_b32 s12, s1, s0
.LBB183_3:
	v_pk_mov_b32 v[2:3], s[14:15], s[14:15] op_sel:[0,1]
	v_cmp_lt_u64_e32 vcc, s[22:23], v[2:3]
	s_cbranch_vccnz .LBB183_5
; %bb.4:
	v_cvt_f32_u32_e32 v1, s14
	s_sub_i32 s0, 0, s14
	v_rcp_iflag_f32_e32 v1, v1
	v_mul_f32_e32 v1, 0x4f7ffffe, v1
	v_cvt_u32_f32_e32 v1, v1
	v_readfirstlane_b32 s1, v1
	s_mul_i32 s0, s0, s1
	s_mul_hi_u32 s0, s1, s0
	s_add_i32 s1, s1, s0
	s_mul_hi_u32 s0, s22, s1
	s_mul_i32 s2, s0, s14
	s_sub_i32 s2, s22, s2
	s_add_i32 s1, s0, 1
	s_sub_i32 s3, s2, s14
	s_cmp_ge_u32 s2, s14
	s_cselect_b32 s0, s1, s0
	s_cselect_b32 s2, s3, s2
	s_add_i32 s1, s0, 1
	s_cmp_ge_u32 s2, s14
	s_cselect_b32 s0, s1, s0
	v_writelane_b32 v54, s0, 0
	v_writelane_b32 v54, s1, 1
.LBB183_5:
	v_writelane_b32 v54, s14, 2
	v_writelane_b32 v54, s15, 3
	s_load_dwordx2 s[14:15], s[4:5], 0x0
	v_pk_mov_b32 v[2:3], s[16:17], s[16:17] op_sel:[0,1]
	v_cmp_lt_u64_e32 vcc, s[22:23], v[2:3]
	s_mov_b64 s[0:1], 0
	v_writelane_b32 v54, s0, 4
	v_writelane_b32 v54, s1, 5
	s_cbranch_vccnz .LBB183_7
; %bb.6:
	v_cvt_f32_u32_e32 v1, s16
	s_sub_i32 s0, 0, s16
	v_rcp_iflag_f32_e32 v1, v1
	v_mul_f32_e32 v1, 0x4f7ffffe, v1
	v_cvt_u32_f32_e32 v1, v1
	v_readfirstlane_b32 s1, v1
	s_mul_i32 s0, s0, s1
	s_mul_hi_u32 s0, s1, s0
	s_add_i32 s1, s1, s0
	s_mul_hi_u32 s0, s22, s1
	s_mul_i32 s2, s0, s16
	s_sub_i32 s2, s22, s2
	s_add_i32 s1, s0, 1
	s_sub_i32 s3, s2, s16
	s_cmp_ge_u32 s2, s16
	s_cselect_b32 s0, s1, s0
	s_cselect_b32 s2, s3, s2
	s_add_i32 s1, s0, 1
	s_cmp_ge_u32 s2, s16
	s_cselect_b32 s0, s1, s0
	v_writelane_b32 v54, s0, 4
	v_writelane_b32 v54, s1, 5
.LBB183_7:
	s_load_dwordx2 s[0:1], s[4:5], 0x370
	v_writelane_b32 v54, s16, 6
	v_writelane_b32 v54, s17, 7
	s_mov_b32 s85, 0
	v_cmp_eq_u32_e64 s[18:19], 0, v0
	s_waitcnt lgkmcnt(0)
	v_writelane_b32 v54, s0, 8
	v_writelane_b32 v54, s1, 9
	s_load_dwordx2 s[0:1], s[4:5], 0x1c8
	s_waitcnt lgkmcnt(0)
	v_writelane_b32 v54, s0, 10
	v_writelane_b32 v54, s1, 11
	s_load_dwordx4 s[0:3], s[4:5], 0xd0
	s_load_dwordx4 s[60:63], s[4:5], 0x1a0
	s_mov_b64 s[16:17], exec
	v_writelane_b32 v54, s18, 12
	v_writelane_b32 v54, s19, 13
	s_and_b64 s[18:19], s[16:17], s[18:19]
	s_mov_b64 exec, s[18:19]
	s_cbranch_execz .LBB183_9
; %bb.8:
	v_mov_b32_e32 v2, 0
	s_waitcnt lgkmcnt(0)
	v_mov_b32_e32 v4, s60
	v_mov_b32_e32 v5, s61
	;; [unrolled: 1-line block ×3, first 2 shown]
	ds_write_b32 v2, v2 offset:5144
	ds_write_b128 v2, v[2:5] offset:5120
.LBB183_9:
	s_or_b64 exec, exec, s[16:17]
	s_mul_i32 s7, s12, s9
	s_mul_hi_u32 s9, s12, s8
	s_add_i32 s9, s9, s7
	s_mul_i32 s7, s12, s8
	s_mov_b32 s8, s22
	v_writelane_b32 v54, s8, 14
	s_sub_u32 s7, s22, s7
	v_writelane_b32 v54, s9, 15
	s_subb_u32 s8, 0, s9
	s_waitcnt lgkmcnt(0)
	s_mul_i32 s3, s7, s3
	s_mul_hi_u32 s9, s7, s2
	s_mul_i32 s8, s8, s2
	s_mul_i32 s2, s7, s2
	;; [unrolled: 1-line block ×3, first 2 shown]
	s_mul_hi_u32 s7, s12, s0
	s_load_dwordx4 s[16:19], s[4:5], 0x298
	s_add_i32 s3, s9, s3
	s_add_i32 s1, s7, s1
	s_mul_i32 s0, s12, s0
	s_add_i32 s3, s3, s8
	s_load_dword s8, s[4:5], 0x1b0
	s_lshl_b64 s[0:1], s[0:1], 3
	s_add_u32 s7, s14, s0
	s_addc_u32 s9, s15, s1
	s_lshl_b64 s[0:1], s[2:3], 3
	s_waitcnt lgkmcnt(0)
	v_writelane_b32 v54, s16, 16
	s_add_u32 s33, s7, s0
	v_writelane_b32 v54, s17, 17
	s_addc_u32 s86, s9, s1
	v_writelane_b32 v54, s18, 18
	s_bitcmp1_b32 s8, 0
	v_writelane_b32 v54, s19, 19
	s_cselect_b64 s[0:1], -1, 0
	v_writelane_b32 v54, s0, 20
	v_mbcnt_lo_u32_b32 v1, -1, 0
	v_writelane_b32 v54, s1, 21
	s_xor_b64 s[0:1], s[0:1], -1
	v_mbcnt_hi_u32_b32 v37, -1, v1
	v_writelane_b32 v54, s0, 22
	v_cmp_gt_u32_e32 vcc, 64, v0
	v_cmp_gt_i32_e64 s[2:3], 4, v37
	v_writelane_b32 v54, s1, 23
	s_and_b64 s[2:3], vcc, s[2:3]
	v_mov_b32_e32 v2, 0x180
	v_writelane_b32 v54, s2, 24
	v_mov_b32_e32 v3, 0
	v_mov_b32_e32 v21, 0
	v_writelane_b32 v54, s3, 25
	v_cmp_gt_u64_e64 s[2:3], s[60:61], v[2:3]
	v_writelane_b32 v54, s2, 26
	v_mov_b32_e32 v1, v21
	v_writelane_b32 v54, s3, 27
	v_cmp_gt_u64_e64 s[2:3], s[60:61], v[0:1]
	v_writelane_b32 v54, s2, 28
	v_writelane_b32 v54, s3, 29
	v_mad_u64_u32 v[2:3], s[2:3], v0, s58, 0
	v_mov_b32_e32 v4, v3
	v_mad_u64_u32 v[4:5], s[2:3], v0, s59, v[4:5]
	v_cmp_gt_u32_e64 s[2:3], 2, v0
	v_writelane_b32 v54, s2, 30
	s_barrier
	v_writelane_b32 v54, s3, 31
	s_load_dword s2, s[20:21], 0xc
	v_mov_b32_e32 v3, v4
	v_lshlrev_b64 v[2:3], 3, v[2:3]
	v_add_co_u32_e32 v18, vcc, s33, v2
	s_waitcnt lgkmcnt(0)
	s_and_b32 s87, s2, 0xffff
	s_bfe_u32 s3, s2, 0xa0006
	v_cmp_gt_u16_e64 s[8:9], s2, 63
	v_writelane_b32 v54, s8, 32
	s_add_u32 s2, s87, -1
	v_writelane_b32 v54, s9, 33
	s_addc_u32 s7, 0, -1
	v_writelane_b32 v54, s2, 34
	s_add_u32 s2, s2, s60
	s_addc_u32 s93, s7, s61
	s_cmp_lt_u32 s6, s10
	v_writelane_b32 v54, s2, 35
	s_cselect_b32 s2, 12, 18
	s_add_u32 s6, s20, s2
	v_writelane_b32 v54, s7, 36
	s_addc_u32 s7, s21, 0
	v_writelane_b32 v54, s6, 37
	v_writelane_b32 v54, s7, 38
	s_add_i32 s2, s3, -1
	s_bfe_u32 s6, s87, 0x30006
	s_cmp_gt_u32 s2, 6
	s_cselect_b64 s[8:9], -1, 0
	v_writelane_b32 v54, s8, 39
	s_and_b32 s94, s3, 0x3f8
	v_writelane_b32 v54, s9, 40
	s_cmp_lg_u32 s6, 0
	v_writelane_b32 v54, s6, 41
	s_cselect_b64 s[2:3], -1, 0
	v_writelane_b32 v54, s2, 42
	v_writelane_b32 v54, s3, 43
	;; [unrolled: 1-line block ×4, first 2 shown]
	s_load_dwordx4 s[4:7], s[4:5], 0x440
	v_lshrrev_b32_e32 v2, 4, v0
	v_mov_b32_e32 v4, s86
	v_and_b32_e32 v38, 60, v2
	v_lshlrev_b32_e32 v2, 2, v37
	s_waitcnt lgkmcnt(0)
	v_writelane_b32 v54, s4, 46
	v_addc_co_u32_e32 v19, vcc, v4, v3, vcc
	v_and_b32_e32 v36, 0x100, v2
	v_lshlrev_b64 v[2:3], v37, -1
	v_writelane_b32 v54, s5, 47
	v_lshlrev_b32_e32 v39, 3, v0
	v_not_b32_e32 v16, v2
	v_mov_b32_e32 v2, 0xc00
	v_pk_mov_b32 v[24:25], 0, 0
	v_writelane_b32 v54, s6, 48
	v_cmp_eq_u32_e64 s[0:1], 0, v37
	v_lshlrev_b32_e32 v22, 2, v0
	v_mov_b32_e32 v23, v21
	v_add_u32_e32 v40, 0xc00, v39
	v_not_b32_e32 v17, v3
	s_mov_b32 s88, s85
	v_lshlrev_b32_e32 v41, 5, v0
	v_lshl_or_b32 v42, v37, 3, v2
	s_lshl_b32 s95, s87, 3
	s_mov_b32 s89, 62
	s_mov_b64 s[64:65], 0
	v_pk_mov_b32 v[6:7], 0, 0
	v_pk_mov_b32 v[28:29], s[62:63], s[62:63] op_sel:[0,1]
	v_writelane_b32 v54, s7, 49
	v_mov_b32_e32 v3, 0x3ff00000
	v_mov_b32_e32 v43, 0x4f800000
	s_mov_b32 s2, 0
	v_pk_mov_b32 v[26:27], v[24:25], v[24:25] op_sel:[0,1]
                                        ; implicit-def: $sgpr68_sgpr69
                                        ; implicit-def: $sgpr70_sgpr71
                                        ; implicit-def: $sgpr78_sgpr79
                                        ; implicit-def: $sgpr30_sgpr31
                                        ; implicit-def: $sgpr76_sgpr77
                                        ; implicit-def: $sgpr72_sgpr73
                                        ; implicit-def: $sgpr74_sgpr75
                                        ; implicit-def: $sgpr66_sgpr67
                                        ; implicit-def: $sgpr80_sgpr81
	v_writelane_b32 v54, s2, 50
                                        ; implicit-def: $sgpr82_sgpr83
	s_branch .LBB183_12
.LBB183_10:                             ;   in Loop: Header=BB183_12 Depth=1
	s_or_b64 exec, exec, s[8:9]
	s_andn2_b64 s[8:9], s[82:83], exec
	s_and_b64 s[6:7], s[6:7], exec
	s_or_b64 s[82:83], s[8:9], s[6:7]
	s_andn2_b64 s[80:81], s[80:81], exec
	s_andn2_b64 s[66:67], s[66:67], exec
	;; [unrolled: 1-line block ×4, first 2 shown]
	s_orn2_b64 s[4:5], s[4:5], exec
	v_pk_mov_b32 v[26:27], v[14:15], v[14:15] op_sel:[0,1]
	v_pk_mov_b32 v[24:25], v[12:13], v[12:13] op_sel:[0,1]
	s_waitcnt vmcnt(0)
	v_pk_mov_b32 v[28:29], v[30:31], v[30:31] op_sel:[0,1]
	v_pk_mov_b32 v[6:7], v[10:11], v[10:11] op_sel:[0,1]
.LBB183_11:                             ;   in Loop: Header=BB183_12 Depth=1
	s_or_b64 exec, exec, s[2:3]
	s_and_b64 s[2:3], exec, s[4:5]
	s_or_b64 s[64:65], s[2:3], s[64:65]
	s_andn2_b64 s[2:3], s[76:77], exec
	s_and_b64 s[4:5], s[82:83], exec
	s_or_b64 s[76:77], s[2:3], s[4:5]
	s_andn2_b64 s[2:3], s[30:31], exec
	s_and_b64 s[4:5], s[80:81], exec
	;; [unrolled: 3-line block ×5, first 2 shown]
	s_or_b64 s[68:69], s[2:3], s[4:5]
	s_andn2_b64 exec, exec, s[64:65]
	s_cbranch_execz .LBB183_486
.LBB183_12:                             ; =>This Loop Header: Depth=1
                                        ;     Child Loop BB183_20 Depth 2
                                        ;     Child Loop BB183_35 Depth 2
                                        ;     Child Loop BB183_62 Depth 2
                                        ;     Child Loop BB183_66 Depth 2
                                        ;     Child Loop BB183_48 Depth 2
                                        ;     Child Loop BB183_55 Depth 2
                                        ;     Child Loop BB183_75 Depth 2
                                        ;     Child Loop BB183_81 Depth 2
                                        ;     Child Loop BB183_113 Depth 2
                                        ;     Child Loop BB183_94 Depth 2
                                        ;     Child Loop BB183_159 Depth 2
                                        ;     Child Loop BB183_143 Depth 2
                                        ;     Child Loop BB183_189 Depth 2
                                        ;     Child Loop BB183_206 Depth 2
                                        ;     Child Loop BB183_241 Depth 2
                                        ;     Child Loop BB183_257 Depth 2
                                        ;     Child Loop BB183_310 Depth 2
                                        ;     Child Loop BB183_296 Depth 2
                                        ;     Child Loop BB183_356 Depth 2
                                        ;     Child Loop BB183_340 Depth 2
                                        ;     Child Loop BB183_402 Depth 2
                                        ;     Child Loop BB183_386 Depth 2
                                        ;     Child Loop BB183_437 Depth 2
                                        ;     Child Loop BB183_453 Depth 2
	ds_read_b128 v[8:11], v21 offset:5120
	s_waitcnt lgkmcnt(0)
	v_readfirstlane_b32 s9, v9
	v_readfirstlane_b32 s8, v8
	s_cmp_lg_u64 s[8:9], 0
	s_cbranch_scc1 .LBB183_42
; %bb.13:                               ;   in Loop: Header=BB183_12 Depth=1
	v_readlane_b32 s2, v54, 26
	v_readlane_b32 s3, v54, 27
	s_and_b64 vcc, exec, s[2:3]
	s_cbranch_vccz .LBB183_28
; %bb.14:                               ;   in Loop: Header=BB183_12 Depth=1
	s_mov_b64 s[2:3], 0x181
	v_cmp_gt_u64_e32 vcc, s[2:3], v[10:11]
	s_mov_b64 s[8:9], 0
	s_mov_b64 s[2:3], 0
	s_cbranch_vccz .LBB183_29
; %bb.15:                               ;   in Loop: Header=BB183_12 Depth=1
	s_waitcnt vmcnt(0)
	v_pk_mov_b32 v[4:5], 0, 0
	s_mov_b64 s[2:3], exec
	v_readlane_b32 s4, v54, 28
	v_readlane_b32 s5, v54, 29
	s_and_b64 s[4:5], s[2:3], s[4:5]
	s_mov_b64 exec, s[4:5]
	s_cbranch_execz .LBB183_17
; %bb.16:                               ;   in Loop: Header=BB183_12 Depth=1
	global_load_dwordx2 v[4:5], v[18:19], off
.LBB183_17:                             ;   in Loop: Header=BB183_12 Depth=1
	s_or_b64 exec, exec, s[2:3]
	s_mov_b64 s[2:3], exec
	v_readlane_b32 s4, v54, 28
	v_readlane_b32 s5, v54, 29
	s_and_b64 s[4:5], s[2:3], s[4:5]
	s_mov_b64 exec, s[4:5]
	s_cbranch_execz .LBB183_101
; %bb.18:                               ;   in Loop: Header=BB183_12 Depth=1
	v_readlane_b32 s4, v54, 37
	v_readlane_b32 s5, v54, 38
	v_pk_mov_b32 v[8:9], v[0:1], v[0:1] op_sel:[0,1]
	s_nop 3
	global_load_ushort v2, v21, s[4:5]
	s_mov_b64 s[4:5], 0
	s_branch .LBB183_20
.LBB183_19:                             ;   in Loop: Header=BB183_20 Depth=2
	s_or_b64 exec, exec, s[6:7]
	s_waitcnt vmcnt(0)
	v_pk_mov_b32 v[4:5], v[10:11], v[10:11] op_sel:[0,1]
	s_andn2_b64 exec, exec, s[4:5]
	s_cbranch_execz .LBB183_101
.LBB183_20:                             ;   Parent Loop BB183_12 Depth=1
                                        ; =>  This Inner Loop Header: Depth=2
	s_waitcnt vmcnt(0)
	v_add_co_u32_sdwa v8, vcc, v8, v2 dst_sel:DWORD dst_unused:UNUSED_PAD src0_sel:DWORD src1_sel:WORD_0
	v_addc_co_u32_e32 v9, vcc, 0, v9, vcc
	v_cmp_gt_u64_e64 s[6:7], s[60:61], v[8:9]
	v_cmp_le_u64_e32 vcc, s[60:61], v[8:9]
	v_pk_mov_b32 v[10:11], 0, 0
	s_and_saveexec_b64 s[10:11], s[6:7]
	s_cbranch_execz .LBB183_22
; %bb.21:                               ;   in Loop: Header=BB183_20 Depth=2
	s_waitcnt lgkmcnt(0)
	v_mul_lo_u32 v12, v9, s58
	v_mul_lo_u32 v13, v8, s59
	v_mad_u64_u32 v[10:11], s[6:7], v8, s58, 0
	v_add3_u32 v11, v11, v13, v12
	v_lshlrev_b64 v[10:11], 3, v[10:11]
	v_mov_b32_e32 v12, s86
	v_add_co_u32_e64 v10, s[6:7], s33, v10
	v_addc_co_u32_e64 v11, s[6:7], v12, v11, s[6:7]
	global_load_dwordx2 v[10:11], v[10:11], off
.LBB183_22:                             ;   in Loop: Header=BB183_20 Depth=2
	s_or_b64 exec, exec, s[10:11]
	s_waitcnt lgkmcnt(0)
	v_ashrrev_i32_e32 v12, 31, v5
	v_or_b32_e32 v13, 0x80000000, v12
	v_xor_b32_e32 v13, v13, v5
	v_xor_b32_e32 v12, v12, v4
	v_cmp_o_f64_e64 s[6:7], v[4:5], v[4:5]
	v_cndmask_b32_e64 v13, -1, v13, s[6:7]
	v_cndmask_b32_e64 v12, -1, v12, s[6:7]
	v_and_b32_e32 v13, v13, v27
	v_and_b32_e32 v12, v12, v26
	v_cmp_eq_u64_e64 s[14:15], v[12:13], v[24:25]
	s_cmp_lg_u64 s[14:15], 0
	s_cselect_b64 s[6:7], -1, 0
	s_and_b64 s[6:7], s[0:1], s[6:7]
	v_mov_b32_e32 v12, 0
	s_and_saveexec_b64 s[10:11], s[6:7]
	s_cbranch_execz .LBB183_26
; %bb.23:                               ;   in Loop: Header=BB183_20 Depth=2
	s_mov_b64 s[16:17], exec
	v_mbcnt_lo_u32_b32 v12, s16, 0
	v_mbcnt_hi_u32_b32 v12, s17, v12
	s_bcnt1_i32_b64 s18, s[14:15]
	v_cmp_eq_u32_e64 s[6:7], 0, v12
                                        ; implicit-def: $vgpr13
	s_and_saveexec_b64 s[12:13], s[6:7]
	s_cbranch_execz .LBB183_25
; %bb.24:                               ;   in Loop: Header=BB183_20 Depth=2
	s_bcnt1_i32_b64 s6, s[16:17]
	s_mul_i32 s6, s18, s6
	v_mov_b32_e32 v13, s6
	ds_add_rtn_u32 v13, v21, v13 offset:5144
.LBB183_25:                             ;   in Loop: Header=BB183_20 Depth=2
	s_or_b64 exec, exec, s[12:13]
	s_waitcnt lgkmcnt(0)
	v_readfirstlane_b32 s6, v13
	v_mov_b32_e32 v13, s6
	v_mad_u32_u24 v12, s18, v12, v13
.LBB183_26:                             ;   in Loop: Header=BB183_20 Depth=2
	s_or_b64 exec, exec, s[10:11]
	ds_bpermute_b32 v12, v36, v12
	s_and_b64 s[6:7], exec, vcc
	s_or_b64 s[4:5], s[6:7], s[4:5]
	s_and_saveexec_b64 s[6:7], s[14:15]
	s_cbranch_execz .LBB183_19
; %bb.27:                               ;   in Loop: Header=BB183_20 Depth=2
	v_and_b32_e32 v14, s14, v16
	v_and_b32_e32 v13, s15, v17
	v_bcnt_u32_b32 v14, v14, 0
	v_bcnt_u32_b32 v13, v13, v14
	v_lshlrev_b32_e32 v13, 3, v13
	s_waitcnt lgkmcnt(0)
	v_lshl_add_u32 v12, v12, 3, v13
	ds_write_b64 v12, v[4:5]
	s_branch .LBB183_19
.LBB183_28:                             ;   in Loop: Header=BB183_12 Depth=1
	s_mov_b64 s[8:9], -1
	s_mov_b64 s[2:3], 0
.LBB183_29:                             ;   in Loop: Header=BB183_12 Depth=1
	s_and_b64 vcc, exec, s[8:9]
	s_cbranch_vccz .LBB183_40
.LBB183_30:                             ;   in Loop: Header=BB183_12 Depth=1
	s_waitcnt vmcnt(0)
	v_pk_mov_b32 v[4:5], 0, 0
	s_mov_b64 s[2:3], exec
	v_readlane_b32 s4, v54, 28
	v_readlane_b32 s5, v54, 29
	s_and_b64 s[4:5], s[2:3], s[4:5]
	s_mov_b64 exec, s[4:5]
	s_cbranch_execz .LBB183_32
; %bb.31:                               ;   in Loop: Header=BB183_12 Depth=1
	global_load_dwordx2 v[4:5], v[18:19], off
.LBB183_32:                             ;   in Loop: Header=BB183_12 Depth=1
	s_or_b64 exec, exec, s[2:3]
	s_mov_b64 s[2:3], exec
	v_readlane_b32 s4, v54, 28
	v_readlane_b32 s5, v54, 29
	s_and_b64 s[4:5], s[2:3], s[4:5]
	s_mov_b64 exec, s[4:5]
	s_cbranch_execz .LBB183_37
; %bb.33:                               ;   in Loop: Header=BB183_12 Depth=1
	v_readlane_b32 s4, v54, 37
	v_readlane_b32 s5, v54, 38
	v_mov_b32_e32 v2, v39
	s_nop 3
	global_load_ushort v8, v21, s[4:5]
	s_mov_b64 s[4:5], 0
	s_waitcnt vmcnt(0)
	v_and_b32_e32 v12, 0xffff, v8
	v_lshlrev_b32_e32 v13, 3, v12
	v_pk_mov_b32 v[8:9], v[0:1], v[0:1] op_sel:[0,1]
	s_branch .LBB183_35
.LBB183_34:                             ;   in Loop: Header=BB183_35 Depth=2
	s_or_b64 exec, exec, s[8:9]
	s_and_b64 s[6:7], exec, vcc
	s_or_b64 s[4:5], s[6:7], s[4:5]
	ds_write_b64 v2, v[4:5]
	v_add_u32_e32 v2, v2, v13
	s_waitcnt vmcnt(0)
	v_pk_mov_b32 v[4:5], v[10:11], v[10:11] op_sel:[0,1]
	s_andn2_b64 exec, exec, s[4:5]
	s_cbranch_execz .LBB183_37
.LBB183_35:                             ;   Parent Loop BB183_12 Depth=1
                                        ; =>  This Inner Loop Header: Depth=2
	v_add_co_u32_e32 v8, vcc, v8, v12
	v_addc_co_u32_e32 v9, vcc, 0, v9, vcc
	v_cmp_gt_u64_e64 s[6:7], s[60:61], v[8:9]
	v_cmp_le_u64_e32 vcc, s[60:61], v[8:9]
	v_pk_mov_b32 v[10:11], 0, 0
	s_and_saveexec_b64 s[8:9], s[6:7]
	s_cbranch_execz .LBB183_34
; %bb.36:                               ;   in Loop: Header=BB183_35 Depth=2
	v_mul_lo_u32 v14, v9, s58
	v_mul_lo_u32 v15, v8, s59
	v_mad_u64_u32 v[10:11], s[6:7], v8, s58, 0
	v_add3_u32 v11, v11, v15, v14
	v_lshlrev_b64 v[10:11], 3, v[10:11]
	v_mov_b32_e32 v14, s86
	v_add_co_u32_e64 v10, s[6:7], s33, v10
	v_addc_co_u32_e64 v11, s[6:7], v14, v11, s[6:7]
	global_load_dwordx2 v[10:11], v[10:11], off
	s_branch .LBB183_34
.LBB183_37:                             ;   in Loop: Header=BB183_12 Depth=1
	s_or_b64 exec, exec, s[2:3]
	s_waitcnt lgkmcnt(0)
	s_barrier
	s_mov_b64 s[2:3], exec
	v_readlane_b32 s4, v54, 12
	v_readlane_b32 s5, v54, 13
	s_and_b64 s[4:5], s[2:3], s[4:5]
	s_mov_b64 exec, s[4:5]
	s_cbranch_execz .LBB183_39
; %bb.38:                               ;   in Loop: Header=BB183_12 Depth=1
	s_waitcnt vmcnt(0)
	v_pk_mov_b32 v[4:5], s[60:61], s[60:61] op_sel:[0,1]
	ds_write_b64 v21, v[4:5] offset:5120
.LBB183_39:                             ;   in Loop: Header=BB183_12 Depth=1
	s_or_b64 exec, exec, s[2:3]
	s_mov_b64 s[2:3], -1
	s_waitcnt lgkmcnt(0)
	s_barrier
                                        ; implicit-def: $sgpr8_sgpr9
.LBB183_40:                             ;   in Loop: Header=BB183_12 Depth=1
	s_and_b64 vcc, exec, s[2:3]
	s_cbranch_vccz .LBB183_42
; %bb.41:                               ;   in Loop: Header=BB183_12 Depth=1
	s_waitcnt vmcnt(0)
	ds_read_b64 v[4:5], v21 offset:5120
	s_waitcnt lgkmcnt(0)
	v_readfirstlane_b32 s8, v4
.LBB183_42:                             ;   in Loop: Header=BB183_12 Depth=1
	s_cmp_lt_i32 s8, 1
	s_cbranch_scc0 .LBB183_57
; %bb.43:                               ;   in Loop: Header=BB183_12 Depth=1
	v_readlane_b32 s2, v54, 37
	v_readlane_b32 s3, v54, 38
	s_nop 4
	global_load_ushort v2, v21, s[2:3]
	s_mov_b32 s2, s85
	s_waitcnt vmcnt(0)
	v_readfirstlane_b32 s3, v2
	s_and_b32 s3, 0xffff, s3
	s_lshl_b32 s9, s3, 2
	s_mov_b32 s3, s61
	s_cmp_lg_u64 s[2:3], 0
	s_cbranch_scc0 .LBB183_77
; %bb.44:                               ;   in Loop: Header=BB183_12 Depth=1
	v_cvt_f32_u32_e32 v4, s9
	s_sub_u32 s2, 0, s9
	s_subb_u32 s3, 0, 0
	v_mac_f32_e32 v4, 0, v43
	v_rcp_f32_e32 v4, v4
	v_mul_f32_e32 v4, 0x5f7ffffc, v4
	v_mul_f32_e32 v5, 0x2f800000, v4
	v_trunc_f32_e32 v5, v5
	v_mac_f32_e32 v4, 0xcf800000, v5
	v_cvt_u32_f32_e32 v5, v5
	v_cvt_u32_f32_e32 v4, v4
	v_readfirstlane_b32 s4, v5
	v_readfirstlane_b32 s5, v4
	s_mul_i32 s6, s2, s4
	s_mul_hi_u32 s10, s2, s5
	s_mul_i32 s7, s3, s5
	s_add_i32 s6, s10, s6
	s_mul_i32 s11, s2, s5
	s_add_i32 s6, s6, s7
	s_mul_hi_u32 s10, s5, s11
	s_mul_hi_u32 s7, s5, s6
	s_mul_i32 s5, s5, s6
	s_add_u32 s5, s10, s5
	s_addc_u32 s7, 0, s7
	s_mul_hi_u32 s12, s4, s11
	s_mul_i32 s11, s4, s11
	s_add_u32 s5, s5, s11
	s_mul_hi_u32 s10, s4, s6
	s_addc_u32 s5, s7, s12
	s_addc_u32 s7, s10, 0
	s_mul_i32 s6, s4, s6
	s_add_u32 s5, s5, s6
	s_addc_u32 s6, 0, s7
	v_add_co_u32_e32 v4, vcc, s5, v4
	s_cmp_lg_u64 vcc, 0
	s_addc_u32 s4, s4, s6
	v_readfirstlane_b32 s6, v4
	s_mul_i32 s5, s2, s4
	s_mul_hi_u32 s7, s2, s6
	s_add_i32 s5, s7, s5
	s_mul_i32 s3, s3, s6
	s_add_i32 s5, s5, s3
	s_mul_i32 s2, s2, s6
	s_mul_hi_u32 s7, s4, s2
	s_mul_i32 s10, s4, s2
	s_mul_i32 s12, s6, s5
	s_mul_hi_u32 s2, s6, s2
	s_mul_hi_u32 s11, s6, s5
	s_add_u32 s2, s2, s12
	s_addc_u32 s6, 0, s11
	s_add_u32 s2, s2, s10
	s_mul_hi_u32 s3, s4, s5
	s_addc_u32 s2, s6, s7
	s_addc_u32 s3, s3, 0
	s_mul_i32 s5, s4, s5
	s_add_u32 s2, s2, s5
	s_addc_u32 s3, 0, s3
	v_add_co_u32_e32 v4, vcc, s2, v4
	s_cmp_lg_u64 vcc, 0
	s_addc_u32 s2, s4, s3
	v_readfirstlane_b32 s5, v4
	s_mul_i32 s4, s60, s2
	s_mul_hi_u32 s6, s60, s5
	s_mul_hi_u32 s3, s60, s2
	s_add_u32 s4, s6, s4
	s_addc_u32 s3, 0, s3
	s_mul_hi_u32 s7, s61, s5
	s_mul_i32 s5, s61, s5
	s_add_u32 s4, s4, s5
	s_mul_hi_u32 s6, s61, s2
	s_addc_u32 s3, s3, s7
	s_addc_u32 s4, s6, 0
	s_mul_i32 s2, s61, s2
	s_add_u32 s2, s3, s2
	s_addc_u32 s3, 0, s4
	s_mul_hi_u32 s4, s9, s2
	s_mul_i32 s2, s9, s2
	s_mul_i32 s3, s9, s3
	v_mov_b32_e32 v4, s2
	s_add_i32 s4, s4, s3
	v_sub_co_u32_e32 v4, vcc, s60, v4
	s_cmp_lg_u64 vcc, 0
	s_subb_u32 s2, s61, s4
	v_subrev_co_u32_e32 v5, vcc, s9, v4
	s_cmp_lg_u64 vcc, 0
	s_subb_u32 s3, s2, 0
	v_subrev_co_u32_e32 v8, vcc, s9, v5
	s_cmp_lg_u64 vcc, 0
	s_subb_u32 s4, s3, 0
	v_cmp_le_u32_e32 vcc, s9, v5
	s_cmp_eq_u32 s3, 0
	v_cndmask_b32_e64 v9, 0, -1, vcc
	s_cselect_b64 vcc, -1, 0
	v_cndmask_b32_e32 v9, -1, v9, vcc
	v_mov_b32_e32 v10, s3
	v_mov_b32_e32 v11, s4
	v_cmp_ne_u32_e32 vcc, 0, v9
	v_cndmask_b32_e32 v9, v10, v11, vcc
	v_cndmask_b32_e32 v8, v5, v8, vcc
	v_cmp_le_u32_e32 vcc, s9, v4
	s_cmp_eq_u32 s2, 0
	v_cndmask_b32_e64 v5, 0, -1, vcc
	s_cselect_b64 vcc, -1, 0
	v_cndmask_b32_e32 v5, -1, v5, vcc
	v_mov_b32_e32 v10, s2
	v_cmp_ne_u32_e32 vcc, 0, v5
	v_cndmask_b32_e32 v5, v10, v9, vcc
	v_cndmask_b32_e32 v4, v4, v8, vcc
	s_cbranch_execnz .LBB183_46
.LBB183_45:                             ;   in Loop: Header=BB183_12 Depth=1
	v_cvt_f32_u32_e32 v4, s9
	s_sub_i32 s2, 0, s9
	v_rcp_iflag_f32_e32 v4, v4
	v_mul_f32_e32 v4, 0x4f7ffffe, v4
	v_cvt_u32_f32_e32 v4, v4
	v_mul_lo_u32 v5, s2, v4
	v_mul_hi_u32 v5, v4, v5
	v_add_u32_e32 v4, v4, v5
	v_mul_hi_u32 v4, s60, v4
	v_mul_lo_u32 v4, v4, s9
	v_sub_u32_e32 v4, s60, v4
	v_subrev_u32_e32 v5, s9, v4
	v_cmp_le_u32_e32 vcc, s9, v4
	v_cndmask_b32_e32 v4, v4, v5, vcc
	v_subrev_u32_e32 v5, s9, v4
	v_cmp_le_u32_e32 vcc, s9, v4
	v_cndmask_b32_e32 v20, v4, v5, vcc
	v_pk_mov_b32 v[4:5], v[20:21], v[20:21] op_sel:[0,1]
.LBB183_46:                             ;   in Loop: Header=BB183_12 Depth=1
	v_mov_b32_e32 v8, s61
	v_sub_co_u32_e32 v4, vcc, s60, v4
	v_subb_co_u32_e32 v5, vcc, v8, v5, vcc
	v_pk_mov_b32 v[8:9], 0, 0
	v_cmp_gt_u64_e32 vcc, v[4:5], v[22:23]
	s_mov_b64 s[54:55], 0
	v_pk_mov_b32 v[10:11], v[8:9], v[8:9] op_sel:[0,1]
	v_pk_mov_b32 v[12:13], v[8:9], v[8:9] op_sel:[0,1]
	v_pk_mov_b32 v[14:15], v[8:9], v[8:9] op_sel:[0,1]
	s_and_saveexec_b64 s[10:11], vcc
	s_cbranch_execz .LBB183_50
; %bb.47:                               ;   in Loop: Header=BB183_12 Depth=1
	s_and_b32 s84, s89, 0xfe
	s_mov_b64 s[56:57], 0
	s_mov_b64 s[90:91], 0
	;; [unrolled: 1-line block ×4, first 2 shown]
	v_pk_mov_b32 v[30:31], v[22:23], v[22:23] op_sel:[0,1]
.LBB183_48:                             ;   Parent Loop BB183_12 Depth=1
                                        ; =>  This Inner Loop Header: Depth=2
	v_mul_lo_u32 v8, v31, s58
	v_mul_lo_u32 v10, v30, s59
	v_mad_u64_u32 v[14:15], s[4:5], v30, s58, 0
	v_add3_u32 v15, v15, v10, v8
	v_lshlrev_b64 v[14:15], 3, v[14:15]
	v_mov_b32_e32 v12, s86
	v_add_co_u32_e64 v14, s[6:7], s33, v14
	s_lshl_b64 s[4:5], s[58:59], 3
	v_addc_co_u32_e64 v15, s[6:7], v12, v15, s[6:7]
	v_mov_b32_e32 v8, s5
	global_load_dwordx2 v[32:33], v[14:15], off
	v_add_co_u32_e64 v14, s[6:7], s4, v14
	v_addc_co_u32_e64 v15, s[6:7], v15, v8, s[6:7]
	global_load_dwordx2 v[34:35], v[14:15], off
	v_add_co_u32_e64 v14, s[6:7], s4, v14
	v_addc_co_u32_e64 v15, s[6:7], v15, v8, s[6:7]
	;; [unrolled: 3-line block ×3, first 2 shown]
	global_load_dwordx2 v[14:15], v[14:15], off
	v_mov_b32_e32 v13, v21
	v_mov_b32_e32 v11, v21
	;; [unrolled: 1-line block ×3, first 2 shown]
	v_add_co_u32_e32 v30, vcc, s9, v30
	v_addc_co_u32_e32 v31, vcc, 0, v31, vcc
	v_cmp_ge_u64_e32 vcc, v[30:31], v[4:5]
	s_waitcnt vmcnt(3)
	v_ashrrev_i32_e32 v8, 31, v33
	v_or_b32_e32 v10, 0x80000000, v8
	v_xor_b32_e32 v8, v8, v32
	v_cmp_o_f64_e64 s[6:7], v[32:33], v[32:33]
	v_xor_b32_e32 v10, v10, v33
	s_waitcnt vmcnt(2)
	v_ashrrev_i32_e32 v12, 31, v35
	v_or_b32_e32 v20, 0x80000000, v12
	v_xor_b32_e32 v12, v12, v34
	v_cndmask_b32_e64 v32, -1, v8, s[6:7]
	v_cmp_o_f64_e64 s[14:15], v[34:35], v[34:35]
	s_waitcnt vmcnt(1)
	v_ashrrev_i32_e32 v46, 31, v45
	v_cndmask_b32_e64 v33, -1, v10, s[6:7]
	v_xor_b32_e32 v8, v20, v35
	v_or_b32_e32 v10, 0x80000000, v46
	v_xor_b32_e32 v20, v46, v44
	s_waitcnt vmcnt(0)
	v_ashrrev_i32_e32 v47, 31, v15
	v_cndmask_b32_e64 v34, -1, v12, s[14:15]
	v_and_b32_e32 v46, v32, v26
	v_cmp_o_f64_e64 s[6:7], v[44:45], v[44:45]
	v_cndmask_b32_e64 v35, -1, v8, s[14:15]
	v_xor_b32_e32 v8, v10, v45
	v_or_b32_e32 v10, 0x80000000, v47
	v_xor_b32_e32 v12, v47, v14
	v_and_b32_e32 v47, v33, v27
	v_lshrrev_b64 v[32:33], s84, v[32:33]
	v_cndmask_b32_e64 v44, -1, v20, s[6:7]
	v_cmp_o_f64_e64 s[16:17], v[14:15], v[14:15]
	v_cndmask_b32_e64 v45, -1, v8, s[6:7]
	v_xor_b32_e32 v8, v10, v15
	v_and_b32_e32 v20, 3, v32
	v_lshrrev_b64 v[14:15], s84, v[34:35]
	v_and_b32_e32 v48, v34, v26
	v_cmp_eq_u64_e64 s[14:15], v[46:47], v[24:25]
	v_and_b32_e32 v49, v35, v27
	v_cndmask_b32_e64 v32, -1, v12, s[16:17]
	v_cndmask_b32_e64 v33, -1, v8, s[16:17]
	v_and_b32_e32 v12, 3, v14
	v_lshrrev_b64 v[14:15], s84, v[44:45]
	v_cmp_eq_u64_e64 s[6:7], 0, v[20:21]
	v_and_b32_e32 v34, v44, v26
	v_cmp_eq_u64_e64 s[16:17], v[48:49], v[24:25]
	v_and_b32_e32 v35, v45, v27
	v_and_b32_e32 v10, 3, v14
	v_lshrrev_b64 v[14:15], s84, v[32:33]
	v_cmp_eq_u64_e64 s[28:29], 0, v[12:13]
	s_and_b64 s[4:5], s[14:15], s[6:7]
	v_and_b32_e32 v44, v32, v26
	v_cmp_eq_u64_e64 s[18:19], v[34:35], v[24:25]
	v_and_b32_e32 v45, v33, v27
	v_cmp_eq_u64_e64 s[38:39], 1, v[12:13]
	v_cmp_eq_u64_e64 s[40:41], 2, v[12:13]
	;; [unrolled: 1-line block ×3, first 2 shown]
	v_cndmask_b32_e64 v12, 0, 1, s[4:5]
	v_and_b32_e32 v8, 3, v14
	v_cmp_eq_u64_e64 s[6:7], 0, v[10:11]
	s_and_b64 s[4:5], s[16:17], s[28:29]
	v_cmp_eq_u64_e64 s[22:23], v[44:45], v[24:25]
	v_cmp_eq_u64_e64 s[42:43], 1, v[10:11]
	;; [unrolled: 1-line block ×4, first 2 shown]
	v_cndmask_b32_e64 v10, 0, 1, s[4:5]
	v_cmp_eq_u64_e64 s[48:49], 0, v[8:9]
	s_and_b64 s[4:5], s[18:19], s[6:7]
	v_cmp_eq_u64_e64 s[50:51], 1, v[8:9]
	v_cmp_eq_u64_e64 s[52:53], 2, v[8:9]
	;; [unrolled: 1-line block ×3, first 2 shown]
	v_cndmask_b32_e64 v8, 0, 1, s[4:5]
	s_and_b64 s[4:5], s[22:23], s[48:49]
	v_cmp_ne_u32_e64 s[46:47], 0, v12
	v_cmp_ne_u32_e64 s[6:7], 0, v8
	v_cndmask_b32_e64 v8, 0, 1, s[4:5]
	s_bcnt1_i32_b64 s92, s[46:47]
	v_cmp_ne_u32_e64 s[46:47], 0, v10
	s_bcnt1_i32_b64 s4, s[6:7]
	v_cmp_ne_u32_e64 s[6:7], 0, v8
	s_bcnt1_i32_b64 s46, s[46:47]
	s_bcnt1_i32_b64 s5, s[6:7]
	s_add_u32 s6, s92, s12
	s_addc_u32 s7, 0, s13
	s_add_u32 s6, s6, s46
	s_addc_u32 s7, s7, 0
	s_add_u32 s4, s6, s4
	s_addc_u32 s6, s7, 0
	v_cmp_eq_u64_e64 s[34:35], 1, v[20:21]
	s_add_u32 s12, s4, s5
	s_addc_u32 s13, s6, 0
	s_and_b64 s[4:5], s[14:15], s[34:35]
	v_cndmask_b32_e64 v10, 0, 1, s[4:5]
	s_and_b64 s[4:5], s[16:17], s[38:39]
	v_cndmask_b32_e64 v11, 0, 1, s[4:5]
	s_and_b64 s[4:5], s[18:19], s[42:43]
	v_cndmask_b32_e64 v12, 0, 1, s[4:5]
	s_and_b64 s[4:5], s[22:23], s[50:51]
	v_cndmask_b32_e64 v13, 0, 1, s[4:5]
	v_cmp_ne_u32_e64 s[6:7], 0, v10
	v_cmp_ne_u32_e64 s[34:35], 0, v11
	v_cmp_ne_u32_e64 s[38:39], 0, v12
	v_cmp_ne_u32_e64 s[42:43], 0, v13
	s_bcnt1_i32_b64 s4, s[6:7]
	s_bcnt1_i32_b64 s5, s[34:35]
	s_bcnt1_i32_b64 s6, s[38:39]
	s_bcnt1_i32_b64 s7, s[42:43]
	s_add_u32 s2, s4, s2
	s_addc_u32 s3, 0, s3
	s_add_u32 s2, s2, s5
	s_addc_u32 s3, s3, 0
	s_add_u32 s2, s2, s6
	s_addc_u32 s3, s3, 0
	v_cmp_eq_u64_e64 s[36:37], 2, v[20:21]
	s_add_u32 s2, s2, s7
	s_addc_u32 s3, s3, 0
	s_and_b64 s[4:5], s[14:15], s[36:37]
	v_cndmask_b32_e64 v12, 0, 1, s[4:5]
	s_and_b64 s[4:5], s[16:17], s[40:41]
	v_cndmask_b32_e64 v13, 0, 1, s[4:5]
	s_and_b64 s[4:5], s[18:19], s[44:45]
	v_cndmask_b32_e64 v14, 0, 1, s[4:5]
	s_and_b64 s[4:5], s[22:23], s[52:53]
	v_cndmask_b32_e64 v15, 0, 1, s[4:5]
	v_cmp_ne_u32_e64 s[6:7], 0, v12
	v_cmp_ne_u32_e64 s[34:35], 0, v13
	v_cmp_ne_u32_e64 s[36:37], 0, v14
	v_cmp_ne_u32_e64 s[38:39], 0, v15
	s_bcnt1_i32_b64 s4, s[6:7]
	s_bcnt1_i32_b64 s5, s[34:35]
	;; [unrolled: 25-line block ×3, first 2 shown]
	s_bcnt1_i32_b64 s6, s[16:17]
	s_bcnt1_i32_b64 s7, s[18:19]
	s_add_u32 s4, s4, s56
	s_addc_u32 s14, 0, s57
	s_add_u32 s4, s4, s5
	s_addc_u32 s5, s14, 0
	;; [unrolled: 2-line block ×4, first 2 shown]
	v_pk_mov_b32 v[8:9], s[12:13], s[12:13] op_sel:[0,1]
	v_pk_mov_b32 v[10:11], s[2:3], s[2:3] op_sel:[0,1]
	;; [unrolled: 1-line block ×3, first 2 shown]
	s_or_b64 s[54:55], vcc, s[54:55]
	v_pk_mov_b32 v[14:15], s[56:57], s[56:57] op_sel:[0,1]
	s_andn2_b64 exec, exec, s[54:55]
	s_cbranch_execnz .LBB183_48
; %bb.49:                               ;   in Loop: Header=BB183_12 Depth=1
	s_or_b64 exec, exec, s[54:55]
.LBB183_50:                             ;   in Loop: Header=BB183_12 Depth=1
	s_or_b64 exec, exec, s[10:11]
	v_add_co_u32_e32 v4, vcc, v4, v0
	v_addc_co_u32_e32 v5, vcc, 0, v5, vcc
	v_cmp_gt_u64_e32 vcc, s[60:61], v[4:5]
	v_pk_mov_b32 v[30:31], 0, 0
	s_and_saveexec_b64 s[2:3], vcc
	s_cbranch_execz .LBB183_52
; %bb.51:                               ;   in Loop: Header=BB183_12 Depth=1
	v_mul_lo_u32 v20, v5, s58
	v_mul_lo_u32 v32, v4, s59
	v_mad_u64_u32 v[30:31], s[4:5], v4, s58, 0
	v_add3_u32 v31, v31, v32, v20
	v_lshlrev_b64 v[30:31], 3, v[30:31]
	v_mov_b32_e32 v20, s86
	v_add_co_u32_e64 v30, s[6:7], s33, v30
	v_addc_co_u32_e64 v31, s[6:7], v20, v31, s[6:7]
	global_load_dwordx2 v[30:31], v[30:31], off
.LBB183_52:                             ;   in Loop: Header=BB183_12 Depth=1
	s_or_b64 exec, exec, s[2:3]
	s_and_saveexec_b64 s[2:3], vcc
	s_cbranch_execz .LBB183_59
; %bb.53:                               ;   in Loop: Header=BB183_12 Depth=1
	s_and_b32 s9, s89, 0xfe
	s_mov_b64 s[4:5], 0
	s_branch .LBB183_55
.LBB183_54:                             ;   in Loop: Header=BB183_55 Depth=2
	s_or_b64 exec, exec, s[10:11]
	s_waitcnt vmcnt(0)
	v_ashrrev_i32_e32 v20, 31, v31
	v_or_b32_e32 v34, 0x80000000, v20
	s_and_b64 s[6:7], exec, vcc
	v_xor_b32_e32 v34, v34, v31
	v_xor_b32_e32 v20, v20, v30
	v_cmp_o_f64_e32 vcc, v[30:31], v[30:31]
	v_cndmask_b32_e32 v31, -1, v34, vcc
	v_cndmask_b32_e32 v30, -1, v20, vcc
	v_and_b32_e32 v35, v31, v27
	v_and_b32_e32 v34, v30, v26
	v_lshrrev_b64 v[30:31], s9, v[30:31]
	v_and_b32_e32 v20, 3, v30
	s_or_b64 s[4:5], s[6:7], s[4:5]
	v_cmp_eq_u64_e32 vcc, v[34:35], v[24:25]
	v_cmp_eq_u64_e64 s[6:7], 0, v[20:21]
	s_and_b64 s[6:7], vcc, s[6:7]
	v_cndmask_b32_e64 v30, 0, 1, s[6:7]
	v_cmp_ne_u32_e64 s[6:7], 0, v30
	s_bcnt1_i32_b64 s6, s[6:7]
	v_add_co_u32_e64 v8, s[6:7], s6, v8
	v_addc_co_u32_e64 v9, s[6:7], 0, v9, s[6:7]
	v_cmp_eq_u64_e64 s[6:7], 1, v[20:21]
	s_and_b64 s[6:7], vcc, s[6:7]
	v_cndmask_b32_e64 v30, 0, 1, s[6:7]
	v_cmp_ne_u32_e64 s[6:7], 0, v30
	s_bcnt1_i32_b64 s6, s[6:7]
	v_add_co_u32_e64 v10, s[6:7], s6, v10
	v_addc_co_u32_e64 v11, s[6:7], 0, v11, s[6:7]
	;; [unrolled: 7-line block ×3, first 2 shown]
	v_cmp_eq_u64_e64 s[6:7], 3, v[20:21]
	s_and_b64 s[6:7], vcc, s[6:7]
	v_cndmask_b32_e64 v20, 0, 1, s[6:7]
	v_cmp_ne_u32_e32 vcc, 0, v20
	s_bcnt1_i32_b64 s6, vcc
	v_add_co_u32_e32 v14, vcc, s6, v14
	v_addc_co_u32_e32 v15, vcc, 0, v15, vcc
	v_pk_mov_b32 v[30:31], v[32:33], v[32:33] op_sel:[0,1]
	s_andn2_b64 exec, exec, s[4:5]
	s_cbranch_execz .LBB183_58
.LBB183_55:                             ;   Parent Loop BB183_12 Depth=1
                                        ; =>  This Inner Loop Header: Depth=2
	v_add_co_u32_sdwa v4, vcc, v4, v2 dst_sel:DWORD dst_unused:UNUSED_PAD src0_sel:DWORD src1_sel:WORD_0
	v_addc_co_u32_e32 v5, vcc, 0, v5, vcc
	v_cmp_gt_u64_e64 s[6:7], s[60:61], v[4:5]
	v_cmp_le_u64_e32 vcc, s[60:61], v[4:5]
	v_pk_mov_b32 v[32:33], 0, 0
	s_and_saveexec_b64 s[10:11], s[6:7]
	s_cbranch_execz .LBB183_54
; %bb.56:                               ;   in Loop: Header=BB183_55 Depth=2
	v_mul_lo_u32 v20, v5, s58
	v_mul_lo_u32 v34, v4, s59
	v_mad_u64_u32 v[32:33], s[6:7], v4, s58, 0
	v_add3_u32 v33, v33, v34, v20
	v_lshlrev_b64 v[32:33], 3, v[32:33]
	v_mov_b32_e32 v20, s86
	v_add_co_u32_e64 v32, s[6:7], s33, v32
	v_addc_co_u32_e64 v33, s[6:7], v20, v33, s[6:7]
	global_load_dwordx2 v[32:33], v[32:33], off
	s_branch .LBB183_54
.LBB183_57:                             ;   in Loop: Header=BB183_12 Depth=1
                                        ; implicit-def: $vgpr14_vgpr15
                                        ; implicit-def: $vgpr10_vgpr11
	s_cbranch_execnz .LBB183_60
	s_branch .LBB183_69
.LBB183_58:                             ;   in Loop: Header=BB183_12 Depth=1
	s_or_b64 exec, exec, s[4:5]
.LBB183_59:                             ;   in Loop: Header=BB183_12 Depth=1
	s_or_b64 exec, exec, s[2:3]
	s_branch .LBB183_69
.LBB183_60:                             ;   in Loop: Header=BB183_12 Depth=1
	v_readlane_b32 s2, v54, 37
	v_readlane_b32 s3, v54, 38
	v_pk_mov_b32 v[8:9], 0, 0
	s_mov_b64 s[10:11], 0
	v_pk_mov_b32 v[10:11], v[8:9], v[8:9] op_sel:[0,1]
	v_pk_mov_b32 v[12:13], v[8:9], v[8:9] op_sel:[0,1]
	;; [unrolled: 1-line block ×3, first 2 shown]
	global_load_ushort v2, v21, s[2:3]
	s_waitcnt vmcnt(0)
	v_readfirstlane_b32 s2, v2
	s_and_b32 s2, 0xffff, s2
	s_lshl_b32 s9, s2, 2
	v_cvt_f32_u32_e32 v4, s9
	s_sub_i32 s2, 0, s9
	v_and_b32_e32 v2, 0xffff, v2
	v_rcp_iflag_f32_e32 v4, v4
	v_mul_f32_e32 v4, 0x4f7ffffe, v4
	v_cvt_u32_f32_e32 v4, v4
	v_readfirstlane_b32 s3, v4
	s_mul_i32 s2, s2, s3
	s_mul_hi_u32 s2, s3, s2
	s_add_i32 s3, s3, s2
	s_mul_hi_u32 s2, s8, s3
	s_mul_i32 s2, s2, s9
	s_sub_i32 s2, s8, s2
	s_sub_i32 s3, s2, s9
	s_cmp_ge_u32 s2, s9
	s_cselect_b32 s2, s3, s2
	s_sub_i32 s3, s2, s9
	s_cmp_ge_u32 s2, s9
	s_cselect_b32 s2, s3, s2
	s_sub_i32 s84, s8, s2
	v_cmp_gt_u32_e32 vcc, s84, v22
	s_and_saveexec_b64 s[2:3], vcc
	s_cbranch_execz .LBB183_64
; %bb.61:                               ;   in Loop: Header=BB183_12 Depth=1
	s_and_b32 s92, s89, 0xfe
	v_lshlrev_b32_e32 v44, 5, v2
	v_mov_b32_e32 v45, v41
	s_mov_b64 s[12:13], 0
	s_mov_b64 s[56:57], 0
	;; [unrolled: 1-line block ×4, first 2 shown]
	v_pk_mov_b32 v[4:5], v[22:23], v[22:23] op_sel:[0,1]
.LBB183_62:                             ;   Parent Loop BB183_12 Depth=1
                                        ; =>  This Inner Loop Header: Depth=2
	ds_read_b128 v[12:15], v45
	ds_read_b128 v[8:11], v45 offset:16
	v_mov_b32_e32 v31, v21
	v_mov_b32_e32 v33, v21
	;; [unrolled: 1-line block ×3, first 2 shown]
	s_waitcnt lgkmcnt(1)
	v_ashrrev_i32_e32 v20, 31, v13
	v_ashrrev_i32_e32 v30, 31, v15
	s_waitcnt lgkmcnt(0)
	v_ashrrev_i32_e32 v32, 31, v9
	v_ashrrev_i32_e32 v34, 31, v11
	v_xor_b32_e32 v46, v30, v14
	v_cmp_o_f64_e64 s[6:7], v[14:15], v[14:15]
	v_xor_b32_e32 v14, v32, v8
	v_cmp_o_f64_e64 s[14:15], v[8:9], v[8:9]
	v_or_b32_e32 v8, 0x80000000, v20
	v_xor_b32_e32 v47, v34, v10
	v_cmp_o_f64_e64 s[16:17], v[10:11], v[10:11]
	v_xor_b32_e32 v10, v20, v12
	v_or_b32_e32 v20, 0x80000000, v30
	v_or_b32_e32 v30, 0x80000000, v32
	v_cmp_o_f64_e64 s[18:19], v[12:13], v[12:13]
	v_xor_b32_e32 v13, v8, v13
	v_or_b32_e32 v32, 0x80000000, v34
	v_xor_b32_e32 v15, v20, v15
	v_xor_b32_e32 v20, v30, v9
	v_cndmask_b32_e64 v8, -1, v10, s[18:19]
	v_cndmask_b32_e64 v9, -1, v13, s[18:19]
	v_xor_b32_e32 v30, v32, v11
	v_cndmask_b32_e64 v10, -1, v46, s[6:7]
	v_cndmask_b32_e64 v12, -1, v14, s[14:15]
	;; [unrolled: 1-line block ×4, first 2 shown]
	v_and_b32_e32 v46, v8, v26
	v_and_b32_e32 v47, v9, v27
	v_lshrrev_b64 v[8:9], s92, v[8:9]
	v_cndmask_b32_e64 v13, -1, v20, s[14:15]
	v_and_b32_e32 v48, v10, v26
	v_and_b32_e32 v49, v11, v27
	v_lshrrev_b64 v[10:11], s92, v[10:11]
	v_and_b32_e32 v20, 3, v8
	v_cndmask_b32_e64 v15, -1, v30, s[16:17]
	v_and_b32_e32 v50, v12, v26
	v_and_b32_e32 v51, v13, v27
	v_lshrrev_b64 v[12:13], s92, v[12:13]
	v_cmp_eq_u64_e64 s[20:21], v[46:47], v[24:25]
	v_and_b32_e32 v30, 3, v10
	v_cmp_eq_u64_e64 s[6:7], 0, v[20:21]
	v_and_b32_e32 v52, v14, v26
	v_and_b32_e32 v53, v15, v27
	v_lshrrev_b64 v[14:15], s92, v[14:15]
	v_cmp_eq_u64_e64 s[18:19], v[48:49], v[24:25]
	v_and_b32_e32 v32, 3, v12
	v_cmp_eq_u64_e64 s[34:35], 0, v[30:31]
	s_and_b64 s[6:7], s[20:21], s[6:7]
	v_cmp_eq_u64_e64 s[16:17], v[50:51], v[24:25]
	v_and_b32_e32 v34, 3, v14
	v_cmp_eq_u64_e64 s[36:37], 0, v[32:33]
	v_cndmask_b32_e64 v8, 0, 1, s[6:7]
	s_and_b64 s[6:7], s[18:19], s[34:35]
	v_cmp_eq_u64_e64 s[14:15], v[52:53], v[24:25]
	v_cmp_eq_u64_e64 s[38:39], 0, v[34:35]
	v_cndmask_b32_e64 v9, 0, 1, s[6:7]
	s_and_b64 s[6:7], s[16:17], s[36:37]
	v_cndmask_b32_e64 v10, 0, 1, s[6:7]
	s_and_b64 s[6:7], s[14:15], s[38:39]
	v_cndmask_b32_e64 v11, 0, 1, s[6:7]
	v_cmp_ne_u32_e64 s[6:7], 0, v8
	v_cmp_ne_u32_e64 s[34:35], 0, v9
	v_cmp_ne_u32_e64 s[36:37], 0, v10
	v_cmp_ne_u32_e64 s[38:39], 0, v11
	s_bcnt1_i32_b64 s6, s[6:7]
	s_bcnt1_i32_b64 s7, s[34:35]
	s_bcnt1_i32_b64 s34, s[36:37]
	s_bcnt1_i32_b64 s35, s[38:39]
	s_add_u32 s4, s6, s4
	s_addc_u32 s5, 0, s5
	s_add_u32 s4, s4, s7
	s_addc_u32 s5, s5, 0
	s_add_u32 s4, s4, s34
	s_addc_u32 s5, s5, 0
	v_cmp_eq_u64_e64 s[40:41], 1, v[20:21]
	s_add_u32 s4, s4, s35
	v_cmp_eq_u64_e64 s[42:43], 1, v[30:31]
	s_addc_u32 s5, s5, 0
	s_and_b64 s[6:7], s[20:21], s[40:41]
	v_cmp_eq_u64_e64 s[44:45], 1, v[32:33]
	v_cndmask_b32_e64 v10, 0, 1, s[6:7]
	s_and_b64 s[6:7], s[18:19], s[42:43]
	v_cmp_eq_u64_e64 s[46:47], 1, v[34:35]
	v_cndmask_b32_e64 v11, 0, 1, s[6:7]
	s_and_b64 s[6:7], s[16:17], s[44:45]
	v_cndmask_b32_e64 v12, 0, 1, s[6:7]
	s_and_b64 s[6:7], s[14:15], s[46:47]
	v_cndmask_b32_e64 v13, 0, 1, s[6:7]
	v_cmp_ne_u32_e64 s[6:7], 0, v10
	v_cmp_ne_u32_e64 s[34:35], 0, v11
	v_cmp_ne_u32_e64 s[36:37], 0, v12
	v_cmp_ne_u32_e64 s[38:39], 0, v13
	s_bcnt1_i32_b64 s6, s[6:7]
	s_bcnt1_i32_b64 s7, s[34:35]
	s_bcnt1_i32_b64 s34, s[36:37]
	s_bcnt1_i32_b64 s35, s[38:39]
	s_add_u32 s6, s6, s90
	s_addc_u32 s36, 0, s91
	s_add_u32 s6, s6, s7
	s_addc_u32 s7, s36, 0
	s_add_u32 s6, s6, s34
	s_addc_u32 s7, s7, 0
	v_cmp_eq_u64_e64 s[48:49], 2, v[20:21]
	s_add_u32 s90, s6, s35
	v_cmp_eq_u64_e64 s[50:51], 2, v[30:31]
	s_addc_u32 s91, s7, 0
	s_and_b64 s[6:7], s[20:21], s[48:49]
	v_cmp_eq_u64_e64 s[52:53], 2, v[32:33]
	v_cndmask_b32_e64 v12, 0, 1, s[6:7]
	s_and_b64 s[6:7], s[18:19], s[50:51]
	;; [unrolled: 28-line block ×3, first 2 shown]
	v_cmp_eq_u64_e64 s[22:23], 3, v[34:35]
	v_cndmask_b32_e64 v15, 0, 1, s[6:7]
	s_and_b64 s[6:7], s[16:17], s[24:25]
	v_cndmask_b32_e64 v20, 0, 1, s[6:7]
	s_and_b64 s[6:7], s[14:15], s[22:23]
	v_cndmask_b32_e64 v30, 0, 1, s[6:7]
	v_cmp_ne_u32_e64 s[6:7], 0, v14
	v_cmp_ne_u32_e64 s[14:15], 0, v15
	;; [unrolled: 1-line block ×4, first 2 shown]
	s_bcnt1_i32_b64 s6, s[6:7]
	s_bcnt1_i32_b64 s7, s[14:15]
	;; [unrolled: 1-line block ×4, first 2 shown]
	s_add_u32 s6, s6, s12
	s_addc_u32 s12, 0, s13
	s_add_u32 s6, s6, s7
	s_addc_u32 s7, s12, 0
	s_add_u32 s6, s6, s14
	v_add_co_u32_e32 v4, vcc, s9, v4
	s_addc_u32 s7, s7, 0
	v_addc_co_u32_e32 v5, vcc, 0, v5, vcc
	s_add_u32 s12, s6, s15
	v_cmp_le_u64_e32 vcc, s[84:85], v[4:5]
	s_addc_u32 s13, s7, 0
	v_add_u32_e32 v45, v45, v44
	v_pk_mov_b32 v[8:9], s[4:5], s[4:5] op_sel:[0,1]
	v_pk_mov_b32 v[10:11], s[90:91], s[90:91] op_sel:[0,1]
	;; [unrolled: 1-line block ×3, first 2 shown]
	s_or_b64 s[10:11], vcc, s[10:11]
	v_pk_mov_b32 v[14:15], s[12:13], s[12:13] op_sel:[0,1]
	s_andn2_b64 exec, exec, s[10:11]
	s_cbranch_execnz .LBB183_62
; %bb.63:                               ;   in Loop: Header=BB183_12 Depth=1
	s_or_b64 exec, exec, s[10:11]
.LBB183_64:                             ;   in Loop: Header=BB183_12 Depth=1
	s_or_b64 exec, exec, s[2:3]
	v_add_u32_e32 v20, s84, v0
	v_cmp_gt_u32_e32 vcc, s8, v20
	s_and_saveexec_b64 s[2:3], vcc
	s_cbranch_execz .LBB183_68
; %bb.65:                               ;   in Loop: Header=BB183_12 Depth=1
	s_and_b32 s84, s8, 0x7fffffff
	s_and_b32 s8, s89, 0xfe
	v_lshlrev_b32_e32 v30, 3, v20
	v_lshlrev_b32_e32 v31, 3, v2
	s_mov_b64 s[4:5], 0
	v_pk_mov_b32 v[4:5], v[20:21], v[20:21] op_sel:[0,1]
.LBB183_66:                             ;   Parent Loop BB183_12 Depth=1
                                        ; =>  This Inner Loop Header: Depth=2
	ds_read_b64 v[32:33], v30
	v_add_co_u32_e32 v4, vcc, v4, v2
	v_addc_co_u32_e32 v5, vcc, 0, v5, vcc
	s_waitcnt lgkmcnt(0)
	v_ashrrev_i32_e32 v20, 31, v33
	v_or_b32_e32 v34, 0x80000000, v20
	v_xor_b32_e32 v20, v20, v32
	v_cmp_o_f64_e64 s[6:7], v[32:33], v[32:33]
	v_xor_b32_e32 v33, v34, v33
	v_cndmask_b32_e64 v32, -1, v20, s[6:7]
	v_cndmask_b32_e64 v33, -1, v33, s[6:7]
	v_and_b32_e32 v34, v32, v26
	v_and_b32_e32 v35, v33, v27
	v_lshrrev_b64 v[32:33], s8, v[32:33]
	v_and_b32_e32 v20, 3, v32
	v_cmp_eq_u64_e64 s[6:7], v[34:35], v[24:25]
	v_cmp_eq_u64_e64 s[14:15], 0, v[20:21]
	;; [unrolled: 1-line block ×3, first 2 shown]
	s_and_b64 s[10:11], s[6:7], s[14:15]
	v_cmp_eq_u64_e64 s[18:19], 2, v[20:21]
	v_cmp_eq_u64_e64 s[20:21], 3, v[20:21]
	v_cndmask_b32_e64 v20, 0, 1, s[10:11]
	s_and_b64 s[10:11], s[6:7], s[16:17]
	v_cndmask_b32_e64 v32, 0, 1, s[10:11]
	s_and_b64 s[10:11], s[6:7], s[18:19]
	s_and_b64 s[6:7], s[6:7], s[20:21]
	v_cndmask_b32_e64 v33, 0, 1, s[10:11]
	v_cndmask_b32_e64 v34, 0, 1, s[6:7]
	v_cmp_ne_u32_e64 s[6:7], 0, v20
	v_cmp_ne_u32_e64 s[14:15], 0, v32
	;; [unrolled: 1-line block ×4, first 2 shown]
	v_cmp_le_u64_e32 vcc, s[84:85], v[4:5]
	s_bcnt1_i32_b64 s6, s[6:7]
	s_bcnt1_i32_b64 s7, s[14:15]
	;; [unrolled: 1-line block ×4, first 2 shown]
	s_or_b64 s[4:5], vcc, s[4:5]
	v_add_co_u32_e32 v8, vcc, s6, v8
	v_addc_co_u32_e32 v9, vcc, 0, v9, vcc
	v_add_co_u32_e32 v10, vcc, s7, v10
	v_addc_co_u32_e32 v11, vcc, 0, v11, vcc
	;; [unrolled: 2-line block ×3, first 2 shown]
	v_add_co_u32_e32 v14, vcc, s10, v14
	v_add_u32_e32 v30, v30, v31
	v_addc_co_u32_e32 v15, vcc, 0, v15, vcc
	s_andn2_b64 exec, exec, s[4:5]
	s_cbranch_execnz .LBB183_66
; %bb.67:                               ;   in Loop: Header=BB183_12 Depth=1
	s_or_b64 exec, exec, s[4:5]
.LBB183_68:                             ;   in Loop: Header=BB183_12 Depth=1
	s_or_b64 exec, exec, s[2:3]
.LBB183_69:                             ;   in Loop: Header=BB183_12 Depth=1
	v_readlane_b32 s2, v54, 50
	s_lshl_b32 s4, s2, 6
	s_and_saveexec_b64 s[2:3], s[0:1]
	s_cbranch_execz .LBB183_71
; %bb.70:                               ;   in Loop: Header=BB183_12 Depth=1
	v_or_b32_e32 v2, s4, v38
	v_lshlrev_b32_e32 v2, 3, v2
	ds_write_b128 v2, v[8:11] offset:3072
	ds_write_b128 v2, v[12:15] offset:3088
.LBB183_71:                             ;   in Loop: Header=BB183_12 Depth=1
	s_or_b64 exec, exec, s[2:3]
	s_waitcnt lgkmcnt(0)
	s_barrier
	s_mov_b64 s[2:3], exec
	v_readlane_b32 s6, v54, 24
	v_readlane_b32 s7, v54, 25
	s_and_b64 s[6:7], s[2:3], s[6:7]
	s_mov_b64 exec, s[6:7]
	s_cbranch_execz .LBB183_83
; %bb.72:                               ;   in Loop: Header=BB183_12 Depth=1
	v_readlane_b32 s6, v54, 32
	v_readlane_b32 s7, v54, 33
	s_andn2_b64 vcc, exec, s[6:7]
	s_waitcnt vmcnt(0)
	v_pk_mov_b32 v[4:5], 0, 0
	s_cbranch_vccnz .LBB183_82
; %bb.73:                               ;   in Loop: Header=BB183_12 Depth=1
	v_readlane_b32 s6, v54, 39
	v_readlane_b32 s7, v54, 40
	s_andn2_b64 vcc, exec, s[6:7]
	s_cbranch_vccnz .LBB183_78
; %bb.74:                               ;   in Loop: Header=BB183_12 Depth=1
	v_readlane_b32 s5, v54, 50
	v_lshl_add_u32 v2, s5, 9, v42
	s_mov_b32 s5, 0
	v_pk_mov_b32 v[4:5], 0, 0
.LBB183_75:                             ;   Parent Loop BB183_12 Depth=1
                                        ; =>  This Inner Loop Header: Depth=2
	ds_read2_b64 v[8:11], v2 offset1:4
	ds_read2_b64 v[12:15], v2 offset0:8 offset1:12
	ds_read2_b64 v[30:33], v2 offset0:16 offset1:20
	;; [unrolled: 1-line block ×3, first 2 shown]
	s_add_i32 s5, s5, 8
	s_waitcnt lgkmcnt(3)
	v_add_co_u32_e32 v4, vcc, v8, v4
	v_addc_co_u32_e32 v5, vcc, v9, v5, vcc
	v_add_co_u32_e32 v4, vcc, v10, v4
	v_addc_co_u32_e32 v5, vcc, v11, v5, vcc
	s_waitcnt lgkmcnt(2)
	v_add_co_u32_e32 v4, vcc, v12, v4
	v_addc_co_u32_e32 v5, vcc, v13, v5, vcc
	v_add_co_u32_e32 v4, vcc, v14, v4
	v_addc_co_u32_e32 v5, vcc, v15, v5, vcc
	;; [unrolled: 5-line block ×3, first 2 shown]
	s_waitcnt lgkmcnt(0)
	v_add_co_u32_e32 v4, vcc, v44, v4
	v_addc_co_u32_e32 v5, vcc, v45, v5, vcc
	v_add_co_u32_e32 v4, vcc, v46, v4
	v_add_u32_e32 v2, 0x100, v2
	s_cmp_eq_u32 s94, s5
	v_addc_co_u32_e32 v5, vcc, v47, v5, vcc
	s_cbranch_scc0 .LBB183_75
; %bb.76:                               ;   in Loop: Header=BB183_12 Depth=1
	s_mov_b32 s5, s94
	s_branch .LBB183_79
.LBB183_77:                             ;   in Loop: Header=BB183_12 Depth=1
                                        ; implicit-def: $vgpr4_vgpr5
	s_branch .LBB183_45
.LBB183_78:                             ;   in Loop: Header=BB183_12 Depth=1
	s_mov_b32 s5, 0
	v_pk_mov_b32 v[4:5], 0, 0
.LBB183_79:                             ;   in Loop: Header=BB183_12 Depth=1
	v_readlane_b32 s6, v54, 42
	v_readlane_b32 s7, v54, 43
	s_andn2_b64 vcc, exec, s[6:7]
	s_cbranch_vccnz .LBB183_82
; %bb.80:                               ;   in Loop: Header=BB183_12 Depth=1
	v_readlane_b32 s6, v54, 50
	s_lshl_b32 s6, s6, 9
	s_lshl_b32 s5, s5, 5
	s_add_i32 s6, s6, s5
	v_add_u32_e32 v2, s6, v42
	v_readlane_b32 s5, v54, 41
.LBB183_81:                             ;   Parent Loop BB183_12 Depth=1
                                        ; =>  This Inner Loop Header: Depth=2
	ds_read_b64 v[8:9], v2
	s_add_i32 s5, s5, -1
	v_add_u32_e32 v2, 32, v2
	s_cmp_lg_u32 s5, 0
	s_waitcnt lgkmcnt(0)
	v_add_co_u32_e32 v4, vcc, v8, v4
	v_addc_co_u32_e32 v5, vcc, v9, v5, vcc
	s_cbranch_scc1 .LBB183_81
.LBB183_82:                             ;   in Loop: Header=BB183_12 Depth=1
	v_add_lshl_u32 v2, s4, v37, 3
	ds_write_b64 v2, v[4:5] offset:3072
.LBB183_83:                             ;   in Loop: Header=BB183_12 Depth=1
	s_or_b64 exec, exec, s[2:3]
	s_lshl_b32 s2, s4, 3
	v_mov_b32_e32 v2, s2
	s_waitcnt lgkmcnt(0)
	s_barrier
	ds_read_b128 v[8:11], v2 offset:3072
	ds_read_b128 v[12:15], v2 offset:3088
	s_and_b32 s84, s89, 0xfe
	v_readlane_b32 s2, v54, 22
	s_lshl_b64 s[18:19], 3, s84
	v_readlane_b32 s3, v54, 23
	s_waitcnt lgkmcnt(1)
	v_readfirstlane_b32 s17, v9
	v_readfirstlane_b32 s16, v8
	;; [unrolled: 1-line block ×4, first 2 shown]
	s_waitcnt lgkmcnt(0)
	v_readfirstlane_b32 s27, v13
	v_readfirstlane_b32 s26, v12
	;; [unrolled: 1-line block ×4, first 2 shown]
	s_not_b64 s[20:21], s[18:19]
	s_andn2_b64 vcc, exec, s[2:3]
	v_cmp_eq_u64_e64 s[14:15], 1, v[28:29]
	s_cbranch_vccnz .LBB183_99
; %bb.84:                               ;   in Loop: Header=BB183_12 Depth=1
	s_cmp_eq_u64 s[16:17], 1
	s_cselect_b64 s[2:3], -1, 0
	s_and_b64 s[8:9], s[2:3], s[14:15]
	s_mov_b64 s[2:3], -1
	v_pk_mov_b32 v[12:13], v[24:25], v[24:25] op_sel:[0,1]
	v_pk_mov_b32 v[14:15], v[26:27], v[26:27] op_sel:[0,1]
	v_pk_mov_b32 v[10:11], v[6:7], v[6:7] op_sel:[0,1]
                                        ; implicit-def: $sgpr24_sgpr25
                                        ; implicit-def: $sgpr40_sgpr41
                                        ; implicit-def: $sgpr38_sgpr39
	s_and_saveexec_b64 s[10:11], s[8:9]
	s_cbranch_execz .LBB183_121
; %bb.85:                               ;   in Loop: Header=BB183_12 Depth=1
	s_waitcnt vmcnt(0)
	ds_read_b64 v[4:5], v21 offset:5120
	s_waitcnt lgkmcnt(0)
	s_barrier
	v_readfirstlane_b32 s2, v4
	v_readfirstlane_b32 s3, v5
	s_mov_b64 s[4:5], exec
	v_readlane_b32 s6, v54, 30
	v_readlane_b32 s7, v54, 31
	s_and_b64 s[6:7], s[4:5], s[6:7]
	s_mov_b64 exec, s[6:7]
	s_cbranch_execz .LBB183_87
; %bb.86:                               ;   in Loop: Header=BB183_12 Depth=1
	v_mov_b32_e32 v20, v21
	ds_write_b64 v40, v[20:21]
.LBB183_87:                             ;   in Loop: Header=BB183_12 Depth=1
	s_or_b64 exec, exec, s[4:5]
	v_and_b32_e32 v13, s21, v25
	v_and_b32_e32 v12, s20, v24
	v_or_b32_e32 v15, s19, v27
	v_or_b32_e32 v14, s18, v26
	s_cmp_eq_u64 s[2:3], 0
	s_waitcnt lgkmcnt(0)
	s_barrier
	s_cbranch_scc1 .LBB183_104
; %bb.88:                               ;   in Loop: Header=BB183_12 Depth=1
	v_readlane_b32 s4, v54, 34
	s_add_u32 s12, s4, s2
	v_readlane_b32 s4, v54, 36
	s_addc_u32 s5, s4, s3
	s_mov_b32 s4, s85
	s_cmp_lg_u64 s[4:5], 0
	s_cbranch_scc0 .LBB183_148
; %bb.89:                               ;   in Loop: Header=BB183_12 Depth=1
	v_cvt_f32_u32_e32 v2, s87
	s_sub_u32 s4, 0, s87
	s_subb_u32 s6, 0, 0
	v_mac_f32_e32 v2, 0, v43
	v_rcp_f32_e32 v2, v2
	v_mul_f32_e32 v2, 0x5f7ffffc, v2
	v_mul_f32_e32 v4, 0x2f800000, v2
	v_trunc_f32_e32 v4, v4
	v_mac_f32_e32 v2, 0xcf800000, v4
	v_cvt_u32_f32_e32 v4, v4
	v_cvt_u32_f32_e32 v2, v2
	v_readfirstlane_b32 s7, v4
	v_readfirstlane_b32 s13, v2
	s_mul_i32 s24, s4, s7
	s_mul_hi_u32 s34, s4, s13
	s_mul_i32 s25, s6, s13
	s_add_i32 s24, s34, s24
	s_mul_i32 s35, s4, s13
	s_add_i32 s24, s24, s25
	s_mul_hi_u32 s34, s13, s35
	s_mul_hi_u32 s25, s13, s24
	s_mul_i32 s13, s13, s24
	s_add_u32 s13, s34, s13
	s_addc_u32 s25, 0, s25
	s_mul_hi_u32 s36, s7, s35
	s_mul_i32 s35, s7, s35
	s_add_u32 s13, s13, s35
	s_mul_hi_u32 s34, s7, s24
	s_addc_u32 s13, s25, s36
	s_addc_u32 s25, s34, 0
	s_mul_i32 s24, s7, s24
	s_add_u32 s13, s13, s24
	s_addc_u32 s24, 0, s25
	v_add_co_u32_e32 v2, vcc, s13, v2
	s_cmp_lg_u64 vcc, 0
	s_addc_u32 s7, s7, s24
	v_readfirstlane_b32 s24, v2
	s_mul_i32 s13, s4, s7
	s_mul_hi_u32 s25, s4, s24
	s_add_i32 s13, s25, s13
	s_mul_i32 s6, s6, s24
	s_add_i32 s13, s13, s6
	s_mul_i32 s4, s4, s24
	s_mul_hi_u32 s25, s7, s4
	s_mul_i32 s34, s7, s4
	s_mul_i32 s36, s24, s13
	s_mul_hi_u32 s4, s24, s4
	s_mul_hi_u32 s35, s24, s13
	s_add_u32 s4, s4, s36
	s_addc_u32 s24, 0, s35
	s_add_u32 s4, s4, s34
	s_mul_hi_u32 s6, s7, s13
	s_addc_u32 s4, s24, s25
	s_addc_u32 s6, s6, 0
	s_mul_i32 s13, s7, s13
	s_add_u32 s4, s4, s13
	s_addc_u32 s6, 0, s6
	v_add_co_u32_e32 v2, vcc, s4, v2
	s_cmp_lg_u64 vcc, 0
	s_addc_u32 s4, s7, s6
	v_readfirstlane_b32 s13, v2
	s_mul_i32 s7, s12, s4
	s_mul_hi_u32 s24, s12, s13
	s_mul_hi_u32 s6, s12, s4
	s_add_u32 s7, s24, s7
	s_addc_u32 s6, 0, s6
	s_mul_hi_u32 s25, s5, s13
	s_mul_i32 s13, s5, s13
	s_add_u32 s7, s7, s13
	s_mul_hi_u32 s24, s5, s4
	s_addc_u32 s6, s6, s25
	s_addc_u32 s7, s24, 0
	s_mul_i32 s4, s5, s4
	s_add_u32 s4, s6, s4
	s_addc_u32 s6, 0, s7
	s_mul_hi_u32 s7, s87, s4
	s_mul_i32 s4, s87, s4
	s_mul_i32 s6, s87, s6
	v_mov_b32_e32 v2, s4
	s_add_i32 s7, s7, s6
	v_sub_co_u32_e32 v2, vcc, s12, v2
	s_cmp_lg_u64 vcc, 0
	s_subb_u32 s4, s5, s7
	v_subrev_co_u32_e32 v4, vcc, s87, v2
	s_cmp_lg_u64 vcc, 0
	s_subb_u32 s6, s4, 0
	v_subrev_co_u32_e32 v5, vcc, s87, v4
	s_cmp_lg_u64 vcc, 0
	s_subb_u32 s7, s6, 0
	v_cmp_le_u32_e32 vcc, s87, v4
	s_cmp_eq_u32 s6, 0
	v_cndmask_b32_e64 v8, 0, -1, vcc
	s_cselect_b64 vcc, -1, 0
	v_cndmask_b32_e32 v8, -1, v8, vcc
	v_mov_b32_e32 v9, s6
	v_mov_b32_e32 v10, s7
	v_cmp_ne_u32_e32 vcc, 0, v8
	v_cndmask_b32_e32 v8, v9, v10, vcc
	v_cndmask_b32_e32 v4, v4, v5, vcc
	v_cmp_le_u32_e32 vcc, s87, v2
	s_cmp_eq_u32 s4, 0
	v_cndmask_b32_e64 v5, 0, -1, vcc
	s_cselect_b64 vcc, -1, 0
	v_cndmask_b32_e32 v5, -1, v5, vcc
	v_mov_b32_e32 v9, s4
	v_cmp_ne_u32_e32 vcc, 0, v5
	v_cndmask_b32_e32 v5, v9, v8, vcc
	v_cndmask_b32_e32 v4, v2, v4, vcc
	s_cbranch_execnz .LBB183_91
.LBB183_90:                             ;   in Loop: Header=BB183_12 Depth=1
	v_cvt_f32_u32_e32 v2, s87
	s_sub_i32 s4, 0, s87
	v_rcp_iflag_f32_e32 v2, v2
	v_mul_f32_e32 v2, 0x4f7ffffe, v2
	v_cvt_u32_f32_e32 v2, v2
	v_mul_lo_u32 v4, s4, v2
	v_mul_hi_u32 v4, v2, v4
	v_add_u32_e32 v2, v2, v4
	v_mul_hi_u32 v2, s12, v2
	v_mul_lo_u32 v2, v2, s87
	v_sub_u32_e32 v2, s12, v2
	v_subrev_u32_e32 v4, s87, v2
	v_cmp_le_u32_e32 vcc, s87, v2
	v_cndmask_b32_e32 v2, v2, v4, vcc
	v_subrev_u32_e32 v4, s87, v2
	v_cmp_le_u32_e32 vcc, s87, v2
	v_cndmask_b32_e32 v20, v2, v4, vcc
	v_pk_mov_b32 v[4:5], v[20:21], v[20:21] op_sel:[0,1]
.LBB183_91:                             ;   in Loop: Header=BB183_12 Depth=1
	v_mov_b32_e32 v2, s5
	v_sub_co_u32_e32 v30, vcc, s12, v4
	v_subb_co_u32_e32 v31, vcc, v2, v5, vcc
	v_cmp_gt_u64_e32 vcc, v[30:31], v[0:1]
	s_mov_b64 s[6:7], 0
                                        ; implicit-def: $vgpr10_vgpr11
	s_and_saveexec_b64 s[4:5], vcc
	s_cbranch_execz .LBB183_106
; %bb.92:                               ;   in Loop: Header=BB183_12 Depth=1
	s_mov_b64 s[24:25], 0
	v_mov_b32_e32 v20, v39
	v_pk_mov_b32 v[32:33], v[0:1], v[0:1] op_sel:[0,1]
                                        ; implicit-def: $sgpr12_sgpr13
	s_branch .LBB183_94
.LBB183_93:                             ;   in Loop: Header=BB183_94 Depth=2
	s_or_b64 exec, exec, s[6:7]
	s_waitcnt lgkmcnt(0)
	s_barrier
	ds_read_b128 v[8:11], v21 offset:3072
	v_mov_b32_e32 v2, s88
	v_add_co_u32_e64 v32, s[6:7], s87, v32
	v_addc_co_u32_e64 v33, s[6:7], v33, v2, s[6:7]
	s_waitcnt lgkmcnt(0)
	v_cmp_neq_f64_e32 vcc, 0, v[8:9]
	v_cmp_ge_u64_e64 s[6:7], v[32:33], v[30:31]
	s_or_b64 s[6:7], s[6:7], vcc
	s_and_b64 s[6:7], exec, s[6:7]
	s_or_b64 s[24:25], s[6:7], s[24:25]
	s_andn2_b64 s[6:7], s[12:13], exec
	s_and_b64 s[12:13], vcc, exec
	v_add_u32_e32 v20, s95, v20
	s_or_b64 s[12:13], s[6:7], s[12:13]
	s_barrier
	s_andn2_b64 exec, exec, s[24:25]
	s_cbranch_execz .LBB183_105
.LBB183_94:                             ;   Parent Loop BB183_12 Depth=1
                                        ; =>  This Inner Loop Header: Depth=2
	v_cmp_gt_u64_e32 vcc, s[2:3], v[32:33]
	v_pk_mov_b32 v[4:5], 0, 0
	s_and_saveexec_b64 s[6:7], vcc
	s_cbranch_execz .LBB183_96
; %bb.95:                               ;   in Loop: Header=BB183_94 Depth=2
	ds_read_b64 v[4:5], v20
.LBB183_96:                             ;   in Loop: Header=BB183_94 Depth=2
	s_or_b64 exec, exec, s[6:7]
	s_and_saveexec_b64 s[6:7], vcc
	s_cbranch_execz .LBB183_93
; %bb.97:                               ;   in Loop: Header=BB183_94 Depth=2
	s_waitcnt lgkmcnt(0)
	v_ashrrev_i32_e32 v2, 31, v5
	v_or_b32_e32 v8, 0x80000000, v2
	v_xor_b32_e32 v8, v8, v5
	v_xor_b32_e32 v2, v2, v4
	v_cmp_o_f64_e32 vcc, v[4:5], v[4:5]
	v_cndmask_b32_e32 v8, -1, v8, vcc
	v_cndmask_b32_e32 v2, -1, v2, vcc
	v_and_b32_e32 v9, v8, v15
	v_and_b32_e32 v8, v2, v14
	v_cmp_eq_u64_e32 vcc, v[8:9], v[12:13]
	s_and_b64 exec, exec, vcc
	s_cbranch_execz .LBB183_93
; %bb.98:                               ;   in Loop: Header=BB183_94 Depth=2
	v_mov_b32_e32 v2, v21
	ds_write_b128 v21, v[2:5] offset:3072
	s_branch .LBB183_93
.LBB183_99:                             ;   in Loop: Header=BB183_12 Depth=1
	s_mov_b64 s[36:37], 0
	s_mov_b64 s[34:35], 0
                                        ; implicit-def: $sgpr38_sgpr39
                                        ; implicit-def: $sgpr40_sgpr41
                                        ; implicit-def: $sgpr24_sgpr25
                                        ; implicit-def: $vgpr2
                                        ; implicit-def: $vgpr30_vgpr31
                                        ; implicit-def: $vgpr12_vgpr13
                                        ; implicit-def: $vgpr14_vgpr15
                                        ; implicit-def: $vgpr10_vgpr11
	s_cbranch_execnz .LBB183_286
.LBB183_100:                            ;   in Loop: Header=BB183_12 Depth=1
	s_mov_b64 s[14:15], s[24:25]
	s_mov_b64 s[42:43], s[24:25]
	s_and_saveexec_b64 s[2:3], s[36:37]
	s_cbranch_execnz .LBB183_482
	s_branch .LBB183_483
.LBB183_101:                            ;   in Loop: Header=BB183_12 Depth=1
	s_or_b64 exec, exec, s[2:3]
	s_waitcnt lgkmcnt(0)
	s_barrier
	s_mov_b64 s[2:3], exec
	v_readlane_b32 s4, v54, 12
	v_readlane_b32 s5, v54, 13
	s_and_b64 s[4:5], s[2:3], s[4:5]
	s_mov_b64 exec, s[4:5]
	s_cbranch_execz .LBB183_103
; %bb.102:                              ;   in Loop: Header=BB183_12 Depth=1
	s_waitcnt vmcnt(0)
	ds_read_b32 v4, v21 offset:5144
	s_waitcnt lgkmcnt(0)
	v_ashrrev_i32_e32 v5, 31, v4
	ds_write_b64 v21, v[4:5] offset:5120
.LBB183_103:                            ;   in Loop: Header=BB183_12 Depth=1
	s_or_b64 exec, exec, s[2:3]
	s_waitcnt lgkmcnt(0)
	s_barrier
	s_mov_b64 s[2:3], -1
	s_and_b64 vcc, exec, s[8:9]
	s_cbranch_vccnz .LBB183_30
	s_branch .LBB183_40
.LBB183_104:                            ;   in Loop: Header=BB183_12 Depth=1
	s_mov_b64 s[24:25], -1
	s_mov_b64 s[6:7], 0
                                        ; implicit-def: $sgpr38_sgpr39
                                        ; implicit-def: $vgpr10_vgpr11
	s_mov_b64 s[40:41], s[24:25]
	s_cbranch_execnz .LBB183_107
	s_branch .LBB183_120
.LBB183_105:                            ;   in Loop: Header=BB183_12 Depth=1
	s_or_b64 exec, exec, s[24:25]
	s_and_b64 s[6:7], s[12:13], exec
.LBB183_106:                            ;   in Loop: Header=BB183_12 Depth=1
	s_or_b64 exec, exec, s[4:5]
	s_mov_b64 s[38:39], -1
	s_mov_b64 s[24:25], 0
	s_mov_b64 s[40:41], s[24:25]
	s_branch .LBB183_120
.LBB183_107:                            ;   in Loop: Header=BB183_12 Depth=1
	s_mov_b32 s92, s85
	s_cmp_lg_u64 s[92:93], 0
	s_cbranch_scc0 .LBB183_149
; %bb.108:                              ;   in Loop: Header=BB183_12 Depth=1
	v_cvt_f32_u32_e32 v2, s87
	s_sub_u32 s2, 0, s87
	s_subb_u32 s3, 0, 0
	v_mac_f32_e32 v2, 0, v43
	v_rcp_f32_e32 v2, v2
	v_mul_f32_e32 v2, 0x5f7ffffc, v2
	v_mul_f32_e32 v4, 0x2f800000, v2
	v_trunc_f32_e32 v4, v4
	v_mac_f32_e32 v2, 0xcf800000, v4
	v_cvt_u32_f32_e32 v4, v4
	v_cvt_u32_f32_e32 v2, v2
	v_readfirstlane_b32 s4, v4
	v_readfirstlane_b32 s5, v2
	s_mul_i32 s6, s2, s4
	s_mul_hi_u32 s12, s2, s5
	s_mul_i32 s7, s3, s5
	s_add_i32 s6, s12, s6
	s_mul_i32 s13, s2, s5
	s_add_i32 s6, s6, s7
	s_mul_hi_u32 s12, s5, s13
	s_mul_hi_u32 s7, s5, s6
	s_mul_i32 s5, s5, s6
	s_add_u32 s5, s12, s5
	s_addc_u32 s7, 0, s7
	s_mul_hi_u32 s24, s4, s13
	s_mul_i32 s13, s4, s13
	s_add_u32 s5, s5, s13
	s_mul_hi_u32 s12, s4, s6
	s_addc_u32 s5, s7, s24
	s_addc_u32 s7, s12, 0
	s_mul_i32 s6, s4, s6
	s_add_u32 s5, s5, s6
	s_addc_u32 s6, 0, s7
	v_add_co_u32_e32 v2, vcc, s5, v2
	s_cmp_lg_u64 vcc, 0
	s_addc_u32 s4, s4, s6
	v_readfirstlane_b32 s6, v2
	s_mul_i32 s5, s2, s4
	s_mul_hi_u32 s7, s2, s6
	s_add_i32 s5, s7, s5
	s_mul_i32 s3, s3, s6
	s_add_i32 s5, s5, s3
	s_mul_i32 s2, s2, s6
	s_mul_hi_u32 s7, s4, s2
	s_mul_i32 s12, s4, s2
	s_mul_i32 s24, s6, s5
	s_mul_hi_u32 s2, s6, s2
	s_mul_hi_u32 s13, s6, s5
	s_add_u32 s2, s2, s24
	s_addc_u32 s6, 0, s13
	s_add_u32 s2, s2, s12
	s_mul_hi_u32 s3, s4, s5
	s_addc_u32 s2, s6, s7
	s_addc_u32 s3, s3, 0
	s_mul_i32 s5, s4, s5
	s_add_u32 s2, s2, s5
	s_addc_u32 s3, 0, s3
	v_add_co_u32_e32 v2, vcc, s2, v2
	s_cmp_lg_u64 vcc, 0
	s_addc_u32 s2, s4, s3
	v_readlane_b32 s12, v54, 35
	v_readfirstlane_b32 s5, v2
	s_mul_i32 s4, s12, s2
	s_mul_hi_u32 s6, s12, s5
	s_mul_hi_u32 s3, s12, s2
	s_add_u32 s4, s6, s4
	s_addc_u32 s3, 0, s3
	s_mul_hi_u32 s7, s93, s5
	s_mul_i32 s5, s93, s5
	s_add_u32 s4, s4, s5
	s_mul_hi_u32 s6, s93, s2
	s_addc_u32 s3, s3, s7
	s_addc_u32 s4, s6, 0
	s_mul_i32 s2, s93, s2
	s_add_u32 s2, s3, s2
	s_addc_u32 s3, 0, s4
	s_mul_hi_u32 s4, s87, s2
	s_mul_i32 s2, s87, s2
	s_mul_i32 s3, s87, s3
	v_mov_b32_e32 v2, s2
	s_add_i32 s4, s4, s3
	v_sub_co_u32_e32 v2, vcc, s12, v2
	s_cmp_lg_u64 vcc, 0
	s_subb_u32 s2, s93, s4
	v_subrev_co_u32_e32 v4, vcc, s87, v2
	s_cmp_lg_u64 vcc, 0
	s_subb_u32 s3, s2, 0
	v_subrev_co_u32_e32 v5, vcc, s87, v4
	s_cmp_lg_u64 vcc, 0
	s_subb_u32 s4, s3, 0
	v_cmp_le_u32_e32 vcc, s87, v4
	s_cmp_eq_u32 s3, 0
	v_cndmask_b32_e64 v8, 0, -1, vcc
	s_cselect_b64 vcc, -1, 0
	v_cndmask_b32_e32 v8, -1, v8, vcc
	v_mov_b32_e32 v9, s3
	v_mov_b32_e32 v10, s4
	v_cmp_ne_u32_e32 vcc, 0, v8
	v_cndmask_b32_e32 v8, v9, v10, vcc
	v_cndmask_b32_e32 v4, v4, v5, vcc
	v_cmp_le_u32_e32 vcc, s87, v2
	s_cmp_eq_u32 s2, 0
	v_cndmask_b32_e64 v5, 0, -1, vcc
	s_cselect_b64 vcc, -1, 0
	v_cndmask_b32_e32 v5, -1, v5, vcc
	v_mov_b32_e32 v9, s2
	v_cmp_ne_u32_e32 vcc, 0, v5
	v_cndmask_b32_e32 v5, v9, v8, vcc
	v_cndmask_b32_e32 v4, v2, v4, vcc
	s_cbranch_execnz .LBB183_110
.LBB183_109:                            ;   in Loop: Header=BB183_12 Depth=1
	v_cvt_f32_u32_e32 v2, s87
	s_sub_i32 s2, 0, s87
	v_rcp_iflag_f32_e32 v2, v2
	v_mul_f32_e32 v2, 0x4f7ffffe, v2
	v_cvt_u32_f32_e32 v2, v2
	v_mul_lo_u32 v4, s2, v2
	v_mul_hi_u32 v4, v2, v4
	v_add_u32_e32 v2, v2, v4
	v_readlane_b32 s2, v54, 35
	v_mul_hi_u32 v2, s2, v2
	v_mul_lo_u32 v2, v2, s87
	v_sub_u32_e32 v2, s2, v2
	v_subrev_u32_e32 v4, s87, v2
	v_cmp_le_u32_e32 vcc, s87, v2
	v_cndmask_b32_e32 v2, v2, v4, vcc
	v_subrev_u32_e32 v4, s87, v2
	v_cmp_le_u32_e32 vcc, s87, v2
	v_cndmask_b32_e32 v20, v2, v4, vcc
	v_pk_mov_b32 v[4:5], v[20:21], v[20:21] op_sel:[0,1]
.LBB183_110:                            ;   in Loop: Header=BB183_12 Depth=1
	v_readlane_b32 s2, v54, 35
	v_mov_b32_e32 v2, s93
	v_sub_co_u32_e32 v30, vcc, s2, v4
	v_subb_co_u32_e32 v31, vcc, v2, v5, vcc
	v_cmp_gt_u64_e32 vcc, v[30:31], v[0:1]
	s_mov_b64 s[6:7], 0
                                        ; implicit-def: $vgpr10_vgpr11
	s_and_saveexec_b64 s[2:3], vcc
	s_cbranch_execz .LBB183_119
; %bb.111:                              ;   in Loop: Header=BB183_12 Depth=1
	s_mov_b64 s[12:13], 0
	v_pk_mov_b32 v[32:33], v[0:1], v[0:1] op_sel:[0,1]
                                        ; implicit-def: $sgpr4_sgpr5
	s_branch .LBB183_113
.LBB183_112:                            ;   in Loop: Header=BB183_113 Depth=2
	s_or_b64 exec, exec, s[6:7]
	s_waitcnt lgkmcnt(0)
	s_barrier
	ds_read_b128 v[8:11], v21 offset:3072
	v_mov_b32_e32 v2, s88
	v_add_co_u32_e64 v32, s[6:7], s87, v32
	v_addc_co_u32_e64 v33, s[6:7], v33, v2, s[6:7]
	s_waitcnt lgkmcnt(0)
	v_cmp_neq_f64_e32 vcc, 0, v[8:9]
	v_cmp_ge_u64_e64 s[6:7], v[32:33], v[30:31]
	s_or_b64 s[6:7], s[6:7], vcc
	s_and_b64 s[6:7], exec, s[6:7]
	s_or_b64 s[12:13], s[6:7], s[12:13]
	s_andn2_b64 s[4:5], s[4:5], exec
	s_and_b64 s[6:7], vcc, exec
	s_or_b64 s[4:5], s[4:5], s[6:7]
	s_barrier
	s_andn2_b64 exec, exec, s[12:13]
	s_cbranch_execz .LBB183_118
.LBB183_113:                            ;   Parent Loop BB183_12 Depth=1
                                        ; =>  This Inner Loop Header: Depth=2
	v_cmp_gt_u64_e32 vcc, s[60:61], v[32:33]
	s_waitcnt vmcnt(0)
	v_pk_mov_b32 v[4:5], 0, 0
	s_and_saveexec_b64 s[24:25], vcc
	s_cbranch_execz .LBB183_115
; %bb.114:                              ;   in Loop: Header=BB183_113 Depth=2
	v_mul_lo_u32 v2, v33, s58
	v_mul_lo_u32 v8, v32, s59
	v_mad_u64_u32 v[4:5], s[6:7], v32, s58, 0
	v_add3_u32 v5, v5, v8, v2
	v_lshlrev_b64 v[4:5], 3, v[4:5]
	v_mov_b32_e32 v2, s86
	v_add_co_u32_e64 v4, s[6:7], s33, v4
	v_addc_co_u32_e64 v5, s[6:7], v2, v5, s[6:7]
	global_load_dwordx2 v[4:5], v[4:5], off
.LBB183_115:                            ;   in Loop: Header=BB183_113 Depth=2
	s_or_b64 exec, exec, s[24:25]
	s_and_saveexec_b64 s[6:7], vcc
	s_cbranch_execz .LBB183_112
; %bb.116:                              ;   in Loop: Header=BB183_113 Depth=2
	s_waitcnt vmcnt(0)
	v_ashrrev_i32_e32 v2, 31, v5
	v_or_b32_e32 v8, 0x80000000, v2
	v_xor_b32_e32 v8, v8, v5
	v_xor_b32_e32 v2, v2, v4
	v_cmp_o_f64_e32 vcc, v[4:5], v[4:5]
	v_cndmask_b32_e32 v8, -1, v8, vcc
	v_cndmask_b32_e32 v2, -1, v2, vcc
	v_and_b32_e32 v9, v8, v15
	v_and_b32_e32 v8, v2, v14
	v_cmp_eq_u64_e32 vcc, v[8:9], v[12:13]
	s_and_b64 exec, exec, vcc
	s_cbranch_execz .LBB183_112
; %bb.117:                              ;   in Loop: Header=BB183_113 Depth=2
	v_mov_b32_e32 v2, v21
	ds_write_b128 v21, v[2:5] offset:3072
	s_branch .LBB183_112
.LBB183_118:                            ;   in Loop: Header=BB183_12 Depth=1
	s_or_b64 exec, exec, s[12:13]
	s_and_b64 s[6:7], s[4:5], exec
.LBB183_119:                            ;   in Loop: Header=BB183_12 Depth=1
	s_or_b64 exec, exec, s[2:3]
	s_mov_b64 s[40:41], -1
	s_mov_b64 s[24:25], 0
	s_mov_b64 s[38:39], 0
.LBB183_120:                            ;   in Loop: Header=BB183_12 Depth=1
	s_orn2_b64 s[2:3], s[6:7], exec
.LBB183_121:                            ;   in Loop: Header=BB183_12 Depth=1
	s_or_b64 exec, exec, s[10:11]
	s_mov_b64 s[42:43], 0
	s_mov_b64 s[36:37], 0
	;; [unrolled: 1-line block ×3, first 2 shown]
                                        ; implicit-def: $vgpr2
                                        ; implicit-def: $vgpr30_vgpr31
	s_and_saveexec_b64 s[44:45], s[2:3]
	s_cbranch_execz .LBB183_285
; %bb.122:                              ;   in Loop: Header=BB183_12 Depth=1
	s_waitcnt vmcnt(0)
	v_mov_b32_e32 v30, 1
	s_xor_b64 s[4:5], s[8:9], -1
	s_mov_b64 s[6:7], 0
	v_mov_b32_e32 v31, 0
	v_mov_b32_e32 v2, 1
	s_and_saveexec_b64 s[2:3], s[4:5]
	s_cbranch_execz .LBB183_132
; %bb.123:                              ;   in Loop: Header=BB183_12 Depth=1
	v_cmp_ge_u64_e32 vcc, s[16:17], v[28:29]
                                        ; implicit-def: $sgpr8
                                        ; implicit-def: $sgpr4_sgpr5
	s_and_saveexec_b64 s[6:7], vcc
	s_xor_b64 s[6:7], exec, s[6:7]
	s_cbranch_execz .LBB183_129
; %bb.124:                              ;   in Loop: Header=BB183_12 Depth=1
	ds_read_b64 v[4:5], v21 offset:5120
	s_waitcnt lgkmcnt(0)
	v_cmp_ne_u64_e32 vcc, 0, v[4:5]
	s_cbranch_vccnz .LBB183_128
; %bb.125:                              ;   in Loop: Header=BB183_12 Depth=1
	s_mov_b64 s[4:5], exec
	v_readlane_b32 s8, v54, 12
	v_readlane_b32 s9, v54, 13
	s_and_b64 s[8:9], s[4:5], s[8:9]
	s_mov_b64 exec, s[8:9]
	s_cbranch_execz .LBB183_127
; %bb.126:                              ;   in Loop: Header=BB183_12 Depth=1
	v_pk_mov_b32 v[4:5], s[16:17], s[16:17] op_sel:[0,1]
	ds_write_b64 v21, v[4:5] offset:5128
.LBB183_127:                            ;   in Loop: Header=BB183_12 Depth=1
	s_or_b64 exec, exec, s[4:5]
	s_waitcnt lgkmcnt(0)
	s_barrier
.LBB183_128:                            ;   in Loop: Header=BB183_12 Depth=1
	v_and_b32_e32 v13, s21, v13
	v_and_b32_e32 v12, s20, v12
	v_or_b32_e32 v15, s19, v15
	v_or_b32_e32 v14, s18, v14
	s_mov_b64 s[4:5], 0
	s_mov_b32 s8, 8
.LBB183_129:                            ;   in Loop: Header=BB183_12 Depth=1
	s_or_saveexec_b64 s[6:7], s[6:7]
	v_mov_b32_e32 v2, s8
	v_pk_mov_b32 v[30:31], v[28:29], v[28:29] op_sel:[0,1]
	s_xor_b64 exec, exec, s[6:7]
; %bb.130:                              ;   in Loop: Header=BB183_12 Depth=1
	v_mov_b32_e32 v2, s17
	v_subrev_co_u32_e32 v30, vcc, s16, v28
	v_subb_co_u32_e32 v31, vcc, v29, v2, vcc
	v_mov_b32_e32 v2, 0
	s_or_b64 s[4:5], s[4:5], exec
; %bb.131:                              ;   in Loop: Header=BB183_12 Depth=1
	s_or_b64 exec, exec, s[6:7]
	s_and_b64 s[6:7], s[4:5], exec
.LBB183_132:                            ;   in Loop: Header=BB183_12 Depth=1
	s_or_b64 exec, exec, s[2:3]
	s_mov_b64 s[12:13], -1
                                        ; implicit-def: $sgpr2_sgpr3
                                        ; implicit-def: $sgpr4_sgpr5
                                        ; implicit-def: $sgpr8_sgpr9
	s_and_saveexec_b64 s[10:11], s[6:7]
	s_xor_b64 s[34:35], exec, s[10:11]
	s_cbranch_execz .LBB183_282
; %bb.133:                              ;   in Loop: Header=BB183_12 Depth=1
	s_cmp_eq_u64 s[22:23], 1
	s_cselect_b64 s[2:3], -1, 0
	v_cmp_eq_u64_e32 vcc, 1, v[30:31]
	s_and_b64 s[8:9], s[2:3], vcc
	s_mov_b64 s[2:3], -1
                                        ; implicit-def: $sgpr36_sgpr37
                                        ; implicit-def: $sgpr48_sgpr49
                                        ; implicit-def: $sgpr46_sgpr47
	s_and_saveexec_b64 s[10:11], s[8:9]
	s_cbranch_execz .LBB183_167
; %bb.134:                              ;   in Loop: Header=BB183_12 Depth=1
	ds_read_b64 v[4:5], v21 offset:5120
	s_waitcnt lgkmcnt(0)
	s_barrier
	v_readfirstlane_b32 s2, v4
	v_readfirstlane_b32 s3, v5
	s_mov_b64 s[4:5], exec
	v_readlane_b32 s6, v54, 30
	v_readlane_b32 s7, v54, 31
	s_and_b64 s[6:7], s[4:5], s[6:7]
	s_mov_b64 exec, s[6:7]
	s_cbranch_execz .LBB183_136
; %bb.135:                              ;   in Loop: Header=BB183_12 Depth=1
	v_mov_b32_e32 v20, v21
	ds_write_b64 v40, v[20:21]
.LBB183_136:                            ;   in Loop: Header=BB183_12 Depth=1
	s_or_b64 exec, exec, s[4:5]
	s_lshl_b64 s[4:5], 1, s84
	v_and_b32_e32 v2, s21, v13
	v_and_b32_e32 v4, s20, v12
	v_or_b32_e32 v13, s5, v2
	v_or_b32_e32 v12, s4, v4
	;; [unrolled: 1-line block ×4, first 2 shown]
	s_cmp_eq_u64 s[2:3], 0
	s_waitcnt lgkmcnt(0)
	s_barrier
	s_cbranch_scc1 .LBB183_150
; %bb.137:                              ;   in Loop: Header=BB183_12 Depth=1
	v_readlane_b32 s4, v54, 34
	s_add_u32 s12, s4, s2
	v_readlane_b32 s4, v54, 36
	s_addc_u32 s5, s4, s3
	s_mov_b32 s4, s85
	s_cmp_lg_u64 s[4:5], 0
	s_cbranch_scc0 .LBB183_194
; %bb.138:                              ;   in Loop: Header=BB183_12 Depth=1
	v_cvt_f32_u32_e32 v2, s87
	s_sub_u32 s4, 0, s87
	s_subb_u32 s6, 0, 0
	v_mac_f32_e32 v2, 0, v43
	v_rcp_f32_e32 v2, v2
	v_mul_f32_e32 v2, 0x5f7ffffc, v2
	v_mul_f32_e32 v4, 0x2f800000, v2
	v_trunc_f32_e32 v4, v4
	v_mac_f32_e32 v2, 0xcf800000, v4
	v_cvt_u32_f32_e32 v4, v4
	v_cvt_u32_f32_e32 v2, v2
	v_readfirstlane_b32 s7, v4
	v_readfirstlane_b32 s13, v2
	s_mul_i32 s36, s4, s7
	s_mul_hi_u32 s46, s4, s13
	s_mul_i32 s37, s6, s13
	s_add_i32 s36, s46, s36
	s_mul_i32 s47, s4, s13
	s_add_i32 s36, s36, s37
	s_mul_hi_u32 s46, s13, s47
	s_mul_hi_u32 s37, s13, s36
	s_mul_i32 s13, s13, s36
	s_add_u32 s13, s46, s13
	s_addc_u32 s37, 0, s37
	s_mul_hi_u32 s48, s7, s47
	s_mul_i32 s47, s7, s47
	s_add_u32 s13, s13, s47
	s_mul_hi_u32 s46, s7, s36
	s_addc_u32 s13, s37, s48
	s_addc_u32 s37, s46, 0
	s_mul_i32 s36, s7, s36
	s_add_u32 s13, s13, s36
	s_addc_u32 s36, 0, s37
	v_add_co_u32_e32 v2, vcc, s13, v2
	s_cmp_lg_u64 vcc, 0
	s_addc_u32 s7, s7, s36
	v_readfirstlane_b32 s36, v2
	s_mul_i32 s13, s4, s7
	s_mul_hi_u32 s37, s4, s36
	s_add_i32 s13, s37, s13
	s_mul_i32 s6, s6, s36
	s_add_i32 s13, s13, s6
	s_mul_i32 s4, s4, s36
	s_mul_hi_u32 s37, s7, s4
	s_mul_i32 s46, s7, s4
	s_mul_i32 s48, s36, s13
	s_mul_hi_u32 s4, s36, s4
	s_mul_hi_u32 s47, s36, s13
	s_add_u32 s4, s4, s48
	s_addc_u32 s36, 0, s47
	s_add_u32 s4, s4, s46
	s_mul_hi_u32 s6, s7, s13
	s_addc_u32 s4, s36, s37
	s_addc_u32 s6, s6, 0
	s_mul_i32 s13, s7, s13
	s_add_u32 s4, s4, s13
	s_addc_u32 s6, 0, s6
	v_add_co_u32_e32 v2, vcc, s4, v2
	s_cmp_lg_u64 vcc, 0
	s_addc_u32 s4, s7, s6
	v_readfirstlane_b32 s13, v2
	s_mul_i32 s7, s12, s4
	s_mul_hi_u32 s36, s12, s13
	s_mul_hi_u32 s6, s12, s4
	s_add_u32 s7, s36, s7
	s_addc_u32 s6, 0, s6
	s_mul_hi_u32 s37, s5, s13
	s_mul_i32 s13, s5, s13
	s_add_u32 s7, s7, s13
	s_mul_hi_u32 s36, s5, s4
	s_addc_u32 s6, s6, s37
	s_addc_u32 s7, s36, 0
	s_mul_i32 s4, s5, s4
	s_add_u32 s4, s6, s4
	s_addc_u32 s6, 0, s7
	s_mul_hi_u32 s7, s87, s4
	s_mul_i32 s4, s87, s4
	s_mul_i32 s6, s87, s6
	v_mov_b32_e32 v2, s4
	s_add_i32 s7, s7, s6
	v_sub_co_u32_e32 v2, vcc, s12, v2
	s_cmp_lg_u64 vcc, 0
	s_subb_u32 s4, s5, s7
	v_subrev_co_u32_e32 v4, vcc, s87, v2
	s_cmp_lg_u64 vcc, 0
	s_subb_u32 s6, s4, 0
	v_subrev_co_u32_e32 v5, vcc, s87, v4
	s_cmp_lg_u64 vcc, 0
	s_subb_u32 s7, s6, 0
	v_cmp_le_u32_e32 vcc, s87, v4
	s_cmp_eq_u32 s6, 0
	v_cndmask_b32_e64 v8, 0, -1, vcc
	s_cselect_b64 vcc, -1, 0
	v_cndmask_b32_e32 v8, -1, v8, vcc
	v_mov_b32_e32 v9, s6
	v_mov_b32_e32 v10, s7
	v_cmp_ne_u32_e32 vcc, 0, v8
	v_cndmask_b32_e32 v8, v9, v10, vcc
	v_cndmask_b32_e32 v4, v4, v5, vcc
	v_cmp_le_u32_e32 vcc, s87, v2
	s_cmp_eq_u32 s4, 0
	v_cndmask_b32_e64 v5, 0, -1, vcc
	s_cselect_b64 vcc, -1, 0
	v_cndmask_b32_e32 v5, -1, v5, vcc
	v_mov_b32_e32 v9, s4
	v_cmp_ne_u32_e32 vcc, 0, v5
	v_cndmask_b32_e32 v5, v9, v8, vcc
	v_cndmask_b32_e32 v4, v2, v4, vcc
	s_cbranch_execnz .LBB183_140
.LBB183_139:                            ;   in Loop: Header=BB183_12 Depth=1
	v_cvt_f32_u32_e32 v2, s87
	s_sub_i32 s4, 0, s87
	v_rcp_iflag_f32_e32 v2, v2
	v_mul_f32_e32 v2, 0x4f7ffffe, v2
	v_cvt_u32_f32_e32 v2, v2
	v_mul_lo_u32 v4, s4, v2
	v_mul_hi_u32 v4, v2, v4
	v_add_u32_e32 v2, v2, v4
	v_mul_hi_u32 v2, s12, v2
	v_mul_lo_u32 v2, v2, s87
	v_sub_u32_e32 v2, s12, v2
	v_subrev_u32_e32 v4, s87, v2
	v_cmp_le_u32_e32 vcc, s87, v2
	v_cndmask_b32_e32 v2, v2, v4, vcc
	v_subrev_u32_e32 v4, s87, v2
	v_cmp_le_u32_e32 vcc, s87, v2
	v_cndmask_b32_e32 v20, v2, v4, vcc
	v_pk_mov_b32 v[4:5], v[20:21], v[20:21] op_sel:[0,1]
.LBB183_140:                            ;   in Loop: Header=BB183_12 Depth=1
	v_mov_b32_e32 v2, s5
	v_sub_co_u32_e32 v32, vcc, s12, v4
	v_subb_co_u32_e32 v33, vcc, v2, v5, vcc
	v_cmp_gt_u64_e32 vcc, v[32:33], v[0:1]
	s_mov_b64 s[6:7], 0
                                        ; implicit-def: $vgpr10_vgpr11
	s_and_saveexec_b64 s[4:5], vcc
	s_cbranch_execz .LBB183_152
; %bb.141:                              ;   in Loop: Header=BB183_12 Depth=1
	s_mov_b64 s[36:37], 0
	v_mov_b32_e32 v20, v39
	v_pk_mov_b32 v[34:35], v[0:1], v[0:1] op_sel:[0,1]
                                        ; implicit-def: $sgpr12_sgpr13
	s_branch .LBB183_143
.LBB183_142:                            ;   in Loop: Header=BB183_143 Depth=2
	s_or_b64 exec, exec, s[6:7]
	s_waitcnt lgkmcnt(0)
	s_barrier
	ds_read_b128 v[8:11], v21 offset:3072
	v_mov_b32_e32 v2, s88
	v_add_co_u32_e64 v34, s[6:7], s87, v34
	v_addc_co_u32_e64 v35, s[6:7], v35, v2, s[6:7]
	s_waitcnt lgkmcnt(0)
	v_cmp_neq_f64_e32 vcc, 0, v[8:9]
	v_cmp_ge_u64_e64 s[6:7], v[34:35], v[32:33]
	s_or_b64 s[6:7], s[6:7], vcc
	s_and_b64 s[6:7], exec, s[6:7]
	s_or_b64 s[36:37], s[6:7], s[36:37]
	s_andn2_b64 s[6:7], s[12:13], exec
	s_and_b64 s[12:13], vcc, exec
	v_add_u32_e32 v20, s95, v20
	s_or_b64 s[12:13], s[6:7], s[12:13]
	s_barrier
	s_andn2_b64 exec, exec, s[36:37]
	s_cbranch_execz .LBB183_151
.LBB183_143:                            ;   Parent Loop BB183_12 Depth=1
                                        ; =>  This Inner Loop Header: Depth=2
	v_cmp_gt_u64_e32 vcc, s[2:3], v[34:35]
	v_pk_mov_b32 v[4:5], 0, 0
	s_and_saveexec_b64 s[6:7], vcc
	s_cbranch_execz .LBB183_145
; %bb.144:                              ;   in Loop: Header=BB183_143 Depth=2
	ds_read_b64 v[4:5], v20
.LBB183_145:                            ;   in Loop: Header=BB183_143 Depth=2
	s_or_b64 exec, exec, s[6:7]
	s_and_saveexec_b64 s[6:7], vcc
	s_cbranch_execz .LBB183_142
; %bb.146:                              ;   in Loop: Header=BB183_143 Depth=2
	s_waitcnt lgkmcnt(0)
	v_ashrrev_i32_e32 v2, 31, v5
	v_or_b32_e32 v8, 0x80000000, v2
	v_xor_b32_e32 v8, v8, v5
	v_xor_b32_e32 v2, v2, v4
	v_cmp_o_f64_e32 vcc, v[4:5], v[4:5]
	v_cndmask_b32_e32 v8, -1, v8, vcc
	v_cndmask_b32_e32 v2, -1, v2, vcc
	v_and_b32_e32 v9, v8, v15
	v_and_b32_e32 v8, v2, v14
	v_cmp_eq_u64_e32 vcc, v[8:9], v[12:13]
	s_and_b64 exec, exec, vcc
	s_cbranch_execz .LBB183_142
; %bb.147:                              ;   in Loop: Header=BB183_143 Depth=2
	v_mov_b32_e32 v2, v21
	ds_write_b128 v21, v[2:5] offset:3072
	s_branch .LBB183_142
.LBB183_148:                            ;   in Loop: Header=BB183_12 Depth=1
                                        ; implicit-def: $vgpr4_vgpr5
	s_branch .LBB183_90
.LBB183_149:                            ;   in Loop: Header=BB183_12 Depth=1
                                        ; implicit-def: $vgpr4_vgpr5
	s_branch .LBB183_109
.LBB183_150:                            ;   in Loop: Header=BB183_12 Depth=1
	s_mov_b64 s[36:37], -1
	s_mov_b64 s[6:7], 0
                                        ; implicit-def: $sgpr46_sgpr47
                                        ; implicit-def: $vgpr10_vgpr11
	s_mov_b64 s[48:49], s[36:37]
	s_cbranch_execnz .LBB183_153
	s_branch .LBB183_166
.LBB183_151:                            ;   in Loop: Header=BB183_12 Depth=1
	s_or_b64 exec, exec, s[36:37]
	s_and_b64 s[6:7], s[12:13], exec
.LBB183_152:                            ;   in Loop: Header=BB183_12 Depth=1
	s_or_b64 exec, exec, s[4:5]
	s_mov_b64 s[46:47], -1
	s_mov_b64 s[36:37], 0
	s_mov_b64 s[48:49], s[36:37]
	s_branch .LBB183_166
.LBB183_153:                            ;   in Loop: Header=BB183_12 Depth=1
	s_mov_b32 s92, s85
	s_cmp_lg_u64 s[92:93], 0
	s_cbranch_scc0 .LBB183_195
; %bb.154:                              ;   in Loop: Header=BB183_12 Depth=1
	v_cvt_f32_u32_e32 v2, s87
	s_sub_u32 s2, 0, s87
	s_subb_u32 s3, 0, 0
	v_mac_f32_e32 v2, 0, v43
	v_rcp_f32_e32 v2, v2
	v_mul_f32_e32 v2, 0x5f7ffffc, v2
	v_mul_f32_e32 v4, 0x2f800000, v2
	v_trunc_f32_e32 v4, v4
	v_mac_f32_e32 v2, 0xcf800000, v4
	v_cvt_u32_f32_e32 v4, v4
	v_cvt_u32_f32_e32 v2, v2
	v_readfirstlane_b32 s4, v4
	v_readfirstlane_b32 s5, v2
	s_mul_i32 s6, s2, s4
	s_mul_hi_u32 s12, s2, s5
	s_mul_i32 s7, s3, s5
	s_add_i32 s6, s12, s6
	s_mul_i32 s13, s2, s5
	s_add_i32 s6, s6, s7
	s_mul_hi_u32 s12, s5, s13
	s_mul_hi_u32 s7, s5, s6
	s_mul_i32 s5, s5, s6
	s_add_u32 s5, s12, s5
	s_addc_u32 s7, 0, s7
	s_mul_hi_u32 s36, s4, s13
	s_mul_i32 s13, s4, s13
	s_add_u32 s5, s5, s13
	s_mul_hi_u32 s12, s4, s6
	s_addc_u32 s5, s7, s36
	s_addc_u32 s7, s12, 0
	s_mul_i32 s6, s4, s6
	s_add_u32 s5, s5, s6
	s_addc_u32 s6, 0, s7
	v_add_co_u32_e32 v2, vcc, s5, v2
	s_cmp_lg_u64 vcc, 0
	s_addc_u32 s4, s4, s6
	v_readfirstlane_b32 s6, v2
	s_mul_i32 s5, s2, s4
	s_mul_hi_u32 s7, s2, s6
	s_add_i32 s5, s7, s5
	s_mul_i32 s3, s3, s6
	s_add_i32 s5, s5, s3
	s_mul_i32 s2, s2, s6
	s_mul_hi_u32 s7, s4, s2
	s_mul_i32 s12, s4, s2
	s_mul_i32 s36, s6, s5
	s_mul_hi_u32 s2, s6, s2
	s_mul_hi_u32 s13, s6, s5
	s_add_u32 s2, s2, s36
	s_addc_u32 s6, 0, s13
	s_add_u32 s2, s2, s12
	s_mul_hi_u32 s3, s4, s5
	s_addc_u32 s2, s6, s7
	s_addc_u32 s3, s3, 0
	s_mul_i32 s5, s4, s5
	s_add_u32 s2, s2, s5
	s_addc_u32 s3, 0, s3
	v_add_co_u32_e32 v2, vcc, s2, v2
	s_cmp_lg_u64 vcc, 0
	s_addc_u32 s2, s4, s3
	v_readlane_b32 s12, v54, 35
	v_readfirstlane_b32 s5, v2
	s_mul_i32 s4, s12, s2
	s_mul_hi_u32 s6, s12, s5
	s_mul_hi_u32 s3, s12, s2
	s_add_u32 s4, s6, s4
	s_addc_u32 s3, 0, s3
	s_mul_hi_u32 s7, s93, s5
	s_mul_i32 s5, s93, s5
	s_add_u32 s4, s4, s5
	s_mul_hi_u32 s6, s93, s2
	s_addc_u32 s3, s3, s7
	s_addc_u32 s4, s6, 0
	s_mul_i32 s2, s93, s2
	s_add_u32 s2, s3, s2
	s_addc_u32 s3, 0, s4
	s_mul_hi_u32 s4, s87, s2
	s_mul_i32 s2, s87, s2
	s_mul_i32 s3, s87, s3
	v_mov_b32_e32 v2, s2
	s_add_i32 s4, s4, s3
	v_sub_co_u32_e32 v2, vcc, s12, v2
	s_cmp_lg_u64 vcc, 0
	s_subb_u32 s2, s93, s4
	v_subrev_co_u32_e32 v4, vcc, s87, v2
	s_cmp_lg_u64 vcc, 0
	s_subb_u32 s3, s2, 0
	v_subrev_co_u32_e32 v5, vcc, s87, v4
	s_cmp_lg_u64 vcc, 0
	s_subb_u32 s4, s3, 0
	v_cmp_le_u32_e32 vcc, s87, v4
	s_cmp_eq_u32 s3, 0
	v_cndmask_b32_e64 v8, 0, -1, vcc
	s_cselect_b64 vcc, -1, 0
	v_cndmask_b32_e32 v8, -1, v8, vcc
	v_mov_b32_e32 v9, s3
	v_mov_b32_e32 v10, s4
	v_cmp_ne_u32_e32 vcc, 0, v8
	v_cndmask_b32_e32 v8, v9, v10, vcc
	v_cndmask_b32_e32 v4, v4, v5, vcc
	v_cmp_le_u32_e32 vcc, s87, v2
	s_cmp_eq_u32 s2, 0
	v_cndmask_b32_e64 v5, 0, -1, vcc
	s_cselect_b64 vcc, -1, 0
	v_cndmask_b32_e32 v5, -1, v5, vcc
	v_mov_b32_e32 v9, s2
	v_cmp_ne_u32_e32 vcc, 0, v5
	v_cndmask_b32_e32 v5, v9, v8, vcc
	v_cndmask_b32_e32 v4, v2, v4, vcc
	s_cbranch_execnz .LBB183_156
.LBB183_155:                            ;   in Loop: Header=BB183_12 Depth=1
	v_cvt_f32_u32_e32 v2, s87
	s_sub_i32 s2, 0, s87
	v_rcp_iflag_f32_e32 v2, v2
	v_mul_f32_e32 v2, 0x4f7ffffe, v2
	v_cvt_u32_f32_e32 v2, v2
	v_mul_lo_u32 v4, s2, v2
	v_mul_hi_u32 v4, v2, v4
	v_add_u32_e32 v2, v2, v4
	v_readlane_b32 s2, v54, 35
	v_mul_hi_u32 v2, s2, v2
	v_mul_lo_u32 v2, v2, s87
	v_sub_u32_e32 v2, s2, v2
	v_subrev_u32_e32 v4, s87, v2
	v_cmp_le_u32_e32 vcc, s87, v2
	v_cndmask_b32_e32 v2, v2, v4, vcc
	v_subrev_u32_e32 v4, s87, v2
	v_cmp_le_u32_e32 vcc, s87, v2
	v_cndmask_b32_e32 v20, v2, v4, vcc
	v_pk_mov_b32 v[4:5], v[20:21], v[20:21] op_sel:[0,1]
.LBB183_156:                            ;   in Loop: Header=BB183_12 Depth=1
	v_readlane_b32 s2, v54, 35
	v_mov_b32_e32 v2, s93
	v_sub_co_u32_e32 v32, vcc, s2, v4
	v_subb_co_u32_e32 v33, vcc, v2, v5, vcc
	v_cmp_gt_u64_e32 vcc, v[32:33], v[0:1]
	s_mov_b64 s[6:7], 0
                                        ; implicit-def: $vgpr10_vgpr11
	s_and_saveexec_b64 s[2:3], vcc
	s_cbranch_execz .LBB183_165
; %bb.157:                              ;   in Loop: Header=BB183_12 Depth=1
	s_mov_b64 s[12:13], 0
	v_pk_mov_b32 v[34:35], v[0:1], v[0:1] op_sel:[0,1]
                                        ; implicit-def: $sgpr4_sgpr5
	s_branch .LBB183_159
.LBB183_158:                            ;   in Loop: Header=BB183_159 Depth=2
	s_or_b64 exec, exec, s[6:7]
	s_waitcnt lgkmcnt(0)
	s_barrier
	ds_read_b128 v[8:11], v21 offset:3072
	v_mov_b32_e32 v2, s88
	v_add_co_u32_e64 v34, s[6:7], s87, v34
	v_addc_co_u32_e64 v35, s[6:7], v35, v2, s[6:7]
	s_waitcnt lgkmcnt(0)
	v_cmp_neq_f64_e32 vcc, 0, v[8:9]
	v_cmp_ge_u64_e64 s[6:7], v[34:35], v[32:33]
	s_or_b64 s[6:7], s[6:7], vcc
	s_and_b64 s[6:7], exec, s[6:7]
	s_or_b64 s[12:13], s[6:7], s[12:13]
	s_andn2_b64 s[4:5], s[4:5], exec
	s_and_b64 s[6:7], vcc, exec
	s_or_b64 s[4:5], s[4:5], s[6:7]
	s_barrier
	s_andn2_b64 exec, exec, s[12:13]
	s_cbranch_execz .LBB183_164
.LBB183_159:                            ;   Parent Loop BB183_12 Depth=1
                                        ; =>  This Inner Loop Header: Depth=2
	v_cmp_gt_u64_e32 vcc, s[60:61], v[34:35]
	s_waitcnt vmcnt(0)
	v_pk_mov_b32 v[4:5], 0, 0
	s_and_saveexec_b64 s[36:37], vcc
	s_cbranch_execz .LBB183_161
; %bb.160:                              ;   in Loop: Header=BB183_159 Depth=2
	v_mul_lo_u32 v2, v35, s58
	v_mul_lo_u32 v8, v34, s59
	v_mad_u64_u32 v[4:5], s[6:7], v34, s58, 0
	v_add3_u32 v5, v5, v8, v2
	v_lshlrev_b64 v[4:5], 3, v[4:5]
	v_mov_b32_e32 v2, s86
	v_add_co_u32_e64 v4, s[6:7], s33, v4
	v_addc_co_u32_e64 v5, s[6:7], v2, v5, s[6:7]
	global_load_dwordx2 v[4:5], v[4:5], off
.LBB183_161:                            ;   in Loop: Header=BB183_159 Depth=2
	s_or_b64 exec, exec, s[36:37]
	s_and_saveexec_b64 s[6:7], vcc
	s_cbranch_execz .LBB183_158
; %bb.162:                              ;   in Loop: Header=BB183_159 Depth=2
	s_waitcnt vmcnt(0)
	v_ashrrev_i32_e32 v2, 31, v5
	v_or_b32_e32 v8, 0x80000000, v2
	v_xor_b32_e32 v8, v8, v5
	v_xor_b32_e32 v2, v2, v4
	v_cmp_o_f64_e32 vcc, v[4:5], v[4:5]
	v_cndmask_b32_e32 v8, -1, v8, vcc
	v_cndmask_b32_e32 v2, -1, v2, vcc
	v_and_b32_e32 v9, v8, v15
	v_and_b32_e32 v8, v2, v14
	v_cmp_eq_u64_e32 vcc, v[8:9], v[12:13]
	s_and_b64 exec, exec, vcc
	s_cbranch_execz .LBB183_158
; %bb.163:                              ;   in Loop: Header=BB183_159 Depth=2
	v_mov_b32_e32 v2, v21
	ds_write_b128 v21, v[2:5] offset:3072
	s_branch .LBB183_158
.LBB183_164:                            ;   in Loop: Header=BB183_12 Depth=1
	s_or_b64 exec, exec, s[12:13]
	s_and_b64 s[6:7], s[4:5], exec
.LBB183_165:                            ;   in Loop: Header=BB183_12 Depth=1
	s_or_b64 exec, exec, s[2:3]
	s_mov_b64 s[48:49], -1
	s_mov_b64 s[36:37], 0
	s_mov_b64 s[46:47], 0
.LBB183_166:                            ;   in Loop: Header=BB183_12 Depth=1
	s_orn2_b64 s[2:3], s[6:7], exec
.LBB183_167:                            ;   in Loop: Header=BB183_12 Depth=1
	s_or_b64 exec, exec, s[10:11]
	s_mov_b64 s[6:7], 0
                                        ; implicit-def: $vgpr2
	s_and_saveexec_b64 s[50:51], s[2:3]
	s_cbranch_execz .LBB183_281
; %bb.168:                              ;   in Loop: Header=BB183_12 Depth=1
	v_mov_b32_e32 v32, 1
	s_xor_b64 s[4:5], s[8:9], -1
	s_mov_b64 s[10:11], 0
	v_mov_b32_e32 v33, 0
	v_mov_b32_e32 v2, 1
	s_and_saveexec_b64 s[2:3], s[4:5]
	s_cbranch_execz .LBB183_178
; %bb.169:                              ;   in Loop: Header=BB183_12 Depth=1
	v_cmp_ge_u64_e32 vcc, s[22:23], v[30:31]
                                        ; implicit-def: $sgpr8
                                        ; implicit-def: $sgpr4_sgpr5
	s_and_saveexec_b64 s[6:7], vcc
	s_xor_b64 s[6:7], exec, s[6:7]
	s_cbranch_execz .LBB183_175
; %bb.170:                              ;   in Loop: Header=BB183_12 Depth=1
	s_waitcnt vmcnt(0)
	ds_read_b64 v[4:5], v21 offset:5120
	s_waitcnt lgkmcnt(0)
	v_cmp_ne_u64_e32 vcc, 0, v[4:5]
	s_cbranch_vccnz .LBB183_174
; %bb.171:                              ;   in Loop: Header=BB183_12 Depth=1
	s_mov_b64 s[4:5], exec
	v_readlane_b32 s8, v54, 12
	v_readlane_b32 s9, v54, 13
	s_and_b64 s[8:9], s[4:5], s[8:9]
	s_mov_b64 exec, s[8:9]
	s_cbranch_execz .LBB183_173
; %bb.172:                              ;   in Loop: Header=BB183_12 Depth=1
	v_pk_mov_b32 v[4:5], s[22:23], s[22:23] op_sel:[0,1]
	ds_write_b64 v21, v[4:5] offset:5128
.LBB183_173:                            ;   in Loop: Header=BB183_12 Depth=1
	s_or_b64 exec, exec, s[4:5]
	s_waitcnt lgkmcnt(0)
	s_barrier
.LBB183_174:                            ;   in Loop: Header=BB183_12 Depth=1
	s_lshl_b64 s[4:5], 1, s84
	v_and_b32_e32 v2, s21, v13
	v_and_b32_e32 v4, s20, v12
	v_or_b32_e32 v13, s5, v2
	v_or_b32_e32 v12, s4, v4
	;; [unrolled: 1-line block ×4, first 2 shown]
	s_mov_b64 s[4:5], 0
	s_mov_b32 s8, 8
.LBB183_175:                            ;   in Loop: Header=BB183_12 Depth=1
	s_or_saveexec_b64 s[6:7], s[6:7]
	v_mov_b32_e32 v2, s8
	s_xor_b64 exec, exec, s[6:7]
; %bb.176:                              ;   in Loop: Header=BB183_12 Depth=1
	v_mov_b32_e32 v2, s23
	v_subrev_co_u32_e32 v30, vcc, s22, v30
	v_subb_co_u32_e32 v31, vcc, v31, v2, vcc
	v_mov_b32_e32 v2, 0
	s_or_b64 s[4:5], s[4:5], exec
; %bb.177:                              ;   in Loop: Header=BB183_12 Depth=1
	s_or_b64 exec, exec, s[6:7]
	s_and_b64 s[10:11], s[4:5], exec
	v_pk_mov_b32 v[32:33], v[30:31], v[30:31] op_sel:[0,1]
.LBB183_178:                            ;   in Loop: Header=BB183_12 Depth=1
	s_or_b64 exec, exec, s[2:3]
	s_mov_b64 s[2:3], -1
                                        ; implicit-def: $sgpr4_sgpr5
                                        ; implicit-def: $sgpr6_sgpr7
                                        ; implicit-def: $sgpr8_sgpr9
	s_and_saveexec_b64 s[52:53], s[10:11]
	s_cbranch_execz .LBB183_280
; %bb.179:                              ;   in Loop: Header=BB183_12 Depth=1
	s_cmp_eq_u64 s[26:27], 1
	s_cselect_b64 s[2:3], -1, 0
	v_cmp_eq_u64_e32 vcc, 1, v[32:33]
	s_and_b64 s[90:91], s[2:3], vcc
	s_mov_b64 s[4:5], -1
                                        ; implicit-def: $sgpr8_sgpr9
                                        ; implicit-def: $sgpr2_sgpr3
                                        ; kill: killed $sgpr2_sgpr3
                                        ; implicit-def: $vcc
	s_and_saveexec_b64 s[56:57], s[90:91]
	s_cbranch_execz .LBB183_214
; %bb.180:                              ;   in Loop: Header=BB183_12 Depth=1
	s_waitcnt vmcnt(0)
	ds_read_b64 v[4:5], v21 offset:5120
	s_waitcnt lgkmcnt(0)
	s_barrier
	v_readfirstlane_b32 s2, v4
	v_readfirstlane_b32 s3, v5
	s_mov_b64 s[4:5], exec
	v_readlane_b32 s6, v54, 30
	v_readlane_b32 s7, v54, 31
	s_and_b64 s[6:7], s[4:5], s[6:7]
	s_mov_b64 exec, s[6:7]
	s_cbranch_execz .LBB183_182
; %bb.181:                              ;   in Loop: Header=BB183_12 Depth=1
	v_mov_b32_e32 v20, v21
	ds_write_b64 v40, v[20:21]
.LBB183_182:                            ;   in Loop: Header=BB183_12 Depth=1
	s_or_b64 exec, exec, s[4:5]
	s_lshl_b64 s[4:5], 2, s84
	v_and_b32_e32 v2, s21, v13
	v_and_b32_e32 v4, s20, v12
	v_or_b32_e32 v13, s5, v2
	v_or_b32_e32 v12, s4, v4
	;; [unrolled: 1-line block ×4, first 2 shown]
	s_cmp_eq_u64 s[2:3], 0
	s_waitcnt lgkmcnt(0)
	s_barrier
	s_cbranch_scc1 .LBB183_196
; %bb.183:                              ;   in Loop: Header=BB183_12 Depth=1
	v_readlane_b32 s4, v54, 34
	s_add_u32 s8, s4, s2
	v_readlane_b32 s4, v54, 36
	s_addc_u32 s5, s4, s3
	s_mov_b32 s4, s85
	s_cmp_lg_u64 s[4:5], 0
	s_cbranch_scc0 .LBB183_232
; %bb.184:                              ;   in Loop: Header=BB183_12 Depth=1
	v_cvt_f32_u32_e32 v2, s87
	s_sub_u32 s4, 0, s87
	s_subb_u32 s6, 0, 0
	v_mac_f32_e32 v2, 0, v43
	v_rcp_f32_e32 v2, v2
	v_mul_f32_e32 v2, 0x5f7ffffc, v2
	v_mul_f32_e32 v4, 0x2f800000, v2
	v_trunc_f32_e32 v4, v4
	v_mac_f32_e32 v2, 0xcf800000, v4
	v_cvt_u32_f32_e32 v4, v4
	v_cvt_u32_f32_e32 v2, v2
	v_readfirstlane_b32 s7, v4
	v_readfirstlane_b32 s9, v2
	s_mul_i32 s10, s4, s7
	s_mul_hi_u32 s12, s4, s9
	s_mul_i32 s11, s6, s9
	s_add_i32 s10, s12, s10
	s_mul_i32 s13, s4, s9
	s_add_i32 s10, s10, s11
	s_mul_hi_u32 s12, s9, s13
	s_mul_hi_u32 s11, s9, s10
	s_mul_i32 s9, s9, s10
	s_add_u32 s9, s12, s9
	s_addc_u32 s11, 0, s11
	s_mul_hi_u32 s54, s7, s13
	s_mul_i32 s13, s7, s13
	s_add_u32 s9, s9, s13
	s_mul_hi_u32 s12, s7, s10
	s_addc_u32 s9, s11, s54
	s_addc_u32 s11, s12, 0
	s_mul_i32 s10, s7, s10
	s_add_u32 s9, s9, s10
	s_addc_u32 s10, 0, s11
	v_add_co_u32_e32 v2, vcc, s9, v2
	s_cmp_lg_u64 vcc, 0
	s_addc_u32 s7, s7, s10
	v_readfirstlane_b32 s10, v2
	s_mul_i32 s9, s4, s7
	s_mul_hi_u32 s11, s4, s10
	s_add_i32 s9, s11, s9
	s_mul_i32 s6, s6, s10
	s_add_i32 s9, s9, s6
	s_mul_i32 s4, s4, s10
	s_mul_hi_u32 s11, s7, s4
	s_mul_i32 s12, s7, s4
	s_mul_i32 s54, s10, s9
	s_mul_hi_u32 s4, s10, s4
	s_mul_hi_u32 s13, s10, s9
	s_add_u32 s4, s4, s54
	s_addc_u32 s10, 0, s13
	s_add_u32 s4, s4, s12
	s_mul_hi_u32 s6, s7, s9
	s_addc_u32 s4, s10, s11
	s_addc_u32 s6, s6, 0
	s_mul_i32 s9, s7, s9
	s_add_u32 s4, s4, s9
	s_addc_u32 s6, 0, s6
	v_add_co_u32_e32 v2, vcc, s4, v2
	s_cmp_lg_u64 vcc, 0
	s_addc_u32 s4, s7, s6
	v_readfirstlane_b32 s9, v2
	s_mul_i32 s7, s8, s4
	s_mul_hi_u32 s10, s8, s9
	s_mul_hi_u32 s6, s8, s4
	s_add_u32 s7, s10, s7
	s_addc_u32 s6, 0, s6
	s_mul_hi_u32 s11, s5, s9
	s_mul_i32 s9, s5, s9
	s_add_u32 s7, s7, s9
	s_mul_hi_u32 s10, s5, s4
	s_addc_u32 s6, s6, s11
	s_addc_u32 s7, s10, 0
	s_mul_i32 s4, s5, s4
	s_add_u32 s4, s6, s4
	s_addc_u32 s6, 0, s7
	s_mul_hi_u32 s7, s87, s4
	s_mul_i32 s4, s87, s4
	s_mul_i32 s6, s87, s6
	v_mov_b32_e32 v2, s4
	s_add_i32 s7, s7, s6
	v_sub_co_u32_e32 v2, vcc, s8, v2
	s_cmp_lg_u64 vcc, 0
	s_subb_u32 s4, s5, s7
	v_subrev_co_u32_e32 v4, vcc, s87, v2
	s_cmp_lg_u64 vcc, 0
	s_subb_u32 s6, s4, 0
	v_subrev_co_u32_e32 v5, vcc, s87, v4
	s_cmp_lg_u64 vcc, 0
	s_subb_u32 s7, s6, 0
	v_cmp_le_u32_e32 vcc, s87, v4
	s_cmp_eq_u32 s6, 0
	v_cndmask_b32_e64 v8, 0, -1, vcc
	s_cselect_b64 vcc, -1, 0
	v_cndmask_b32_e32 v8, -1, v8, vcc
	v_mov_b32_e32 v9, s6
	v_mov_b32_e32 v10, s7
	v_cmp_ne_u32_e32 vcc, 0, v8
	v_cndmask_b32_e32 v8, v9, v10, vcc
	v_cndmask_b32_e32 v4, v4, v5, vcc
	v_cmp_le_u32_e32 vcc, s87, v2
	s_cmp_eq_u32 s4, 0
	v_cndmask_b32_e64 v5, 0, -1, vcc
	s_cselect_b64 vcc, -1, 0
	v_cndmask_b32_e32 v5, -1, v5, vcc
	v_mov_b32_e32 v9, s4
	v_cmp_ne_u32_e32 vcc, 0, v5
	v_cndmask_b32_e32 v5, v9, v8, vcc
	v_cndmask_b32_e32 v4, v2, v4, vcc
	s_cbranch_execnz .LBB183_186
.LBB183_185:                            ;   in Loop: Header=BB183_12 Depth=1
	v_cvt_f32_u32_e32 v2, s87
	s_sub_i32 s4, 0, s87
	v_rcp_iflag_f32_e32 v2, v2
	v_mul_f32_e32 v2, 0x4f7ffffe, v2
	v_cvt_u32_f32_e32 v2, v2
	v_mul_lo_u32 v4, s4, v2
	v_mul_hi_u32 v4, v2, v4
	v_add_u32_e32 v2, v2, v4
	v_mul_hi_u32 v2, s8, v2
	v_mul_lo_u32 v2, v2, s87
	v_sub_u32_e32 v2, s8, v2
	v_subrev_u32_e32 v4, s87, v2
	v_cmp_le_u32_e32 vcc, s87, v2
	v_cndmask_b32_e32 v2, v2, v4, vcc
	v_subrev_u32_e32 v4, s87, v2
	v_cmp_le_u32_e32 vcc, s87, v2
	v_cndmask_b32_e32 v20, v2, v4, vcc
	v_pk_mov_b32 v[4:5], v[20:21], v[20:21] op_sel:[0,1]
.LBB183_186:                            ;   in Loop: Header=BB183_12 Depth=1
	v_mov_b32_e32 v2, s5
	v_sub_co_u32_e32 v30, vcc, s8, v4
	v_subb_co_u32_e32 v31, vcc, v2, v5, vcc
	v_cmp_gt_u64_e32 vcc, v[30:31], v[0:1]
	s_mov_b64 s[6:7], 0
                                        ; implicit-def: $vgpr10_vgpr11
	s_and_saveexec_b64 s[4:5], vcc
	s_cbranch_execz .LBB183_198
; %bb.187:                              ;   in Loop: Header=BB183_12 Depth=1
	s_mov_b64 s[10:11], 0
	v_mov_b32_e32 v20, v39
	v_pk_mov_b32 v[34:35], v[0:1], v[0:1] op_sel:[0,1]
                                        ; implicit-def: $sgpr8_sgpr9
	s_branch .LBB183_189
.LBB183_188:                            ;   in Loop: Header=BB183_189 Depth=2
	s_or_b64 exec, exec, s[6:7]
	s_waitcnt lgkmcnt(0)
	s_barrier
	ds_read_b128 v[8:11], v21 offset:3072
	v_mov_b32_e32 v2, s88
	v_add_co_u32_e64 v34, s[6:7], s87, v34
	v_addc_co_u32_e64 v35, s[6:7], v35, v2, s[6:7]
	s_waitcnt lgkmcnt(0)
	v_cmp_neq_f64_e32 vcc, 0, v[8:9]
	v_cmp_ge_u64_e64 s[6:7], v[34:35], v[30:31]
	s_or_b64 s[6:7], s[6:7], vcc
	s_and_b64 s[6:7], exec, s[6:7]
	s_or_b64 s[10:11], s[6:7], s[10:11]
	s_andn2_b64 s[6:7], s[8:9], exec
	s_and_b64 s[8:9], vcc, exec
	v_add_u32_e32 v20, s95, v20
	s_or_b64 s[8:9], s[6:7], s[8:9]
	s_barrier
	s_andn2_b64 exec, exec, s[10:11]
	s_cbranch_execz .LBB183_197
.LBB183_189:                            ;   Parent Loop BB183_12 Depth=1
                                        ; =>  This Inner Loop Header: Depth=2
	v_cmp_gt_u64_e32 vcc, s[2:3], v[34:35]
	v_pk_mov_b32 v[4:5], 0, 0
	s_and_saveexec_b64 s[6:7], vcc
	s_cbranch_execz .LBB183_191
; %bb.190:                              ;   in Loop: Header=BB183_189 Depth=2
	ds_read_b64 v[4:5], v20
.LBB183_191:                            ;   in Loop: Header=BB183_189 Depth=2
	s_or_b64 exec, exec, s[6:7]
	s_and_saveexec_b64 s[6:7], vcc
	s_cbranch_execz .LBB183_188
; %bb.192:                              ;   in Loop: Header=BB183_189 Depth=2
	s_waitcnt lgkmcnt(0)
	v_ashrrev_i32_e32 v2, 31, v5
	v_or_b32_e32 v8, 0x80000000, v2
	v_xor_b32_e32 v8, v8, v5
	v_xor_b32_e32 v2, v2, v4
	v_cmp_o_f64_e32 vcc, v[4:5], v[4:5]
	v_cndmask_b32_e32 v8, -1, v8, vcc
	v_cndmask_b32_e32 v2, -1, v2, vcc
	v_and_b32_e32 v9, v8, v15
	v_and_b32_e32 v8, v2, v14
	v_cmp_eq_u64_e32 vcc, v[8:9], v[12:13]
	s_and_b64 exec, exec, vcc
	s_cbranch_execz .LBB183_188
; %bb.193:                              ;   in Loop: Header=BB183_189 Depth=2
	v_mov_b32_e32 v2, v21
	ds_write_b128 v21, v[2:5] offset:3072
	s_branch .LBB183_188
.LBB183_194:                            ;   in Loop: Header=BB183_12 Depth=1
                                        ; implicit-def: $vgpr4_vgpr5
	s_branch .LBB183_139
.LBB183_195:                            ;   in Loop: Header=BB183_12 Depth=1
                                        ; implicit-def: $vgpr4_vgpr5
	s_branch .LBB183_155
.LBB183_196:                            ;   in Loop: Header=BB183_12 Depth=1
	s_mov_b64 s[8:9], -1
	s_mov_b64 s[6:7], 0
                                        ; implicit-def: $sgpr2_sgpr3
                                        ; implicit-def: $vgpr10_vgpr11
	s_branch .LBB183_199
.LBB183_197:                            ;   in Loop: Header=BB183_12 Depth=1
	s_or_b64 exec, exec, s[10:11]
	s_and_b64 s[6:7], s[8:9], exec
.LBB183_198:                            ;   in Loop: Header=BB183_12 Depth=1
	s_or_b64 exec, exec, s[4:5]
	s_mov_b64 s[2:3], -1
	s_mov_b64 s[8:9], 0
.LBB183_199:                            ;   in Loop: Header=BB183_12 Depth=1
	s_and_b64 vcc, exec, s[8:9]
	v_writelane_b32 v54, s8, 53
	v_writelane_b32 v54, s9, 54
	s_cbranch_vccz .LBB183_213
; %bb.200:                              ;   in Loop: Header=BB183_12 Depth=1
	s_mov_b32 s92, s85
	s_cmp_lg_u64 s[92:93], 0
	s_cbranch_scc0 .LBB183_233
; %bb.201:                              ;   in Loop: Header=BB183_12 Depth=1
	v_cvt_f32_u32_e32 v2, s87
	s_sub_u32 s2, 0, s87
	s_subb_u32 s3, 0, 0
	v_mac_f32_e32 v2, 0, v43
	v_rcp_f32_e32 v2, v2
	v_mul_f32_e32 v2, 0x5f7ffffc, v2
	v_mul_f32_e32 v4, 0x2f800000, v2
	v_trunc_f32_e32 v4, v4
	v_mac_f32_e32 v2, 0xcf800000, v4
	v_cvt_u32_f32_e32 v4, v4
	v_cvt_u32_f32_e32 v2, v2
	v_readfirstlane_b32 s4, v4
	v_readfirstlane_b32 s5, v2
	s_mul_i32 s6, s2, s4
	s_mul_hi_u32 s8, s2, s5
	s_mul_i32 s7, s3, s5
	s_add_i32 s6, s8, s6
	s_mul_i32 s9, s2, s5
	s_add_i32 s6, s6, s7
	s_mul_hi_u32 s8, s5, s9
	s_mul_hi_u32 s7, s5, s6
	s_mul_i32 s5, s5, s6
	s_add_u32 s5, s8, s5
	s_addc_u32 s7, 0, s7
	s_mul_hi_u32 s10, s4, s9
	s_mul_i32 s9, s4, s9
	s_add_u32 s5, s5, s9
	s_mul_hi_u32 s8, s4, s6
	s_addc_u32 s5, s7, s10
	s_addc_u32 s7, s8, 0
	s_mul_i32 s6, s4, s6
	s_add_u32 s5, s5, s6
	s_addc_u32 s6, 0, s7
	v_add_co_u32_e32 v2, vcc, s5, v2
	s_cmp_lg_u64 vcc, 0
	s_addc_u32 s4, s4, s6
	v_readfirstlane_b32 s6, v2
	s_mul_i32 s5, s2, s4
	s_mul_hi_u32 s7, s2, s6
	s_add_i32 s5, s7, s5
	s_mul_i32 s3, s3, s6
	s_add_i32 s5, s5, s3
	s_mul_i32 s2, s2, s6
	s_mul_hi_u32 s7, s4, s2
	s_mul_i32 s8, s4, s2
	s_mul_i32 s10, s6, s5
	s_mul_hi_u32 s2, s6, s2
	s_mul_hi_u32 s9, s6, s5
	s_add_u32 s2, s2, s10
	s_addc_u32 s6, 0, s9
	s_add_u32 s2, s2, s8
	s_mul_hi_u32 s3, s4, s5
	s_addc_u32 s2, s6, s7
	s_addc_u32 s3, s3, 0
	s_mul_i32 s5, s4, s5
	s_add_u32 s2, s2, s5
	s_addc_u32 s3, 0, s3
	v_add_co_u32_e32 v2, vcc, s2, v2
	s_cmp_lg_u64 vcc, 0
	s_addc_u32 s2, s4, s3
	v_readlane_b32 s8, v54, 35
	v_readfirstlane_b32 s5, v2
	s_mul_i32 s4, s8, s2
	s_mul_hi_u32 s6, s8, s5
	s_mul_hi_u32 s3, s8, s2
	s_add_u32 s4, s6, s4
	s_addc_u32 s3, 0, s3
	s_mul_hi_u32 s7, s93, s5
	s_mul_i32 s5, s93, s5
	s_add_u32 s4, s4, s5
	s_mul_hi_u32 s6, s93, s2
	s_addc_u32 s3, s3, s7
	s_addc_u32 s4, s6, 0
	s_mul_i32 s2, s93, s2
	s_add_u32 s2, s3, s2
	s_addc_u32 s3, 0, s4
	s_mul_hi_u32 s4, s87, s2
	s_mul_i32 s2, s87, s2
	s_mul_i32 s3, s87, s3
	v_mov_b32_e32 v2, s2
	s_add_i32 s4, s4, s3
	v_sub_co_u32_e32 v2, vcc, s8, v2
	s_cmp_lg_u64 vcc, 0
	s_subb_u32 s2, s93, s4
	v_subrev_co_u32_e32 v4, vcc, s87, v2
	s_cmp_lg_u64 vcc, 0
	s_subb_u32 s3, s2, 0
	v_subrev_co_u32_e32 v5, vcc, s87, v4
	s_cmp_lg_u64 vcc, 0
	s_subb_u32 s4, s3, 0
	v_cmp_le_u32_e32 vcc, s87, v4
	s_cmp_eq_u32 s3, 0
	v_cndmask_b32_e64 v8, 0, -1, vcc
	s_cselect_b64 vcc, -1, 0
	v_cndmask_b32_e32 v8, -1, v8, vcc
	v_mov_b32_e32 v9, s3
	v_mov_b32_e32 v10, s4
	v_cmp_ne_u32_e32 vcc, 0, v8
	v_cndmask_b32_e32 v8, v9, v10, vcc
	v_cndmask_b32_e32 v4, v4, v5, vcc
	v_cmp_le_u32_e32 vcc, s87, v2
	s_cmp_eq_u32 s2, 0
	v_cndmask_b32_e64 v5, 0, -1, vcc
	s_cselect_b64 vcc, -1, 0
	v_cndmask_b32_e32 v5, -1, v5, vcc
	v_mov_b32_e32 v9, s2
	v_cmp_ne_u32_e32 vcc, 0, v5
	v_cndmask_b32_e32 v5, v9, v8, vcc
	v_cndmask_b32_e32 v4, v2, v4, vcc
	s_cbranch_execnz .LBB183_203
.LBB183_202:                            ;   in Loop: Header=BB183_12 Depth=1
	v_cvt_f32_u32_e32 v2, s87
	s_sub_i32 s2, 0, s87
	v_rcp_iflag_f32_e32 v2, v2
	v_mul_f32_e32 v2, 0x4f7ffffe, v2
	v_cvt_u32_f32_e32 v2, v2
	v_mul_lo_u32 v4, s2, v2
	v_mul_hi_u32 v4, v2, v4
	v_add_u32_e32 v2, v2, v4
	v_readlane_b32 s2, v54, 35
	v_mul_hi_u32 v2, s2, v2
	v_mul_lo_u32 v2, v2, s87
	v_sub_u32_e32 v2, s2, v2
	v_subrev_u32_e32 v4, s87, v2
	v_cmp_le_u32_e32 vcc, s87, v2
	v_cndmask_b32_e32 v2, v2, v4, vcc
	v_subrev_u32_e32 v4, s87, v2
	v_cmp_le_u32_e32 vcc, s87, v2
	v_cndmask_b32_e32 v20, v2, v4, vcc
	v_pk_mov_b32 v[4:5], v[20:21], v[20:21] op_sel:[0,1]
.LBB183_203:                            ;   in Loop: Header=BB183_12 Depth=1
	v_readlane_b32 s2, v54, 35
	v_mov_b32_e32 v2, s93
	v_sub_co_u32_e32 v30, vcc, s2, v4
	v_subb_co_u32_e32 v31, vcc, v2, v5, vcc
	v_cmp_gt_u64_e32 vcc, v[30:31], v[0:1]
	s_mov_b64 s[6:7], 0
                                        ; implicit-def: $vgpr10_vgpr11
	s_and_saveexec_b64 s[2:3], vcc
	s_cbranch_execz .LBB183_212
; %bb.204:                              ;   in Loop: Header=BB183_12 Depth=1
	s_mov_b64 s[8:9], 0
	v_pk_mov_b32 v[34:35], v[0:1], v[0:1] op_sel:[0,1]
                                        ; implicit-def: $sgpr4_sgpr5
	s_branch .LBB183_206
.LBB183_205:                            ;   in Loop: Header=BB183_206 Depth=2
	s_or_b64 exec, exec, s[6:7]
	s_waitcnt lgkmcnt(0)
	s_barrier
	ds_read_b128 v[8:11], v21 offset:3072
	v_mov_b32_e32 v2, s88
	v_add_co_u32_e64 v34, s[6:7], s87, v34
	v_addc_co_u32_e64 v35, s[6:7], v35, v2, s[6:7]
	s_waitcnt lgkmcnt(0)
	v_cmp_neq_f64_e32 vcc, 0, v[8:9]
	v_cmp_ge_u64_e64 s[6:7], v[34:35], v[30:31]
	s_or_b64 s[6:7], s[6:7], vcc
	s_and_b64 s[6:7], exec, s[6:7]
	s_or_b64 s[8:9], s[6:7], s[8:9]
	s_andn2_b64 s[4:5], s[4:5], exec
	s_and_b64 s[6:7], vcc, exec
	s_or_b64 s[4:5], s[4:5], s[6:7]
	s_barrier
	s_andn2_b64 exec, exec, s[8:9]
	s_cbranch_execz .LBB183_211
.LBB183_206:                            ;   Parent Loop BB183_12 Depth=1
                                        ; =>  This Inner Loop Header: Depth=2
	v_cmp_gt_u64_e32 vcc, s[60:61], v[34:35]
	s_waitcnt vmcnt(0)
	v_pk_mov_b32 v[4:5], 0, 0
	s_and_saveexec_b64 s[10:11], vcc
	s_cbranch_execz .LBB183_208
; %bb.207:                              ;   in Loop: Header=BB183_206 Depth=2
	v_mul_lo_u32 v2, v35, s58
	v_mul_lo_u32 v8, v34, s59
	v_mad_u64_u32 v[4:5], s[6:7], v34, s58, 0
	v_add3_u32 v5, v5, v8, v2
	v_lshlrev_b64 v[4:5], 3, v[4:5]
	v_mov_b32_e32 v2, s86
	v_add_co_u32_e64 v4, s[6:7], s33, v4
	v_addc_co_u32_e64 v5, s[6:7], v2, v5, s[6:7]
	global_load_dwordx2 v[4:5], v[4:5], off
.LBB183_208:                            ;   in Loop: Header=BB183_206 Depth=2
	s_or_b64 exec, exec, s[10:11]
	s_and_saveexec_b64 s[6:7], vcc
	s_cbranch_execz .LBB183_205
; %bb.209:                              ;   in Loop: Header=BB183_206 Depth=2
	s_waitcnt vmcnt(0)
	v_ashrrev_i32_e32 v2, 31, v5
	v_or_b32_e32 v8, 0x80000000, v2
	v_xor_b32_e32 v8, v8, v5
	v_xor_b32_e32 v2, v2, v4
	v_cmp_o_f64_e32 vcc, v[4:5], v[4:5]
	v_cndmask_b32_e32 v8, -1, v8, vcc
	v_cndmask_b32_e32 v2, -1, v2, vcc
	v_and_b32_e32 v9, v8, v15
	v_and_b32_e32 v8, v2, v14
	v_cmp_eq_u64_e32 vcc, v[8:9], v[12:13]
	s_and_b64 exec, exec, vcc
	s_cbranch_execz .LBB183_205
; %bb.210:                              ;   in Loop: Header=BB183_206 Depth=2
	v_mov_b32_e32 v2, v21
	ds_write_b128 v21, v[2:5] offset:3072
	s_branch .LBB183_205
.LBB183_211:                            ;   in Loop: Header=BB183_12 Depth=1
	s_or_b64 exec, exec, s[8:9]
	s_and_b64 s[6:7], s[4:5], exec
.LBB183_212:                            ;   in Loop: Header=BB183_12 Depth=1
	s_or_b64 exec, exec, s[2:3]
	s_mov_b64 s[2:3], -1
	v_writelane_b32 v54, s2, 53
	v_writelane_b32 v54, s3, 54
	s_mov_b64 s[8:9], 0
	s_mov_b64 s[2:3], 0
.LBB183_213:                            ;   in Loop: Header=BB183_12 Depth=1
	s_orn2_b64 s[4:5], s[6:7], exec
	s_mov_b64 vcc, s[2:3]
.LBB183_214:                            ;   in Loop: Header=BB183_12 Depth=1
	s_or_b64 exec, exec, s[56:57]
	s_mov_b64 s[2:3], 0
                                        ; implicit-def: $vgpr2
	s_and_saveexec_b64 s[56:57], s[4:5]
	s_cbranch_execz .LBB183_279
; %bb.215:                              ;   in Loop: Header=BB183_12 Depth=1
	v_mov_b32_e32 v30, 1
	s_xor_b64 s[4:5], s[90:91], -1
	s_mov_b64 s[90:91], 0
	v_mov_b32_e32 v31, 0
	v_mov_b32_e32 v2, 1
	s_and_saveexec_b64 s[2:3], s[4:5]
	s_cbranch_execz .LBB183_225
; %bb.216:                              ;   in Loop: Header=BB183_12 Depth=1
	s_mov_b64 s[10:11], vcc
	v_cmp_ge_u64_e32 vcc, s[26:27], v[32:33]
                                        ; implicit-def: $sgpr12
                                        ; implicit-def: $sgpr4_sgpr5
	s_and_saveexec_b64 s[6:7], vcc
	s_xor_b64 s[6:7], exec, s[6:7]
	s_cbranch_execz .LBB183_222
; %bb.217:                              ;   in Loop: Header=BB183_12 Depth=1
	s_waitcnt vmcnt(0)
	ds_read_b64 v[4:5], v21 offset:5120
	s_waitcnt lgkmcnt(0)
	v_cmp_ne_u64_e32 vcc, 0, v[4:5]
	s_cbranch_vccnz .LBB183_221
; %bb.218:                              ;   in Loop: Header=BB183_12 Depth=1
	s_mov_b64 s[4:5], exec
	v_readlane_b32 s12, v54, 12
	v_readlane_b32 s13, v54, 13
	s_and_b64 s[12:13], s[4:5], s[12:13]
	s_mov_b64 exec, s[12:13]
	s_cbranch_execz .LBB183_220
; %bb.219:                              ;   in Loop: Header=BB183_12 Depth=1
	v_pk_mov_b32 v[4:5], s[26:27], s[26:27] op_sel:[0,1]
	ds_write_b64 v21, v[4:5] offset:5128
.LBB183_220:                            ;   in Loop: Header=BB183_12 Depth=1
	s_or_b64 exec, exec, s[4:5]
	s_waitcnt lgkmcnt(0)
	s_barrier
.LBB183_221:                            ;   in Loop: Header=BB183_12 Depth=1
	s_lshl_b64 s[4:5], 2, s84
	v_and_b32_e32 v2, s21, v13
	v_and_b32_e32 v4, s20, v12
	v_or_b32_e32 v13, s5, v2
	v_or_b32_e32 v12, s4, v4
	;; [unrolled: 1-line block ×4, first 2 shown]
	s_mov_b64 s[4:5], 0
	s_mov_b32 s12, 8
.LBB183_222:                            ;   in Loop: Header=BB183_12 Depth=1
	s_or_saveexec_b64 s[6:7], s[6:7]
	v_mov_b32_e32 v2, s12
	s_xor_b64 exec, exec, s[6:7]
; %bb.223:                              ;   in Loop: Header=BB183_12 Depth=1
	v_mov_b32_e32 v2, s27
	v_subrev_co_u32_e32 v32, vcc, s26, v32
	v_subb_co_u32_e32 v33, vcc, v33, v2, vcc
	v_mov_b32_e32 v2, 0
	s_or_b64 s[4:5], s[4:5], exec
; %bb.224:                              ;   in Loop: Header=BB183_12 Depth=1
	s_or_b64 exec, exec, s[6:7]
	s_and_b64 s[90:91], s[4:5], exec
	v_pk_mov_b32 v[30:31], v[32:33], v[32:33] op_sel:[0,1]
	s_mov_b64 vcc, s[10:11]
.LBB183_225:                            ;   in Loop: Header=BB183_12 Depth=1
	s_or_b64 exec, exec, s[2:3]
	s_mov_b64 s[12:13], -1
                                        ; implicit-def: $sgpr2_sgpr3
                                        ; implicit-def: $sgpr6_sgpr7
                                        ; implicit-def: $sgpr4_sgpr5
	s_and_saveexec_b64 s[10:11], s[90:91]
	s_cbranch_execz .LBB183_278
; %bb.226:                              ;   in Loop: Header=BB183_12 Depth=1
	v_writelane_b32 v54, vcc_lo, 55
	s_cmp_eq_u64 s[28:29], 1
	v_writelane_b32 v54, vcc_hi, 56
	s_cselect_b64 s[2:3], -1, 0
	v_cmp_eq_u64_e32 vcc, 1, v[30:31]
	s_mov_b64 s[90:91], -1
	s_and_b64 s[12:13], s[2:3], vcc
                                        ; implicit-def: $sgpr2_sgpr3
                                        ; implicit-def: $sgpr6_sgpr7
                                        ; implicit-def: $sgpr4_sgpr5
	s_mov_b64 s[54:55], exec
	v_writelane_b32 v54, s12, 57
	v_writelane_b32 v54, s13, 58
	s_and_b64 s[12:13], s[54:55], s[12:13]
	s_mov_b64 exec, s[12:13]
	s_cbranch_execz .LBB183_265
; %bb.227:                              ;   in Loop: Header=BB183_12 Depth=1
	s_waitcnt vmcnt(0)
	ds_read_b64 v[4:5], v21 offset:5120
	s_waitcnt lgkmcnt(0)
	s_barrier
	v_readfirstlane_b32 s2, v4
	v_readfirstlane_b32 s3, v5
	s_mov_b64 s[4:5], exec
	v_readlane_b32 s6, v54, 30
	v_readlane_b32 s7, v54, 31
	s_and_b64 s[6:7], s[4:5], s[6:7]
	s_mov_b64 exec, s[6:7]
	s_cbranch_execz .LBB183_229
; %bb.228:                              ;   in Loop: Header=BB183_12 Depth=1
	v_mov_b32_e32 v20, v21
	ds_write_b64 v40, v[20:21]
.LBB183_229:                            ;   in Loop: Header=BB183_12 Depth=1
	s_or_b64 exec, exec, s[4:5]
	v_or_b32_e32 v13, s19, v13
	v_or_b32_e32 v12, s18, v12
	;; [unrolled: 1-line block ×4, first 2 shown]
	s_cmp_eq_u64 s[2:3], 0
	v_writelane_b32 v54, s54, 59
	s_waitcnt lgkmcnt(0)
	s_barrier
	v_writelane_b32 v54, s55, 60
	s_cbranch_scc1 .LBB183_234
; %bb.230:                              ;   in Loop: Header=BB183_12 Depth=1
	v_readlane_b32 s4, v54, 34
	s_add_u32 s12, s4, s2
	v_readlane_b32 s4, v54, 36
	s_addc_u32 s5, s4, s3
	s_mov_b32 s4, s85
	s_cmp_lg_u64 s[4:5], 0
	s_cbranch_scc0 .LBB183_235
; %bb.231:                              ;   in Loop: Header=BB183_12 Depth=1
	v_cvt_f32_u32_e32 v2, s87
	s_sub_u32 s4, 0, s87
	s_subb_u32 s6, 0, 0
	v_mac_f32_e32 v2, 0, v43
	v_rcp_f32_e32 v2, v2
	v_mul_f32_e32 v2, 0x5f7ffffc, v2
	v_mul_f32_e32 v4, 0x2f800000, v2
	v_trunc_f32_e32 v4, v4
	v_mac_f32_e32 v2, 0xcf800000, v4
	v_cvt_u32_f32_e32 v4, v4
	v_cvt_u32_f32_e32 v2, v2
	v_readfirstlane_b32 s7, v4
	v_readfirstlane_b32 s13, v2
	s_mul_i32 s54, s4, s7
	s_mul_hi_u32 s90, s4, s13
	s_mul_i32 s55, s6, s13
	s_add_i32 s54, s90, s54
	s_mul_i32 s91, s4, s13
	s_add_i32 s54, s54, s55
	s_mul_hi_u32 s90, s13, s91
	s_mul_hi_u32 s55, s13, s54
	s_mul_i32 s13, s13, s54
	s_add_u32 s13, s90, s13
	s_addc_u32 s55, 0, s55
	s_mul_hi_u32 s92, s7, s91
	s_mul_i32 s91, s7, s91
	s_add_u32 s13, s13, s91
	s_mul_hi_u32 s90, s7, s54
	s_addc_u32 s13, s55, s92
	s_addc_u32 s55, s90, 0
	s_mul_i32 s54, s7, s54
	s_add_u32 s13, s13, s54
	s_addc_u32 s54, 0, s55
	v_add_co_u32_e32 v2, vcc, s13, v2
	s_cmp_lg_u64 vcc, 0
	s_addc_u32 s7, s7, s54
	v_readfirstlane_b32 s54, v2
	s_mul_i32 s13, s4, s7
	s_mul_hi_u32 s55, s4, s54
	s_add_i32 s13, s55, s13
	s_mul_i32 s6, s6, s54
	s_add_i32 s13, s13, s6
	s_mul_i32 s4, s4, s54
	s_mul_hi_u32 s55, s7, s4
	s_mul_i32 s90, s7, s4
	s_mul_i32 s92, s54, s13
	s_mul_hi_u32 s4, s54, s4
	s_mul_hi_u32 s91, s54, s13
	s_add_u32 s4, s4, s92
	s_addc_u32 s54, 0, s91
	s_add_u32 s4, s4, s90
	s_mul_hi_u32 s6, s7, s13
	s_addc_u32 s4, s54, s55
	s_addc_u32 s6, s6, 0
	s_mul_i32 s13, s7, s13
	s_add_u32 s4, s4, s13
	s_addc_u32 s6, 0, s6
	v_add_co_u32_e32 v2, vcc, s4, v2
	s_cmp_lg_u64 vcc, 0
	s_addc_u32 s4, s7, s6
	v_readfirstlane_b32 s13, v2
	s_mul_i32 s7, s12, s4
	s_mul_hi_u32 s54, s12, s13
	s_mul_hi_u32 s6, s12, s4
	s_add_u32 s7, s54, s7
	s_addc_u32 s6, 0, s6
	s_mul_hi_u32 s55, s5, s13
	s_mul_i32 s13, s5, s13
	s_add_u32 s7, s7, s13
	s_mul_hi_u32 s54, s5, s4
	s_addc_u32 s6, s6, s55
	s_addc_u32 s7, s54, 0
	s_mul_i32 s4, s5, s4
	s_add_u32 s4, s6, s4
	s_addc_u32 s6, 0, s7
	s_mul_hi_u32 s7, s87, s4
	s_mul_i32 s4, s87, s4
	s_mul_i32 s6, s87, s6
	v_mov_b32_e32 v2, s4
	s_add_i32 s7, s7, s6
	v_sub_co_u32_e32 v2, vcc, s12, v2
	s_cmp_lg_u64 vcc, 0
	s_subb_u32 s4, s5, s7
	v_subrev_co_u32_e32 v4, vcc, s87, v2
	s_cmp_lg_u64 vcc, 0
	s_subb_u32 s6, s4, 0
	v_subrev_co_u32_e32 v5, vcc, s87, v4
	s_cmp_lg_u64 vcc, 0
	s_subb_u32 s7, s6, 0
	v_cmp_le_u32_e32 vcc, s87, v4
	s_cmp_eq_u32 s6, 0
	v_cndmask_b32_e64 v8, 0, -1, vcc
	s_cselect_b64 vcc, -1, 0
	v_cndmask_b32_e32 v8, -1, v8, vcc
	v_mov_b32_e32 v9, s6
	v_mov_b32_e32 v10, s7
	v_cmp_ne_u32_e32 vcc, 0, v8
	v_cndmask_b32_e32 v8, v9, v10, vcc
	v_cndmask_b32_e32 v4, v4, v5, vcc
	v_cmp_le_u32_e32 vcc, s87, v2
	s_cmp_eq_u32 s4, 0
	v_cndmask_b32_e64 v5, 0, -1, vcc
	s_cselect_b64 vcc, -1, 0
	v_cndmask_b32_e32 v5, -1, v5, vcc
	v_mov_b32_e32 v9, s4
	v_cmp_ne_u32_e32 vcc, 0, v5
	v_cndmask_b32_e32 v5, v9, v8, vcc
	v_cndmask_b32_e32 v4, v2, v4, vcc
	s_mov_b64 s[6:7], 0
	s_branch .LBB183_236
.LBB183_232:                            ;   in Loop: Header=BB183_12 Depth=1
                                        ; implicit-def: $vgpr4_vgpr5
	s_branch .LBB183_185
.LBB183_233:                            ;   in Loop: Header=BB183_12 Depth=1
                                        ; implicit-def: $vgpr4_vgpr5
	s_branch .LBB183_202
.LBB183_234:                            ;   in Loop: Header=BB183_12 Depth=1
	s_mov_b64 s[2:3], -1
	s_mov_b64 s[12:13], 0
                                        ; implicit-def: $sgpr4_sgpr5
                                        ; implicit-def: $vgpr10_vgpr11
	s_branch .LBB183_248
.LBB183_235:                            ;   in Loop: Header=BB183_12 Depth=1
	s_mov_b64 s[6:7], -1
                                        ; implicit-def: $vgpr4_vgpr5
.LBB183_236:                            ;   in Loop: Header=BB183_12 Depth=1
	s_andn2_b64 vcc, exec, s[6:7]
	s_cbranch_vccnz .LBB183_238
; %bb.237:                              ;   in Loop: Header=BB183_12 Depth=1
	v_cvt_f32_u32_e32 v2, s87
	s_sub_i32 s4, 0, s87
	v_rcp_iflag_f32_e32 v2, v2
	v_mul_f32_e32 v2, 0x4f7ffffe, v2
	v_cvt_u32_f32_e32 v2, v2
	v_mul_lo_u32 v4, s4, v2
	v_mul_hi_u32 v4, v2, v4
	v_add_u32_e32 v2, v2, v4
	v_mul_hi_u32 v2, s12, v2
	v_mul_lo_u32 v2, v2, s87
	v_sub_u32_e32 v2, s12, v2
	v_subrev_u32_e32 v4, s87, v2
	v_cmp_le_u32_e32 vcc, s87, v2
	v_cndmask_b32_e32 v2, v2, v4, vcc
	v_subrev_u32_e32 v4, s87, v2
	v_cmp_le_u32_e32 vcc, s87, v2
	v_cndmask_b32_e32 v20, v2, v4, vcc
	v_pk_mov_b32 v[4:5], v[20:21], v[20:21] op_sel:[0,1]
.LBB183_238:                            ;   in Loop: Header=BB183_12 Depth=1
	v_mov_b32_e32 v2, s5
	v_sub_co_u32_e32 v32, vcc, s12, v4
	v_subb_co_u32_e32 v33, vcc, v2, v5, vcc
	v_cmp_gt_u64_e32 vcc, v[32:33], v[0:1]
	s_mov_b64 s[12:13], 0
                                        ; implicit-def: $vgpr10_vgpr11
	s_and_saveexec_b64 s[4:5], vcc
	s_cbranch_execz .LBB183_247
; %bb.239:                              ;   in Loop: Header=BB183_12 Depth=1
	s_mov_b64 s[90:91], 0
	v_mov_b32_e32 v20, v39
	v_pk_mov_b32 v[34:35], v[0:1], v[0:1] op_sel:[0,1]
                                        ; implicit-def: $sgpr12_sgpr13
	s_branch .LBB183_241
.LBB183_240:                            ;   in Loop: Header=BB183_241 Depth=2
	s_or_b64 exec, exec, s[6:7]
	s_waitcnt lgkmcnt(0)
	s_barrier
	ds_read_b128 v[8:11], v21 offset:3072
	v_mov_b32_e32 v2, s88
	v_add_co_u32_e64 v34, s[6:7], s87, v34
	v_addc_co_u32_e64 v35, s[6:7], v35, v2, s[6:7]
	s_waitcnt lgkmcnt(0)
	v_cmp_neq_f64_e32 vcc, 0, v[8:9]
	v_cmp_ge_u64_e64 s[6:7], v[34:35], v[32:33]
	s_or_b64 s[6:7], s[6:7], vcc
	s_and_b64 s[6:7], exec, s[6:7]
	s_or_b64 s[90:91], s[6:7], s[90:91]
	s_andn2_b64 s[6:7], s[12:13], exec
	s_and_b64 s[12:13], vcc, exec
	v_add_u32_e32 v20, s95, v20
	s_or_b64 s[12:13], s[6:7], s[12:13]
	s_barrier
	s_andn2_b64 exec, exec, s[90:91]
	s_cbranch_execz .LBB183_246
.LBB183_241:                            ;   Parent Loop BB183_12 Depth=1
                                        ; =>  This Inner Loop Header: Depth=2
	v_cmp_gt_u64_e32 vcc, s[2:3], v[34:35]
	v_pk_mov_b32 v[4:5], 0, 0
	s_and_saveexec_b64 s[6:7], vcc
	s_cbranch_execz .LBB183_243
; %bb.242:                              ;   in Loop: Header=BB183_241 Depth=2
	ds_read_b64 v[4:5], v20
.LBB183_243:                            ;   in Loop: Header=BB183_241 Depth=2
	s_or_b64 exec, exec, s[6:7]
	s_and_saveexec_b64 s[6:7], vcc
	s_cbranch_execz .LBB183_240
; %bb.244:                              ;   in Loop: Header=BB183_241 Depth=2
	s_waitcnt lgkmcnt(0)
	v_ashrrev_i32_e32 v2, 31, v5
	v_or_b32_e32 v8, 0x80000000, v2
	v_xor_b32_e32 v8, v8, v5
	v_xor_b32_e32 v2, v2, v4
	v_cmp_o_f64_e32 vcc, v[4:5], v[4:5]
	v_cndmask_b32_e32 v8, -1, v8, vcc
	v_cndmask_b32_e32 v2, -1, v2, vcc
	v_and_b32_e32 v9, v8, v15
	v_and_b32_e32 v8, v2, v14
	v_cmp_eq_u64_e32 vcc, v[8:9], v[12:13]
	s_and_b64 exec, exec, vcc
	s_cbranch_execz .LBB183_240
; %bb.245:                              ;   in Loop: Header=BB183_241 Depth=2
	v_mov_b32_e32 v2, v21
	ds_write_b128 v21, v[2:5] offset:3072
	s_branch .LBB183_240
.LBB183_246:                            ;   in Loop: Header=BB183_12 Depth=1
	s_or_b64 exec, exec, s[90:91]
	s_and_b64 s[12:13], s[12:13], exec
.LBB183_247:                            ;   in Loop: Header=BB183_12 Depth=1
	s_or_b64 exec, exec, s[4:5]
	s_mov_b64 s[4:5], -1
	s_mov_b64 s[2:3], 0
.LBB183_248:                            ;   in Loop: Header=BB183_12 Depth=1
	s_and_b64 vcc, exec, s[2:3]
	s_mov_b64 s[6:7], s[2:3]
	s_cbranch_vccz .LBB183_264
; %bb.249:                              ;   in Loop: Header=BB183_12 Depth=1
	s_mov_b32 s92, s85
	s_cmp_lg_u64 s[92:93], 0
	s_cbranch_scc0 .LBB183_251
; %bb.250:                              ;   in Loop: Header=BB183_12 Depth=1
	v_cvt_f32_u32_e32 v2, s87
	s_sub_u32 s2, 0, s87
	s_subb_u32 s3, 0, 0
	v_mac_f32_e32 v2, 0, v43
	v_rcp_f32_e32 v2, v2
	v_mul_f32_e32 v2, 0x5f7ffffc, v2
	v_mul_f32_e32 v4, 0x2f800000, v2
	v_trunc_f32_e32 v4, v4
	v_mac_f32_e32 v2, 0xcf800000, v4
	v_cvt_u32_f32_e32 v4, v4
	v_cvt_u32_f32_e32 v2, v2
	v_readfirstlane_b32 s4, v4
	v_readfirstlane_b32 s5, v2
	s_mul_i32 s6, s2, s4
	s_mul_hi_u32 s12, s2, s5
	s_mul_i32 s7, s3, s5
	s_add_i32 s6, s12, s6
	s_mul_i32 s13, s2, s5
	s_add_i32 s6, s6, s7
	s_mul_hi_u32 s12, s5, s13
	s_mul_hi_u32 s7, s5, s6
	s_mul_i32 s5, s5, s6
	s_add_u32 s5, s12, s5
	s_addc_u32 s7, 0, s7
	s_mul_hi_u32 s54, s4, s13
	s_mul_i32 s13, s4, s13
	s_add_u32 s5, s5, s13
	s_mul_hi_u32 s12, s4, s6
	s_addc_u32 s5, s7, s54
	s_addc_u32 s7, s12, 0
	s_mul_i32 s6, s4, s6
	s_add_u32 s5, s5, s6
	s_addc_u32 s6, 0, s7
	v_add_co_u32_e32 v2, vcc, s5, v2
	s_cmp_lg_u64 vcc, 0
	s_addc_u32 s4, s4, s6
	v_readfirstlane_b32 s6, v2
	s_mul_i32 s5, s2, s4
	s_mul_hi_u32 s7, s2, s6
	s_add_i32 s5, s7, s5
	s_mul_i32 s3, s3, s6
	s_add_i32 s5, s5, s3
	s_mul_i32 s2, s2, s6
	s_mul_hi_u32 s7, s4, s2
	s_mul_i32 s12, s4, s2
	s_mul_i32 s54, s6, s5
	s_mul_hi_u32 s2, s6, s2
	s_mul_hi_u32 s13, s6, s5
	s_add_u32 s2, s2, s54
	s_addc_u32 s6, 0, s13
	s_add_u32 s2, s2, s12
	s_mul_hi_u32 s3, s4, s5
	s_addc_u32 s2, s6, s7
	s_addc_u32 s3, s3, 0
	s_mul_i32 s5, s4, s5
	s_add_u32 s2, s2, s5
	s_addc_u32 s3, 0, s3
	v_add_co_u32_e32 v2, vcc, s2, v2
	s_cmp_lg_u64 vcc, 0
	s_addc_u32 s2, s4, s3
	v_readlane_b32 s12, v54, 35
	v_readfirstlane_b32 s5, v2
	s_mul_i32 s4, s12, s2
	s_mul_hi_u32 s6, s12, s5
	s_mul_hi_u32 s3, s12, s2
	s_add_u32 s4, s6, s4
	s_addc_u32 s3, 0, s3
	s_mul_hi_u32 s7, s93, s5
	s_mul_i32 s5, s93, s5
	s_add_u32 s4, s4, s5
	s_mul_hi_u32 s6, s93, s2
	s_addc_u32 s3, s3, s7
	s_addc_u32 s4, s6, 0
	s_mul_i32 s2, s93, s2
	s_add_u32 s2, s3, s2
	s_addc_u32 s3, 0, s4
	s_mul_hi_u32 s4, s87, s2
	s_mul_i32 s2, s87, s2
	s_mul_i32 s3, s87, s3
	v_mov_b32_e32 v2, s2
	s_add_i32 s4, s4, s3
	v_sub_co_u32_e32 v2, vcc, s12, v2
	s_cmp_lg_u64 vcc, 0
	s_subb_u32 s2, s93, s4
	v_subrev_co_u32_e32 v4, vcc, s87, v2
	s_cmp_lg_u64 vcc, 0
	s_subb_u32 s3, s2, 0
	v_subrev_co_u32_e32 v5, vcc, s87, v4
	s_cmp_lg_u64 vcc, 0
	s_subb_u32 s4, s3, 0
	v_cmp_le_u32_e32 vcc, s87, v4
	s_cmp_eq_u32 s3, 0
	v_cndmask_b32_e64 v8, 0, -1, vcc
	s_cselect_b64 vcc, -1, 0
	v_cndmask_b32_e32 v8, -1, v8, vcc
	v_mov_b32_e32 v9, s3
	v_mov_b32_e32 v10, s4
	v_cmp_ne_u32_e32 vcc, 0, v8
	v_cndmask_b32_e32 v8, v9, v10, vcc
	v_cndmask_b32_e32 v4, v4, v5, vcc
	v_cmp_le_u32_e32 vcc, s87, v2
	s_cmp_eq_u32 s2, 0
	v_cndmask_b32_e64 v5, 0, -1, vcc
	s_cselect_b64 vcc, -1, 0
	v_cndmask_b32_e32 v5, -1, v5, vcc
	v_mov_b32_e32 v9, s2
	v_cmp_ne_u32_e32 vcc, 0, v5
	v_cndmask_b32_e32 v5, v9, v8, vcc
	v_cndmask_b32_e32 v4, v2, v4, vcc
	s_mov_b64 s[2:3], 0
	s_branch .LBB183_252
.LBB183_251:                            ;   in Loop: Header=BB183_12 Depth=1
	s_mov_b64 s[2:3], -1
                                        ; implicit-def: $vgpr4_vgpr5
.LBB183_252:                            ;   in Loop: Header=BB183_12 Depth=1
	s_andn2_b64 vcc, exec, s[2:3]
	s_cbranch_vccnz .LBB183_254
; %bb.253:                              ;   in Loop: Header=BB183_12 Depth=1
	v_cvt_f32_u32_e32 v2, s87
	s_sub_i32 s2, 0, s87
	v_rcp_iflag_f32_e32 v2, v2
	v_mul_f32_e32 v2, 0x4f7ffffe, v2
	v_cvt_u32_f32_e32 v2, v2
	v_mul_lo_u32 v4, s2, v2
	v_mul_hi_u32 v4, v2, v4
	v_add_u32_e32 v2, v2, v4
	v_readlane_b32 s2, v54, 35
	v_mul_hi_u32 v2, s2, v2
	v_mul_lo_u32 v2, v2, s87
	v_sub_u32_e32 v2, s2, v2
	v_subrev_u32_e32 v4, s87, v2
	v_cmp_le_u32_e32 vcc, s87, v2
	v_cndmask_b32_e32 v2, v2, v4, vcc
	v_subrev_u32_e32 v4, s87, v2
	v_cmp_le_u32_e32 vcc, s87, v2
	v_cndmask_b32_e32 v20, v2, v4, vcc
	v_pk_mov_b32 v[4:5], v[20:21], v[20:21] op_sel:[0,1]
.LBB183_254:                            ;   in Loop: Header=BB183_12 Depth=1
	v_readlane_b32 s2, v54, 35
	v_mov_b32_e32 v2, s93
	v_sub_co_u32_e32 v32, vcc, s2, v4
	v_subb_co_u32_e32 v33, vcc, v2, v5, vcc
	v_cmp_gt_u64_e32 vcc, v[32:33], v[0:1]
	s_mov_b64 s[12:13], 0
                                        ; implicit-def: $vgpr10_vgpr11
	s_and_saveexec_b64 s[2:3], vcc
	s_cbranch_execz .LBB183_263
; %bb.255:                              ;   in Loop: Header=BB183_12 Depth=1
	v_pk_mov_b32 v[34:35], v[0:1], v[0:1] op_sel:[0,1]
                                        ; implicit-def: $sgpr4_sgpr5
	s_branch .LBB183_257
.LBB183_256:                            ;   in Loop: Header=BB183_257 Depth=2
	s_or_b64 exec, exec, s[6:7]
	s_waitcnt lgkmcnt(0)
	s_barrier
	ds_read_b128 v[8:11], v21 offset:3072
	v_mov_b32_e32 v2, s88
	v_add_co_u32_e64 v34, s[6:7], s87, v34
	v_addc_co_u32_e64 v35, s[6:7], v35, v2, s[6:7]
	s_waitcnt lgkmcnt(0)
	v_cmp_neq_f64_e32 vcc, 0, v[8:9]
	v_cmp_ge_u64_e64 s[6:7], v[34:35], v[32:33]
	s_or_b64 s[6:7], s[6:7], vcc
	s_and_b64 s[6:7], exec, s[6:7]
	s_or_b64 s[12:13], s[6:7], s[12:13]
	s_andn2_b64 s[4:5], s[4:5], exec
	s_and_b64 s[6:7], vcc, exec
	s_or_b64 s[4:5], s[4:5], s[6:7]
	s_barrier
	s_andn2_b64 exec, exec, s[12:13]
	s_cbranch_execz .LBB183_262
.LBB183_257:                            ;   Parent Loop BB183_12 Depth=1
                                        ; =>  This Inner Loop Header: Depth=2
	v_cmp_gt_u64_e32 vcc, s[60:61], v[34:35]
	s_waitcnt vmcnt(0)
	v_pk_mov_b32 v[4:5], 0, 0
	s_and_saveexec_b64 s[54:55], vcc
	s_cbranch_execz .LBB183_259
; %bb.258:                              ;   in Loop: Header=BB183_257 Depth=2
	v_mul_lo_u32 v2, v35, s58
	v_mul_lo_u32 v8, v34, s59
	v_mad_u64_u32 v[4:5], s[6:7], v34, s58, 0
	v_add3_u32 v5, v5, v8, v2
	v_lshlrev_b64 v[4:5], 3, v[4:5]
	v_mov_b32_e32 v2, s86
	v_add_co_u32_e64 v4, s[6:7], s33, v4
	v_addc_co_u32_e64 v5, s[6:7], v2, v5, s[6:7]
	global_load_dwordx2 v[4:5], v[4:5], off
.LBB183_259:                            ;   in Loop: Header=BB183_257 Depth=2
	s_or_b64 exec, exec, s[54:55]
	s_and_saveexec_b64 s[6:7], vcc
	s_cbranch_execz .LBB183_256
; %bb.260:                              ;   in Loop: Header=BB183_257 Depth=2
	s_waitcnt vmcnt(0)
	v_ashrrev_i32_e32 v2, 31, v5
	v_or_b32_e32 v8, 0x80000000, v2
	v_xor_b32_e32 v8, v8, v5
	v_xor_b32_e32 v2, v2, v4
	v_cmp_o_f64_e32 vcc, v[4:5], v[4:5]
	v_cndmask_b32_e32 v8, -1, v8, vcc
	v_cndmask_b32_e32 v2, -1, v2, vcc
	v_and_b32_e32 v9, v8, v15
	v_and_b32_e32 v8, v2, v14
	v_cmp_eq_u64_e32 vcc, v[8:9], v[12:13]
	s_and_b64 exec, exec, vcc
	s_cbranch_execz .LBB183_256
; %bb.261:                              ;   in Loop: Header=BB183_257 Depth=2
	v_mov_b32_e32 v2, v21
	ds_write_b128 v21, v[2:5] offset:3072
	s_branch .LBB183_256
.LBB183_262:                            ;   in Loop: Header=BB183_12 Depth=1
	s_or_b64 exec, exec, s[12:13]
	s_and_b64 s[12:13], s[4:5], exec
.LBB183_263:                            ;   in Loop: Header=BB183_12 Depth=1
	s_or_b64 exec, exec, s[2:3]
	s_mov_b64 s[6:7], -1
	s_mov_b64 s[2:3], 0
	s_mov_b64 s[4:5], 0
.LBB183_264:                            ;   in Loop: Header=BB183_12 Depth=1
	v_readlane_b32 s54, v54, 59
	s_orn2_b64 s[90:91], s[12:13], exec
	v_readlane_b32 s55, v54, 60
.LBB183_265:                            ;   in Loop: Header=BB183_12 Depth=1
	s_or_b64 exec, exec, s[54:55]
	s_mov_b64 s[54:55], 0
                                        ; implicit-def: $vgpr2
                                        ; implicit-def: $vgpr4_vgpr5
	s_and_saveexec_b64 s[12:13], s[90:91]
	v_readlane_b32 vcc_lo, v54, 55
	v_readlane_b32 vcc_hi, v54, 56
	s_cbranch_execz .LBB183_277
; %bb.266:                              ;   in Loop: Header=BB183_12 Depth=1
	v_readlane_b32 s54, v54, 57
	v_readlane_b32 s55, v54, 58
	s_waitcnt vmcnt(0)
	v_mov_b32_e32 v4, 1
	s_xor_b64 s[54:55], s[54:55], -1
	v_mov_b32_e32 v2, 1
	v_mov_b32_e32 v5, 0
	s_and_saveexec_b64 s[90:91], s[54:55]
	s_cbranch_execz .LBB183_276
; %bb.267:                              ;   in Loop: Header=BB183_12 Depth=1
	v_cmp_ge_u64_e32 vcc, s[28:29], v[30:31]
                                        ; implicit-def: $sgpr92
	s_and_saveexec_b64 s[54:55], vcc
	s_xor_b64 s[54:55], exec, s[54:55]
	v_writelane_b32 v54, s54, 61
	v_writelane_b32 v54, s55, 62
	s_cbranch_execz .LBB183_273
; %bb.268:                              ;   in Loop: Header=BB183_12 Depth=1
	ds_read_b64 v[4:5], v21 offset:5120
	s_waitcnt lgkmcnt(0)
	v_cmp_ne_u64_e32 vcc, 0, v[4:5]
	s_cbranch_vccnz .LBB183_272
; %bb.269:                              ;   in Loop: Header=BB183_12 Depth=1
	s_mov_b64 s[54:55], exec
	v_readlane_b32 vcc_lo, v54, 12
	v_readlane_b32 vcc_hi, v54, 13
	s_and_b64 vcc, s[54:55], vcc
	s_mov_b64 exec, vcc
	s_cbranch_execz .LBB183_271
; %bb.270:                              ;   in Loop: Header=BB183_12 Depth=1
	v_pk_mov_b32 v[4:5], s[28:29], s[28:29] op_sel:[0,1]
	ds_write_b64 v21, v[4:5] offset:5128
.LBB183_271:                            ;   in Loop: Header=BB183_12 Depth=1
	s_or_b64 exec, exec, s[54:55]
	s_waitcnt lgkmcnt(0)
	s_barrier
.LBB183_272:                            ;   in Loop: Header=BB183_12 Depth=1
	v_or_b32_e32 v13, s19, v13
	v_or_b32_e32 v12, s18, v12
	;; [unrolled: 1-line block ×4, first 2 shown]
	s_mov_b32 s92, 8
.LBB183_273:                            ;   in Loop: Header=BB183_12 Depth=1
	v_readlane_b32 s54, v54, 61
	v_readlane_b32 s55, v54, 62
	s_or_saveexec_b64 s[54:55], s[54:55]
	v_mov_b32_e32 v2, s92
	s_xor_b64 exec, exec, s[54:55]
; %bb.274:                              ;   in Loop: Header=BB183_12 Depth=1
	v_mov_b32_e32 v2, s29
	v_subrev_co_u32_e32 v30, vcc, s28, v30
	v_subb_co_u32_e32 v31, vcc, v31, v2, vcc
	v_mov_b32_e32 v2, 8
; %bb.275:                              ;   in Loop: Header=BB183_12 Depth=1
	s_or_b64 exec, exec, s[54:55]
	v_readlane_b32 vcc_lo, v54, 55
	v_pk_mov_b32 v[4:5], v[30:31], v[30:31] op_sel:[0,1]
	v_readlane_b32 vcc_hi, v54, 56
.LBB183_276:                            ;   in Loop: Header=BB183_12 Depth=1
	s_or_b64 exec, exec, s[90:91]
	s_mov_b64 s[54:55], exec
.LBB183_277:                            ;   in Loop: Header=BB183_12 Depth=1
	s_or_b64 exec, exec, s[12:13]
	s_orn2_b64 s[12:13], s[54:55], exec
	s_waitcnt vmcnt(0)
	v_pk_mov_b32 v[30:31], v[4:5], v[4:5] op_sel:[0,1]
.LBB183_278:                            ;   in Loop: Header=BB183_12 Depth=1
	s_or_b64 exec, exec, s[10:11]
	s_andn2_b64 s[8:9], s[8:9], exec
	s_and_b64 s[2:3], s[2:3], exec
	s_or_b64 s[8:9], s[8:9], s[2:3]
	v_readlane_b32 s2, v54, 53
	v_readlane_b32 s3, v54, 54
	s_andn2_b64 s[2:3], s[2:3], exec
	s_and_b64 s[6:7], s[6:7], exec
	s_or_b64 s[2:3], s[2:3], s[6:7]
	v_writelane_b32 v54, s2, 53
	v_writelane_b32 v54, s3, 54
	s_andn2_b64 s[2:3], vcc, exec
	s_and_b64 s[4:5], s[4:5], exec
	s_or_b64 vcc, s[2:3], s[4:5]
	s_and_b64 s[2:3], s[12:13], exec
	v_pk_mov_b32 v[32:33], v[30:31], v[30:31] op_sel:[0,1]
.LBB183_279:                            ;   in Loop: Header=BB183_12 Depth=1
	s_or_b64 exec, exec, s[56:57]
	v_readlane_b32 s4, v54, 53
	v_readlane_b32 s5, v54, 54
	s_and_b64 s[8:9], s[8:9], exec
	s_and_b64 s[6:7], s[4:5], exec
	s_and_b64 s[4:5], vcc, exec
	s_orn2_b64 s[2:3], s[2:3], exec
.LBB183_280:                            ;   in Loop: Header=BB183_12 Depth=1
	s_or_b64 exec, exec, s[52:53]
	s_andn2_b64 s[10:11], s[36:37], exec
	s_and_b64 s[8:9], s[8:9], exec
	s_or_b64 s[36:37], s[10:11], s[8:9]
	s_andn2_b64 s[8:9], s[48:49], exec
	s_and_b64 s[6:7], s[6:7], exec
	s_or_b64 s[48:49], s[8:9], s[6:7]
	;; [unrolled: 3-line block ×3, first 2 shown]
	s_and_b64 s[6:7], s[2:3], exec
	v_pk_mov_b32 v[30:31], v[32:33], v[32:33] op_sel:[0,1]
.LBB183_281:                            ;   in Loop: Header=BB183_12 Depth=1
	s_or_b64 exec, exec, s[50:51]
	s_and_b64 s[8:9], s[36:37], exec
	s_and_b64 s[4:5], s[48:49], exec
	;; [unrolled: 1-line block ×3, first 2 shown]
	s_orn2_b64 s[12:13], s[6:7], exec
.LBB183_282:                            ;   in Loop: Header=BB183_12 Depth=1
	s_or_b64 exec, exec, s[34:35]
	s_mov_b64 s[6:7], 0
	s_mov_b64 s[10:11], 0
	s_and_saveexec_b64 s[34:35], s[12:13]
	s_xor_b64 s[12:13], exec, s[34:35]
; %bb.283:                              ;   in Loop: Header=BB183_12 Depth=1
	v_cmp_eq_u32_e32 vcc, 8, v2
	v_cmp_ne_u32_e64 s[6:7], 8, v2
	s_andn2_b64 s[8:9], s[8:9], exec
	s_andn2_b64 s[4:5], s[4:5], exec
	;; [unrolled: 1-line block ×3, first 2 shown]
	s_and_b64 s[10:11], s[6:7], exec
	s_and_b64 s[6:7], vcc, exec
; %bb.284:                              ;   in Loop: Header=BB183_12 Depth=1
	s_or_b64 exec, exec, s[12:13]
	s_andn2_b64 s[12:13], s[24:25], exec
	s_and_b64 s[8:9], s[8:9], exec
	s_or_b64 s[24:25], s[12:13], s[8:9]
	s_andn2_b64 s[8:9], s[40:41], exec
	s_and_b64 s[4:5], s[4:5], exec
	s_or_b64 s[40:41], s[8:9], s[4:5]
	;; [unrolled: 3-line block ×3, first 2 shown]
	s_and_b64 s[34:35], s[10:11], exec
	s_and_b64 s[36:37], s[6:7], exec
.LBB183_285:                            ;   in Loop: Header=BB183_12 Depth=1
	s_or_b64 exec, exec, s[44:45]
	s_and_b64 vcc, exec, s[42:43]
	s_cbranch_vccz .LBB183_100
.LBB183_286:                            ;   in Loop: Header=BB183_12 Depth=1
	s_cmp_eq_u64 s[28:29], 1
	s_cselect_b64 s[2:3], -1, 0
	s_and_b64 s[8:9], s[2:3], s[14:15]
	s_mov_b64 s[2:3], -1
                                        ; implicit-def: $sgpr14_sgpr15
                                        ; implicit-def: $sgpr42_sgpr43
                                        ; implicit-def: $sgpr24_sgpr25
	s_and_saveexec_b64 s[10:11], s[8:9]
	s_cbranch_execz .LBB183_318
; %bb.287:                              ;   in Loop: Header=BB183_12 Depth=1
	s_waitcnt vmcnt(0)
	ds_read_b64 v[4:5], v21 offset:5120
	s_waitcnt lgkmcnt(0)
	s_barrier
	v_readfirstlane_b32 s2, v4
	v_readfirstlane_b32 s3, v5
	s_mov_b64 s[4:5], exec
	v_readlane_b32 s6, v54, 30
	v_readlane_b32 s7, v54, 31
	s_and_b64 s[6:7], s[4:5], s[6:7]
	s_mov_b64 exec, s[6:7]
	s_cbranch_execz .LBB183_289
; %bb.288:                              ;   in Loop: Header=BB183_12 Depth=1
	v_mov_b32_e32 v20, v21
	ds_write_b64 v40, v[20:21]
.LBB183_289:                            ;   in Loop: Header=BB183_12 Depth=1
	s_or_b64 exec, exec, s[4:5]
	v_or_b32_e32 v25, s19, v25
	v_or_b32_e32 v24, s18, v24
	;; [unrolled: 1-line block ×4, first 2 shown]
	s_cmp_eq_u64 s[2:3], 0
	s_waitcnt lgkmcnt(0)
	s_barrier
	s_cbranch_scc1 .LBB183_301
; %bb.290:                              ;   in Loop: Header=BB183_12 Depth=1
	v_readlane_b32 s4, v54, 34
	s_add_u32 s12, s4, s2
	v_readlane_b32 s4, v54, 36
	s_addc_u32 s5, s4, s3
	s_mov_b32 s4, s85
	s_cmp_lg_u64 s[4:5], 0
	s_cbranch_scc0 .LBB183_345
; %bb.291:                              ;   in Loop: Header=BB183_12 Depth=1
	v_cvt_f32_u32_e32 v2, s87
	s_sub_u32 s4, 0, s87
	s_subb_u32 s6, 0, 0
	v_mac_f32_e32 v2, 0, v43
	v_rcp_f32_e32 v2, v2
	v_mul_f32_e32 v2, 0x5f7ffffc, v2
	v_mul_f32_e32 v4, 0x2f800000, v2
	v_trunc_f32_e32 v4, v4
	v_mac_f32_e32 v2, 0xcf800000, v4
	v_cvt_u32_f32_e32 v4, v4
	v_cvt_u32_f32_e32 v2, v2
	v_readfirstlane_b32 s7, v4
	v_readfirstlane_b32 s13, v2
	s_mul_i32 s14, s4, s7
	s_mul_hi_u32 s24, s4, s13
	s_mul_i32 s15, s6, s13
	s_add_i32 s14, s24, s14
	s_mul_i32 s25, s4, s13
	s_add_i32 s14, s14, s15
	s_mul_hi_u32 s24, s13, s25
	s_mul_hi_u32 s15, s13, s14
	s_mul_i32 s13, s13, s14
	s_add_u32 s13, s24, s13
	s_addc_u32 s15, 0, s15
	s_mul_hi_u32 s38, s7, s25
	s_mul_i32 s25, s7, s25
	s_add_u32 s13, s13, s25
	s_mul_hi_u32 s24, s7, s14
	s_addc_u32 s13, s15, s38
	s_addc_u32 s15, s24, 0
	s_mul_i32 s14, s7, s14
	s_add_u32 s13, s13, s14
	s_addc_u32 s14, 0, s15
	v_add_co_u32_e32 v2, vcc, s13, v2
	s_cmp_lg_u64 vcc, 0
	s_addc_u32 s7, s7, s14
	v_readfirstlane_b32 s14, v2
	s_mul_i32 s13, s4, s7
	s_mul_hi_u32 s15, s4, s14
	s_add_i32 s13, s15, s13
	s_mul_i32 s6, s6, s14
	s_add_i32 s13, s13, s6
	s_mul_i32 s4, s4, s14
	s_mul_hi_u32 s15, s7, s4
	s_mul_i32 s24, s7, s4
	s_mul_i32 s38, s14, s13
	s_mul_hi_u32 s4, s14, s4
	s_mul_hi_u32 s25, s14, s13
	s_add_u32 s4, s4, s38
	s_addc_u32 s14, 0, s25
	s_add_u32 s4, s4, s24
	s_mul_hi_u32 s6, s7, s13
	s_addc_u32 s4, s14, s15
	s_addc_u32 s6, s6, 0
	s_mul_i32 s13, s7, s13
	s_add_u32 s4, s4, s13
	s_addc_u32 s6, 0, s6
	v_add_co_u32_e32 v2, vcc, s4, v2
	s_cmp_lg_u64 vcc, 0
	s_addc_u32 s4, s7, s6
	v_readfirstlane_b32 s13, v2
	s_mul_i32 s7, s12, s4
	s_mul_hi_u32 s14, s12, s13
	s_mul_hi_u32 s6, s12, s4
	s_add_u32 s7, s14, s7
	s_addc_u32 s6, 0, s6
	s_mul_hi_u32 s15, s5, s13
	s_mul_i32 s13, s5, s13
	s_add_u32 s7, s7, s13
	s_mul_hi_u32 s14, s5, s4
	s_addc_u32 s6, s6, s15
	s_addc_u32 s7, s14, 0
	s_mul_i32 s4, s5, s4
	s_add_u32 s4, s6, s4
	s_addc_u32 s6, 0, s7
	s_mul_hi_u32 s7, s87, s4
	s_mul_i32 s4, s87, s4
	s_mul_i32 s6, s87, s6
	v_mov_b32_e32 v2, s4
	s_add_i32 s7, s7, s6
	v_sub_co_u32_e32 v2, vcc, s12, v2
	s_cmp_lg_u64 vcc, 0
	s_subb_u32 s4, s5, s7
	v_subrev_co_u32_e32 v4, vcc, s87, v2
	s_cmp_lg_u64 vcc, 0
	s_subb_u32 s6, s4, 0
	v_subrev_co_u32_e32 v5, vcc, s87, v4
	s_cmp_lg_u64 vcc, 0
	s_subb_u32 s7, s6, 0
	v_cmp_le_u32_e32 vcc, s87, v4
	s_cmp_eq_u32 s6, 0
	v_cndmask_b32_e64 v6, 0, -1, vcc
	s_cselect_b64 vcc, -1, 0
	v_cndmask_b32_e32 v6, -1, v6, vcc
	v_mov_b32_e32 v7, s6
	v_mov_b32_e32 v8, s7
	v_cmp_ne_u32_e32 vcc, 0, v6
	v_cndmask_b32_e32 v6, v7, v8, vcc
	v_cndmask_b32_e32 v4, v4, v5, vcc
	v_cmp_le_u32_e32 vcc, s87, v2
	s_cmp_eq_u32 s4, 0
	v_cndmask_b32_e64 v5, 0, -1, vcc
	s_cselect_b64 vcc, -1, 0
	v_cndmask_b32_e32 v5, -1, v5, vcc
	v_mov_b32_e32 v7, s4
	v_cmp_ne_u32_e32 vcc, 0, v5
	v_cndmask_b32_e32 v5, v7, v6, vcc
	v_cndmask_b32_e32 v4, v2, v4, vcc
	s_cbranch_execnz .LBB183_293
.LBB183_292:                            ;   in Loop: Header=BB183_12 Depth=1
	v_cvt_f32_u32_e32 v2, s87
	s_sub_i32 s4, 0, s87
	v_rcp_iflag_f32_e32 v2, v2
	v_mul_f32_e32 v2, 0x4f7ffffe, v2
	v_cvt_u32_f32_e32 v2, v2
	v_mul_lo_u32 v4, s4, v2
	v_mul_hi_u32 v4, v2, v4
	v_add_u32_e32 v2, v2, v4
	v_mul_hi_u32 v2, s12, v2
	v_mul_lo_u32 v2, v2, s87
	v_sub_u32_e32 v2, s12, v2
	v_subrev_u32_e32 v4, s87, v2
	v_cmp_le_u32_e32 vcc, s87, v2
	v_cndmask_b32_e32 v2, v2, v4, vcc
	v_subrev_u32_e32 v4, s87, v2
	v_cmp_le_u32_e32 vcc, s87, v2
	v_cndmask_b32_e32 v20, v2, v4, vcc
	v_pk_mov_b32 v[4:5], v[20:21], v[20:21] op_sel:[0,1]
.LBB183_293:                            ;   in Loop: Header=BB183_12 Depth=1
	v_mov_b32_e32 v2, s5
	v_sub_co_u32_e32 v8, vcc, s12, v4
	v_subb_co_u32_e32 v9, vcc, v2, v5, vcc
	v_cmp_gt_u64_e32 vcc, v[8:9], v[0:1]
	s_mov_b64 s[6:7], 0
                                        ; implicit-def: $vgpr6_vgpr7
	s_and_saveexec_b64 s[4:5], vcc
	s_cbranch_execz .LBB183_303
; %bb.294:                              ;   in Loop: Header=BB183_12 Depth=1
	s_mov_b64 s[14:15], 0
	v_mov_b32_e32 v12, v39
	v_pk_mov_b32 v[10:11], v[0:1], v[0:1] op_sel:[0,1]
                                        ; implicit-def: $sgpr12_sgpr13
	s_branch .LBB183_296
.LBB183_295:                            ;   in Loop: Header=BB183_296 Depth=2
	s_or_b64 exec, exec, s[6:7]
	s_waitcnt lgkmcnt(0)
	s_barrier
	ds_read_b128 v[4:7], v21 offset:3072
	v_mov_b32_e32 v2, s88
	v_add_co_u32_e64 v10, s[6:7], s87, v10
	v_addc_co_u32_e64 v11, s[6:7], v11, v2, s[6:7]
	s_waitcnt lgkmcnt(0)
	v_cmp_neq_f64_e32 vcc, 0, v[4:5]
	v_cmp_ge_u64_e64 s[6:7], v[10:11], v[8:9]
	s_or_b64 s[6:7], s[6:7], vcc
	s_and_b64 s[6:7], exec, s[6:7]
	s_or_b64 s[14:15], s[6:7], s[14:15]
	s_andn2_b64 s[6:7], s[12:13], exec
	s_and_b64 s[12:13], vcc, exec
	v_add_u32_e32 v12, s95, v12
	s_or_b64 s[12:13], s[6:7], s[12:13]
	s_barrier
	s_andn2_b64 exec, exec, s[14:15]
	s_cbranch_execz .LBB183_302
.LBB183_296:                            ;   Parent Loop BB183_12 Depth=1
                                        ; =>  This Inner Loop Header: Depth=2
	v_cmp_gt_u64_e32 vcc, s[2:3], v[10:11]
	v_pk_mov_b32 v[4:5], 0, 0
	s_and_saveexec_b64 s[6:7], vcc
	s_cbranch_execz .LBB183_298
; %bb.297:                              ;   in Loop: Header=BB183_296 Depth=2
	ds_read_b64 v[4:5], v12
.LBB183_298:                            ;   in Loop: Header=BB183_296 Depth=2
	s_or_b64 exec, exec, s[6:7]
	s_and_saveexec_b64 s[6:7], vcc
	s_cbranch_execz .LBB183_295
; %bb.299:                              ;   in Loop: Header=BB183_296 Depth=2
	s_waitcnt lgkmcnt(0)
	v_ashrrev_i32_e32 v2, 31, v5
	v_or_b32_e32 v6, 0x80000000, v2
	v_xor_b32_e32 v6, v6, v5
	v_xor_b32_e32 v2, v2, v4
	v_cmp_o_f64_e32 vcc, v[4:5], v[4:5]
	v_cndmask_b32_e32 v6, -1, v6, vcc
	v_cndmask_b32_e32 v2, -1, v2, vcc
	v_and_b32_e32 v7, v6, v27
	v_and_b32_e32 v6, v2, v26
	v_cmp_eq_u64_e32 vcc, v[6:7], v[24:25]
	s_and_b64 exec, exec, vcc
	s_cbranch_execz .LBB183_295
; %bb.300:                              ;   in Loop: Header=BB183_296 Depth=2
	v_mov_b32_e32 v2, v21
	ds_write_b128 v21, v[2:5] offset:3072
	s_branch .LBB183_295
.LBB183_301:                            ;   in Loop: Header=BB183_12 Depth=1
	s_mov_b64 s[14:15], -1
	s_mov_b64 s[6:7], 0
                                        ; implicit-def: $sgpr42_sgpr43
                                        ; implicit-def: $vgpr6_vgpr7
	s_mov_b64 s[24:25], s[14:15]
	s_cbranch_execnz .LBB183_304
	s_branch .LBB183_317
.LBB183_302:                            ;   in Loop: Header=BB183_12 Depth=1
	s_or_b64 exec, exec, s[14:15]
	s_and_b64 s[6:7], s[12:13], exec
.LBB183_303:                            ;   in Loop: Header=BB183_12 Depth=1
	s_or_b64 exec, exec, s[4:5]
	s_mov_b64 s[14:15], 0
	s_mov_b64 s[42:43], -1
	s_mov_b64 s[24:25], s[14:15]
	s_branch .LBB183_317
.LBB183_304:                            ;   in Loop: Header=BB183_12 Depth=1
	s_mov_b32 s92, s85
	s_cmp_lg_u64 s[92:93], 0
	s_cbranch_scc0 .LBB183_346
; %bb.305:                              ;   in Loop: Header=BB183_12 Depth=1
	v_cvt_f32_u32_e32 v2, s87
	s_sub_u32 s2, 0, s87
	s_subb_u32 s3, 0, 0
	v_mac_f32_e32 v2, 0, v43
	v_rcp_f32_e32 v2, v2
	v_mul_f32_e32 v2, 0x5f7ffffc, v2
	v_mul_f32_e32 v4, 0x2f800000, v2
	v_trunc_f32_e32 v4, v4
	v_mac_f32_e32 v2, 0xcf800000, v4
	v_cvt_u32_f32_e32 v4, v4
	v_cvt_u32_f32_e32 v2, v2
	v_readfirstlane_b32 s4, v4
	v_readfirstlane_b32 s5, v2
	s_mul_i32 s6, s2, s4
	s_mul_hi_u32 s12, s2, s5
	s_mul_i32 s7, s3, s5
	s_add_i32 s6, s12, s6
	s_mul_i32 s13, s2, s5
	s_add_i32 s6, s6, s7
	s_mul_hi_u32 s12, s5, s13
	s_mul_hi_u32 s7, s5, s6
	s_mul_i32 s5, s5, s6
	s_add_u32 s5, s12, s5
	s_addc_u32 s7, 0, s7
	s_mul_hi_u32 s14, s4, s13
	s_mul_i32 s13, s4, s13
	s_add_u32 s5, s5, s13
	s_mul_hi_u32 s12, s4, s6
	s_addc_u32 s5, s7, s14
	s_addc_u32 s7, s12, 0
	s_mul_i32 s6, s4, s6
	s_add_u32 s5, s5, s6
	s_addc_u32 s6, 0, s7
	v_add_co_u32_e32 v2, vcc, s5, v2
	s_cmp_lg_u64 vcc, 0
	s_addc_u32 s4, s4, s6
	v_readfirstlane_b32 s6, v2
	s_mul_i32 s5, s2, s4
	s_mul_hi_u32 s7, s2, s6
	s_add_i32 s5, s7, s5
	s_mul_i32 s3, s3, s6
	s_add_i32 s5, s5, s3
	s_mul_i32 s2, s2, s6
	s_mul_hi_u32 s7, s4, s2
	s_mul_i32 s12, s4, s2
	s_mul_i32 s14, s6, s5
	s_mul_hi_u32 s2, s6, s2
	s_mul_hi_u32 s13, s6, s5
	s_add_u32 s2, s2, s14
	s_addc_u32 s6, 0, s13
	s_add_u32 s2, s2, s12
	s_mul_hi_u32 s3, s4, s5
	s_addc_u32 s2, s6, s7
	s_addc_u32 s3, s3, 0
	s_mul_i32 s5, s4, s5
	s_add_u32 s2, s2, s5
	s_addc_u32 s3, 0, s3
	v_add_co_u32_e32 v2, vcc, s2, v2
	s_cmp_lg_u64 vcc, 0
	s_addc_u32 s2, s4, s3
	v_readlane_b32 s12, v54, 35
	v_readfirstlane_b32 s5, v2
	s_mul_i32 s4, s12, s2
	s_mul_hi_u32 s6, s12, s5
	s_mul_hi_u32 s3, s12, s2
	s_add_u32 s4, s6, s4
	s_addc_u32 s3, 0, s3
	s_mul_hi_u32 s7, s93, s5
	s_mul_i32 s5, s93, s5
	s_add_u32 s4, s4, s5
	s_mul_hi_u32 s6, s93, s2
	s_addc_u32 s3, s3, s7
	s_addc_u32 s4, s6, 0
	s_mul_i32 s2, s93, s2
	s_add_u32 s2, s3, s2
	s_addc_u32 s3, 0, s4
	s_mul_hi_u32 s4, s87, s2
	s_mul_i32 s2, s87, s2
	s_mul_i32 s3, s87, s3
	v_mov_b32_e32 v2, s2
	s_add_i32 s4, s4, s3
	v_sub_co_u32_e32 v2, vcc, s12, v2
	s_cmp_lg_u64 vcc, 0
	s_subb_u32 s2, s93, s4
	v_subrev_co_u32_e32 v4, vcc, s87, v2
	s_cmp_lg_u64 vcc, 0
	s_subb_u32 s3, s2, 0
	v_subrev_co_u32_e32 v5, vcc, s87, v4
	s_cmp_lg_u64 vcc, 0
	s_subb_u32 s4, s3, 0
	v_cmp_le_u32_e32 vcc, s87, v4
	s_cmp_eq_u32 s3, 0
	v_cndmask_b32_e64 v6, 0, -1, vcc
	s_cselect_b64 vcc, -1, 0
	v_cndmask_b32_e32 v6, -1, v6, vcc
	v_mov_b32_e32 v7, s3
	v_mov_b32_e32 v8, s4
	v_cmp_ne_u32_e32 vcc, 0, v6
	v_cndmask_b32_e32 v6, v7, v8, vcc
	v_cndmask_b32_e32 v4, v4, v5, vcc
	v_cmp_le_u32_e32 vcc, s87, v2
	s_cmp_eq_u32 s2, 0
	v_cndmask_b32_e64 v5, 0, -1, vcc
	s_cselect_b64 vcc, -1, 0
	v_cndmask_b32_e32 v5, -1, v5, vcc
	v_mov_b32_e32 v7, s2
	v_cmp_ne_u32_e32 vcc, 0, v5
	v_cndmask_b32_e32 v5, v7, v6, vcc
	v_cndmask_b32_e32 v4, v2, v4, vcc
	s_cbranch_execnz .LBB183_307
.LBB183_306:                            ;   in Loop: Header=BB183_12 Depth=1
	v_cvt_f32_u32_e32 v2, s87
	s_sub_i32 s2, 0, s87
	v_rcp_iflag_f32_e32 v2, v2
	v_mul_f32_e32 v2, 0x4f7ffffe, v2
	v_cvt_u32_f32_e32 v2, v2
	v_mul_lo_u32 v4, s2, v2
	v_mul_hi_u32 v4, v2, v4
	v_add_u32_e32 v2, v2, v4
	v_readlane_b32 s2, v54, 35
	v_mul_hi_u32 v2, s2, v2
	v_mul_lo_u32 v2, v2, s87
	v_sub_u32_e32 v2, s2, v2
	v_subrev_u32_e32 v4, s87, v2
	v_cmp_le_u32_e32 vcc, s87, v2
	v_cndmask_b32_e32 v2, v2, v4, vcc
	v_subrev_u32_e32 v4, s87, v2
	v_cmp_le_u32_e32 vcc, s87, v2
	v_cndmask_b32_e32 v20, v2, v4, vcc
	v_pk_mov_b32 v[4:5], v[20:21], v[20:21] op_sel:[0,1]
.LBB183_307:                            ;   in Loop: Header=BB183_12 Depth=1
	v_readlane_b32 s2, v54, 35
	v_mov_b32_e32 v2, s93
	v_sub_co_u32_e32 v8, vcc, s2, v4
	v_subb_co_u32_e32 v9, vcc, v2, v5, vcc
	v_cmp_gt_u64_e32 vcc, v[8:9], v[0:1]
	s_mov_b64 s[6:7], 0
                                        ; implicit-def: $vgpr6_vgpr7
	s_and_saveexec_b64 s[2:3], vcc
	s_cbranch_execz .LBB183_316
; %bb.308:                              ;   in Loop: Header=BB183_12 Depth=1
	s_mov_b64 s[12:13], 0
	v_pk_mov_b32 v[10:11], v[0:1], v[0:1] op_sel:[0,1]
                                        ; implicit-def: $sgpr4_sgpr5
	s_branch .LBB183_310
.LBB183_309:                            ;   in Loop: Header=BB183_310 Depth=2
	s_or_b64 exec, exec, s[6:7]
	s_waitcnt lgkmcnt(0)
	s_barrier
	s_waitcnt vmcnt(0)
	ds_read_b128 v[4:7], v21 offset:3072
	v_mov_b32_e32 v2, s88
	v_add_co_u32_e64 v10, s[6:7], s87, v10
	v_addc_co_u32_e64 v11, s[6:7], v11, v2, s[6:7]
	s_waitcnt lgkmcnt(0)
	v_cmp_neq_f64_e32 vcc, 0, v[4:5]
	v_cmp_ge_u64_e64 s[6:7], v[10:11], v[8:9]
	s_or_b64 s[6:7], s[6:7], vcc
	s_and_b64 s[6:7], exec, s[6:7]
	s_or_b64 s[12:13], s[6:7], s[12:13]
	s_andn2_b64 s[4:5], s[4:5], exec
	s_and_b64 s[6:7], vcc, exec
	s_or_b64 s[4:5], s[4:5], s[6:7]
	s_barrier
	s_andn2_b64 exec, exec, s[12:13]
	s_cbranch_execz .LBB183_315
.LBB183_310:                            ;   Parent Loop BB183_12 Depth=1
                                        ; =>  This Inner Loop Header: Depth=2
	v_cmp_gt_u64_e32 vcc, s[60:61], v[10:11]
	v_pk_mov_b32 v[4:5], 0, 0
	s_and_saveexec_b64 s[14:15], vcc
	s_cbranch_execz .LBB183_312
; %bb.311:                              ;   in Loop: Header=BB183_310 Depth=2
	v_mul_lo_u32 v2, v11, s58
	v_mul_lo_u32 v6, v10, s59
	v_mad_u64_u32 v[4:5], s[6:7], v10, s58, 0
	v_add3_u32 v5, v5, v6, v2
	v_lshlrev_b64 v[4:5], 3, v[4:5]
	v_mov_b32_e32 v2, s86
	v_add_co_u32_e64 v4, s[6:7], s33, v4
	v_addc_co_u32_e64 v5, s[6:7], v2, v5, s[6:7]
	global_load_dwordx2 v[4:5], v[4:5], off
.LBB183_312:                            ;   in Loop: Header=BB183_310 Depth=2
	s_or_b64 exec, exec, s[14:15]
	s_and_saveexec_b64 s[6:7], vcc
	s_cbranch_execz .LBB183_309
; %bb.313:                              ;   in Loop: Header=BB183_310 Depth=2
	s_waitcnt vmcnt(0)
	v_ashrrev_i32_e32 v2, 31, v5
	v_or_b32_e32 v6, 0x80000000, v2
	v_xor_b32_e32 v6, v6, v5
	v_xor_b32_e32 v2, v2, v4
	v_cmp_o_f64_e32 vcc, v[4:5], v[4:5]
	v_cndmask_b32_e32 v6, -1, v6, vcc
	v_cndmask_b32_e32 v2, -1, v2, vcc
	v_and_b32_e32 v7, v6, v27
	v_and_b32_e32 v6, v2, v26
	v_cmp_eq_u64_e32 vcc, v[6:7], v[24:25]
	s_and_b64 exec, exec, vcc
	s_cbranch_execz .LBB183_309
; %bb.314:                              ;   in Loop: Header=BB183_310 Depth=2
	v_mov_b32_e32 v2, v21
	ds_write_b128 v21, v[2:5] offset:3072
	s_branch .LBB183_309
.LBB183_315:                            ;   in Loop: Header=BB183_12 Depth=1
	s_or_b64 exec, exec, s[12:13]
	s_and_b64 s[6:7], s[4:5], exec
.LBB183_316:                            ;   in Loop: Header=BB183_12 Depth=1
	s_or_b64 exec, exec, s[2:3]
	s_mov_b64 s[42:43], 0
	s_mov_b64 s[14:15], -1
	s_mov_b64 s[24:25], 0
.LBB183_317:                            ;   in Loop: Header=BB183_12 Depth=1
	s_orn2_b64 s[2:3], s[6:7], exec
.LBB183_318:                            ;   in Loop: Header=BB183_12 Depth=1
	s_or_b64 exec, exec, s[10:11]
                                        ; implicit-def: $vgpr2
                                        ; implicit-def: $vgpr30_vgpr31
                                        ; implicit-def: $vgpr12_vgpr13
                                        ; implicit-def: $vgpr14_vgpr15
                                        ; implicit-def: $vgpr10_vgpr11
	s_and_saveexec_b64 s[38:39], s[2:3]
	s_cbranch_execz .LBB183_481
; %bb.319:                              ;   in Loop: Header=BB183_12 Depth=1
	s_waitcnt vmcnt(0)
	v_mov_b32_e32 v30, 1
	s_xor_b64 s[4:5], s[8:9], -1
	s_mov_b64 s[6:7], 0
	v_mov_b32_e32 v31, 0
	v_mov_b32_e32 v2, 1
	s_and_saveexec_b64 s[2:3], s[4:5]
	s_cbranch_execz .LBB183_329
; %bb.320:                              ;   in Loop: Header=BB183_12 Depth=1
	v_cmp_ge_u64_e32 vcc, s[28:29], v[28:29]
                                        ; implicit-def: $sgpr8
                                        ; implicit-def: $sgpr4_sgpr5
	s_and_saveexec_b64 s[6:7], vcc
	s_xor_b64 s[6:7], exec, s[6:7]
	s_cbranch_execz .LBB183_326
; %bb.321:                              ;   in Loop: Header=BB183_12 Depth=1
	ds_read_b64 v[4:5], v21 offset:5120
	s_waitcnt lgkmcnt(0)
	v_cmp_ne_u64_e32 vcc, 0, v[4:5]
	s_cbranch_vccnz .LBB183_325
; %bb.322:                              ;   in Loop: Header=BB183_12 Depth=1
	s_mov_b64 s[4:5], exec
	v_readlane_b32 s8, v54, 12
	v_readlane_b32 s9, v54, 13
	s_and_b64 s[8:9], s[4:5], s[8:9]
	s_mov_b64 exec, s[8:9]
	s_cbranch_execz .LBB183_324
; %bb.323:                              ;   in Loop: Header=BB183_12 Depth=1
	v_pk_mov_b32 v[4:5], s[28:29], s[28:29] op_sel:[0,1]
	ds_write_b64 v21, v[4:5] offset:5128
.LBB183_324:                            ;   in Loop: Header=BB183_12 Depth=1
	s_or_b64 exec, exec, s[4:5]
	s_waitcnt lgkmcnt(0)
	s_barrier
.LBB183_325:                            ;   in Loop: Header=BB183_12 Depth=1
	v_or_b32_e32 v25, s19, v25
	v_or_b32_e32 v24, s18, v24
	;; [unrolled: 1-line block ×4, first 2 shown]
	s_mov_b64 s[4:5], 0
	s_mov_b32 s8, 5
.LBB183_326:                            ;   in Loop: Header=BB183_12 Depth=1
	s_or_saveexec_b64 s[6:7], s[6:7]
	v_mov_b32_e32 v2, s8
	s_xor_b64 exec, exec, s[6:7]
; %bb.327:                              ;   in Loop: Header=BB183_12 Depth=1
	v_mov_b32_e32 v2, s29
	v_subrev_co_u32_e32 v28, vcc, s28, v28
	v_subb_co_u32_e32 v29, vcc, v29, v2, vcc
	v_mov_b32_e32 v2, 0
	s_or_b64 s[4:5], s[4:5], exec
; %bb.328:                              ;   in Loop: Header=BB183_12 Depth=1
	s_or_b64 exec, exec, s[6:7]
	s_and_b64 s[6:7], s[4:5], exec
	v_pk_mov_b32 v[30:31], v[28:29], v[28:29] op_sel:[0,1]
.LBB183_329:                            ;   in Loop: Header=BB183_12 Depth=1
	s_or_b64 exec, exec, s[2:3]
	s_mov_b64 s[12:13], -1
                                        ; implicit-def: $sgpr2_sgpr3
                                        ; implicit-def: $sgpr4_sgpr5
                                        ; implicit-def: $sgpr8_sgpr9
	s_and_saveexec_b64 s[10:11], s[6:7]
	s_xor_b64 s[28:29], exec, s[10:11]
	s_cbranch_execz .LBB183_478
; %bb.330:                              ;   in Loop: Header=BB183_12 Depth=1
	s_cmp_eq_u64 s[26:27], 1
	s_cselect_b64 s[2:3], -1, 0
	v_cmp_eq_u64_e32 vcc, 1, v[30:31]
	s_and_b64 s[8:9], s[2:3], vcc
	s_mov_b64 s[2:3], -1
                                        ; implicit-def: $sgpr40_sgpr41
                                        ; implicit-def: $sgpr44_sgpr45
                                        ; implicit-def: $sgpr46_sgpr47
	s_and_saveexec_b64 s[10:11], s[8:9]
	s_cbranch_execz .LBB183_364
; %bb.331:                              ;   in Loop: Header=BB183_12 Depth=1
	ds_read_b64 v[4:5], v21 offset:5120
	s_waitcnt lgkmcnt(0)
	s_barrier
	v_readfirstlane_b32 s2, v4
	v_readfirstlane_b32 s3, v5
	s_mov_b64 s[4:5], exec
	v_readlane_b32 s6, v54, 30
	v_readlane_b32 s7, v54, 31
	s_and_b64 s[6:7], s[4:5], s[6:7]
	s_mov_b64 exec, s[6:7]
	s_cbranch_execz .LBB183_333
; %bb.332:                              ;   in Loop: Header=BB183_12 Depth=1
	v_mov_b32_e32 v20, v21
	ds_write_b64 v40, v[20:21]
.LBB183_333:                            ;   in Loop: Header=BB183_12 Depth=1
	s_or_b64 exec, exec, s[4:5]
	s_lshl_b64 s[4:5], 2, s84
	v_and_b32_e32 v2, s21, v25
	v_and_b32_e32 v4, s20, v24
	v_or_b32_e32 v25, s5, v2
	v_or_b32_e32 v24, s4, v4
	;; [unrolled: 1-line block ×4, first 2 shown]
	s_cmp_eq_u64 s[2:3], 0
	s_waitcnt lgkmcnt(0)
	s_barrier
	s_cbranch_scc1 .LBB183_347
; %bb.334:                              ;   in Loop: Header=BB183_12 Depth=1
	v_readlane_b32 s4, v54, 34
	s_add_u32 s12, s4, s2
	v_readlane_b32 s4, v54, 36
	s_addc_u32 s5, s4, s3
	s_mov_b32 s4, s85
	s_cmp_lg_u64 s[4:5], 0
	s_cbranch_scc0 .LBB183_391
; %bb.335:                              ;   in Loop: Header=BB183_12 Depth=1
	v_cvt_f32_u32_e32 v2, s87
	s_sub_u32 s4, 0, s87
	s_subb_u32 s6, 0, 0
	v_mac_f32_e32 v2, 0, v43
	v_rcp_f32_e32 v2, v2
	v_mul_f32_e32 v2, 0x5f7ffffc, v2
	v_mul_f32_e32 v4, 0x2f800000, v2
	v_trunc_f32_e32 v4, v4
	v_mac_f32_e32 v2, 0xcf800000, v4
	v_cvt_u32_f32_e32 v4, v4
	v_cvt_u32_f32_e32 v2, v2
	v_readfirstlane_b32 s7, v4
	v_readfirstlane_b32 s13, v2
	s_mul_i32 s40, s4, s7
	s_mul_hi_u32 s44, s4, s13
	s_mul_i32 s41, s6, s13
	s_add_i32 s40, s44, s40
	s_mul_i32 s45, s4, s13
	s_add_i32 s40, s40, s41
	s_mul_hi_u32 s44, s13, s45
	s_mul_hi_u32 s41, s13, s40
	s_mul_i32 s13, s13, s40
	s_add_u32 s13, s44, s13
	s_addc_u32 s41, 0, s41
	s_mul_hi_u32 s46, s7, s45
	s_mul_i32 s45, s7, s45
	s_add_u32 s13, s13, s45
	s_mul_hi_u32 s44, s7, s40
	s_addc_u32 s13, s41, s46
	s_addc_u32 s41, s44, 0
	s_mul_i32 s40, s7, s40
	s_add_u32 s13, s13, s40
	s_addc_u32 s40, 0, s41
	v_add_co_u32_e32 v2, vcc, s13, v2
	s_cmp_lg_u64 vcc, 0
	s_addc_u32 s7, s7, s40
	v_readfirstlane_b32 s40, v2
	s_mul_i32 s13, s4, s7
	s_mul_hi_u32 s41, s4, s40
	s_add_i32 s13, s41, s13
	s_mul_i32 s6, s6, s40
	s_add_i32 s13, s13, s6
	s_mul_i32 s4, s4, s40
	s_mul_hi_u32 s41, s7, s4
	s_mul_i32 s44, s7, s4
	s_mul_i32 s46, s40, s13
	s_mul_hi_u32 s4, s40, s4
	s_mul_hi_u32 s45, s40, s13
	s_add_u32 s4, s4, s46
	s_addc_u32 s40, 0, s45
	s_add_u32 s4, s4, s44
	s_mul_hi_u32 s6, s7, s13
	s_addc_u32 s4, s40, s41
	s_addc_u32 s6, s6, 0
	s_mul_i32 s13, s7, s13
	s_add_u32 s4, s4, s13
	s_addc_u32 s6, 0, s6
	v_add_co_u32_e32 v2, vcc, s4, v2
	s_cmp_lg_u64 vcc, 0
	s_addc_u32 s4, s7, s6
	v_readfirstlane_b32 s13, v2
	s_mul_i32 s7, s12, s4
	s_mul_hi_u32 s40, s12, s13
	s_mul_hi_u32 s6, s12, s4
	s_add_u32 s7, s40, s7
	s_addc_u32 s6, 0, s6
	s_mul_hi_u32 s41, s5, s13
	s_mul_i32 s13, s5, s13
	s_add_u32 s7, s7, s13
	s_mul_hi_u32 s40, s5, s4
	s_addc_u32 s6, s6, s41
	s_addc_u32 s7, s40, 0
	s_mul_i32 s4, s5, s4
	s_add_u32 s4, s6, s4
	s_addc_u32 s6, 0, s7
	s_mul_hi_u32 s7, s87, s4
	s_mul_i32 s4, s87, s4
	s_mul_i32 s6, s87, s6
	v_mov_b32_e32 v2, s4
	s_add_i32 s7, s7, s6
	v_sub_co_u32_e32 v2, vcc, s12, v2
	s_cmp_lg_u64 vcc, 0
	s_subb_u32 s4, s5, s7
	v_subrev_co_u32_e32 v4, vcc, s87, v2
	s_cmp_lg_u64 vcc, 0
	s_subb_u32 s6, s4, 0
	v_subrev_co_u32_e32 v5, vcc, s87, v4
	s_cmp_lg_u64 vcc, 0
	s_subb_u32 s7, s6, 0
	v_cmp_le_u32_e32 vcc, s87, v4
	s_cmp_eq_u32 s6, 0
	v_cndmask_b32_e64 v6, 0, -1, vcc
	s_cselect_b64 vcc, -1, 0
	v_cndmask_b32_e32 v6, -1, v6, vcc
	v_mov_b32_e32 v7, s6
	v_mov_b32_e32 v8, s7
	v_cmp_ne_u32_e32 vcc, 0, v6
	v_cndmask_b32_e32 v6, v7, v8, vcc
	v_cndmask_b32_e32 v4, v4, v5, vcc
	v_cmp_le_u32_e32 vcc, s87, v2
	s_cmp_eq_u32 s4, 0
	v_cndmask_b32_e64 v5, 0, -1, vcc
	s_cselect_b64 vcc, -1, 0
	v_cndmask_b32_e32 v5, -1, v5, vcc
	v_mov_b32_e32 v7, s4
	v_cmp_ne_u32_e32 vcc, 0, v5
	v_cndmask_b32_e32 v5, v7, v6, vcc
	v_cndmask_b32_e32 v4, v2, v4, vcc
	s_cbranch_execnz .LBB183_337
.LBB183_336:                            ;   in Loop: Header=BB183_12 Depth=1
	v_cvt_f32_u32_e32 v2, s87
	s_sub_i32 s4, 0, s87
	v_rcp_iflag_f32_e32 v2, v2
	v_mul_f32_e32 v2, 0x4f7ffffe, v2
	v_cvt_u32_f32_e32 v2, v2
	v_mul_lo_u32 v4, s4, v2
	v_mul_hi_u32 v4, v2, v4
	v_add_u32_e32 v2, v2, v4
	v_mul_hi_u32 v2, s12, v2
	v_mul_lo_u32 v2, v2, s87
	v_sub_u32_e32 v2, s12, v2
	v_subrev_u32_e32 v4, s87, v2
	v_cmp_le_u32_e32 vcc, s87, v2
	v_cndmask_b32_e32 v2, v2, v4, vcc
	v_subrev_u32_e32 v4, s87, v2
	v_cmp_le_u32_e32 vcc, s87, v2
	v_cndmask_b32_e32 v20, v2, v4, vcc
	v_pk_mov_b32 v[4:5], v[20:21], v[20:21] op_sel:[0,1]
.LBB183_337:                            ;   in Loop: Header=BB183_12 Depth=1
	v_mov_b32_e32 v2, s5
	v_sub_co_u32_e32 v8, vcc, s12, v4
	v_subb_co_u32_e32 v9, vcc, v2, v5, vcc
	v_cmp_gt_u64_e32 vcc, v[8:9], v[0:1]
	s_mov_b64 s[6:7], 0
                                        ; implicit-def: $vgpr6_vgpr7
	s_and_saveexec_b64 s[4:5], vcc
	s_cbranch_execz .LBB183_349
; %bb.338:                              ;   in Loop: Header=BB183_12 Depth=1
	s_mov_b64 s[40:41], 0
	v_mov_b32_e32 v12, v39
	v_pk_mov_b32 v[10:11], v[0:1], v[0:1] op_sel:[0,1]
                                        ; implicit-def: $sgpr12_sgpr13
	s_branch .LBB183_340
.LBB183_339:                            ;   in Loop: Header=BB183_340 Depth=2
	s_or_b64 exec, exec, s[6:7]
	s_waitcnt lgkmcnt(0)
	s_barrier
	ds_read_b128 v[4:7], v21 offset:3072
	v_mov_b32_e32 v2, s88
	v_add_co_u32_e64 v10, s[6:7], s87, v10
	v_addc_co_u32_e64 v11, s[6:7], v11, v2, s[6:7]
	s_waitcnt lgkmcnt(0)
	v_cmp_neq_f64_e32 vcc, 0, v[4:5]
	v_cmp_ge_u64_e64 s[6:7], v[10:11], v[8:9]
	s_or_b64 s[6:7], s[6:7], vcc
	s_and_b64 s[6:7], exec, s[6:7]
	s_or_b64 s[40:41], s[6:7], s[40:41]
	s_andn2_b64 s[6:7], s[12:13], exec
	s_and_b64 s[12:13], vcc, exec
	v_add_u32_e32 v12, s95, v12
	s_or_b64 s[12:13], s[6:7], s[12:13]
	s_barrier
	s_andn2_b64 exec, exec, s[40:41]
	s_cbranch_execz .LBB183_348
.LBB183_340:                            ;   Parent Loop BB183_12 Depth=1
                                        ; =>  This Inner Loop Header: Depth=2
	v_cmp_gt_u64_e32 vcc, s[2:3], v[10:11]
	v_pk_mov_b32 v[4:5], 0, 0
	s_and_saveexec_b64 s[6:7], vcc
	s_cbranch_execz .LBB183_342
; %bb.341:                              ;   in Loop: Header=BB183_340 Depth=2
	ds_read_b64 v[4:5], v12
.LBB183_342:                            ;   in Loop: Header=BB183_340 Depth=2
	s_or_b64 exec, exec, s[6:7]
	s_and_saveexec_b64 s[6:7], vcc
	s_cbranch_execz .LBB183_339
; %bb.343:                              ;   in Loop: Header=BB183_340 Depth=2
	s_waitcnt lgkmcnt(0)
	v_ashrrev_i32_e32 v2, 31, v5
	v_or_b32_e32 v6, 0x80000000, v2
	v_xor_b32_e32 v6, v6, v5
	v_xor_b32_e32 v2, v2, v4
	v_cmp_o_f64_e32 vcc, v[4:5], v[4:5]
	v_cndmask_b32_e32 v6, -1, v6, vcc
	v_cndmask_b32_e32 v2, -1, v2, vcc
	v_and_b32_e32 v7, v6, v27
	v_and_b32_e32 v6, v2, v26
	v_cmp_eq_u64_e32 vcc, v[6:7], v[24:25]
	s_and_b64 exec, exec, vcc
	s_cbranch_execz .LBB183_339
; %bb.344:                              ;   in Loop: Header=BB183_340 Depth=2
	v_mov_b32_e32 v2, v21
	ds_write_b128 v21, v[2:5] offset:3072
	s_branch .LBB183_339
.LBB183_345:                            ;   in Loop: Header=BB183_12 Depth=1
                                        ; implicit-def: $vgpr4_vgpr5
	s_branch .LBB183_292
.LBB183_346:                            ;   in Loop: Header=BB183_12 Depth=1
                                        ; implicit-def: $vgpr4_vgpr5
	s_branch .LBB183_306
.LBB183_347:                            ;   in Loop: Header=BB183_12 Depth=1
	s_mov_b64 s[40:41], -1
	s_mov_b64 s[6:7], 0
                                        ; implicit-def: $sgpr44_sgpr45
                                        ; implicit-def: $vgpr6_vgpr7
	s_mov_b64 s[46:47], s[40:41]
	s_cbranch_execnz .LBB183_350
	s_branch .LBB183_363
.LBB183_348:                            ;   in Loop: Header=BB183_12 Depth=1
	s_or_b64 exec, exec, s[40:41]
	s_and_b64 s[6:7], s[12:13], exec
.LBB183_349:                            ;   in Loop: Header=BB183_12 Depth=1
	s_or_b64 exec, exec, s[4:5]
	s_mov_b64 s[40:41], 0
	s_mov_b64 s[44:45], -1
	s_mov_b64 s[46:47], s[40:41]
	s_branch .LBB183_363
.LBB183_350:                            ;   in Loop: Header=BB183_12 Depth=1
	s_mov_b32 s92, s85
	s_cmp_lg_u64 s[92:93], 0
	s_cbranch_scc0 .LBB183_392
; %bb.351:                              ;   in Loop: Header=BB183_12 Depth=1
	v_cvt_f32_u32_e32 v2, s87
	s_sub_u32 s2, 0, s87
	s_subb_u32 s3, 0, 0
	v_mac_f32_e32 v2, 0, v43
	v_rcp_f32_e32 v2, v2
	v_mul_f32_e32 v2, 0x5f7ffffc, v2
	v_mul_f32_e32 v4, 0x2f800000, v2
	v_trunc_f32_e32 v4, v4
	v_mac_f32_e32 v2, 0xcf800000, v4
	v_cvt_u32_f32_e32 v4, v4
	v_cvt_u32_f32_e32 v2, v2
	v_readfirstlane_b32 s4, v4
	v_readfirstlane_b32 s5, v2
	s_mul_i32 s6, s2, s4
	s_mul_hi_u32 s12, s2, s5
	s_mul_i32 s7, s3, s5
	s_add_i32 s6, s12, s6
	s_mul_i32 s13, s2, s5
	s_add_i32 s6, s6, s7
	s_mul_hi_u32 s12, s5, s13
	s_mul_hi_u32 s7, s5, s6
	s_mul_i32 s5, s5, s6
	s_add_u32 s5, s12, s5
	s_addc_u32 s7, 0, s7
	s_mul_hi_u32 s40, s4, s13
	s_mul_i32 s13, s4, s13
	s_add_u32 s5, s5, s13
	s_mul_hi_u32 s12, s4, s6
	s_addc_u32 s5, s7, s40
	s_addc_u32 s7, s12, 0
	s_mul_i32 s6, s4, s6
	s_add_u32 s5, s5, s6
	s_addc_u32 s6, 0, s7
	v_add_co_u32_e32 v2, vcc, s5, v2
	s_cmp_lg_u64 vcc, 0
	s_addc_u32 s4, s4, s6
	v_readfirstlane_b32 s6, v2
	s_mul_i32 s5, s2, s4
	s_mul_hi_u32 s7, s2, s6
	s_add_i32 s5, s7, s5
	s_mul_i32 s3, s3, s6
	s_add_i32 s5, s5, s3
	s_mul_i32 s2, s2, s6
	s_mul_hi_u32 s7, s4, s2
	s_mul_i32 s12, s4, s2
	s_mul_i32 s40, s6, s5
	s_mul_hi_u32 s2, s6, s2
	s_mul_hi_u32 s13, s6, s5
	s_add_u32 s2, s2, s40
	s_addc_u32 s6, 0, s13
	s_add_u32 s2, s2, s12
	s_mul_hi_u32 s3, s4, s5
	s_addc_u32 s2, s6, s7
	s_addc_u32 s3, s3, 0
	s_mul_i32 s5, s4, s5
	s_add_u32 s2, s2, s5
	s_addc_u32 s3, 0, s3
	v_add_co_u32_e32 v2, vcc, s2, v2
	s_cmp_lg_u64 vcc, 0
	s_addc_u32 s2, s4, s3
	v_readlane_b32 s12, v54, 35
	v_readfirstlane_b32 s5, v2
	s_mul_i32 s4, s12, s2
	s_mul_hi_u32 s6, s12, s5
	s_mul_hi_u32 s3, s12, s2
	s_add_u32 s4, s6, s4
	s_addc_u32 s3, 0, s3
	s_mul_hi_u32 s7, s93, s5
	s_mul_i32 s5, s93, s5
	s_add_u32 s4, s4, s5
	s_mul_hi_u32 s6, s93, s2
	s_addc_u32 s3, s3, s7
	s_addc_u32 s4, s6, 0
	s_mul_i32 s2, s93, s2
	s_add_u32 s2, s3, s2
	s_addc_u32 s3, 0, s4
	s_mul_hi_u32 s4, s87, s2
	s_mul_i32 s2, s87, s2
	s_mul_i32 s3, s87, s3
	v_mov_b32_e32 v2, s2
	s_add_i32 s4, s4, s3
	v_sub_co_u32_e32 v2, vcc, s12, v2
	s_cmp_lg_u64 vcc, 0
	s_subb_u32 s2, s93, s4
	v_subrev_co_u32_e32 v4, vcc, s87, v2
	s_cmp_lg_u64 vcc, 0
	s_subb_u32 s3, s2, 0
	v_subrev_co_u32_e32 v5, vcc, s87, v4
	s_cmp_lg_u64 vcc, 0
	s_subb_u32 s4, s3, 0
	v_cmp_le_u32_e32 vcc, s87, v4
	s_cmp_eq_u32 s3, 0
	v_cndmask_b32_e64 v6, 0, -1, vcc
	s_cselect_b64 vcc, -1, 0
	v_cndmask_b32_e32 v6, -1, v6, vcc
	v_mov_b32_e32 v7, s3
	v_mov_b32_e32 v8, s4
	v_cmp_ne_u32_e32 vcc, 0, v6
	v_cndmask_b32_e32 v6, v7, v8, vcc
	v_cndmask_b32_e32 v4, v4, v5, vcc
	v_cmp_le_u32_e32 vcc, s87, v2
	s_cmp_eq_u32 s2, 0
	v_cndmask_b32_e64 v5, 0, -1, vcc
	s_cselect_b64 vcc, -1, 0
	v_cndmask_b32_e32 v5, -1, v5, vcc
	v_mov_b32_e32 v7, s2
	v_cmp_ne_u32_e32 vcc, 0, v5
	v_cndmask_b32_e32 v5, v7, v6, vcc
	v_cndmask_b32_e32 v4, v2, v4, vcc
	s_cbranch_execnz .LBB183_353
.LBB183_352:                            ;   in Loop: Header=BB183_12 Depth=1
	v_cvt_f32_u32_e32 v2, s87
	s_sub_i32 s2, 0, s87
	v_rcp_iflag_f32_e32 v2, v2
	v_mul_f32_e32 v2, 0x4f7ffffe, v2
	v_cvt_u32_f32_e32 v2, v2
	v_mul_lo_u32 v4, s2, v2
	v_mul_hi_u32 v4, v2, v4
	v_add_u32_e32 v2, v2, v4
	v_readlane_b32 s2, v54, 35
	v_mul_hi_u32 v2, s2, v2
	v_mul_lo_u32 v2, v2, s87
	v_sub_u32_e32 v2, s2, v2
	v_subrev_u32_e32 v4, s87, v2
	v_cmp_le_u32_e32 vcc, s87, v2
	v_cndmask_b32_e32 v2, v2, v4, vcc
	v_subrev_u32_e32 v4, s87, v2
	v_cmp_le_u32_e32 vcc, s87, v2
	v_cndmask_b32_e32 v20, v2, v4, vcc
	v_pk_mov_b32 v[4:5], v[20:21], v[20:21] op_sel:[0,1]
.LBB183_353:                            ;   in Loop: Header=BB183_12 Depth=1
	v_readlane_b32 s2, v54, 35
	v_mov_b32_e32 v2, s93
	v_sub_co_u32_e32 v8, vcc, s2, v4
	v_subb_co_u32_e32 v9, vcc, v2, v5, vcc
	v_cmp_gt_u64_e32 vcc, v[8:9], v[0:1]
	s_mov_b64 s[6:7], 0
                                        ; implicit-def: $vgpr6_vgpr7
	s_and_saveexec_b64 s[2:3], vcc
	s_cbranch_execz .LBB183_362
; %bb.354:                              ;   in Loop: Header=BB183_12 Depth=1
	s_mov_b64 s[12:13], 0
	v_pk_mov_b32 v[10:11], v[0:1], v[0:1] op_sel:[0,1]
                                        ; implicit-def: $sgpr4_sgpr5
	s_branch .LBB183_356
.LBB183_355:                            ;   in Loop: Header=BB183_356 Depth=2
	s_or_b64 exec, exec, s[6:7]
	s_waitcnt lgkmcnt(0)
	s_barrier
	s_waitcnt vmcnt(0)
	ds_read_b128 v[4:7], v21 offset:3072
	v_mov_b32_e32 v2, s88
	v_add_co_u32_e64 v10, s[6:7], s87, v10
	v_addc_co_u32_e64 v11, s[6:7], v11, v2, s[6:7]
	s_waitcnt lgkmcnt(0)
	v_cmp_neq_f64_e32 vcc, 0, v[4:5]
	v_cmp_ge_u64_e64 s[6:7], v[10:11], v[8:9]
	s_or_b64 s[6:7], s[6:7], vcc
	s_and_b64 s[6:7], exec, s[6:7]
	s_or_b64 s[12:13], s[6:7], s[12:13]
	s_andn2_b64 s[4:5], s[4:5], exec
	s_and_b64 s[6:7], vcc, exec
	s_or_b64 s[4:5], s[4:5], s[6:7]
	s_barrier
	s_andn2_b64 exec, exec, s[12:13]
	s_cbranch_execz .LBB183_361
.LBB183_356:                            ;   Parent Loop BB183_12 Depth=1
                                        ; =>  This Inner Loop Header: Depth=2
	v_cmp_gt_u64_e32 vcc, s[60:61], v[10:11]
	v_pk_mov_b32 v[4:5], 0, 0
	s_and_saveexec_b64 s[40:41], vcc
	s_cbranch_execz .LBB183_358
; %bb.357:                              ;   in Loop: Header=BB183_356 Depth=2
	v_mul_lo_u32 v2, v11, s58
	v_mul_lo_u32 v6, v10, s59
	v_mad_u64_u32 v[4:5], s[6:7], v10, s58, 0
	v_add3_u32 v5, v5, v6, v2
	v_lshlrev_b64 v[4:5], 3, v[4:5]
	v_mov_b32_e32 v2, s86
	v_add_co_u32_e64 v4, s[6:7], s33, v4
	v_addc_co_u32_e64 v5, s[6:7], v2, v5, s[6:7]
	global_load_dwordx2 v[4:5], v[4:5], off
.LBB183_358:                            ;   in Loop: Header=BB183_356 Depth=2
	s_or_b64 exec, exec, s[40:41]
	s_and_saveexec_b64 s[6:7], vcc
	s_cbranch_execz .LBB183_355
; %bb.359:                              ;   in Loop: Header=BB183_356 Depth=2
	s_waitcnt vmcnt(0)
	v_ashrrev_i32_e32 v2, 31, v5
	v_or_b32_e32 v6, 0x80000000, v2
	v_xor_b32_e32 v6, v6, v5
	v_xor_b32_e32 v2, v2, v4
	v_cmp_o_f64_e32 vcc, v[4:5], v[4:5]
	v_cndmask_b32_e32 v6, -1, v6, vcc
	v_cndmask_b32_e32 v2, -1, v2, vcc
	v_and_b32_e32 v7, v6, v27
	v_and_b32_e32 v6, v2, v26
	v_cmp_eq_u64_e32 vcc, v[6:7], v[24:25]
	s_and_b64 exec, exec, vcc
	s_cbranch_execz .LBB183_355
; %bb.360:                              ;   in Loop: Header=BB183_356 Depth=2
	v_mov_b32_e32 v2, v21
	ds_write_b128 v21, v[2:5] offset:3072
	s_branch .LBB183_355
.LBB183_361:                            ;   in Loop: Header=BB183_12 Depth=1
	s_or_b64 exec, exec, s[12:13]
	s_and_b64 s[6:7], s[4:5], exec
.LBB183_362:                            ;   in Loop: Header=BB183_12 Depth=1
	s_or_b64 exec, exec, s[2:3]
	s_mov_b64 s[44:45], 0
	s_mov_b64 s[40:41], -1
	s_mov_b64 s[46:47], 0
.LBB183_363:                            ;   in Loop: Header=BB183_12 Depth=1
	s_orn2_b64 s[2:3], s[6:7], exec
.LBB183_364:                            ;   in Loop: Header=BB183_12 Depth=1
	s_or_b64 exec, exec, s[10:11]
	s_mov_b64 s[6:7], 0
                                        ; implicit-def: $vgpr2
	s_and_saveexec_b64 s[48:49], s[2:3]
	s_cbranch_execz .LBB183_477
; %bb.365:                              ;   in Loop: Header=BB183_12 Depth=1
	v_mov_b32_e32 v8, 1
	s_xor_b64 s[4:5], s[8:9], -1
	s_mov_b64 s[10:11], 0
	v_mov_b32_e32 v9, 0
	v_mov_b32_e32 v2, 1
	s_and_saveexec_b64 s[2:3], s[4:5]
	s_cbranch_execz .LBB183_375
; %bb.366:                              ;   in Loop: Header=BB183_12 Depth=1
	v_cmp_ge_u64_e32 vcc, s[26:27], v[30:31]
                                        ; implicit-def: $sgpr8
                                        ; implicit-def: $sgpr4_sgpr5
	s_and_saveexec_b64 s[6:7], vcc
	s_xor_b64 s[6:7], exec, s[6:7]
	s_cbranch_execz .LBB183_372
; %bb.367:                              ;   in Loop: Header=BB183_12 Depth=1
	ds_read_b64 v[4:5], v21 offset:5120
	s_waitcnt lgkmcnt(0)
	v_cmp_ne_u64_e32 vcc, 0, v[4:5]
	s_cbranch_vccnz .LBB183_371
; %bb.368:                              ;   in Loop: Header=BB183_12 Depth=1
	s_mov_b64 s[4:5], exec
	v_readlane_b32 s8, v54, 12
	v_readlane_b32 s9, v54, 13
	s_and_b64 s[8:9], s[4:5], s[8:9]
	s_mov_b64 exec, s[8:9]
	s_cbranch_execz .LBB183_370
; %bb.369:                              ;   in Loop: Header=BB183_12 Depth=1
	v_pk_mov_b32 v[4:5], s[26:27], s[26:27] op_sel:[0,1]
	ds_write_b64 v21, v[4:5] offset:5128
.LBB183_370:                            ;   in Loop: Header=BB183_12 Depth=1
	s_or_b64 exec, exec, s[4:5]
	s_waitcnt lgkmcnt(0)
	s_barrier
.LBB183_371:                            ;   in Loop: Header=BB183_12 Depth=1
	s_lshl_b64 s[4:5], 2, s84
	v_and_b32_e32 v2, s21, v25
	v_and_b32_e32 v4, s20, v24
	v_or_b32_e32 v25, s5, v2
	v_or_b32_e32 v24, s4, v4
	;; [unrolled: 1-line block ×4, first 2 shown]
	s_mov_b64 s[4:5], 0
	s_mov_b32 s8, 5
.LBB183_372:                            ;   in Loop: Header=BB183_12 Depth=1
	s_or_saveexec_b64 s[6:7], s[6:7]
	v_mov_b32_e32 v2, s8
	s_xor_b64 exec, exec, s[6:7]
; %bb.373:                              ;   in Loop: Header=BB183_12 Depth=1
	v_mov_b32_e32 v2, s27
	v_subrev_co_u32_e32 v30, vcc, s26, v30
	v_subb_co_u32_e32 v31, vcc, v31, v2, vcc
	v_mov_b32_e32 v2, 0
	s_or_b64 s[4:5], s[4:5], exec
; %bb.374:                              ;   in Loop: Header=BB183_12 Depth=1
	s_or_b64 exec, exec, s[6:7]
	s_and_b64 s[10:11], s[4:5], exec
	v_pk_mov_b32 v[8:9], v[30:31], v[30:31] op_sel:[0,1]
.LBB183_375:                            ;   in Loop: Header=BB183_12 Depth=1
	s_or_b64 exec, exec, s[2:3]
	s_mov_b64 s[2:3], -1
                                        ; implicit-def: $sgpr4_sgpr5
                                        ; implicit-def: $sgpr6_sgpr7
                                        ; implicit-def: $sgpr8_sgpr9
	s_and_saveexec_b64 s[26:27], s[10:11]
	s_cbranch_execz .LBB183_476
; %bb.376:                              ;   in Loop: Header=BB183_12 Depth=1
	s_cmp_eq_u64 s[22:23], 1
	s_cselect_b64 s[2:3], -1, 0
	v_cmp_eq_u64_e32 vcc, 1, v[8:9]
	s_and_b64 s[54:55], s[2:3], vcc
	s_mov_b64 s[4:5], -1
                                        ; implicit-def: $sgpr8_sgpr9
                                        ; implicit-def: $sgpr50_sgpr51
                                        ; implicit-def: $sgpr10_sgpr11
	s_and_saveexec_b64 s[52:53], s[54:55]
	s_cbranch_execz .LBB183_410
; %bb.377:                              ;   in Loop: Header=BB183_12 Depth=1
	ds_read_b64 v[4:5], v21 offset:5120
	s_waitcnt lgkmcnt(0)
	s_barrier
	v_readfirstlane_b32 s2, v4
	v_readfirstlane_b32 s3, v5
	s_mov_b64 s[4:5], exec
	v_readlane_b32 s6, v54, 30
	v_readlane_b32 s7, v54, 31
	s_and_b64 s[6:7], s[4:5], s[6:7]
	s_mov_b64 exec, s[6:7]
	s_cbranch_execz .LBB183_379
; %bb.378:                              ;   in Loop: Header=BB183_12 Depth=1
	v_mov_b32_e32 v20, v21
	ds_write_b64 v40, v[20:21]
.LBB183_379:                            ;   in Loop: Header=BB183_12 Depth=1
	s_or_b64 exec, exec, s[4:5]
	s_lshl_b64 s[4:5], 1, s84
	v_and_b32_e32 v2, s21, v25
	v_and_b32_e32 v4, s20, v24
	v_or_b32_e32 v25, s5, v2
	v_or_b32_e32 v24, s4, v4
	;; [unrolled: 1-line block ×4, first 2 shown]
	s_cmp_eq_u64 s[2:3], 0
	s_waitcnt lgkmcnt(0)
	s_barrier
	s_cbranch_scc1 .LBB183_393
; %bb.380:                              ;   in Loop: Header=BB183_12 Depth=1
	v_readlane_b32 s4, v54, 34
	s_add_u32 s8, s4, s2
	v_readlane_b32 s4, v54, 36
	s_addc_u32 s5, s4, s3
	s_mov_b32 s4, s85
	s_cmp_lg_u64 s[4:5], 0
	s_cbranch_scc0 .LBB183_428
; %bb.381:                              ;   in Loop: Header=BB183_12 Depth=1
	v_cvt_f32_u32_e32 v2, s87
	s_sub_u32 s4, 0, s87
	s_subb_u32 s6, 0, 0
	v_mac_f32_e32 v2, 0, v43
	v_rcp_f32_e32 v2, v2
	v_mul_f32_e32 v2, 0x5f7ffffc, v2
	v_mul_f32_e32 v4, 0x2f800000, v2
	v_trunc_f32_e32 v4, v4
	v_mac_f32_e32 v2, 0xcf800000, v4
	v_cvt_u32_f32_e32 v4, v4
	v_cvt_u32_f32_e32 v2, v2
	v_readfirstlane_b32 s7, v4
	v_readfirstlane_b32 s9, v2
	s_mul_i32 s10, s4, s7
	s_mul_hi_u32 s12, s4, s9
	s_mul_i32 s11, s6, s9
	s_add_i32 s10, s12, s10
	s_mul_i32 s13, s4, s9
	s_add_i32 s10, s10, s11
	s_mul_hi_u32 s12, s9, s13
	s_mul_hi_u32 s11, s9, s10
	s_mul_i32 s9, s9, s10
	s_add_u32 s9, s12, s9
	s_addc_u32 s11, 0, s11
	s_mul_hi_u32 s50, s7, s13
	s_mul_i32 s13, s7, s13
	s_add_u32 s9, s9, s13
	s_mul_hi_u32 s12, s7, s10
	s_addc_u32 s9, s11, s50
	s_addc_u32 s11, s12, 0
	s_mul_i32 s10, s7, s10
	s_add_u32 s9, s9, s10
	s_addc_u32 s10, 0, s11
	v_add_co_u32_e32 v2, vcc, s9, v2
	s_cmp_lg_u64 vcc, 0
	s_addc_u32 s7, s7, s10
	v_readfirstlane_b32 s10, v2
	s_mul_i32 s9, s4, s7
	s_mul_hi_u32 s11, s4, s10
	s_add_i32 s9, s11, s9
	s_mul_i32 s6, s6, s10
	s_add_i32 s9, s9, s6
	s_mul_i32 s4, s4, s10
	s_mul_hi_u32 s11, s7, s4
	s_mul_i32 s12, s7, s4
	s_mul_i32 s50, s10, s9
	s_mul_hi_u32 s4, s10, s4
	s_mul_hi_u32 s13, s10, s9
	s_add_u32 s4, s4, s50
	s_addc_u32 s10, 0, s13
	s_add_u32 s4, s4, s12
	s_mul_hi_u32 s6, s7, s9
	s_addc_u32 s4, s10, s11
	s_addc_u32 s6, s6, 0
	s_mul_i32 s9, s7, s9
	s_add_u32 s4, s4, s9
	s_addc_u32 s6, 0, s6
	v_add_co_u32_e32 v2, vcc, s4, v2
	s_cmp_lg_u64 vcc, 0
	s_addc_u32 s4, s7, s6
	v_readfirstlane_b32 s9, v2
	s_mul_i32 s7, s8, s4
	s_mul_hi_u32 s10, s8, s9
	s_mul_hi_u32 s6, s8, s4
	s_add_u32 s7, s10, s7
	s_addc_u32 s6, 0, s6
	s_mul_hi_u32 s11, s5, s9
	s_mul_i32 s9, s5, s9
	s_add_u32 s7, s7, s9
	s_mul_hi_u32 s10, s5, s4
	s_addc_u32 s6, s6, s11
	s_addc_u32 s7, s10, 0
	s_mul_i32 s4, s5, s4
	s_add_u32 s4, s6, s4
	s_addc_u32 s6, 0, s7
	s_mul_hi_u32 s7, s87, s4
	s_mul_i32 s4, s87, s4
	s_mul_i32 s6, s87, s6
	v_mov_b32_e32 v2, s4
	s_add_i32 s7, s7, s6
	v_sub_co_u32_e32 v2, vcc, s8, v2
	s_cmp_lg_u64 vcc, 0
	s_subb_u32 s4, s5, s7
	v_subrev_co_u32_e32 v4, vcc, s87, v2
	s_cmp_lg_u64 vcc, 0
	s_subb_u32 s6, s4, 0
	v_subrev_co_u32_e32 v5, vcc, s87, v4
	s_cmp_lg_u64 vcc, 0
	s_subb_u32 s7, s6, 0
	v_cmp_le_u32_e32 vcc, s87, v4
	s_cmp_eq_u32 s6, 0
	v_cndmask_b32_e64 v6, 0, -1, vcc
	s_cselect_b64 vcc, -1, 0
	v_cndmask_b32_e32 v6, -1, v6, vcc
	v_mov_b32_e32 v7, s6
	v_mov_b32_e32 v10, s7
	v_cmp_ne_u32_e32 vcc, 0, v6
	v_cndmask_b32_e32 v6, v7, v10, vcc
	v_cndmask_b32_e32 v4, v4, v5, vcc
	v_cmp_le_u32_e32 vcc, s87, v2
	s_cmp_eq_u32 s4, 0
	v_cndmask_b32_e64 v5, 0, -1, vcc
	s_cselect_b64 vcc, -1, 0
	v_cndmask_b32_e32 v5, -1, v5, vcc
	v_mov_b32_e32 v7, s4
	v_cmp_ne_u32_e32 vcc, 0, v5
	v_cndmask_b32_e32 v5, v7, v6, vcc
	v_cndmask_b32_e32 v4, v2, v4, vcc
	s_cbranch_execnz .LBB183_383
.LBB183_382:                            ;   in Loop: Header=BB183_12 Depth=1
	v_cvt_f32_u32_e32 v2, s87
	s_sub_i32 s4, 0, s87
	v_rcp_iflag_f32_e32 v2, v2
	v_mul_f32_e32 v2, 0x4f7ffffe, v2
	v_cvt_u32_f32_e32 v2, v2
	v_mul_lo_u32 v4, s4, v2
	v_mul_hi_u32 v4, v2, v4
	v_add_u32_e32 v2, v2, v4
	v_mul_hi_u32 v2, s8, v2
	v_mul_lo_u32 v2, v2, s87
	v_sub_u32_e32 v2, s8, v2
	v_subrev_u32_e32 v4, s87, v2
	v_cmp_le_u32_e32 vcc, s87, v2
	v_cndmask_b32_e32 v2, v2, v4, vcc
	v_subrev_u32_e32 v4, s87, v2
	v_cmp_le_u32_e32 vcc, s87, v2
	v_cndmask_b32_e32 v20, v2, v4, vcc
	v_pk_mov_b32 v[4:5], v[20:21], v[20:21] op_sel:[0,1]
.LBB183_383:                            ;   in Loop: Header=BB183_12 Depth=1
	v_mov_b32_e32 v2, s5
	v_sub_co_u32_e32 v10, vcc, s8, v4
	v_subb_co_u32_e32 v11, vcc, v2, v5, vcc
	v_cmp_gt_u64_e32 vcc, v[10:11], v[0:1]
	s_mov_b64 s[6:7], 0
                                        ; implicit-def: $vgpr6_vgpr7
	s_and_saveexec_b64 s[4:5], vcc
	s_cbranch_execz .LBB183_395
; %bb.384:                              ;   in Loop: Header=BB183_12 Depth=1
	s_mov_b64 s[10:11], 0
	v_mov_b32_e32 v14, v39
	v_pk_mov_b32 v[12:13], v[0:1], v[0:1] op_sel:[0,1]
                                        ; implicit-def: $sgpr8_sgpr9
	s_branch .LBB183_386
.LBB183_385:                            ;   in Loop: Header=BB183_386 Depth=2
	s_or_b64 exec, exec, s[6:7]
	s_waitcnt lgkmcnt(0)
	s_barrier
	ds_read_b128 v[4:7], v21 offset:3072
	v_mov_b32_e32 v2, s88
	v_add_co_u32_e64 v12, s[6:7], s87, v12
	v_addc_co_u32_e64 v13, s[6:7], v13, v2, s[6:7]
	s_waitcnt lgkmcnt(0)
	v_cmp_neq_f64_e32 vcc, 0, v[4:5]
	v_cmp_ge_u64_e64 s[6:7], v[12:13], v[10:11]
	s_or_b64 s[6:7], s[6:7], vcc
	s_and_b64 s[6:7], exec, s[6:7]
	s_or_b64 s[10:11], s[6:7], s[10:11]
	s_andn2_b64 s[6:7], s[8:9], exec
	s_and_b64 s[8:9], vcc, exec
	v_add_u32_e32 v14, s95, v14
	s_or_b64 s[8:9], s[6:7], s[8:9]
	s_barrier
	s_andn2_b64 exec, exec, s[10:11]
	s_cbranch_execz .LBB183_394
.LBB183_386:                            ;   Parent Loop BB183_12 Depth=1
                                        ; =>  This Inner Loop Header: Depth=2
	v_cmp_gt_u64_e32 vcc, s[2:3], v[12:13]
	v_pk_mov_b32 v[4:5], 0, 0
	s_and_saveexec_b64 s[6:7], vcc
	s_cbranch_execz .LBB183_388
; %bb.387:                              ;   in Loop: Header=BB183_386 Depth=2
	ds_read_b64 v[4:5], v14
.LBB183_388:                            ;   in Loop: Header=BB183_386 Depth=2
	s_or_b64 exec, exec, s[6:7]
	s_and_saveexec_b64 s[6:7], vcc
	s_cbranch_execz .LBB183_385
; %bb.389:                              ;   in Loop: Header=BB183_386 Depth=2
	s_waitcnt lgkmcnt(0)
	v_ashrrev_i32_e32 v2, 31, v5
	v_or_b32_e32 v6, 0x80000000, v2
	v_xor_b32_e32 v6, v6, v5
	v_xor_b32_e32 v2, v2, v4
	v_cmp_o_f64_e32 vcc, v[4:5], v[4:5]
	v_cndmask_b32_e32 v6, -1, v6, vcc
	v_cndmask_b32_e32 v2, -1, v2, vcc
	v_and_b32_e32 v7, v6, v27
	v_and_b32_e32 v6, v2, v26
	v_cmp_eq_u64_e32 vcc, v[6:7], v[24:25]
	s_and_b64 exec, exec, vcc
	s_cbranch_execz .LBB183_385
; %bb.390:                              ;   in Loop: Header=BB183_386 Depth=2
	v_mov_b32_e32 v2, v21
	ds_write_b128 v21, v[2:5] offset:3072
	s_branch .LBB183_385
.LBB183_391:                            ;   in Loop: Header=BB183_12 Depth=1
                                        ; implicit-def: $vgpr4_vgpr5
	s_branch .LBB183_336
.LBB183_392:                            ;   in Loop: Header=BB183_12 Depth=1
                                        ; implicit-def: $vgpr4_vgpr5
	s_branch .LBB183_352
.LBB183_393:                            ;   in Loop: Header=BB183_12 Depth=1
	s_mov_b64 s[8:9], -1
	s_mov_b64 s[6:7], 0
                                        ; implicit-def: $sgpr50_sgpr51
                                        ; implicit-def: $vgpr6_vgpr7
	s_mov_b64 s[10:11], s[8:9]
	s_cbranch_execnz .LBB183_396
	s_branch .LBB183_409
.LBB183_394:                            ;   in Loop: Header=BB183_12 Depth=1
	s_or_b64 exec, exec, s[10:11]
	s_and_b64 s[6:7], s[8:9], exec
.LBB183_395:                            ;   in Loop: Header=BB183_12 Depth=1
	s_or_b64 exec, exec, s[4:5]
	s_mov_b64 s[8:9], 0
	s_mov_b64 s[50:51], -1
	s_mov_b64 s[10:11], s[8:9]
	s_branch .LBB183_409
.LBB183_396:                            ;   in Loop: Header=BB183_12 Depth=1
	s_mov_b32 s92, s85
	s_cmp_lg_u64 s[92:93], 0
	s_cbranch_scc0 .LBB183_429
; %bb.397:                              ;   in Loop: Header=BB183_12 Depth=1
	v_cvt_f32_u32_e32 v2, s87
	s_sub_u32 s2, 0, s87
	s_subb_u32 s3, 0, 0
	v_mac_f32_e32 v2, 0, v43
	v_rcp_f32_e32 v2, v2
	v_mul_f32_e32 v2, 0x5f7ffffc, v2
	v_mul_f32_e32 v4, 0x2f800000, v2
	v_trunc_f32_e32 v4, v4
	v_mac_f32_e32 v2, 0xcf800000, v4
	v_cvt_u32_f32_e32 v4, v4
	v_cvt_u32_f32_e32 v2, v2
	v_readfirstlane_b32 s4, v4
	v_readfirstlane_b32 s5, v2
	s_mul_i32 s6, s2, s4
	s_mul_hi_u32 s8, s2, s5
	s_mul_i32 s7, s3, s5
	s_add_i32 s6, s8, s6
	s_mul_i32 s9, s2, s5
	s_add_i32 s6, s6, s7
	s_mul_hi_u32 s8, s5, s9
	s_mul_hi_u32 s7, s5, s6
	s_mul_i32 s5, s5, s6
	s_add_u32 s5, s8, s5
	s_addc_u32 s7, 0, s7
	s_mul_hi_u32 s10, s4, s9
	s_mul_i32 s9, s4, s9
	s_add_u32 s5, s5, s9
	s_mul_hi_u32 s8, s4, s6
	s_addc_u32 s5, s7, s10
	s_addc_u32 s7, s8, 0
	s_mul_i32 s6, s4, s6
	s_add_u32 s5, s5, s6
	s_addc_u32 s6, 0, s7
	v_add_co_u32_e32 v2, vcc, s5, v2
	s_cmp_lg_u64 vcc, 0
	s_addc_u32 s4, s4, s6
	v_readfirstlane_b32 s6, v2
	s_mul_i32 s5, s2, s4
	s_mul_hi_u32 s7, s2, s6
	s_add_i32 s5, s7, s5
	s_mul_i32 s3, s3, s6
	s_add_i32 s5, s5, s3
	s_mul_i32 s2, s2, s6
	s_mul_hi_u32 s7, s4, s2
	s_mul_i32 s8, s4, s2
	s_mul_i32 s10, s6, s5
	s_mul_hi_u32 s2, s6, s2
	s_mul_hi_u32 s9, s6, s5
	s_add_u32 s2, s2, s10
	s_addc_u32 s6, 0, s9
	s_add_u32 s2, s2, s8
	s_mul_hi_u32 s3, s4, s5
	s_addc_u32 s2, s6, s7
	s_addc_u32 s3, s3, 0
	s_mul_i32 s5, s4, s5
	s_add_u32 s2, s2, s5
	s_addc_u32 s3, 0, s3
	v_add_co_u32_e32 v2, vcc, s2, v2
	s_cmp_lg_u64 vcc, 0
	s_addc_u32 s2, s4, s3
	v_readlane_b32 s8, v54, 35
	v_readfirstlane_b32 s5, v2
	s_mul_i32 s4, s8, s2
	s_mul_hi_u32 s6, s8, s5
	s_mul_hi_u32 s3, s8, s2
	s_add_u32 s4, s6, s4
	s_addc_u32 s3, 0, s3
	s_mul_hi_u32 s7, s93, s5
	s_mul_i32 s5, s93, s5
	s_add_u32 s4, s4, s5
	s_mul_hi_u32 s6, s93, s2
	s_addc_u32 s3, s3, s7
	s_addc_u32 s4, s6, 0
	s_mul_i32 s2, s93, s2
	s_add_u32 s2, s3, s2
	s_addc_u32 s3, 0, s4
	s_mul_hi_u32 s4, s87, s2
	s_mul_i32 s2, s87, s2
	s_mul_i32 s3, s87, s3
	v_mov_b32_e32 v2, s2
	s_add_i32 s4, s4, s3
	v_sub_co_u32_e32 v2, vcc, s8, v2
	s_cmp_lg_u64 vcc, 0
	s_subb_u32 s2, s93, s4
	v_subrev_co_u32_e32 v4, vcc, s87, v2
	s_cmp_lg_u64 vcc, 0
	s_subb_u32 s3, s2, 0
	v_subrev_co_u32_e32 v5, vcc, s87, v4
	s_cmp_lg_u64 vcc, 0
	s_subb_u32 s4, s3, 0
	v_cmp_le_u32_e32 vcc, s87, v4
	s_cmp_eq_u32 s3, 0
	v_cndmask_b32_e64 v6, 0, -1, vcc
	s_cselect_b64 vcc, -1, 0
	v_cndmask_b32_e32 v6, -1, v6, vcc
	v_mov_b32_e32 v7, s3
	v_mov_b32_e32 v10, s4
	v_cmp_ne_u32_e32 vcc, 0, v6
	v_cndmask_b32_e32 v6, v7, v10, vcc
	v_cndmask_b32_e32 v4, v4, v5, vcc
	v_cmp_le_u32_e32 vcc, s87, v2
	s_cmp_eq_u32 s2, 0
	v_cndmask_b32_e64 v5, 0, -1, vcc
	s_cselect_b64 vcc, -1, 0
	v_cndmask_b32_e32 v5, -1, v5, vcc
	v_mov_b32_e32 v7, s2
	v_cmp_ne_u32_e32 vcc, 0, v5
	v_cndmask_b32_e32 v5, v7, v6, vcc
	v_cndmask_b32_e32 v4, v2, v4, vcc
	s_cbranch_execnz .LBB183_399
.LBB183_398:                            ;   in Loop: Header=BB183_12 Depth=1
	v_cvt_f32_u32_e32 v2, s87
	s_sub_i32 s2, 0, s87
	v_rcp_iflag_f32_e32 v2, v2
	v_mul_f32_e32 v2, 0x4f7ffffe, v2
	v_cvt_u32_f32_e32 v2, v2
	v_mul_lo_u32 v4, s2, v2
	v_mul_hi_u32 v4, v2, v4
	v_add_u32_e32 v2, v2, v4
	v_readlane_b32 s2, v54, 35
	v_mul_hi_u32 v2, s2, v2
	v_mul_lo_u32 v2, v2, s87
	v_sub_u32_e32 v2, s2, v2
	v_subrev_u32_e32 v4, s87, v2
	v_cmp_le_u32_e32 vcc, s87, v2
	v_cndmask_b32_e32 v2, v2, v4, vcc
	v_subrev_u32_e32 v4, s87, v2
	v_cmp_le_u32_e32 vcc, s87, v2
	v_cndmask_b32_e32 v20, v2, v4, vcc
	v_pk_mov_b32 v[4:5], v[20:21], v[20:21] op_sel:[0,1]
.LBB183_399:                            ;   in Loop: Header=BB183_12 Depth=1
	v_readlane_b32 s2, v54, 35
	v_mov_b32_e32 v2, s93
	v_sub_co_u32_e32 v10, vcc, s2, v4
	v_subb_co_u32_e32 v11, vcc, v2, v5, vcc
	v_cmp_gt_u64_e32 vcc, v[10:11], v[0:1]
	s_mov_b64 s[6:7], 0
                                        ; implicit-def: $vgpr6_vgpr7
	s_and_saveexec_b64 s[2:3], vcc
	s_cbranch_execz .LBB183_408
; %bb.400:                              ;   in Loop: Header=BB183_12 Depth=1
	s_mov_b64 s[8:9], 0
	v_pk_mov_b32 v[12:13], v[0:1], v[0:1] op_sel:[0,1]
                                        ; implicit-def: $sgpr4_sgpr5
	s_branch .LBB183_402
.LBB183_401:                            ;   in Loop: Header=BB183_402 Depth=2
	s_or_b64 exec, exec, s[6:7]
	s_waitcnt lgkmcnt(0)
	s_barrier
	s_waitcnt vmcnt(0)
	ds_read_b128 v[4:7], v21 offset:3072
	v_mov_b32_e32 v2, s88
	v_add_co_u32_e64 v12, s[6:7], s87, v12
	v_addc_co_u32_e64 v13, s[6:7], v13, v2, s[6:7]
	s_waitcnt lgkmcnt(0)
	v_cmp_neq_f64_e32 vcc, 0, v[4:5]
	v_cmp_ge_u64_e64 s[6:7], v[12:13], v[10:11]
	s_or_b64 s[6:7], s[6:7], vcc
	s_and_b64 s[6:7], exec, s[6:7]
	s_or_b64 s[8:9], s[6:7], s[8:9]
	s_andn2_b64 s[4:5], s[4:5], exec
	s_and_b64 s[6:7], vcc, exec
	s_or_b64 s[4:5], s[4:5], s[6:7]
	s_barrier
	s_andn2_b64 exec, exec, s[8:9]
	s_cbranch_execz .LBB183_407
.LBB183_402:                            ;   Parent Loop BB183_12 Depth=1
                                        ; =>  This Inner Loop Header: Depth=2
	v_cmp_gt_u64_e32 vcc, s[60:61], v[12:13]
	v_pk_mov_b32 v[4:5], 0, 0
	s_and_saveexec_b64 s[10:11], vcc
	s_cbranch_execz .LBB183_404
; %bb.403:                              ;   in Loop: Header=BB183_402 Depth=2
	v_mul_lo_u32 v2, v13, s58
	v_mul_lo_u32 v6, v12, s59
	v_mad_u64_u32 v[4:5], s[6:7], v12, s58, 0
	v_add3_u32 v5, v5, v6, v2
	v_lshlrev_b64 v[4:5], 3, v[4:5]
	v_mov_b32_e32 v2, s86
	v_add_co_u32_e64 v4, s[6:7], s33, v4
	v_addc_co_u32_e64 v5, s[6:7], v2, v5, s[6:7]
	global_load_dwordx2 v[4:5], v[4:5], off
.LBB183_404:                            ;   in Loop: Header=BB183_402 Depth=2
	s_or_b64 exec, exec, s[10:11]
	s_and_saveexec_b64 s[6:7], vcc
	s_cbranch_execz .LBB183_401
; %bb.405:                              ;   in Loop: Header=BB183_402 Depth=2
	s_waitcnt vmcnt(0)
	v_ashrrev_i32_e32 v2, 31, v5
	v_or_b32_e32 v6, 0x80000000, v2
	v_xor_b32_e32 v6, v6, v5
	v_xor_b32_e32 v2, v2, v4
	v_cmp_o_f64_e32 vcc, v[4:5], v[4:5]
	v_cndmask_b32_e32 v6, -1, v6, vcc
	v_cndmask_b32_e32 v2, -1, v2, vcc
	v_and_b32_e32 v7, v6, v27
	v_and_b32_e32 v6, v2, v26
	v_cmp_eq_u64_e32 vcc, v[6:7], v[24:25]
	s_and_b64 exec, exec, vcc
	s_cbranch_execz .LBB183_401
; %bb.406:                              ;   in Loop: Header=BB183_402 Depth=2
	v_mov_b32_e32 v2, v21
	ds_write_b128 v21, v[2:5] offset:3072
	s_branch .LBB183_401
.LBB183_407:                            ;   in Loop: Header=BB183_12 Depth=1
	s_or_b64 exec, exec, s[8:9]
	s_and_b64 s[6:7], s[4:5], exec
.LBB183_408:                            ;   in Loop: Header=BB183_12 Depth=1
	s_or_b64 exec, exec, s[2:3]
	s_mov_b64 s[50:51], 0
	s_mov_b64 s[8:9], -1
	s_mov_b64 s[10:11], 0
.LBB183_409:                            ;   in Loop: Header=BB183_12 Depth=1
	s_orn2_b64 s[4:5], s[6:7], exec
.LBB183_410:                            ;   in Loop: Header=BB183_12 Depth=1
	s_or_b64 exec, exec, s[52:53]
	s_mov_b64 s[2:3], 0
                                        ; implicit-def: $vgpr2
	s_and_saveexec_b64 s[52:53], s[4:5]
	s_cbranch_execz .LBB183_475
; %bb.411:                              ;   in Loop: Header=BB183_12 Depth=1
	v_mov_b32_e32 v10, 1
	s_xor_b64 s[4:5], s[54:55], -1
	s_mov_b64 s[54:55], 0
	v_mov_b32_e32 v11, 0
	v_mov_b32_e32 v2, 1
	s_and_saveexec_b64 s[2:3], s[4:5]
	s_cbranch_execz .LBB183_421
; %bb.412:                              ;   in Loop: Header=BB183_12 Depth=1
	v_cmp_ge_u64_e32 vcc, s[22:23], v[8:9]
                                        ; implicit-def: $sgpr12
                                        ; implicit-def: $sgpr4_sgpr5
	s_and_saveexec_b64 s[6:7], vcc
	s_xor_b64 s[6:7], exec, s[6:7]
	s_cbranch_execz .LBB183_418
; %bb.413:                              ;   in Loop: Header=BB183_12 Depth=1
	ds_read_b64 v[4:5], v21 offset:5120
	s_waitcnt lgkmcnt(0)
	v_cmp_ne_u64_e32 vcc, 0, v[4:5]
	s_cbranch_vccnz .LBB183_417
; %bb.414:                              ;   in Loop: Header=BB183_12 Depth=1
	s_mov_b64 s[4:5], exec
	v_readlane_b32 s12, v54, 12
	v_readlane_b32 s13, v54, 13
	s_and_b64 s[12:13], s[4:5], s[12:13]
	s_mov_b64 exec, s[12:13]
	s_cbranch_execz .LBB183_416
; %bb.415:                              ;   in Loop: Header=BB183_12 Depth=1
	v_pk_mov_b32 v[4:5], s[22:23], s[22:23] op_sel:[0,1]
	ds_write_b64 v21, v[4:5] offset:5128
.LBB183_416:                            ;   in Loop: Header=BB183_12 Depth=1
	s_or_b64 exec, exec, s[4:5]
	s_waitcnt lgkmcnt(0)
	s_barrier
.LBB183_417:                            ;   in Loop: Header=BB183_12 Depth=1
	s_lshl_b64 s[4:5], 1, s84
	v_and_b32_e32 v2, s21, v25
	v_and_b32_e32 v4, s20, v24
	v_or_b32_e32 v25, s5, v2
	v_or_b32_e32 v24, s4, v4
	;; [unrolled: 1-line block ×4, first 2 shown]
	s_mov_b64 s[4:5], 0
	s_mov_b32 s12, 5
.LBB183_418:                            ;   in Loop: Header=BB183_12 Depth=1
	s_or_saveexec_b64 s[6:7], s[6:7]
	v_mov_b32_e32 v2, s12
	s_xor_b64 exec, exec, s[6:7]
; %bb.419:                              ;   in Loop: Header=BB183_12 Depth=1
	v_mov_b32_e32 v2, s23
	v_subrev_co_u32_e32 v8, vcc, s22, v8
	v_subb_co_u32_e32 v9, vcc, v9, v2, vcc
	v_mov_b32_e32 v2, 0
	s_or_b64 s[4:5], s[4:5], exec
; %bb.420:                              ;   in Loop: Header=BB183_12 Depth=1
	s_or_b64 exec, exec, s[6:7]
	s_and_b64 s[54:55], s[4:5], exec
	v_pk_mov_b32 v[10:11], v[8:9], v[8:9] op_sel:[0,1]
.LBB183_421:                            ;   in Loop: Header=BB183_12 Depth=1
	s_or_b64 exec, exec, s[2:3]
	s_mov_b64 s[12:13], -1
                                        ; implicit-def: $sgpr2_sgpr3
                                        ; implicit-def: $sgpr4_sgpr5
                                        ; implicit-def: $sgpr6_sgpr7
	s_and_saveexec_b64 s[22:23], s[54:55]
	s_cbranch_execz .LBB183_474
; %bb.422:                              ;   in Loop: Header=BB183_12 Depth=1
	s_cmp_eq_u64 s[16:17], 1
	s_cselect_b64 s[2:3], -1, 0
	v_cmp_eq_u64_e32 vcc, 1, v[10:11]
	s_and_b64 s[54:55], s[2:3], vcc
	s_mov_b64 s[90:91], -1
                                        ; implicit-def: $sgpr2_sgpr3
                                        ; implicit-def: $sgpr4_sgpr5
                                        ; implicit-def: $sgpr6_sgpr7
	s_and_saveexec_b64 s[56:57], s[54:55]
	s_cbranch_execz .LBB183_461
; %bb.423:                              ;   in Loop: Header=BB183_12 Depth=1
	ds_read_b64 v[4:5], v21 offset:5120
	s_waitcnt lgkmcnt(0)
	s_barrier
	v_readfirstlane_b32 s2, v4
	v_readfirstlane_b32 s3, v5
	s_mov_b64 s[4:5], exec
	v_readlane_b32 s6, v54, 30
	v_readlane_b32 s7, v54, 31
	s_and_b64 s[6:7], s[4:5], s[6:7]
	s_mov_b64 exec, s[6:7]
	s_cbranch_execz .LBB183_425
; %bb.424:                              ;   in Loop: Header=BB183_12 Depth=1
	v_mov_b32_e32 v20, v21
	ds_write_b64 v40, v[20:21]
.LBB183_425:                            ;   in Loop: Header=BB183_12 Depth=1
	s_or_b64 exec, exec, s[4:5]
	v_and_b32_e32 v25, s21, v25
	v_and_b32_e32 v24, s20, v24
	v_or_b32_e32 v27, s19, v27
	v_or_b32_e32 v26, s18, v26
	s_cmp_eq_u64 s[2:3], 0
	v_writelane_b32 v54, s54, 51
	s_waitcnt lgkmcnt(0)
	s_barrier
	v_writelane_b32 v54, s55, 52
	s_cbranch_scc1 .LBB183_430
; %bb.426:                              ;   in Loop: Header=BB183_12 Depth=1
	v_readlane_b32 s4, v54, 34
	s_add_u32 s12, s4, s2
	v_readlane_b32 s4, v54, 36
	s_addc_u32 s5, s4, s3
	s_mov_b32 s4, s85
	s_cmp_lg_u64 s[4:5], 0
	s_cbranch_scc0 .LBB183_431
; %bb.427:                              ;   in Loop: Header=BB183_12 Depth=1
	v_cvt_f32_u32_e32 v2, s87
	s_sub_u32 s4, 0, s87
	s_subb_u32 s6, 0, 0
	v_mac_f32_e32 v2, 0, v43
	v_rcp_f32_e32 v2, v2
	v_mul_f32_e32 v2, 0x5f7ffffc, v2
	v_mul_f32_e32 v4, 0x2f800000, v2
	v_trunc_f32_e32 v4, v4
	v_mac_f32_e32 v2, 0xcf800000, v4
	v_cvt_u32_f32_e32 v4, v4
	v_cvt_u32_f32_e32 v2, v2
	v_readfirstlane_b32 s7, v4
	v_readfirstlane_b32 s13, v2
	s_mul_i32 s54, s4, s7
	s_mul_hi_u32 s84, s4, s13
	s_mul_i32 s55, s6, s13
	s_add_i32 s54, s84, s54
	s_mul_i32 s90, s4, s13
	s_add_i32 s54, s54, s55
	s_mul_hi_u32 s84, s13, s90
	s_mul_hi_u32 s55, s13, s54
	s_mul_i32 s13, s13, s54
	s_add_u32 s13, s84, s13
	s_addc_u32 s55, 0, s55
	s_mul_hi_u32 s91, s7, s90
	s_mul_i32 s90, s7, s90
	s_add_u32 s13, s13, s90
	s_mul_hi_u32 s84, s7, s54
	s_addc_u32 s13, s55, s91
	s_addc_u32 s55, s84, 0
	s_mul_i32 s54, s7, s54
	s_add_u32 s13, s13, s54
	s_addc_u32 s54, 0, s55
	v_add_co_u32_e32 v2, vcc, s13, v2
	s_cmp_lg_u64 vcc, 0
	s_addc_u32 s7, s7, s54
	v_readfirstlane_b32 s54, v2
	s_mul_i32 s13, s4, s7
	s_mul_hi_u32 s55, s4, s54
	s_add_i32 s13, s55, s13
	s_mul_i32 s6, s6, s54
	s_add_i32 s13, s13, s6
	s_mul_i32 s4, s4, s54
	s_mul_hi_u32 s55, s7, s4
	s_mul_i32 s84, s7, s4
	s_mul_i32 s91, s54, s13
	s_mul_hi_u32 s4, s54, s4
	s_mul_hi_u32 s90, s54, s13
	s_add_u32 s4, s4, s91
	s_addc_u32 s54, 0, s90
	s_add_u32 s4, s4, s84
	s_mul_hi_u32 s6, s7, s13
	s_addc_u32 s4, s54, s55
	s_addc_u32 s6, s6, 0
	s_mul_i32 s13, s7, s13
	s_add_u32 s4, s4, s13
	s_addc_u32 s6, 0, s6
	v_add_co_u32_e32 v2, vcc, s4, v2
	s_cmp_lg_u64 vcc, 0
	s_addc_u32 s4, s7, s6
	v_readfirstlane_b32 s13, v2
	s_mul_i32 s7, s12, s4
	s_mul_hi_u32 s54, s12, s13
	s_mul_hi_u32 s6, s12, s4
	s_add_u32 s7, s54, s7
	s_addc_u32 s6, 0, s6
	s_mul_hi_u32 s55, s5, s13
	s_mul_i32 s13, s5, s13
	s_add_u32 s7, s7, s13
	s_mul_hi_u32 s54, s5, s4
	s_addc_u32 s6, s6, s55
	s_addc_u32 s7, s54, 0
	s_mul_i32 s4, s5, s4
	s_add_u32 s4, s6, s4
	s_addc_u32 s6, 0, s7
	s_mul_hi_u32 s7, s87, s4
	s_mul_i32 s4, s87, s4
	s_mul_i32 s6, s87, s6
	v_mov_b32_e32 v2, s4
	s_add_i32 s7, s7, s6
	v_sub_co_u32_e32 v2, vcc, s12, v2
	s_cmp_lg_u64 vcc, 0
	s_subb_u32 s4, s5, s7
	v_subrev_co_u32_e32 v4, vcc, s87, v2
	s_cmp_lg_u64 vcc, 0
	s_subb_u32 s6, s4, 0
	v_subrev_co_u32_e32 v5, vcc, s87, v4
	s_cmp_lg_u64 vcc, 0
	s_subb_u32 s7, s6, 0
	v_cmp_le_u32_e32 vcc, s87, v4
	s_cmp_eq_u32 s6, 0
	v_cndmask_b32_e64 v6, 0, -1, vcc
	s_cselect_b64 vcc, -1, 0
	v_cndmask_b32_e32 v6, -1, v6, vcc
	v_mov_b32_e32 v7, s6
	v_mov_b32_e32 v8, s7
	v_cmp_ne_u32_e32 vcc, 0, v6
	v_cndmask_b32_e32 v6, v7, v8, vcc
	v_cndmask_b32_e32 v4, v4, v5, vcc
	v_cmp_le_u32_e32 vcc, s87, v2
	s_cmp_eq_u32 s4, 0
	v_cndmask_b32_e64 v5, 0, -1, vcc
	s_cselect_b64 vcc, -1, 0
	v_cndmask_b32_e32 v5, -1, v5, vcc
	v_mov_b32_e32 v7, s4
	v_cmp_ne_u32_e32 vcc, 0, v5
	v_cndmask_b32_e32 v5, v7, v6, vcc
	v_cndmask_b32_e32 v4, v2, v4, vcc
	s_mov_b64 s[6:7], 0
	s_branch .LBB183_432
.LBB183_428:                            ;   in Loop: Header=BB183_12 Depth=1
                                        ; implicit-def: $vgpr4_vgpr5
	s_branch .LBB183_382
.LBB183_429:                            ;   in Loop: Header=BB183_12 Depth=1
                                        ; implicit-def: $vgpr4_vgpr5
	s_branch .LBB183_398
.LBB183_430:                            ;   in Loop: Header=BB183_12 Depth=1
	s_mov_b64 s[2:3], -1
	s_mov_b64 s[12:13], 0
                                        ; implicit-def: $sgpr4_sgpr5
                                        ; implicit-def: $vgpr6_vgpr7
	s_branch .LBB183_444
.LBB183_431:                            ;   in Loop: Header=BB183_12 Depth=1
	s_mov_b64 s[6:7], -1
                                        ; implicit-def: $vgpr4_vgpr5
.LBB183_432:                            ;   in Loop: Header=BB183_12 Depth=1
	s_andn2_b64 vcc, exec, s[6:7]
	s_cbranch_vccnz .LBB183_434
; %bb.433:                              ;   in Loop: Header=BB183_12 Depth=1
	v_cvt_f32_u32_e32 v2, s87
	s_sub_i32 s4, 0, s87
	v_rcp_iflag_f32_e32 v2, v2
	v_mul_f32_e32 v2, 0x4f7ffffe, v2
	v_cvt_u32_f32_e32 v2, v2
	v_mul_lo_u32 v4, s4, v2
	v_mul_hi_u32 v4, v2, v4
	v_add_u32_e32 v2, v2, v4
	v_mul_hi_u32 v2, s12, v2
	v_mul_lo_u32 v2, v2, s87
	v_sub_u32_e32 v2, s12, v2
	v_subrev_u32_e32 v4, s87, v2
	v_cmp_le_u32_e32 vcc, s87, v2
	v_cndmask_b32_e32 v2, v2, v4, vcc
	v_subrev_u32_e32 v4, s87, v2
	v_cmp_le_u32_e32 vcc, s87, v2
	v_cndmask_b32_e32 v20, v2, v4, vcc
	v_pk_mov_b32 v[4:5], v[20:21], v[20:21] op_sel:[0,1]
.LBB183_434:                            ;   in Loop: Header=BB183_12 Depth=1
	v_mov_b32_e32 v2, s5
	v_sub_co_u32_e32 v8, vcc, s12, v4
	v_subb_co_u32_e32 v9, vcc, v2, v5, vcc
	v_cmp_gt_u64_e32 vcc, v[8:9], v[0:1]
	s_mov_b64 s[12:13], 0
                                        ; implicit-def: $vgpr6_vgpr7
	s_and_saveexec_b64 s[4:5], vcc
	s_cbranch_execz .LBB183_443
; %bb.435:                              ;   in Loop: Header=BB183_12 Depth=1
	s_mov_b64 s[90:91], 0
	v_mov_b32_e32 v14, v39
	v_pk_mov_b32 v[12:13], v[0:1], v[0:1] op_sel:[0,1]
                                        ; implicit-def: $sgpr12_sgpr13
	s_branch .LBB183_437
.LBB183_436:                            ;   in Loop: Header=BB183_437 Depth=2
	s_or_b64 exec, exec, s[6:7]
	s_waitcnt lgkmcnt(0)
	s_barrier
	ds_read_b128 v[4:7], v21 offset:3072
	v_mov_b32_e32 v2, s88
	v_add_co_u32_e64 v12, s[6:7], s87, v12
	v_addc_co_u32_e64 v13, s[6:7], v13, v2, s[6:7]
	s_waitcnt lgkmcnt(0)
	v_cmp_neq_f64_e32 vcc, 0, v[4:5]
	v_cmp_ge_u64_e64 s[6:7], v[12:13], v[8:9]
	s_or_b64 s[6:7], s[6:7], vcc
	s_and_b64 s[6:7], exec, s[6:7]
	s_or_b64 s[90:91], s[6:7], s[90:91]
	s_andn2_b64 s[6:7], s[12:13], exec
	s_and_b64 s[12:13], vcc, exec
	v_add_u32_e32 v14, s95, v14
	s_or_b64 s[12:13], s[6:7], s[12:13]
	s_barrier
	s_andn2_b64 exec, exec, s[90:91]
	s_cbranch_execz .LBB183_442
.LBB183_437:                            ;   Parent Loop BB183_12 Depth=1
                                        ; =>  This Inner Loop Header: Depth=2
	v_cmp_gt_u64_e32 vcc, s[2:3], v[12:13]
	v_pk_mov_b32 v[4:5], 0, 0
	s_and_saveexec_b64 s[6:7], vcc
	s_cbranch_execz .LBB183_439
; %bb.438:                              ;   in Loop: Header=BB183_437 Depth=2
	ds_read_b64 v[4:5], v14
.LBB183_439:                            ;   in Loop: Header=BB183_437 Depth=2
	s_or_b64 exec, exec, s[6:7]
	s_and_saveexec_b64 s[6:7], vcc
	s_cbranch_execz .LBB183_436
; %bb.440:                              ;   in Loop: Header=BB183_437 Depth=2
	s_waitcnt lgkmcnt(0)
	v_ashrrev_i32_e32 v2, 31, v5
	v_or_b32_e32 v6, 0x80000000, v2
	v_xor_b32_e32 v6, v6, v5
	v_xor_b32_e32 v2, v2, v4
	v_cmp_o_f64_e32 vcc, v[4:5], v[4:5]
	v_cndmask_b32_e32 v6, -1, v6, vcc
	v_cndmask_b32_e32 v2, -1, v2, vcc
	v_and_b32_e32 v7, v6, v27
	v_and_b32_e32 v6, v2, v26
	v_cmp_eq_u64_e32 vcc, v[6:7], v[24:25]
	s_and_b64 exec, exec, vcc
	s_cbranch_execz .LBB183_436
; %bb.441:                              ;   in Loop: Header=BB183_437 Depth=2
	v_mov_b32_e32 v2, v21
	ds_write_b128 v21, v[2:5] offset:3072
	s_branch .LBB183_436
.LBB183_442:                            ;   in Loop: Header=BB183_12 Depth=1
	s_or_b64 exec, exec, s[90:91]
	s_and_b64 s[12:13], s[12:13], exec
.LBB183_443:                            ;   in Loop: Header=BB183_12 Depth=1
	s_or_b64 exec, exec, s[4:5]
	s_mov_b64 s[2:3], 0
	s_mov_b64 s[4:5], -1
.LBB183_444:                            ;   in Loop: Header=BB183_12 Depth=1
	s_and_b64 vcc, exec, s[2:3]
	s_mov_b64 s[6:7], s[2:3]
	s_cbranch_vccz .LBB183_460
; %bb.445:                              ;   in Loop: Header=BB183_12 Depth=1
	s_mov_b32 s92, s85
	s_cmp_lg_u64 s[92:93], 0
	s_cbranch_scc0 .LBB183_447
; %bb.446:                              ;   in Loop: Header=BB183_12 Depth=1
	v_cvt_f32_u32_e32 v2, s87
	s_sub_u32 s2, 0, s87
	s_subb_u32 s3, 0, 0
	v_mac_f32_e32 v2, 0, v43
	v_rcp_f32_e32 v2, v2
	v_mul_f32_e32 v2, 0x5f7ffffc, v2
	v_mul_f32_e32 v4, 0x2f800000, v2
	v_trunc_f32_e32 v4, v4
	v_mac_f32_e32 v2, 0xcf800000, v4
	v_cvt_u32_f32_e32 v4, v4
	v_cvt_u32_f32_e32 v2, v2
	v_readfirstlane_b32 s4, v4
	v_readfirstlane_b32 s5, v2
	s_mul_i32 s6, s2, s4
	s_mul_hi_u32 s12, s2, s5
	s_mul_i32 s7, s3, s5
	s_add_i32 s6, s12, s6
	s_mul_i32 s13, s2, s5
	s_add_i32 s6, s6, s7
	s_mul_hi_u32 s12, s5, s13
	s_mul_hi_u32 s7, s5, s6
	s_mul_i32 s5, s5, s6
	s_add_u32 s5, s12, s5
	s_addc_u32 s7, 0, s7
	s_mul_hi_u32 s54, s4, s13
	s_mul_i32 s13, s4, s13
	s_add_u32 s5, s5, s13
	s_mul_hi_u32 s12, s4, s6
	s_addc_u32 s5, s7, s54
	s_addc_u32 s7, s12, 0
	s_mul_i32 s6, s4, s6
	s_add_u32 s5, s5, s6
	s_addc_u32 s6, 0, s7
	v_add_co_u32_e32 v2, vcc, s5, v2
	s_cmp_lg_u64 vcc, 0
	s_addc_u32 s4, s4, s6
	v_readfirstlane_b32 s6, v2
	s_mul_i32 s5, s2, s4
	s_mul_hi_u32 s7, s2, s6
	s_add_i32 s5, s7, s5
	s_mul_i32 s3, s3, s6
	s_add_i32 s5, s5, s3
	s_mul_i32 s2, s2, s6
	s_mul_hi_u32 s7, s4, s2
	s_mul_i32 s12, s4, s2
	s_mul_i32 s54, s6, s5
	s_mul_hi_u32 s2, s6, s2
	s_mul_hi_u32 s13, s6, s5
	s_add_u32 s2, s2, s54
	s_addc_u32 s6, 0, s13
	s_add_u32 s2, s2, s12
	s_mul_hi_u32 s3, s4, s5
	s_addc_u32 s2, s6, s7
	s_addc_u32 s3, s3, 0
	s_mul_i32 s5, s4, s5
	s_add_u32 s2, s2, s5
	s_addc_u32 s3, 0, s3
	v_add_co_u32_e32 v2, vcc, s2, v2
	s_cmp_lg_u64 vcc, 0
	s_addc_u32 s2, s4, s3
	v_readlane_b32 s12, v54, 35
	v_readfirstlane_b32 s5, v2
	s_mul_i32 s4, s12, s2
	s_mul_hi_u32 s6, s12, s5
	s_mul_hi_u32 s3, s12, s2
	s_add_u32 s4, s6, s4
	s_addc_u32 s3, 0, s3
	s_mul_hi_u32 s7, s93, s5
	s_mul_i32 s5, s93, s5
	s_add_u32 s4, s4, s5
	s_mul_hi_u32 s6, s93, s2
	s_addc_u32 s3, s3, s7
	s_addc_u32 s4, s6, 0
	s_mul_i32 s2, s93, s2
	s_add_u32 s2, s3, s2
	s_addc_u32 s3, 0, s4
	s_mul_hi_u32 s4, s87, s2
	s_mul_i32 s2, s87, s2
	s_mul_i32 s3, s87, s3
	v_mov_b32_e32 v2, s2
	s_add_i32 s4, s4, s3
	v_sub_co_u32_e32 v2, vcc, s12, v2
	s_cmp_lg_u64 vcc, 0
	s_subb_u32 s2, s93, s4
	v_subrev_co_u32_e32 v4, vcc, s87, v2
	s_cmp_lg_u64 vcc, 0
	s_subb_u32 s3, s2, 0
	v_subrev_co_u32_e32 v5, vcc, s87, v4
	s_cmp_lg_u64 vcc, 0
	s_subb_u32 s4, s3, 0
	v_cmp_le_u32_e32 vcc, s87, v4
	s_cmp_eq_u32 s3, 0
	v_cndmask_b32_e64 v6, 0, -1, vcc
	s_cselect_b64 vcc, -1, 0
	v_cndmask_b32_e32 v6, -1, v6, vcc
	v_mov_b32_e32 v7, s3
	v_mov_b32_e32 v8, s4
	v_cmp_ne_u32_e32 vcc, 0, v6
	v_cndmask_b32_e32 v6, v7, v8, vcc
	v_cndmask_b32_e32 v4, v4, v5, vcc
	v_cmp_le_u32_e32 vcc, s87, v2
	s_cmp_eq_u32 s2, 0
	v_cndmask_b32_e64 v5, 0, -1, vcc
	s_cselect_b64 vcc, -1, 0
	v_cndmask_b32_e32 v5, -1, v5, vcc
	v_mov_b32_e32 v7, s2
	v_cmp_ne_u32_e32 vcc, 0, v5
	v_cndmask_b32_e32 v5, v7, v6, vcc
	v_cndmask_b32_e32 v4, v2, v4, vcc
	s_mov_b64 s[2:3], 0
	s_branch .LBB183_448
.LBB183_447:                            ;   in Loop: Header=BB183_12 Depth=1
	s_mov_b64 s[2:3], -1
                                        ; implicit-def: $vgpr4_vgpr5
.LBB183_448:                            ;   in Loop: Header=BB183_12 Depth=1
	s_andn2_b64 vcc, exec, s[2:3]
	s_cbranch_vccnz .LBB183_450
; %bb.449:                              ;   in Loop: Header=BB183_12 Depth=1
	v_cvt_f32_u32_e32 v2, s87
	s_sub_i32 s2, 0, s87
	v_rcp_iflag_f32_e32 v2, v2
	v_mul_f32_e32 v2, 0x4f7ffffe, v2
	v_cvt_u32_f32_e32 v2, v2
	v_mul_lo_u32 v4, s2, v2
	v_mul_hi_u32 v4, v2, v4
	v_add_u32_e32 v2, v2, v4
	v_readlane_b32 s2, v54, 35
	v_mul_hi_u32 v2, s2, v2
	v_mul_lo_u32 v2, v2, s87
	v_sub_u32_e32 v2, s2, v2
	v_subrev_u32_e32 v4, s87, v2
	v_cmp_le_u32_e32 vcc, s87, v2
	v_cndmask_b32_e32 v2, v2, v4, vcc
	v_subrev_u32_e32 v4, s87, v2
	v_cmp_le_u32_e32 vcc, s87, v2
	v_cndmask_b32_e32 v20, v2, v4, vcc
	v_pk_mov_b32 v[4:5], v[20:21], v[20:21] op_sel:[0,1]
.LBB183_450:                            ;   in Loop: Header=BB183_12 Depth=1
	v_readlane_b32 s2, v54, 35
	v_mov_b32_e32 v2, s93
	v_sub_co_u32_e32 v8, vcc, s2, v4
	v_subb_co_u32_e32 v9, vcc, v2, v5, vcc
	v_cmp_gt_u64_e32 vcc, v[8:9], v[0:1]
	s_mov_b64 s[12:13], 0
                                        ; implicit-def: $vgpr6_vgpr7
	s_and_saveexec_b64 s[2:3], vcc
	s_cbranch_execz .LBB183_459
; %bb.451:                              ;   in Loop: Header=BB183_12 Depth=1
	v_pk_mov_b32 v[12:13], v[0:1], v[0:1] op_sel:[0,1]
                                        ; implicit-def: $sgpr4_sgpr5
	s_branch .LBB183_453
.LBB183_452:                            ;   in Loop: Header=BB183_453 Depth=2
	s_or_b64 exec, exec, s[6:7]
	s_waitcnt lgkmcnt(0)
	s_barrier
	s_waitcnt vmcnt(0)
	ds_read_b128 v[4:7], v21 offset:3072
	v_mov_b32_e32 v2, s88
	v_add_co_u32_e64 v12, s[6:7], s87, v12
	v_addc_co_u32_e64 v13, s[6:7], v13, v2, s[6:7]
	s_waitcnt lgkmcnt(0)
	v_cmp_neq_f64_e32 vcc, 0, v[4:5]
	v_cmp_ge_u64_e64 s[6:7], v[12:13], v[8:9]
	s_or_b64 s[6:7], s[6:7], vcc
	s_and_b64 s[6:7], exec, s[6:7]
	s_or_b64 s[12:13], s[6:7], s[12:13]
	s_andn2_b64 s[4:5], s[4:5], exec
	s_and_b64 s[6:7], vcc, exec
	s_or_b64 s[4:5], s[4:5], s[6:7]
	s_barrier
	s_andn2_b64 exec, exec, s[12:13]
	s_cbranch_execz .LBB183_458
.LBB183_453:                            ;   Parent Loop BB183_12 Depth=1
                                        ; =>  This Inner Loop Header: Depth=2
	v_cmp_gt_u64_e32 vcc, s[60:61], v[12:13]
	v_pk_mov_b32 v[4:5], 0, 0
	s_and_saveexec_b64 s[90:91], vcc
	s_cbranch_execz .LBB183_455
; %bb.454:                              ;   in Loop: Header=BB183_453 Depth=2
	v_mul_lo_u32 v2, v13, s58
	v_mul_lo_u32 v6, v12, s59
	v_mad_u64_u32 v[4:5], s[6:7], v12, s58, 0
	v_add3_u32 v5, v5, v6, v2
	v_lshlrev_b64 v[4:5], 3, v[4:5]
	v_mov_b32_e32 v2, s86
	v_add_co_u32_e64 v4, s[6:7], s33, v4
	v_addc_co_u32_e64 v5, s[6:7], v2, v5, s[6:7]
	global_load_dwordx2 v[4:5], v[4:5], off
.LBB183_455:                            ;   in Loop: Header=BB183_453 Depth=2
	s_or_b64 exec, exec, s[90:91]
	s_and_saveexec_b64 s[6:7], vcc
	s_cbranch_execz .LBB183_452
; %bb.456:                              ;   in Loop: Header=BB183_453 Depth=2
	s_waitcnt vmcnt(0)
	v_ashrrev_i32_e32 v2, 31, v5
	v_or_b32_e32 v6, 0x80000000, v2
	v_xor_b32_e32 v6, v6, v5
	v_xor_b32_e32 v2, v2, v4
	v_cmp_o_f64_e32 vcc, v[4:5], v[4:5]
	v_cndmask_b32_e32 v6, -1, v6, vcc
	v_cndmask_b32_e32 v2, -1, v2, vcc
	v_and_b32_e32 v7, v6, v27
	v_and_b32_e32 v6, v2, v26
	v_cmp_eq_u64_e32 vcc, v[6:7], v[24:25]
	s_and_b64 exec, exec, vcc
	s_cbranch_execz .LBB183_452
; %bb.457:                              ;   in Loop: Header=BB183_453 Depth=2
	v_mov_b32_e32 v2, v21
	ds_write_b128 v21, v[2:5] offset:3072
	s_branch .LBB183_452
.LBB183_458:                            ;   in Loop: Header=BB183_12 Depth=1
	s_or_b64 exec, exec, s[12:13]
	s_and_b64 s[12:13], s[4:5], exec
.LBB183_459:                            ;   in Loop: Header=BB183_12 Depth=1
	s_or_b64 exec, exec, s[2:3]
	s_mov_b64 s[4:5], 0
	s_mov_b64 s[2:3], -1
	s_mov_b64 s[6:7], 0
.LBB183_460:                            ;   in Loop: Header=BB183_12 Depth=1
	v_readlane_b32 s54, v54, 51
	s_orn2_b64 s[90:91], s[12:13], exec
	v_readlane_b32 s55, v54, 52
.LBB183_461:                            ;   in Loop: Header=BB183_12 Depth=1
	s_or_b64 exec, exec, s[56:57]
	s_mov_b64 s[56:57], 0
                                        ; implicit-def: $vgpr2
                                        ; implicit-def: $vgpr4_vgpr5
	s_and_saveexec_b64 s[12:13], s[90:91]
	s_cbranch_execz .LBB183_473
; %bb.462:                              ;   in Loop: Header=BB183_12 Depth=1
	v_mov_b32_e32 v4, 1
	s_xor_b64 s[56:57], s[54:55], -1
	v_mov_b32_e32 v2, 1
	v_mov_b32_e32 v5, 0
	s_and_saveexec_b64 s[54:55], s[56:57]
	s_cbranch_execz .LBB183_472
; %bb.463:                              ;   in Loop: Header=BB183_12 Depth=1
	v_cmp_ge_u64_e32 vcc, s[16:17], v[10:11]
                                        ; implicit-def: $sgpr84
	s_and_saveexec_b64 s[56:57], vcc
	s_xor_b64 s[56:57], exec, s[56:57]
	s_cbranch_execz .LBB183_469
; %bb.464:                              ;   in Loop: Header=BB183_12 Depth=1
	ds_read_b64 v[4:5], v21 offset:5120
	s_waitcnt lgkmcnt(0)
	v_cmp_ne_u64_e32 vcc, 0, v[4:5]
	s_cbranch_vccnz .LBB183_468
; %bb.465:                              ;   in Loop: Header=BB183_12 Depth=1
	s_mov_b64 s[90:91], exec
	v_readlane_b32 vcc_lo, v54, 12
	v_readlane_b32 vcc_hi, v54, 13
	s_and_b64 vcc, s[90:91], vcc
	s_mov_b64 exec, vcc
	s_cbranch_execz .LBB183_467
; %bb.466:                              ;   in Loop: Header=BB183_12 Depth=1
	v_pk_mov_b32 v[4:5], s[16:17], s[16:17] op_sel:[0,1]
	ds_write_b64 v21, v[4:5] offset:5128
.LBB183_467:                            ;   in Loop: Header=BB183_12 Depth=1
	s_or_b64 exec, exec, s[90:91]
	s_waitcnt lgkmcnt(0)
	s_barrier
.LBB183_468:                            ;   in Loop: Header=BB183_12 Depth=1
	v_and_b32_e32 v25, s21, v25
	v_and_b32_e32 v24, s20, v24
	v_or_b32_e32 v27, s19, v27
	v_or_b32_e32 v26, s18, v26
	s_mov_b32 s84, 5
.LBB183_469:                            ;   in Loop: Header=BB183_12 Depth=1
	s_or_saveexec_b64 s[18:19], s[56:57]
	v_mov_b32_e32 v2, s84
	s_xor_b64 exec, exec, s[18:19]
; %bb.470:                              ;   in Loop: Header=BB183_12 Depth=1
	v_mov_b32_e32 v2, s17
	v_subrev_co_u32_e32 v10, vcc, s16, v10
	v_subb_co_u32_e32 v11, vcc, v11, v2, vcc
	v_mov_b32_e32 v2, 5
; %bb.471:                              ;   in Loop: Header=BB183_12 Depth=1
	s_or_b64 exec, exec, s[18:19]
	v_pk_mov_b32 v[4:5], v[10:11], v[10:11] op_sel:[0,1]
.LBB183_472:                            ;   in Loop: Header=BB183_12 Depth=1
	s_or_b64 exec, exec, s[54:55]
	s_mov_b64 s[56:57], exec
.LBB183_473:                            ;   in Loop: Header=BB183_12 Depth=1
	s_or_b64 exec, exec, s[12:13]
	s_orn2_b64 s[12:13], s[56:57], exec
	v_pk_mov_b32 v[10:11], v[4:5], v[4:5] op_sel:[0,1]
.LBB183_474:                            ;   in Loop: Header=BB183_12 Depth=1
	s_or_b64 exec, exec, s[22:23]
	s_andn2_b64 s[8:9], s[8:9], exec
	s_and_b64 s[2:3], s[2:3], exec
	s_or_b64 s[8:9], s[8:9], s[2:3]
	s_andn2_b64 s[2:3], s[50:51], exec
	s_and_b64 s[4:5], s[4:5], exec
	s_or_b64 s[50:51], s[2:3], s[4:5]
	;; [unrolled: 3-line block ×3, first 2 shown]
	s_and_b64 s[2:3], s[12:13], exec
	v_pk_mov_b32 v[8:9], v[10:11], v[10:11] op_sel:[0,1]
.LBB183_475:                            ;   in Loop: Header=BB183_12 Depth=1
	s_or_b64 exec, exec, s[52:53]
	s_and_b64 s[8:9], s[8:9], exec
	s_and_b64 s[6:7], s[50:51], exec
	;; [unrolled: 1-line block ×3, first 2 shown]
	s_orn2_b64 s[2:3], s[2:3], exec
.LBB183_476:                            ;   in Loop: Header=BB183_12 Depth=1
	s_or_b64 exec, exec, s[26:27]
	s_andn2_b64 s[10:11], s[40:41], exec
	s_and_b64 s[8:9], s[8:9], exec
	s_or_b64 s[40:41], s[10:11], s[8:9]
	s_andn2_b64 s[8:9], s[44:45], exec
	s_and_b64 s[6:7], s[6:7], exec
	s_or_b64 s[44:45], s[8:9], s[6:7]
	s_andn2_b64 s[6:7], s[46:47], exec
	s_and_b64 s[4:5], s[4:5], exec
	s_or_b64 s[46:47], s[6:7], s[4:5]
	s_and_b64 s[6:7], s[2:3], exec
	v_pk_mov_b32 v[30:31], v[8:9], v[8:9] op_sel:[0,1]
.LBB183_477:                            ;   in Loop: Header=BB183_12 Depth=1
	s_or_b64 exec, exec, s[48:49]
	s_and_b64 s[8:9], s[40:41], exec
	s_and_b64 s[4:5], s[44:45], exec
	;; [unrolled: 1-line block ×3, first 2 shown]
	s_orn2_b64 s[12:13], s[6:7], exec
.LBB183_478:                            ;   in Loop: Header=BB183_12 Depth=1
	s_or_b64 exec, exec, s[28:29]
	s_mov_b64 s[6:7], s[36:37]
	s_mov_b64 s[10:11], s[34:35]
	s_and_saveexec_b64 s[16:17], s[12:13]
; %bb.479:                              ;   in Loop: Header=BB183_12 Depth=1
	v_cmp_ne_u32_e64 s[6:7], 5, v2
	v_cmp_eq_u32_e32 vcc, 5, v2
	s_andn2_b64 s[10:11], s[34:35], exec
	s_and_b64 s[6:7], s[6:7], exec
	s_or_b64 s[10:11], s[10:11], s[6:7]
	s_andn2_b64 s[6:7], s[36:37], exec
	s_and_b64 s[12:13], vcc, exec
	s_andn2_b64 s[8:9], s[8:9], exec
	s_andn2_b64 s[4:5], s[4:5], exec
	s_andn2_b64 s[2:3], s[2:3], exec
	s_or_b64 s[6:7], s[6:7], s[12:13]
; %bb.480:                              ;   in Loop: Header=BB183_12 Depth=1
	s_or_b64 exec, exec, s[16:17]
	s_andn2_b64 s[12:13], s[14:15], exec
	s_and_b64 s[8:9], s[8:9], exec
	s_or_b64 s[14:15], s[12:13], s[8:9]
	s_andn2_b64 s[8:9], s[42:43], exec
	s_and_b64 s[4:5], s[4:5], exec
	s_or_b64 s[42:43], s[8:9], s[4:5]
	;; [unrolled: 3-line block ×5, first 2 shown]
	v_pk_mov_b32 v[12:13], v[24:25], v[24:25] op_sel:[0,1]
	v_pk_mov_b32 v[14:15], v[26:27], v[26:27] op_sel:[0,1]
	;; [unrolled: 1-line block ×3, first 2 shown]
.LBB183_481:                            ;   in Loop: Header=BB183_12 Depth=1
	s_or_b64 exec, exec, s[38:39]
	s_mov_b64 s[40:41], s[24:25]
	s_mov_b64 s[38:39], s[24:25]
	s_and_saveexec_b64 s[2:3], s[36:37]
.LBB183_482:                            ;   in Loop: Header=BB183_12 Depth=1
	v_mov_b32_e32 v2, 0
	s_andn2_b64 s[24:25], s[24:25], exec
	s_andn2_b64 s[14:15], s[14:15], exec
	;; [unrolled: 1-line block ×5, first 2 shown]
	s_or_b64 s[34:35], s[34:35], exec
.LBB183_483:                            ;   in Loop: Header=BB183_12 Depth=1
	s_or_b64 exec, exec, s[2:3]
	s_andn2_b64 s[2:3], s[82:83], exec
	s_and_b64 s[6:7], s[24:25], exec
	s_or_b64 s[82:83], s[2:3], s[6:7]
	s_andn2_b64 s[2:3], s[80:81], exec
	s_and_b64 s[6:7], s[14:15], exec
	s_or_b64 s[80:81], s[2:3], s[6:7]
	;; [unrolled: 3-line block ×4, first 2 shown]
	s_andn2_b64 s[2:3], s[72:73], exec
	s_and_b64 s[6:7], s[38:39], exec
	s_mov_b64 s[4:5], -1
	s_or_b64 s[72:73], s[2:3], s[6:7]
                                        ; implicit-def: $vgpr26_vgpr27
                                        ; implicit-def: $vgpr24_vgpr25
                                        ; implicit-def: $vgpr28_vgpr29
                                        ; implicit-def: $vgpr6_vgpr7
	s_and_saveexec_b64 s[2:3], s[34:35]
	s_xor_b64 s[2:3], exec, s[2:3]
	s_cbranch_execz .LBB183_11
; %bb.484:                              ;   in Loop: Header=BB183_12 Depth=1
	v_cmp_eq_u32_e32 vcc, 0, v2
	s_mov_b64 s[6:7], -1
	s_and_saveexec_b64 s[8:9], vcc
	s_cbranch_execz .LBB183_10
; %bb.485:                              ;   in Loop: Header=BB183_12 Depth=1
	v_readlane_b32 s4, v54, 50
	s_xor_b32 s4, s4, 1
	s_add_i32 s10, s89, -2
	s_cmp_eq_u32 s89, 0
	v_writelane_b32 v54, s4, 50
	s_cselect_b64 s[4:5], -1, 0
	s_xor_b64 s[6:7], exec, -1
	s_orn2_b64 s[4:5], s[4:5], exec
	s_mov_b32 s89, s10
	s_branch .LBB183_10
.LBB183_486:
	s_or_b64 exec, exec, s[64:65]
	s_xor_b64 s[4:5], s[30:31], -1
	s_xor_b64 s[14:15], s[78:79], -1
	;; [unrolled: 1-line block ×5, first 2 shown]
	s_mov_b64 s[8:9], 0
	s_and_saveexec_b64 s[10:11], s[6:7]
	s_xor_b64 s[6:7], exec, s[10:11]
	s_cbranch_execnz .LBB183_491
; %bb.487:
	s_andn2_saveexec_b64 s[0:1], s[6:7]
	s_cbranch_execnz .LBB183_510
.LBB183_488:
	s_or_b64 exec, exec, s[0:1]
	s_and_saveexec_b64 s[0:1], s[8:9]
.LBB183_489:
	; divergent unreachable
.LBB183_490:
	s_endpgm
.LBB183_491:
	s_mov_b64 s[10:11], 0
	s_and_saveexec_b64 s[8:9], s[12:13]
	s_xor_b64 s[8:9], exec, s[8:9]
	s_cbranch_execz .LBB183_508
; %bb.492:
	s_mov_b64 s[12:13], 0
	s_and_saveexec_b64 s[10:11], s[14:15]
	s_xor_b64 s[10:11], exec, s[10:11]
	s_cbranch_execz .LBB183_506
; %bb.493:
	;; [unrolled: 5-line block ×3, first 2 shown]
	s_and_saveexec_b64 s[4:5], s[2:3]
	s_xor_b64 s[2:3], exec, s[4:5]
; %bb.495:
	v_lshrrev_b32_e32 v2, 31, v13
	v_add_co_u32_e32 v2, vcc, -1, v2
	v_addc_co_u32_e64 v3, s[4:5], 0, -1, vcc
	v_or_b32_e32 v3, 0x80000000, v3
	v_xor_b32_e32 v11, v3, v13
	v_xor_b32_e32 v10, v2, v12
; %bb.496:
	s_or_b64 exec, exec, s[2:3]
	s_mov_b64 s[2:3], exec
	v_readlane_b32 s4, v54, 12
	v_readlane_b32 s5, v54, 13
	;; [unrolled: 1-line block ×4, first 2 shown]
	s_and_b64 s[4:5], s[2:3], s[4:5]
	v_readlane_b32 s39, v54, 21
	v_readlane_b32 s21, v54, 45
	;; [unrolled: 1-line block ×4, first 2 shown]
	s_mov_b64 exec, s[4:5]
	s_cbranch_execz .LBB183_498
; %bb.497:
	v_mov_b32_e32 v2, 0
	v_mov_b32_e32 v3, v2
	ds_write_b64 v2, v[2:3] offset:5136
.LBB183_498:
	s_or_b64 exec, exec, s[2:3]
	s_waitcnt vmcnt(0)
	v_pk_mov_b32 v[4:5], 0, 0
	s_waitcnt lgkmcnt(0)
	s_barrier
	s_mov_b64 s[2:3], exec
	v_readlane_b32 s4, v54, 28
	v_readlane_b32 s5, v54, 29
	s_and_b64 s[4:5], s[2:3], s[4:5]
	s_mov_b64 exec, s[4:5]
	s_cbranch_execz .LBB183_500
; %bb.499:
	global_load_dwordx2 v[4:5], v[18:19], off
.LBB183_500:
	s_or_b64 exec, exec, s[2:3]
	s_add_u32 s2, s60, 63
	s_addc_u32 s15, s61, 0
	s_and_b32 s14, s2, 0xffffffc0
	v_readlane_b32 s4, v54, 2
	v_readlane_b32 s2, v54, 0
	;; [unrolled: 1-line block ×4, first 2 shown]
	s_mov_b32 s16, s2
	s_mul_i32 s2, s2, s5
	s_mul_hi_u32 s3, s16, s4
	s_add_i32 s3, s3, s2
	s_mul_i32 s2, s16, s4
	v_readlane_b32 s24, v54, 16
	s_sub_u32 s2, s18, s2
	v_readlane_b32 s26, v54, 18
	v_readlane_b32 s27, v54, 19
	s_subb_u32 s3, 0, s3
	s_mul_i32 s4, s2, s27
	s_mul_hi_u32 s5, s2, s26
	v_readlane_b32 s25, v54, 17
	s_add_i32 s4, s5, s4
	s_mul_i32 s3, s3, s26
	s_add_i32 s3, s4, s3
	s_mul_i32 s4, s16, s25
	s_mul_hi_u32 s5, s16, s24
	s_add_i32 s5, s5, s4
	s_mul_i32 s4, s16, s24
	v_readlane_b32 s22, v54, 6
	v_readlane_b32 s16, v54, 4
	v_readlane_b32 s23, v54, 7
	v_readlane_b32 s17, v54, 5
	s_mov_b32 s24, s16
	s_mul_i32 s16, s16, s23
	s_mul_hi_u32 s17, s24, s22
	s_add_i32 s17, s17, s16
	s_mul_i32 s16, s24, s22
	v_readlane_b32 s28, v54, 46
	s_sub_u32 s16, s18, s16
	v_readlane_b32 s30, v54, 48
	v_readlane_b32 s31, v54, 49
	s_subb_u32 s17, 0, s17
	s_mul_i32 s18, s16, s31
	s_mul_hi_u32 s19, s16, s30
	v_readlane_b32 s29, v54, 47
	s_add_i32 s18, s19, s18
	s_mul_i32 s17, s17, s30
	s_add_i32 s17, s18, s17
	s_mul_i32 s18, s24, s29
	s_mul_hi_u32 s19, s24, s28
	s_add_i32 s19, s19, s18
	s_lshl_b64 s[4:5], s[4:5], 3
	v_readlane_b32 s22, v54, 10
	s_mul_i32 s2, s2, s26
	v_readlane_b32 s23, v54, 11
	s_add_u32 s4, s22, s4
	s_addc_u32 s5, s23, s5
	s_lshl_b64 s[2:3], s[2:3], 3
	s_mul_i32 s18, s24, s28
	s_add_u32 s46, s4, s2
	s_addc_u32 s47, s5, s3
	s_lshl_b64 s[2:3], s[18:19], 3
	v_readlane_b32 s4, v54, 8
	s_mul_i32 s16, s16, s30
	v_readlane_b32 s5, v54, 9
	s_add_u32 s4, s4, s2
	s_addc_u32 s5, s5, s3
	s_lshl_b64 s[2:3], s[16:17], 3
	s_load_dwordx2 s[16:17], s[20:21], 0x368
	s_load_dwordx2 s[18:19], s[20:21], 0x510
	v_ashrrev_i32_e32 v2, 31, v11
	v_or_b32_e32 v3, 0x80000000, v2
	v_xor_b32_e32 v3, v3, v11
	v_xor_b32_e32 v2, v2, v10
	v_cmp_o_f64_e32 vcc, v[10:11], v[10:11]
	s_add_u32 s48, s4, s2
	v_cndmask_b32_e32 v3, -1, v3, vcc
	v_cndmask_b32_e32 v2, -1, v2, vcc
	s_addc_u32 s49, s5, s3
	v_cmp_gt_u64_e32 vcc, s[14:15], v[0:1]
	s_mov_b64 s[22:23], -1
	s_mov_b64 s[2:3], 0
	s_mov_b64 s[4:5], 0
	s_and_saveexec_b64 s[20:21], vcc
	s_cbranch_execnz .LBB183_511
; %bb.501:
	s_or_b64 exec, exec, s[20:21]
	s_and_saveexec_b64 s[20:21], s[22:23]
	s_cbranch_execnz .LBB183_528
.LBB183_502:
	s_or_b64 exec, exec, s[20:21]
	s_and_saveexec_b64 s[0:1], s[4:5]
	s_xor_b64 s[0:1], exec, s[0:1]
	s_cbranch_execnz .LBB183_552
.LBB183_503:
	s_or_b64 exec, exec, s[0:1]
	s_and_b64 s[14:15], s[2:3], exec
.LBB183_504:
	s_andn2_saveexec_b64 s[0:1], s[12:13]
	s_cbranch_execnz .LBB183_555
.LBB183_505:
	s_or_b64 exec, exec, s[0:1]
	s_and_b64 s[12:13], s[14:15], exec
.LBB183_506:
	s_andn2_saveexec_b64 s[0:1], s[10:11]
	s_cbranch_execnz .LBB183_554
.LBB183_507:
	s_or_b64 exec, exec, s[0:1]
	s_and_b64 s[10:11], s[12:13], exec
.LBB183_508:
	s_andn2_saveexec_b64 s[0:1], s[8:9]
	s_cbranch_execnz .LBB183_553
.LBB183_509:
	s_or_b64 exec, exec, s[0:1]
	s_and_b64 s[8:9], s[10:11], exec
	s_andn2_saveexec_b64 s[0:1], s[6:7]
	s_cbranch_execz .LBB183_488
.LBB183_510:
	s_or_b64 s[8:9], s[8:9], exec
	s_trap 2
	s_or_b64 exec, exec, s[0:1]
	s_and_saveexec_b64 s[0:1], s[8:9]
	s_cbranch_execnz .LBB183_489
	s_branch .LBB183_490
.LBB183_511:
	s_mov_b64 s[22:23], 0
	v_mov_b32_e32 v22, s88
	v_mov_b32_e32 v7, 0
	v_pk_mov_b32 v[14:15], v[0:1], v[0:1] op_sel:[0,1]
                                        ; implicit-def: $sgpr24_sgpr25
                                        ; implicit-def: $vgpr10_vgpr11
	s_branch .LBB183_513
.LBB183_512:                            ;   in Loop: Header=BB183_513 Depth=1
	s_or_b64 exec, exec, s[26:27]
	s_xor_b64 s[26:27], s[30:31], -1
	s_and_b64 s[4:5], exec, s[4:5]
	s_or_b64 s[22:23], s[4:5], s[22:23]
	s_andn2_b64 s[4:5], s[24:25], exec
	s_and_b64 s[24:25], s[26:27], exec
	s_or_b64 s[24:25], s[4:5], s[24:25]
	s_waitcnt vmcnt(0)
	v_pk_mov_b32 v[4:5], v[12:13], v[12:13] op_sel:[0,1]
	v_pk_mov_b32 v[14:15], v[8:9], v[8:9] op_sel:[0,1]
	s_andn2_b64 exec, exec, s[22:23]
	s_cbranch_execz .LBB183_527
.LBB183_513:                            ; =>This Inner Loop Header: Depth=1
	v_add_co_u32_e32 v8, vcc, s87, v14
	v_addc_co_u32_e32 v9, vcc, v15, v22, vcc
	v_cmp_gt_u64_e32 vcc, s[60:61], v[8:9]
	v_pk_mov_b32 v[12:13], 0, 0
	s_and_saveexec_b64 s[4:5], vcc
	s_cbranch_execz .LBB183_515
; %bb.514:                              ;   in Loop: Header=BB183_513 Depth=1
	v_mul_lo_u32 v6, v9, s58
	v_mul_lo_u32 v20, v8, s59
	v_mad_u64_u32 v[12:13], s[26:27], v8, s58, 0
	v_add3_u32 v13, v13, v20, v6
	v_lshlrev_b64 v[12:13], 3, v[12:13]
	v_mov_b32_e32 v6, s86
	v_add_co_u32_e32 v12, vcc, s33, v12
	v_addc_co_u32_e32 v13, vcc, v6, v13, vcc
	global_load_dwordx2 v[12:13], v[12:13], off
.LBB183_515:                            ;   in Loop: Header=BB183_513 Depth=1
	s_or_b64 exec, exec, s[4:5]
	v_cmp_gt_u64_e32 vcc, s[60:61], v[14:15]
	s_mov_b64 s[26:27], 0
	s_and_saveexec_b64 s[4:5], vcc
	s_cbranch_execz .LBB183_517
; %bb.516:                              ;   in Loop: Header=BB183_513 Depth=1
	s_waitcnt vmcnt(0)
	v_ashrrev_i32_e32 v6, 31, v5
	v_or_b32_e32 v20, 0x80000000, v6
	v_xor_b32_e32 v20, v20, v5
	v_xor_b32_e32 v6, v6, v4
	v_cmp_o_f64_e32 vcc, v[4:5], v[4:5]
	v_cndmask_b32_e32 v21, -1, v20, vcc
	v_cndmask_b32_e32 v20, -1, v6, vcc
	v_cmp_gt_u64_e32 vcc, v[20:21], v[2:3]
	v_cndmask_b32_e64 v6, 0, 1, vcc
	v_cmp_lt_u64_e32 vcc, v[20:21], v[2:3]
	v_cndmask_b32_e64 v20, 0, 1, vcc
	v_cndmask_b32_e64 v6, v20, v6, s[38:39]
	v_and_b32_e32 v6, 1, v6
	v_cmp_eq_u32_e32 vcc, 1, v6
	s_and_b64 s[26:27], vcc, exec
.LBB183_517:                            ;   in Loop: Header=BB183_513 Depth=1
	s_or_b64 exec, exec, s[4:5]
	v_cndmask_b32_e64 v6, 0, 1, s[26:27]
	v_cmp_ne_u32_e32 vcc, 0, v6
	s_cmp_lg_u64 vcc, 0
	s_cselect_b64 s[4:5], -1, 0
	s_and_b64 s[4:5], s[0:1], s[4:5]
	s_and_saveexec_b64 s[28:29], s[4:5]
	s_cbranch_execz .LBB183_521
; %bb.518:                              ;   in Loop: Header=BB183_513 Depth=1
	s_mov_b64 s[34:35], exec
	v_mbcnt_lo_u32_b32 v6, s34, 0
	v_mbcnt_hi_u32_b32 v20, s35, v6
	s_bcnt1_i32_b64 s36, vcc
	v_cmp_eq_u32_e64 s[4:5], 0, v20
                                        ; implicit-def: $vgpr10_vgpr11
	s_and_saveexec_b64 s[30:31], s[4:5]
	s_cbranch_execz .LBB183_520
; %bb.519:                              ;   in Loop: Header=BB183_513 Depth=1
	s_bcnt1_i32_b64 s4, s[34:35]
	s_mul_i32 s4, s36, s4
	v_mov_b32_e32 v6, s4
	s_waitcnt lgkmcnt(0)
	ds_add_rtn_u64 v[10:11], v7, v[6:7] offset:5136
.LBB183_520:                            ;   in Loop: Header=BB183_513 Depth=1
	s_or_b64 exec, exec, s[30:31]
	s_waitcnt lgkmcnt(0)
	v_readfirstlane_b32 s4, v11
	v_readfirstlane_b32 s5, v10
	v_mov_b32_e32 v10, s5
	v_mov_b32_e32 v11, s4
	v_mad_u64_u32 v[10:11], s[4:5], s36, v20, v[10:11]
.LBB183_521:                            ;   in Loop: Header=BB183_513 Depth=1
	s_or_b64 exec, exec, s[28:29]
	s_waitcnt lgkmcnt(0)
	ds_bpermute_b32 v10, v36, v10
	ds_bpermute_b32 v11, v36, v11
	s_mov_b64 s[4:5], -1
	s_mov_b64 s[34:35], -1
                                        ; implicit-def: $sgpr30_sgpr31
	s_and_saveexec_b64 s[28:29], s[26:27]
	s_cbranch_execz .LBB183_525
; %bb.522:                              ;   in Loop: Header=BB183_513 Depth=1
	v_and_b32_e32 v20, vcc_lo, v16
	v_and_b32_e32 v6, vcc_hi, v17
	v_bcnt_u32_b32 v20, v20, 0
	v_bcnt_u32_b32 v6, v6, v20
	s_waitcnt lgkmcnt(0)
	v_add_co_u32_e32 v20, vcc, v10, v6
	v_addc_co_u32_e32 v21, vcc, 0, v11, vcc
	v_cmp_gt_u64_e32 vcc, s[62:63], v[20:21]
	s_mov_b64 s[26:27], 0
	s_and_saveexec_b64 s[30:31], vcc
	s_cbranch_execz .LBB183_524
; %bb.523:                              ;   in Loop: Header=BB183_513 Depth=1
	v_mul_lo_u32 v6, v21, s16
	v_mul_lo_u32 v23, v20, s17
	v_mad_u64_u32 v[24:25], s[34:35], v20, s16, 0
	v_add3_u32 v25, v25, v23, v6
	v_mul_lo_u32 v6, v21, s18
	v_mul_lo_u32 v23, v20, s19
	v_mad_u64_u32 v[20:21], s[34:35], v20, s18, 0
	v_lshlrev_b64 v[24:25], 3, v[24:25]
	v_add3_u32 v21, v21, v23, v6
	v_mov_b32_e32 v6, s47
	v_add_co_u32_e32 v24, vcc, s46, v24
	v_addc_co_u32_e32 v25, vcc, v6, v25, vcc
	s_waitcnt vmcnt(0)
	global_store_dwordx2 v[24:25], v[4:5], off
	v_lshlrev_b64 v[4:5], 3, v[20:21]
	v_mov_b32_e32 v6, s49
	v_add_co_u32_e32 v4, vcc, s48, v4
	s_mov_b64 s[26:27], exec
	v_addc_co_u32_e32 v5, vcc, v6, v5, vcc
	global_store_dwordx2 v[4:5], v[14:15], off
.LBB183_524:                            ;   in Loop: Header=BB183_513 Depth=1
	s_or_b64 exec, exec, s[30:31]
	s_mov_b64 s[30:31], -1
	s_orn2_b64 s[34:35], s[26:27], exec
.LBB183_525:                            ;   in Loop: Header=BB183_513 Depth=1
	s_or_b64 exec, exec, s[28:29]
	s_and_saveexec_b64 s[26:27], s[34:35]
	s_cbranch_execz .LBB183_512
; %bb.526:                              ;   in Loop: Header=BB183_513 Depth=1
	v_cmp_le_u64_e32 vcc, s[14:15], v[8:9]
	s_andn2_b64 s[30:31], s[30:31], exec
	s_orn2_b64 s[4:5], vcc, exec
	s_branch .LBB183_512
.LBB183_527:
	s_or_b64 exec, exec, s[22:23]
	s_mov_b64 s[4:5], exec
	s_orn2_b64 s[22:23], s[24:25], exec
	s_or_b64 exec, exec, s[20:21]
	s_and_saveexec_b64 s[20:21], s[22:23]
	s_cbranch_execz .LBB183_502
.LBB183_528:
	s_waitcnt lgkmcnt(0)
	v_pk_mov_b32 v[10:11], 0, 0
	s_barrier
	s_mov_b64 s[2:3], exec
	v_readlane_b32 s22, v54, 28
	v_readlane_b32 s23, v54, 29
	s_and_b64 s[22:23], s[2:3], s[22:23]
	s_mov_b64 exec, s[22:23]
	s_cbranch_execz .LBB183_530
; %bb.529:
	global_load_dwordx2 v[10:11], v[18:19], off
.LBB183_530:
	s_or_b64 exec, exec, s[2:3]
	s_mov_b64 s[22:23], 0
	s_waitcnt vmcnt(0)
	v_mov_b32_e32 v5, 0
                                        ; implicit-def: $sgpr24_sgpr25
                                        ; implicit-def: $sgpr26_sgpr27
                                        ; implicit-def: $sgpr28_sgpr29
                                        ; implicit-def: $vgpr6_vgpr7
	s_branch .LBB183_533
.LBB183_531:                            ;   in Loop: Header=BB183_533 Depth=1
	s_or_b64 exec, exec, s[36:37]
	s_andn2_b64 s[28:29], s[28:29], exec
	s_and_b64 s[34:35], s[40:41], exec
	s_andn2_b64 s[26:27], s[26:27], exec
	s_and_b64 s[2:3], s[2:3], exec
	s_or_b64 s[28:29], s[28:29], s[34:35]
	s_or_b64 s[26:27], s[26:27], s[2:3]
	v_pk_mov_b32 v[0:1], v[8:9], v[8:9] op_sel:[0,1]
	v_pk_mov_b32 v[10:11], v[14:15], v[14:15] op_sel:[0,1]
.LBB183_532:                            ;   in Loop: Header=BB183_533 Depth=1
	s_or_b64 exec, exec, s[30:31]
	s_xor_b64 s[2:3], s[28:29], -1
	s_and_b64 s[30:31], exec, s[26:27]
	s_or_b64 s[22:23], s[30:31], s[22:23]
	s_andn2_b64 s[24:25], s[24:25], exec
	s_and_b64 s[2:3], s[2:3], exec
	s_or_b64 s[24:25], s[24:25], s[2:3]
	s_andn2_b64 exec, exec, s[22:23]
	s_cbranch_execz .LBB183_550
.LBB183_533:                            ; =>This Inner Loop Header: Depth=1
	v_cmp_gt_u64_e32 vcc, s[14:15], v[0:1]
	s_or_b64 s[28:29], s[28:29], exec
	s_or_b64 s[26:27], s[26:27], exec
	s_and_saveexec_b64 s[30:31], vcc
	s_cbranch_execz .LBB183_532
; %bb.534:                              ;   in Loop: Header=BB183_533 Depth=1
	v_mov_b32_e32 v4, s88
	v_add_co_u32_e32 v8, vcc, s87, v0
	v_addc_co_u32_e32 v9, vcc, v1, v4, vcc
	v_cmp_gt_u64_e32 vcc, s[60:61], v[8:9]
	v_pk_mov_b32 v[12:13], 0, 0
	s_and_saveexec_b64 s[2:3], vcc
	s_cbranch_execz .LBB183_536
; %bb.535:                              ;   in Loop: Header=BB183_533 Depth=1
	v_mul_lo_u32 v4, v9, s58
	v_mul_lo_u32 v14, v8, s59
	v_mad_u64_u32 v[12:13], s[34:35], v8, s58, 0
	v_add3_u32 v13, v13, v14, v4
	v_lshlrev_b64 v[12:13], 3, v[12:13]
	v_mov_b32_e32 v4, s86
	v_add_co_u32_e32 v12, vcc, s33, v12
	v_addc_co_u32_e32 v13, vcc, v4, v13, vcc
	global_load_dwordx2 v[12:13], v[12:13], off
.LBB183_536:                            ;   in Loop: Header=BB183_533 Depth=1
	s_or_b64 exec, exec, s[2:3]
	v_cmp_gt_u64_e32 vcc, s[60:61], v[0:1]
	s_mov_b64 s[36:37], 0
	s_and_saveexec_b64 s[2:3], vcc
; %bb.537:                              ;   in Loop: Header=BB183_533 Depth=1
	v_ashrrev_i32_e32 v4, 31, v11
	v_or_b32_e32 v14, 0x80000000, v4
	v_xor_b32_e32 v14, v14, v11
	v_xor_b32_e32 v4, v4, v10
	v_cmp_o_f64_e32 vcc, v[10:11], v[10:11]
	v_cndmask_b32_e32 v15, -1, v14, vcc
	v_cndmask_b32_e32 v14, -1, v4, vcc
	v_cmp_eq_u64_e32 vcc, v[14:15], v[2:3]
	s_and_b64 s[36:37], vcc, exec
; %bb.538:                              ;   in Loop: Header=BB183_533 Depth=1
	s_or_b64 exec, exec, s[2:3]
	v_cndmask_b32_e64 v4, 0, 1, s[36:37]
	v_cmp_ne_u32_e32 vcc, 0, v4
	s_cmp_lg_u64 vcc, 0
	s_cselect_b64 s[2:3], -1, 0
	s_and_b64 s[2:3], s[0:1], s[2:3]
	s_and_saveexec_b64 s[34:35], s[2:3]
	s_cbranch_execz .LBB183_542
; %bb.539:                              ;   in Loop: Header=BB183_533 Depth=1
	s_mov_b64 s[40:41], exec
	v_mbcnt_lo_u32_b32 v4, s40, 0
	v_mbcnt_hi_u32_b32 v14, s41, v4
	s_bcnt1_i32_b64 s42, vcc
	v_cmp_eq_u32_e64 s[2:3], 0, v14
                                        ; implicit-def: $vgpr6_vgpr7
	s_and_saveexec_b64 s[38:39], s[2:3]
	s_cbranch_execz .LBB183_541
; %bb.540:                              ;   in Loop: Header=BB183_533 Depth=1
	s_bcnt1_i32_b64 s2, s[40:41]
	s_mul_i32 s2, s42, s2
	v_mov_b32_e32 v4, s2
	ds_add_rtn_u64 v[6:7], v5, v[4:5] offset:5136
.LBB183_541:                            ;   in Loop: Header=BB183_533 Depth=1
	s_or_b64 exec, exec, s[38:39]
	s_waitcnt lgkmcnt(0)
	v_readfirstlane_b32 s2, v7
	v_readfirstlane_b32 s3, v6
	v_mov_b32_e32 v6, s3
	v_mov_b32_e32 v7, s2
	v_mad_u64_u32 v[6:7], s[2:3], s42, v14, v[6:7]
.LBB183_542:                            ;   in Loop: Header=BB183_533 Depth=1
	s_or_b64 exec, exec, s[34:35]
	ds_bpermute_b32 v6, v36, v6
	ds_bpermute_b32 v7, v36, v7
	s_cmp_eq_u64 vcc, 0
	s_cselect_b64 s[34:35], -1, 0
	s_mov_b64 s[38:39], -1
	s_mov_b64 s[40:41], -1
	s_waitcnt lgkmcnt(0)
	v_cmp_gt_u64_e64 s[2:3], s[62:63], v[6:7]
	s_or_b64 s[34:35], s[34:35], s[2:3]
	s_waitcnt vmcnt(0)
	v_cndmask_b32_e64 v15, v11, v13, s[34:35]
	s_and_b64 s[42:43], s[36:37], s[34:35]
	v_cndmask_b32_e64 v14, v10, v12, s[34:35]
	s_mov_b64 s[2:3], -1
	s_and_saveexec_b64 s[36:37], s[42:43]
	s_cbranch_execz .LBB183_548
; %bb.543:                              ;   in Loop: Header=BB183_533 Depth=1
	v_and_b32_e32 v14, vcc_lo, v16
	v_and_b32_e32 v4, vcc_hi, v17
	v_bcnt_u32_b32 v14, v14, 0
	v_bcnt_u32_b32 v4, v4, v14
	v_mov_b32_e32 v15, s63
	v_sub_co_u32_e32 v14, vcc, s62, v6
	v_subb_co_u32_e32 v15, vcc, v15, v7, vcc
	v_cmp_le_u64_e64 s[38:39], v[14:15], v[4:5]
	v_cmp_gt_u64_e32 vcc, v[14:15], v[4:5]
	s_mov_b64 s[42:43], -1
	s_and_saveexec_b64 s[40:41], vcc
	s_cbranch_execz .LBB183_547
; %bb.544:                              ;   in Loop: Header=BB183_533 Depth=1
	v_add_co_u32_e32 v14, vcc, v6, v4
	v_addc_co_u32_e32 v15, vcc, 0, v7, vcc
	v_cmp_gt_u64_e32 vcc, s[62:63], v[14:15]
	s_mov_b64 s[44:45], s[38:39]
	s_and_saveexec_b64 s[42:43], vcc
	s_cbranch_execz .LBB183_546
; %bb.545:                              ;   in Loop: Header=BB183_533 Depth=1
	v_mul_lo_u32 v4, v15, s16
	v_mul_lo_u32 v20, v14, s17
	v_mad_u64_u32 v[18:19], s[44:45], v14, s16, 0
	v_add3_u32 v19, v19, v20, v4
	v_mul_lo_u32 v4, v15, s18
	v_mul_lo_u32 v20, v14, s19
	v_mad_u64_u32 v[14:15], s[44:45], v14, s18, 0
	v_lshlrev_b64 v[18:19], 3, v[18:19]
	v_add3_u32 v15, v15, v20, v4
	v_mov_b32_e32 v4, s47
	v_add_co_u32_e32 v18, vcc, s46, v18
	v_addc_co_u32_e32 v19, vcc, v4, v19, vcc
	global_store_dwordx2 v[18:19], v[10:11], off
	v_lshlrev_b64 v[10:11], 3, v[14:15]
	v_mov_b32_e32 v4, s49
	v_add_co_u32_e32 v10, vcc, s48, v10
	v_addc_co_u32_e32 v11, vcc, v4, v11, vcc
	s_or_b64 s[44:45], s[38:39], exec
	global_store_dwordx2 v[10:11], v[0:1], off
.LBB183_546:                            ;   in Loop: Header=BB183_533 Depth=1
	s_or_b64 exec, exec, s[42:43]
	s_andn2_b64 s[38:39], s[38:39], exec
	s_and_b64 s[44:45], s[44:45], exec
	s_xor_b64 s[42:43], exec, -1
	s_or_b64 s[38:39], s[38:39], s[44:45]
.LBB183_547:                            ;   in Loop: Header=BB183_533 Depth=1
	s_or_b64 exec, exec, s[40:41]
	s_orn2_b64 s[40:41], s[42:43], exec
	s_or_b64 s[34:35], s[34:35], exec
	s_orn2_b64 s[38:39], s[38:39], exec
	v_pk_mov_b32 v[14:15], v[12:13], v[12:13] op_sel:[0,1]
.LBB183_548:                            ;   in Loop: Header=BB183_533 Depth=1
	s_or_b64 exec, exec, s[36:37]
	s_and_saveexec_b64 s[36:37], s[38:39]
	s_cbranch_execz .LBB183_531
; %bb.549:                              ;   in Loop: Header=BB183_533 Depth=1
	s_xor_b64 s[2:3], s[34:35], -1
	s_or_b64 s[40:41], s[40:41], exec
	s_orn2_b64 s[2:3], s[2:3], exec
	s_branch .LBB183_531
.LBB183_550:
	s_or_b64 exec, exec, s[22:23]
	s_mov_b64 s[0:1], 0
	s_and_saveexec_b64 s[2:3], s[24:25]
	s_xor_b64 s[2:3], exec, s[2:3]
	s_cbranch_execnz .LBB183_556
.LBB183_551:
	s_or_b64 exec, exec, s[2:3]
	s_and_b64 s[2:3], s[0:1], exec
	s_andn2_b64 s[4:5], s[4:5], exec
	s_or_b64 exec, exec, s[20:21]
	s_and_saveexec_b64 s[0:1], s[4:5]
	s_xor_b64 s[0:1], exec, s[0:1]
	s_cbranch_execz .LBB183_503
.LBB183_552:
	s_or_b64 s[2:3], s[2:3], exec
	s_trap 2
	s_branch .LBB183_503
.LBB183_553:
	s_or_b64 s[10:11], s[10:11], exec
	s_trap 2
	s_branch .LBB183_509
.LBB183_554:
	s_or_b64 s[12:13], s[12:13], exec
	s_trap 2
	s_branch .LBB183_507
.LBB183_555:
	s_trap 2
	s_or_b64 s[14:15], s[14:15], exec
	s_branch .LBB183_505
.LBB183_556:
	s_mov_b64 s[0:1], exec
	s_trap 2
	s_branch .LBB183_551
	.section	.rodata,"a",@progbits
	.p2align	6, 0x0
	.amdhsa_kernel _ZN2at6native6sbtopk10gatherTopKIdmLi2ELb0EEEvNS_4cuda6detail10TensorInfoIKT_T0_EES8_S8_bS8_S8_NS5_IS6_S8_EES8_NS5_IlS8_EES8_PS6_
		.amdhsa_group_segment_fixed_size 5152
		.amdhsa_private_segment_fixed_size 0
		.amdhsa_kernarg_size 1568
		.amdhsa_user_sgpr_count 6
		.amdhsa_user_sgpr_private_segment_buffer 1
		.amdhsa_user_sgpr_dispatch_ptr 0
		.amdhsa_user_sgpr_queue_ptr 0
		.amdhsa_user_sgpr_kernarg_segment_ptr 1
		.amdhsa_user_sgpr_dispatch_id 0
		.amdhsa_user_sgpr_flat_scratch_init 0
		.amdhsa_user_sgpr_kernarg_preload_length 0
		.amdhsa_user_sgpr_kernarg_preload_offset 0
		.amdhsa_user_sgpr_private_segment_size 0
		.amdhsa_uses_dynamic_stack 0
		.amdhsa_system_sgpr_private_segment_wavefront_offset 0
		.amdhsa_system_sgpr_workgroup_id_x 1
		.amdhsa_system_sgpr_workgroup_id_y 1
		.amdhsa_system_sgpr_workgroup_id_z 1
		.amdhsa_system_sgpr_workgroup_info 0
		.amdhsa_system_vgpr_workitem_id 0
		.amdhsa_next_free_vgpr 55
		.amdhsa_next_free_sgpr 96
		.amdhsa_accum_offset 56
		.amdhsa_reserve_vcc 1
		.amdhsa_reserve_flat_scratch 0
		.amdhsa_float_round_mode_32 0
		.amdhsa_float_round_mode_16_64 0
		.amdhsa_float_denorm_mode_32 3
		.amdhsa_float_denorm_mode_16_64 3
		.amdhsa_dx10_clamp 1
		.amdhsa_ieee_mode 1
		.amdhsa_fp16_overflow 0
		.amdhsa_tg_split 0
		.amdhsa_exception_fp_ieee_invalid_op 0
		.amdhsa_exception_fp_denorm_src 0
		.amdhsa_exception_fp_ieee_div_zero 0
		.amdhsa_exception_fp_ieee_overflow 0
		.amdhsa_exception_fp_ieee_underflow 0
		.amdhsa_exception_fp_ieee_inexact 0
		.amdhsa_exception_int_div_zero 0
	.end_amdhsa_kernel
	.section	.text._ZN2at6native6sbtopk10gatherTopKIdmLi2ELb0EEEvNS_4cuda6detail10TensorInfoIKT_T0_EES8_S8_bS8_S8_NS5_IS6_S8_EES8_NS5_IlS8_EES8_PS6_,"axG",@progbits,_ZN2at6native6sbtopk10gatherTopKIdmLi2ELb0EEEvNS_4cuda6detail10TensorInfoIKT_T0_EES8_S8_bS8_S8_NS5_IS6_S8_EES8_NS5_IlS8_EES8_PS6_,comdat
.Lfunc_end183:
	.size	_ZN2at6native6sbtopk10gatherTopKIdmLi2ELb0EEEvNS_4cuda6detail10TensorInfoIKT_T0_EES8_S8_bS8_S8_NS5_IS6_S8_EES8_NS5_IlS8_EES8_PS6_, .Lfunc_end183-_ZN2at6native6sbtopk10gatherTopKIdmLi2ELb0EEEvNS_4cuda6detail10TensorInfoIKT_T0_EES8_S8_bS8_S8_NS5_IS6_S8_EES8_NS5_IlS8_EES8_PS6_
                                        ; -- End function
	.section	.AMDGPU.csdata,"",@progbits
; Kernel info:
; codeLenInByte = 28528
; NumSgprs: 100
; NumVgprs: 55
; NumAgprs: 0
; TotalNumVgprs: 55
; ScratchSize: 0
; MemoryBound: 0
; FloatMode: 240
; IeeeMode: 1
; LDSByteSize: 5152 bytes/workgroup (compile time only)
; SGPRBlocks: 12
; VGPRBlocks: 6
; NumSGPRsForWavesPerEU: 100
; NumVGPRsForWavesPerEU: 55
; AccumOffset: 56
; Occupancy: 8
; WaveLimiterHint : 1
; COMPUTE_PGM_RSRC2:SCRATCH_EN: 0
; COMPUTE_PGM_RSRC2:USER_SGPR: 6
; COMPUTE_PGM_RSRC2:TRAP_HANDLER: 0
; COMPUTE_PGM_RSRC2:TGID_X_EN: 1
; COMPUTE_PGM_RSRC2:TGID_Y_EN: 1
; COMPUTE_PGM_RSRC2:TGID_Z_EN: 1
; COMPUTE_PGM_RSRC2:TIDIG_COMP_CNT: 0
; COMPUTE_PGM_RSRC3_GFX90A:ACCUM_OFFSET: 13
; COMPUTE_PGM_RSRC3_GFX90A:TG_SPLIT: 0
	.section	.text._ZN2at6native6mbtopk23computeBlockDigitCountsIdmmLi3EEEvNS_4cuda6detail10TensorInfoIKT_T0_EEjPjjS8_iijT1_PSB_Ps,"axG",@progbits,_ZN2at6native6mbtopk23computeBlockDigitCountsIdmmLi3EEEvNS_4cuda6detail10TensorInfoIKT_T0_EEjPjjS8_iijT1_PSB_Ps,comdat
	.protected	_ZN2at6native6mbtopk23computeBlockDigitCountsIdmmLi3EEEvNS_4cuda6detail10TensorInfoIKT_T0_EEjPjjS8_iijT1_PSB_Ps ; -- Begin function _ZN2at6native6mbtopk23computeBlockDigitCountsIdmmLi3EEEvNS_4cuda6detail10TensorInfoIKT_T0_EEjPjjS8_iijT1_PSB_Ps
	.globl	_ZN2at6native6mbtopk23computeBlockDigitCountsIdmmLi3EEEvNS_4cuda6detail10TensorInfoIKT_T0_EEjPjjS8_iijT1_PSB_Ps
	.p2align	8
	.type	_ZN2at6native6mbtopk23computeBlockDigitCountsIdmmLi3EEEvNS_4cuda6detail10TensorInfoIKT_T0_EEjPjjS8_iijT1_PSB_Ps,@function
_ZN2at6native6mbtopk23computeBlockDigitCountsIdmmLi3EEEvNS_4cuda6detail10TensorInfoIKT_T0_EEjPjjS8_iijT1_PSB_Ps: ; @_ZN2at6native6mbtopk23computeBlockDigitCountsIdmmLi3EEEvNS_4cuda6detail10TensorInfoIKT_T0_EEjPjjS8_iijT1_PSB_Ps
; %bb.0:
	s_load_dwordx4 s[0:3], s[4:5], 0x1c0
	s_load_dwordx2 s[10:11], s[4:5], 0x1e8
	s_waitcnt lgkmcnt(0)
	s_load_dword s3, s[4:5], 0x1b0
	s_mov_b32 s23, 0
	v_cvt_f32_u32_e32 v1, s2
	s_mul_i32 s8, s11, s8
	s_add_i32 s7, s8, s7
	s_mul_i32 s26, s7, s10
	v_rcp_iflag_f32_e32 v1, v1
	s_sub_i32 s9, 0, s2
	s_add_i32 s26, s26, s6
	v_mul_f32_e32 v1, 0x4f7ffffe, v1
	v_cvt_u32_f32_e32 v1, v1
	v_readfirstlane_b32 s6, v1
	s_mul_i32 s9, s9, s6
	s_mul_hi_u32 s7, s6, s9
	s_add_i32 s6, s6, s7
	s_mul_hi_u32 s6, s26, s6
	s_mul_i32 s7, s6, s2
	s_sub_i32 s7, s26, s7
	s_add_i32 s8, s6, 1
	s_sub_i32 s9, s7, s2
	s_cmp_ge_u32 s7, s2
	s_cselect_b32 s6, s8, s6
	s_cselect_b32 s7, s9, s7
	s_add_i32 s8, s6, 1
	s_cmp_ge_u32 s7, s2
	s_cselect_b32 s22, s8, s6
	s_waitcnt lgkmcnt(0)
	s_cmp_ge_u32 s22, s3
	s_cbranch_scc1 .LBB184_27
; %bb.1:
	s_load_dwordx4 s[8:11], s[4:5], 0x1d0
	s_load_dwordx4 s[12:15], s[4:5], 0x10
	s_lshl_b64 s[6:7], s[22:23], 3
	s_mov_b64 s[20:21], 0
	s_waitcnt lgkmcnt(0)
	s_add_u32 s24, s10, s6
	v_pk_mov_b32 v[2:3], s[14:15], s[14:15] op_sel:[0,1]
	v_cmp_lt_u64_e32 vcc, s[22:23], v[2:3]
	s_addc_u32 s25, s11, s7
	s_mov_b64 s[10:11], 0
	s_cbranch_vccnz .LBB184_3
; %bb.2:
	v_cvt_f32_u32_e32 v1, s14
	s_sub_i32 s3, 0, s14
	s_mov_b32 s11, 0
	v_rcp_iflag_f32_e32 v1, v1
	v_mul_f32_e32 v1, 0x4f7ffffe, v1
	v_cvt_u32_f32_e32 v1, v1
	v_readfirstlane_b32 s6, v1
	s_mul_i32 s3, s3, s6
	s_mul_hi_u32 s3, s6, s3
	s_add_i32 s6, s6, s3
	s_mul_hi_u32 s3, s22, s6
	s_mul_i32 s7, s3, s14
	s_sub_i32 s7, s22, s7
	s_add_i32 s6, s3, 1
	s_sub_i32 s10, s7, s14
	s_cmp_ge_u32 s7, s14
	s_cselect_b32 s3, s6, s3
	s_cselect_b32 s7, s10, s7
	s_add_i32 s6, s3, 1
	s_cmp_ge_u32 s7, s14
	s_cselect_b32 s10, s6, s3
.LBB184_3:
	s_load_dwordx2 s[6:7], s[4:5], 0x1e0
	v_pk_mov_b32 v[2:3], s[12:13], s[12:13] op_sel:[0,1]
	v_cmp_lt_u64_e32 vcc, s[10:11], v[2:3]
	s_cbranch_vccnz .LBB184_5
; %bb.4:
	v_cvt_f32_u32_e32 v1, s12
	s_sub_i32 s3, 0, s12
	v_rcp_iflag_f32_e32 v1, v1
	v_mul_f32_e32 v1, 0x4f7ffffe, v1
	v_cvt_u32_f32_e32 v1, v1
	v_readfirstlane_b32 s16, v1
	s_mul_i32 s3, s3, s16
	s_mul_hi_u32 s3, s16, s3
	s_add_i32 s16, s16, s3
	s_mul_hi_u32 s3, s10, s16
	s_mul_i32 s17, s3, s12
	s_sub_i32 s17, s10, s17
	s_add_i32 s16, s3, 1
	s_sub_i32 s18, s17, s12
	s_cmp_ge_u32 s17, s12
	s_cselect_b32 s3, s16, s3
	s_cselect_b32 s17, s18, s17
	s_add_i32 s16, s3, 1
	s_cmp_ge_u32 s17, s12
	s_cselect_b32 s20, s16, s3
.LBB184_5:
	s_movk_i32 s3, 0x100
	v_cmp_gt_u32_e32 vcc, s3, v0
	v_lshlrev_b32_e32 v1, 2, v0
	s_and_saveexec_b64 s[16:17], vcc
	s_cbranch_execz .LBB184_7
; %bb.6:
	v_mov_b32_e32 v2, 0
	ds_write_b32 v1, v2
.LBB184_7:
	s_or_b64 exec, exec, s[16:17]
	s_load_dword s21, s[4:5], 0x1a0
	s_mul_i32 s3, s22, s2
	s_sub_i32 s3, s26, s3
	s_add_i32 s16, s3, 1
	s_mul_i32 s3, s1, s3
	s_lshl_b32 s27, s3, 8
	s_waitcnt lgkmcnt(0)
	s_sub_i32 s3, s21, s27
	s_add_u32 s3, s3, 0xff
	s_addc_u32 s17, 0, 0
	v_mov_b32_e32 v2, s3
	v_alignbit_b32 v2, s17, v2, 8
	s_cmp_lt_u32 s16, s2
	v_readfirstlane_b32 s2, v2
	s_cselect_b32 s23, s1, s2
	s_cmp_lt_i32 s23, 1
	s_mov_b32 s1, 0
	s_barrier
	s_cbranch_scc1 .LBB184_23
; %bb.8:
	s_load_dwordx4 s[16:19], s[4:5], 0xd0
	s_load_dwordx2 s[28:29], s[4:5], 0x0
	s_load_dwordx2 s[2:3], s[24:25], 0x0
	s_mul_i32 s15, s10, s15
	s_mul_hi_u32 s24, s10, s14
	s_add_i32 s15, s24, s15
	s_load_dwordx2 s[24:25], s[4:5], 0xe0
	s_mul_i32 s14, s10, s14
	s_sub_u32 s14, s22, s14
	s_subb_u32 s15, 0, s15
	s_mul_i32 s13, s20, s13
	s_waitcnt lgkmcnt(0)
	s_mul_i32 s22, s14, s25
	s_mul_hi_u32 s25, s14, s24
	s_add_i32 s22, s25, s22
	s_mul_i32 s15, s15, s24
	s_add_i32 s15, s22, s15
	s_mul_hi_u32 s22, s20, s12
	s_add_i32 s22, s22, s13
	s_mul_i32 s12, s20, s12
	s_sub_u32 s10, s10, s12
	s_subb_u32 s11, s11, s22
	s_mul_i32 s12, s10, s19
	s_mul_hi_u32 s13, s10, s18
	s_add_i32 s12, s13, s12
	s_mul_i32 s11, s11, s18
	s_add_i32 s11, s12, s11
	s_mul_i32 s12, s20, s17
	s_mul_hi_u32 s13, s20, s16
	s_add_i32 s13, s13, s12
	s_mul_i32 s12, s20, s16
	s_lshl_b64 s[12:13], s[12:13], 3
	s_mul_i32 s10, s10, s18
	s_add_u32 s12, s28, s12
	s_addc_u32 s13, s29, s13
	s_lshl_b64 s[10:11], s[10:11], 3
	s_load_dwordx2 s[4:5], s[4:5], 0x1b8
	s_mul_i32 s14, s14, s24
	s_add_u32 s12, s12, s10
	s_addc_u32 s16, s13, s11
	s_lshl_b64 s[10:11], s[14:15], 3
	s_add_u32 s13, s12, s10
	s_addc_u32 s14, s16, s11
	s_and_b32 s12, s0, 0xff
	s_cmp_eq_u32 s23, 1
	v_add_u32_e32 v4, s27, v0
	s_cbranch_scc1 .LBB184_18
; %bb.9:
	s_and_b32 s15, s23, 0x7ffffffe
	s_mov_b32 s16, 0
	v_mov_b32_e32 v5, 1
	v_mov_b32_e32 v6, 2
	;; [unrolled: 1-line block ×3, first 2 shown]
	s_branch .LBB184_11
.LBB184_10:                             ;   in Loop: Header=BB184_11 Depth=1
	s_or_b64 exec, exec, s[10:11]
	s_add_i32 s16, s16, 2
	s_cmp_eq_u32 s15, s16
	v_add_u32_e32 v7, 0x200, v7
	s_cbranch_scc1 .LBB184_17
.LBB184_11:                             ; =>This Inner Loop Header: Depth=1
	v_cmp_gt_u32_e64 s[0:1], s21, v7
	s_and_saveexec_b64 s[10:11], s[0:1]
	s_cbranch_execz .LBB184_14
; %bb.12:                               ;   in Loop: Header=BB184_11 Depth=1
	s_waitcnt lgkmcnt(0)
	v_mad_u64_u32 v[2:3], s[0:1], v7, s4, 0
	v_mov_b32_e32 v8, v3
	v_mad_u64_u32 v[8:9], s[0:1], v7, s5, v[8:9]
	v_mov_b32_e32 v3, v8
	v_lshlrev_b64 v[2:3], 3, v[2:3]
	v_mov_b32_e32 v8, s14
	v_add_co_u32_e64 v2, s[0:1], s13, v2
	v_addc_co_u32_e64 v3, s[0:1], v8, v3, s[0:1]
	global_load_dwordx2 v[2:3], v[2:3], off
	s_waitcnt vmcnt(0)
	v_ashrrev_i32_e32 v8, 31, v3
	v_or_b32_e32 v9, 0x80000000, v8
	v_xor_b32_e32 v8, v8, v2
	v_xor_b32_e32 v9, v9, v3
	v_cmp_o_f64_e64 s[0:1], v[2:3], v[2:3]
	v_cndmask_b32_e64 v3, -1, v9, s[0:1]
	v_cndmask_b32_e64 v2, -1, v8, s[0:1]
	v_xor_b32_e32 v8, s3, v3
	v_xor_b32_e32 v10, s2, v2
	v_and_b32_e32 v9, s9, v8
	v_and_b32_e32 v8, s8, v10
	v_cmp_eq_u64_e64 s[0:1], 0, v[8:9]
	s_and_b64 exec, exec, s[0:1]
	s_cbranch_execz .LBB184_14
; %bb.13:                               ;   in Loop: Header=BB184_11 Depth=1
	v_lshrrev_b64 v[2:3], s12, v[2:3]
	v_lshlrev_b32_sdwa v2, v6, v2 dst_sel:DWORD dst_unused:UNUSED_PAD src0_sel:DWORD src1_sel:BYTE_0
	ds_add_u32 v2, v5
.LBB184_14:                             ;   in Loop: Header=BB184_11 Depth=1
	s_or_b64 exec, exec, s[10:11]
	v_add_u32_e32 v2, 0x100, v7
	v_cmp_gt_u32_e64 s[0:1], s21, v2
	s_and_saveexec_b64 s[10:11], s[0:1]
	s_cbranch_execz .LBB184_10
; %bb.15:                               ;   in Loop: Header=BB184_11 Depth=1
	s_waitcnt lgkmcnt(0)
	v_mad_u64_u32 v[8:9], s[0:1], v2, s4, 0
	v_mov_b32_e32 v10, v9
	v_mad_u64_u32 v[2:3], s[0:1], v2, s5, v[10:11]
	v_mov_b32_e32 v9, v2
	v_lshlrev_b64 v[2:3], 3, v[8:9]
	v_mov_b32_e32 v8, s14
	v_add_co_u32_e64 v2, s[0:1], s13, v2
	v_addc_co_u32_e64 v3, s[0:1], v8, v3, s[0:1]
	global_load_dwordx2 v[2:3], v[2:3], off
	s_waitcnt vmcnt(0)
	v_ashrrev_i32_e32 v8, 31, v3
	v_or_b32_e32 v9, 0x80000000, v8
	v_xor_b32_e32 v8, v8, v2
	v_xor_b32_e32 v9, v9, v3
	v_cmp_o_f64_e64 s[0:1], v[2:3], v[2:3]
	v_cndmask_b32_e64 v3, -1, v9, s[0:1]
	v_cndmask_b32_e64 v2, -1, v8, s[0:1]
	v_xor_b32_e32 v8, s3, v3
	v_xor_b32_e32 v10, s2, v2
	v_and_b32_e32 v9, s9, v8
	v_and_b32_e32 v8, s8, v10
	v_cmp_eq_u64_e64 s[0:1], 0, v[8:9]
	s_and_b64 exec, exec, s[0:1]
	s_cbranch_execz .LBB184_10
; %bb.16:                               ;   in Loop: Header=BB184_11 Depth=1
	v_lshrrev_b64 v[2:3], s12, v[2:3]
	v_lshlrev_b32_sdwa v2, v6, v2 dst_sel:DWORD dst_unused:UNUSED_PAD src0_sel:DWORD src1_sel:BYTE_0
	ds_add_u32 v2, v5
	s_branch .LBB184_10
.LBB184_17:
	s_lshl_b32 s1, s15, 8
.LBB184_18:
	s_bitcmp0_b32 s23, 0
	s_cbranch_scc1 .LBB184_23
; %bb.19:
	v_add_u32_e32 v2, s1, v4
	v_cmp_gt_u32_e64 s[0:1], s21, v2
	s_and_saveexec_b64 s[10:11], s[0:1]
	s_cbranch_execz .LBB184_22
; %bb.20:
	s_waitcnt lgkmcnt(0)
	v_mad_u64_u32 v[4:5], s[0:1], v2, s4, 0
	v_mov_b32_e32 v6, v5
	v_mad_u64_u32 v[2:3], s[0:1], v2, s5, v[6:7]
	v_mov_b32_e32 v5, v2
	v_lshlrev_b64 v[2:3], 3, v[4:5]
	v_mov_b32_e32 v4, s14
	v_add_co_u32_e64 v2, s[0:1], s13, v2
	v_addc_co_u32_e64 v3, s[0:1], v4, v3, s[0:1]
	global_load_dwordx2 v[2:3], v[2:3], off
	s_waitcnt vmcnt(0)
	v_ashrrev_i32_e32 v4, 31, v3
	v_or_b32_e32 v5, 0x80000000, v4
	v_xor_b32_e32 v4, v4, v2
	v_xor_b32_e32 v5, v5, v3
	v_cmp_o_f64_e64 s[0:1], v[2:3], v[2:3]
	v_cndmask_b32_e64 v3, -1, v5, s[0:1]
	v_cndmask_b32_e64 v2, -1, v4, s[0:1]
	v_xor_b32_e32 v4, s3, v3
	v_xor_b32_e32 v6, s2, v2
	v_and_b32_e32 v5, s9, v4
	v_and_b32_e32 v4, s8, v6
	v_cmp_eq_u64_e64 s[0:1], 0, v[4:5]
	s_and_b64 exec, exec, s[0:1]
	s_cbranch_execz .LBB184_22
; %bb.21:
	v_lshrrev_b64 v[2:3], s12, v[2:3]
	v_mov_b32_e32 v3, 2
	v_lshlrev_b32_sdwa v2, v3, v2 dst_sel:DWORD dst_unused:UNUSED_PAD src0_sel:DWORD src1_sel:BYTE_0
	v_mov_b32_e32 v3, 1
	ds_add_u32 v2, v3
.LBB184_22:
	s_or_b64 exec, exec, s[10:11]
.LBB184_23:
	v_mov_b32_e32 v2, 0
	s_waitcnt lgkmcnt(0)
	s_barrier
	s_and_saveexec_b64 s[0:1], vcc
	s_cbranch_execz .LBB184_25
; %bb.24:
	ds_read_b32 v2, v1
.LBB184_25:
	s_or_b64 exec, exec, s[0:1]
	s_and_saveexec_b64 s[0:1], vcc
	s_cbranch_execz .LBB184_27
; %bb.26:
	v_lshl_or_b32 v0, s26, 8, v0
	v_mov_b32_e32 v1, 0
	v_lshlrev_b64 v[0:1], 1, v[0:1]
	v_mov_b32_e32 v3, s7
	v_add_co_u32_e32 v0, vcc, s6, v0
	v_addc_co_u32_e32 v1, vcc, v3, v1, vcc
	s_waitcnt lgkmcnt(0)
	global_store_short v[0:1], v2, off
.LBB184_27:
	s_endpgm
	.section	.rodata,"a",@progbits
	.p2align	6, 0x0
	.amdhsa_kernel _ZN2at6native6mbtopk23computeBlockDigitCountsIdmmLi3EEEvNS_4cuda6detail10TensorInfoIKT_T0_EEjPjjS8_iijT1_PSB_Ps
		.amdhsa_group_segment_fixed_size 1024
		.amdhsa_private_segment_fixed_size 0
		.amdhsa_kernarg_size 744
		.amdhsa_user_sgpr_count 6
		.amdhsa_user_sgpr_private_segment_buffer 1
		.amdhsa_user_sgpr_dispatch_ptr 0
		.amdhsa_user_sgpr_queue_ptr 0
		.amdhsa_user_sgpr_kernarg_segment_ptr 1
		.amdhsa_user_sgpr_dispatch_id 0
		.amdhsa_user_sgpr_flat_scratch_init 0
		.amdhsa_user_sgpr_kernarg_preload_length 0
		.amdhsa_user_sgpr_kernarg_preload_offset 0
		.amdhsa_user_sgpr_private_segment_size 0
		.amdhsa_uses_dynamic_stack 0
		.amdhsa_system_sgpr_private_segment_wavefront_offset 0
		.amdhsa_system_sgpr_workgroup_id_x 1
		.amdhsa_system_sgpr_workgroup_id_y 1
		.amdhsa_system_sgpr_workgroup_id_z 1
		.amdhsa_system_sgpr_workgroup_info 0
		.amdhsa_system_vgpr_workitem_id 0
		.amdhsa_next_free_vgpr 12
		.amdhsa_next_free_sgpr 30
		.amdhsa_accum_offset 12
		.amdhsa_reserve_vcc 1
		.amdhsa_reserve_flat_scratch 0
		.amdhsa_float_round_mode_32 0
		.amdhsa_float_round_mode_16_64 0
		.amdhsa_float_denorm_mode_32 3
		.amdhsa_float_denorm_mode_16_64 3
		.amdhsa_dx10_clamp 1
		.amdhsa_ieee_mode 1
		.amdhsa_fp16_overflow 0
		.amdhsa_tg_split 0
		.amdhsa_exception_fp_ieee_invalid_op 0
		.amdhsa_exception_fp_denorm_src 0
		.amdhsa_exception_fp_ieee_div_zero 0
		.amdhsa_exception_fp_ieee_overflow 0
		.amdhsa_exception_fp_ieee_underflow 0
		.amdhsa_exception_fp_ieee_inexact 0
		.amdhsa_exception_int_div_zero 0
	.end_amdhsa_kernel
	.section	.text._ZN2at6native6mbtopk23computeBlockDigitCountsIdmmLi3EEEvNS_4cuda6detail10TensorInfoIKT_T0_EEjPjjS8_iijT1_PSB_Ps,"axG",@progbits,_ZN2at6native6mbtopk23computeBlockDigitCountsIdmmLi3EEEvNS_4cuda6detail10TensorInfoIKT_T0_EEjPjjS8_iijT1_PSB_Ps,comdat
.Lfunc_end184:
	.size	_ZN2at6native6mbtopk23computeBlockDigitCountsIdmmLi3EEEvNS_4cuda6detail10TensorInfoIKT_T0_EEjPjjS8_iijT1_PSB_Ps, .Lfunc_end184-_ZN2at6native6mbtopk23computeBlockDigitCountsIdmmLi3EEEvNS_4cuda6detail10TensorInfoIKT_T0_EEjPjjS8_iijT1_PSB_Ps
                                        ; -- End function
	.section	.AMDGPU.csdata,"",@progbits
; Kernel info:
; codeLenInByte = 1468
; NumSgprs: 34
; NumVgprs: 12
; NumAgprs: 0
; TotalNumVgprs: 12
; ScratchSize: 0
; MemoryBound: 0
; FloatMode: 240
; IeeeMode: 1
; LDSByteSize: 1024 bytes/workgroup (compile time only)
; SGPRBlocks: 4
; VGPRBlocks: 1
; NumSGPRsForWavesPerEU: 34
; NumVGPRsForWavesPerEU: 12
; AccumOffset: 12
; Occupancy: 8
; WaveLimiterHint : 1
; COMPUTE_PGM_RSRC2:SCRATCH_EN: 0
; COMPUTE_PGM_RSRC2:USER_SGPR: 6
; COMPUTE_PGM_RSRC2:TRAP_HANDLER: 0
; COMPUTE_PGM_RSRC2:TGID_X_EN: 1
; COMPUTE_PGM_RSRC2:TGID_Y_EN: 1
; COMPUTE_PGM_RSRC2:TGID_Z_EN: 1
; COMPUTE_PGM_RSRC2:TIDIG_COMP_CNT: 0
; COMPUTE_PGM_RSRC3_GFX90A:ACCUM_OFFSET: 2
; COMPUTE_PGM_RSRC3_GFX90A:TG_SPLIT: 0
	.section	.text._ZN2at6native6mbtopk10gatherTopKIdmLi3EEEvNS_4cuda6detail10TensorInfoIKT_T0_EES8_S8_bjS8_NS5_IS6_S8_EES8_NS5_IlS8_EES8_jjPS6_PjSD_j,"axG",@progbits,_ZN2at6native6mbtopk10gatherTopKIdmLi3EEEvNS_4cuda6detail10TensorInfoIKT_T0_EES8_S8_bjS8_NS5_IS6_S8_EES8_NS5_IlS8_EES8_jjPS6_PjSD_j,comdat
	.protected	_ZN2at6native6mbtopk10gatherTopKIdmLi3EEEvNS_4cuda6detail10TensorInfoIKT_T0_EES8_S8_bjS8_NS5_IS6_S8_EES8_NS5_IlS8_EES8_jjPS6_PjSD_j ; -- Begin function _ZN2at6native6mbtopk10gatherTopKIdmLi3EEEvNS_4cuda6detail10TensorInfoIKT_T0_EES8_S8_bjS8_NS5_IS6_S8_EES8_NS5_IlS8_EES8_jjPS6_PjSD_j
	.globl	_ZN2at6native6mbtopk10gatherTopKIdmLi3EEEvNS_4cuda6detail10TensorInfoIKT_T0_EES8_S8_bjS8_NS5_IS6_S8_EES8_NS5_IlS8_EES8_jjPS6_PjSD_j
	.p2align	8
	.type	_ZN2at6native6mbtopk10gatherTopKIdmLi3EEEvNS_4cuda6detail10TensorInfoIKT_T0_EES8_S8_bjS8_NS5_IS6_S8_EES8_NS5_IlS8_EES8_jjPS6_PjSD_j,@function
_ZN2at6native6mbtopk10gatherTopKIdmLi3EEEvNS_4cuda6detail10TensorInfoIKT_T0_EES8_S8_bjS8_NS5_IS6_S8_EES8_NS5_IlS8_EES8_jjPS6_PjSD_j: ; @_ZN2at6native6mbtopk10gatherTopKIdmLi3EEEvNS_4cuda6detail10TensorInfoIKT_T0_EES8_S8_bjS8_NS5_IS6_S8_EES8_NS5_IlS8_EES8_jjPS6_PjSD_j
; %bb.0:
	s_load_dwordx2 s[0:1], s[4:5], 0x538
	s_load_dword s2, s[4:5], 0x530
	s_waitcnt lgkmcnt(0)
	s_mul_i32 s1, s1, s8
	s_add_i32 s1, s1, s7
	s_mul_i32 s0, s1, s0
	s_add_i32 s0, s0, s6
	s_cmp_ge_u32 s0, s2
	s_cbranch_scc1 .LBB185_54
; %bb.1:
	s_load_dwordx2 s[34:35], s[4:5], 0x510
	s_load_dwordx4 s[8:11], s[4:5], 0x1a0
	s_load_dwordx4 s[12:15], s[4:5], 0x10
	s_mov_b32 s7, 0
	s_waitcnt lgkmcnt(0)
	v_cvt_f32_u32_e32 v1, s35
	s_sub_i32 s2, 0, s35
	s_lshl_b32 s1, s34, 8
	v_rcp_iflag_f32_e32 v1, v1
	v_mul_f32_e32 v1, 0x4f7ffffe, v1
	v_cvt_u32_f32_e32 v1, v1
	v_readfirstlane_b32 s3, v1
	s_mul_i32 s2, s2, s3
	s_mul_hi_u32 s2, s3, s2
	s_add_i32 s3, s3, s2
	s_mul_hi_u32 s2, s0, s3
	s_mul_i32 s3, s2, s35
	s_sub_i32 s3, s0, s3
	s_add_i32 s6, s2, 1
	s_sub_i32 s16, s3, s35
	s_cmp_ge_u32 s3, s35
	s_cselect_b32 s2, s6, s2
	s_cselect_b32 s3, s16, s3
	s_add_i32 s6, s2, 1
	s_cmp_ge_u32 s3, s35
	s_cselect_b32 s6, s6, s2
	s_mul_i32 s52, s6, s35
	s_sub_i32 s78, s0, s52
	s_add_i32 s0, s78, 1
	s_cmp_lt_u32 s0, s35
	s_mul_i32 s33, s78, s1
	s_cbranch_scc1 .LBB185_3
; %bb.2:
	s_sub_u32 s0, s8, s33
	s_subb_u32 s1, s9, 0
	s_add_u32 s0, s0, 0xff
	s_addc_u32 s1, s1, 0
	s_ashr_i32 s2, s1, 31
	s_lshr_b32 s2, s2, 24
	s_add_u32 s0, s0, s2
	s_addc_u32 s1, s1, 0
	v_mov_b32_e32 v1, s0
	v_alignbit_b32 v1, s1, v1, 8
	v_readfirstlane_b32 s34, v1
.LBB185_3:
	v_pk_mov_b32 v[2:3], s[14:15], s[14:15] op_sel:[0,1]
	v_cmp_lt_u64_e32 vcc, s[6:7], v[2:3]
	s_mov_b64 s[50:51], 0
	s_mov_b64 s[48:49], 0
	s_cbranch_vccnz .LBB185_5
; %bb.4:
	v_cvt_f32_u32_e32 v1, s14
	s_sub_i32 s0, 0, s14
	s_mov_b32 s49, 0
	v_rcp_iflag_f32_e32 v1, v1
	v_mul_f32_e32 v1, 0x4f7ffffe, v1
	v_cvt_u32_f32_e32 v1, v1
	v_readfirstlane_b32 s1, v1
	s_mul_i32 s0, s0, s1
	s_mul_hi_u32 s0, s1, s0
	s_add_i32 s1, s1, s0
	s_mul_hi_u32 s0, s6, s1
	s_mul_i32 s2, s0, s14
	s_sub_i32 s2, s6, s2
	s_add_i32 s1, s0, 1
	s_sub_i32 s3, s2, s14
	s_cmp_ge_u32 s2, s14
	s_cselect_b32 s0, s1, s0
	s_cselect_b32 s2, s3, s2
	s_add_i32 s1, s0, 1
	s_cmp_ge_u32 s2, s14
	s_cselect_b32 s48, s1, s0
.LBB185_5:
	s_load_dwordx4 s[24:27], s[4:5], 0x1d0
	v_pk_mov_b32 v[2:3], s[12:13], s[12:13] op_sel:[0,1]
	v_cmp_lt_u64_e32 vcc, s[48:49], v[2:3]
	s_cbranch_vccnz .LBB185_7
; %bb.6:
	v_cvt_f32_u32_e32 v1, s12
	s_sub_i32 s0, 0, s12
	v_rcp_iflag_f32_e32 v1, v1
	v_mul_f32_e32 v1, 0x4f7ffffe, v1
	v_cvt_u32_f32_e32 v1, v1
	v_readfirstlane_b32 s1, v1
	s_mul_i32 s0, s0, s1
	s_mul_hi_u32 s0, s1, s0
	s_add_i32 s1, s1, s0
	s_mul_hi_u32 s0, s48, s1
	s_mul_i32 s2, s0, s12
	s_sub_i32 s2, s48, s2
	s_add_i32 s1, s0, 1
	s_sub_i32 s3, s2, s12
	s_cmp_ge_u32 s2, s12
	s_cselect_b32 s0, s1, s0
	s_cselect_b32 s2, s3, s2
	s_add_i32 s1, s0, 1
	s_cmp_ge_u32 s2, s12
	s_cselect_b32 s50, s1, s0
.LBB185_7:
	s_waitcnt lgkmcnt(0)
	v_pk_mov_b32 v[2:3], s[26:27], s[26:27] op_sel:[0,1]
	v_cmp_lt_u64_e32 vcc, s[6:7], v[2:3]
	s_mov_b64 s[56:57], 0
	s_mov_b64 s[54:55], 0
	s_cbranch_vccnz .LBB185_9
; %bb.8:
	v_cvt_f32_u32_e32 v1, s26
	s_sub_i32 s0, 0, s26
	s_mov_b32 s55, 0
	v_rcp_iflag_f32_e32 v1, v1
	v_mul_f32_e32 v1, 0x4f7ffffe, v1
	v_cvt_u32_f32_e32 v1, v1
	v_readfirstlane_b32 s1, v1
	s_mul_i32 s0, s0, s1
	s_mul_hi_u32 s0, s1, s0
	s_add_i32 s1, s1, s0
	s_mul_hi_u32 s0, s6, s1
	s_mul_i32 s2, s0, s26
	s_sub_i32 s2, s6, s2
	s_add_i32 s1, s0, 1
	s_sub_i32 s3, s2, s26
	s_cmp_ge_u32 s2, s26
	s_cselect_b32 s0, s1, s0
	s_cselect_b32 s2, s3, s2
	s_add_i32 s1, s0, 1
	s_cmp_ge_u32 s2, s26
	s_cselect_b32 s54, s1, s0
.LBB185_9:
	s_load_dwordx4 s[28:31], s[4:5], 0x378
	v_pk_mov_b32 v[2:3], s[24:25], s[24:25] op_sel:[0,1]
	v_cmp_lt_u64_e32 vcc, s[54:55], v[2:3]
	s_cbranch_vccnz .LBB185_11
; %bb.10:
	v_cvt_f32_u32_e32 v1, s24
	s_sub_i32 s0, 0, s24
	v_rcp_iflag_f32_e32 v1, v1
	v_mul_f32_e32 v1, 0x4f7ffffe, v1
	v_cvt_u32_f32_e32 v1, v1
	v_readfirstlane_b32 s1, v1
	s_mul_i32 s0, s0, s1
	s_mul_hi_u32 s0, s1, s0
	s_add_i32 s1, s1, s0
	s_mul_hi_u32 s0, s54, s1
	s_mul_i32 s2, s0, s24
	s_sub_i32 s2, s54, s2
	s_add_i32 s1, s0, 1
	s_sub_i32 s3, s2, s24
	s_cmp_ge_u32 s2, s24
	s_cselect_b32 s0, s1, s0
	s_cselect_b32 s2, s3, s2
	s_add_i32 s1, s0, 1
	s_cmp_ge_u32 s2, s24
	s_cselect_b32 s56, s1, s0
.LBB185_11:
	s_waitcnt lgkmcnt(0)
	v_pk_mov_b32 v[2:3], s[30:31], s[30:31] op_sel:[0,1]
	v_cmp_lt_u64_e32 vcc, s[6:7], v[2:3]
	s_mov_b64 s[58:59], 0
	s_mov_b64 s[60:61], 0
	s_cbranch_vccnz .LBB185_13
; %bb.12:
	v_cvt_f32_u32_e32 v1, s30
	s_sub_i32 s0, 0, s30
	s_mov_b32 s61, 0
	v_rcp_iflag_f32_e32 v1, v1
	v_mul_f32_e32 v1, 0x4f7ffffe, v1
	v_cvt_u32_f32_e32 v1, v1
	v_readfirstlane_b32 s1, v1
	s_mul_i32 s0, s0, s1
	s_mul_hi_u32 s0, s1, s0
	s_add_i32 s1, s1, s0
	s_mul_hi_u32 s0, s6, s1
	s_mul_i32 s2, s0, s30
	s_sub_i32 s2, s6, s2
	s_add_i32 s1, s0, 1
	s_sub_i32 s3, s2, s30
	s_cmp_ge_u32 s2, s30
	s_cselect_b32 s0, s1, s0
	s_cselect_b32 s2, s3, s2
	s_add_i32 s1, s0, 1
	s_cmp_ge_u32 s2, s30
	s_cselect_b32 s60, s1, s0
.LBB185_13:
	s_load_dwordx2 s[64:65], s[4:5], 0xe0
	s_load_dwordx4 s[40:43], s[4:5], 0xd0
	s_load_dwordx2 s[68:69], s[4:5], 0x2a0
	s_load_dwordx4 s[44:47], s[4:5], 0x290
	;; [unrolled: 2-line block ×3, first 2 shown]
	v_pk_mov_b32 v[2:3], s[28:29], s[28:29] op_sel:[0,1]
	v_cmp_lt_u64_e32 vcc, s[60:61], v[2:3]
	s_cbranch_vccnz .LBB185_15
; %bb.14:
	v_cvt_f32_u32_e32 v1, s28
	s_sub_i32 s0, 0, s28
	v_rcp_iflag_f32_e32 v1, v1
	v_mul_f32_e32 v1, 0x4f7ffffe, v1
	v_cvt_u32_f32_e32 v1, v1
	v_readfirstlane_b32 s1, v1
	s_mul_i32 s0, s0, s1
	s_mul_hi_u32 s0, s1, s0
	s_add_i32 s1, s1, s0
	s_mul_hi_u32 s0, s60, s1
	s_mul_i32 s2, s0, s28
	s_sub_i32 s2, s60, s2
	s_add_i32 s1, s0, 1
	s_sub_i32 s3, s2, s28
	s_cmp_ge_u32 s2, s28
	s_cselect_b32 s0, s1, s0
	s_cselect_b32 s2, s3, s2
	s_add_i32 s1, s0, 1
	s_cmp_ge_u32 s2, s28
	s_cselect_b32 s58, s1, s0
.LBB185_15:
	s_load_dwordx4 s[16:19], s[4:5], 0x518
	s_load_dwordx2 s[66:67], s[4:5], 0x0
	s_lshl_b64 s[0:1], s[6:7], 3
	s_mov_b32 s53, 0
	v_cmp_eq_u32_e64 s[2:3], 0, v0
	s_waitcnt lgkmcnt(0)
	s_add_u32 s0, s16, s0
	s_addc_u32 s1, s17, s1
	s_load_dwordx2 s[62:63], s[0:1], 0x0
	v_cmp_ne_u32_e64 s[0:1], 0, v0
	s_and_saveexec_b64 s[16:17], s[2:3]
	s_cbranch_execz .LBB185_31
; %bb.16:
	s_load_dwordx2 s[72:73], s[4:5], 0x528
	s_lshl_b64 s[74:75], s[52:53], 2
	s_add_u32 s20, s18, s74
	s_addc_u32 s21, s19, s75
	s_mov_b32 s51, 0
	s_waitcnt lgkmcnt(0)
	s_add_u32 s22, s72, s74
	s_addc_u32 s23, s73, s75
	s_cmp_lt_u32 s35, 4
	s_cbranch_scc1 .LBB185_28
; %bb.17:
	s_mov_b32 s52, 0
.LBB185_18:                             ; =>This Inner Loop Header: Depth=1
	s_add_u32 s20, s18, s74
	s_addc_u32 s21, s19, s75
	s_load_dwordx4 s[20:23], s[20:21], 0x0
	s_add_u32 s76, s72, s74
	s_addc_u32 s77, s73, s75
	s_cmp_ge_u32 s52, s78
	s_cbranch_scc0 .LBB185_25
; %bb.19:                               ;   in Loop: Header=BB185_18 Depth=1
	s_add_i32 s57, s52, 1
	s_cmp_ge_u32 s57, s78
	s_cbranch_scc0 .LBB185_26
.LBB185_20:                             ;   in Loop: Header=BB185_18 Depth=1
	s_add_i32 s57, s57, 1
	s_cmp_ge_u32 s57, s78
	s_cbranch_scc0 .LBB185_27
.LBB185_21:                             ;   in Loop: Header=BB185_18 Depth=1
	s_add_i32 s57, s57, 1
	s_cmp_ge_u32 s57, s78
	s_cbranch_scc1 .LBB185_23
.LBB185_22:                             ;   in Loop: Header=BB185_18 Depth=1
	s_load_dword s59, s[76:77], 0xc
	s_waitcnt lgkmcnt(0)
	s_add_i32 s53, s53, s23
	s_add_i32 s7, s59, s7
.LBB185_23:                             ;   in Loop: Header=BB185_18 Depth=1
	s_waitcnt lgkmcnt(0)
	s_add_i32 s20, s20, s51
	s_add_i32 s20, s20, s21
	;; [unrolled: 1-line block ×4, first 2 shown]
	s_add_u32 s18, s18, 16
	s_addc_u32 s19, s19, 0
	s_add_u32 s72, s72, 16
	s_addc_u32 s73, s73, 0
	s_add_i32 s59, s57, 4
	s_add_u32 s22, s72, s74
	s_addc_u32 s23, s73, s75
	s_add_u32 s20, s18, s74
	s_addc_u32 s21, s19, s75
	s_add_i32 s57, s57, 1
	s_cmp_ge_u32 s59, s35
	s_cbranch_scc1 .LBB185_29
; %bb.24:                               ;   in Loop: Header=BB185_18 Depth=1
	s_mov_b32 s52, s57
	s_branch .LBB185_18
.LBB185_25:                             ;   in Loop: Header=BB185_18 Depth=1
	s_load_dword s57, s[76:77], 0x0
	s_waitcnt lgkmcnt(0)
	s_add_i32 s53, s20, s53
	s_add_i32 s7, s57, s7
	;; [unrolled: 1-line block ×3, first 2 shown]
	s_cmp_ge_u32 s57, s78
	s_cbranch_scc1 .LBB185_20
.LBB185_26:                             ;   in Loop: Header=BB185_18 Depth=1
	s_load_dword s59, s[76:77], 0x4
	s_waitcnt lgkmcnt(0)
	s_add_i32 s53, s53, s21
	s_add_i32 s7, s59, s7
	;; [unrolled: 1-line block ×3, first 2 shown]
	s_cmp_ge_u32 s57, s78
	s_cbranch_scc1 .LBB185_21
.LBB185_27:                             ;   in Loop: Header=BB185_18 Depth=1
	s_load_dword s59, s[76:77], 0x8
	s_waitcnt lgkmcnt(0)
	s_add_i32 s53, s53, s22
	s_add_i32 s7, s59, s7
	;; [unrolled: 1-line block ×3, first 2 shown]
	s_cmp_ge_u32 s57, s78
	s_cbranch_scc0 .LBB185_22
	s_branch .LBB185_23
.LBB185_28:
	s_mov_b32 s18, 0
	s_cmp_ge_u32 s18, s35
	s_cbranch_scc0 .LBB185_52
	s_branch .LBB185_30
.LBB185_29:
	s_add_i32 s18, s52, 4
	s_cmp_ge_u32 s18, s35
	s_cbranch_scc0 .LBB185_52
.LBB185_30:
	v_mov_b32_e32 v2, s7
	v_mov_b32_e32 v3, s51
	;; [unrolled: 1-line block ×4, first 2 shown]
	ds_write_b96 v1, v[2:4] offset:1056
.LBB185_31:
	s_or_b64 exec, exec, s[16:17]
	s_load_dwordx4 s[16:19], s[4:5], 0x1b8
	s_load_dwordx4 s[20:23], s[4:5], 0x360
	s_cmp_eq_u32 s34, 0
	s_waitcnt lgkmcnt(0)
	s_barrier
	s_cbranch_scc1 .LBB185_54
; %bb.32:
	s_mul_i32 s7, s60, s31
	s_mul_hi_u32 s31, s60, s30
	s_add_i32 s31, s31, s7
	s_mul_i32 s7, s60, s30
	s_sub_u32 s7, s6, s7
	s_subb_u32 s30, 0, s31
	s_mul_i32 s31, s7, s71
	s_mul_hi_u32 s35, s7, s70
	s_add_i32 s31, s35, s31
	s_mul_i32 s30, s30, s70
	s_add_i32 s31, s31, s30
	s_mul_i32 s30, s7, s70
	s_mul_i32 s7, s56, s25
	s_mul_hi_u32 s25, s56, s24
	s_add_i32 s25, s25, s7
	s_mul_i32 s7, s56, s24
	s_sub_u32 s7, s54, s7
	s_subb_u32 s24, s55, s25
	s_mul_i32 s25, s7, s47
	s_mul_hi_u32 s35, s7, s46
	s_add_i32 s25, s35, s25
	s_mul_i32 s24, s24, s46
	s_add_i32 s47, s25, s24
	s_mul_i32 s46, s7, s46
	s_mul_i32 s7, s56, s45
	s_mul_hi_u32 s24, s56, s44
	s_add_i32 s45, s24, s7
	s_mul_i32 s7, s54, s27
	s_mul_hi_u32 s24, s54, s26
	s_add_i32 s24, s24, s7
	s_mul_i32 s7, s54, s26
	s_sub_u32 s7, s6, s7
	s_subb_u32 s24, 0, s24
	s_mul_i32 s25, s7, s69
	s_mul_hi_u32 s26, s7, s68
	s_add_i32 s25, s26, s25
	s_mul_i32 s24, s24, s68
	s_mul_i32 s26, s7, s68
	;; [unrolled: 1-line block ×3, first 2 shown]
	s_mul_hi_u32 s13, s50, s12
	s_add_i32 s27, s25, s24
	s_add_i32 s13, s13, s7
	s_mul_i32 s7, s50, s12
	s_sub_u32 s7, s48, s7
	s_subb_u32 s12, s49, s13
	s_mul_i32 s13, s7, s43
	s_mul_hi_u32 s24, s7, s42
	s_add_i32 s13, s24, s13
	s_mul_i32 s12, s12, s42
	s_add_i32 s13, s13, s12
	s_mul_i32 s12, s7, s42
	s_mul_i32 s7, s50, s41
	s_mul_hi_u32 s24, s50, s40
	s_add_i32 s25, s24, s7
	s_mul_i32 s7, s48, s15
	s_mul_hi_u32 s15, s48, s14
	s_add_i32 s15, s15, s7
	s_mul_i32 s7, s48, s14
	s_sub_u32 s6, s6, s7
	s_subb_u32 s7, 0, s15
	s_mul_i32 s14, s6, s65
	s_mul_hi_u32 s15, s6, s64
	s_add_i32 s14, s15, s14
	s_mul_i32 s7, s7, s64
	s_add_i32 s7, s14, s7
	s_mul_i32 s14, s58, s29
	s_mul_hi_u32 s15, s58, s28
	s_add_i32 s15, s15, s14
	s_mul_i32 s14, s58, s28
	s_sub_u32 s14, s60, s14
	s_subb_u32 s15, s61, s15
	s_mul_i32 s28, s14, s39
	s_mul_hi_u32 s29, s14, s38
	s_add_i32 s28, s29, s28
	s_mul_i32 s15, s15, s38
	s_mul_i32 s24, s50, s40
	s_add_i32 s15, s28, s15
	s_mul_i32 s28, s58, s37
	s_mul_hi_u32 s29, s58, s36
	s_add_i32 s29, s29, s28
	s_lshl_b64 s[24:25], s[24:25], 3
	s_add_u32 s24, s66, s24
	s_addc_u32 s25, s67, s25
	s_lshl_b64 s[12:13], s[12:13], 3
	s_mul_i32 s6, s6, s64
	s_add_u32 s12, s24, s12
	s_addc_u32 s13, s25, s13
	s_lshl_b64 s[6:7], s[6:7], 3
	s_mul_i32 s44, s56, s44
	s_add_u32 s24, s12, s6
	s_addc_u32 s25, s13, s7
	s_lshl_b64 s[6:7], s[44:45], 3
	s_add_u32 s12, s18, s6
	s_addc_u32 s13, s19, s7
	s_lshl_b64 s[6:7], s[46:47], 3
	s_add_u32 s12, s12, s6
	s_addc_u32 s13, s13, s7
	s_lshl_b64 s[6:7], s[26:27], 3
	s_mul_i32 s28, s58, s36
	s_add_u32 s26, s12, s6
	s_addc_u32 s27, s13, s7
	s_lshl_b64 s[6:7], s[28:29], 3
	s_mul_i32 s14, s14, s38
	s_add_u32 s12, s22, s6
	s_addc_u32 s13, s23, s7
	s_lshl_b64 s[6:7], s[14:15], 3
	s_add_u32 s12, s12, s6
	s_addc_u32 s13, s13, s7
	s_lshl_b64 s[6:7], s[30:31], 3
	v_mov_b32_e32 v1, 0
	s_add_u32 s22, s12, s6
	ds_read_b96 v[2:4], v1 offset:1056
	s_addc_u32 s23, s13, s7
	s_ashr_i32 s6, s63, 31
	s_or_b32 s7, s6, 0x80000000
	v_cmp_o_f64_e64 s[12:13], s[62:63], s[62:63]
	s_xor_b64 s[6:7], s[6:7], s[62:63]
	s_and_b64 s[12:13], s[12:13], exec
	s_cselect_b32 s13, s7, -1
	s_load_dword s7, s[4:5], 0x1b0
	s_load_dwordx2 s[14:15], s[4:5], 0x508
	s_waitcnt lgkmcnt(0)
	v_add_u32_e32 v2, v2, v3
	v_lshrrev_b32_e32 v3, 5, v0
	v_add_lshl_u32 v5, v3, v0, 2
	v_lshlrev_b32_e32 v3, 2, v0
	v_lshrrev_b32_e32 v6, 3, v0
	v_add_lshl_u32 v10, v6, v3, 2
	v_add_u32_e32 v3, -1, v0
	v_lshrrev_b32_e32 v6, 5, v3
	v_add_lshl_u32 v11, v6, v3, 2
	v_mbcnt_lo_u32_b32 v3, -1, 0
	s_cselect_b32 s12, s6, -1
	s_bitcmp1_b32 s7, 0
	v_mbcnt_hi_u32_b32 v12, -1, v3
	s_cselect_b64 s[4:5], -1, 0
	v_cmp_gt_u32_e64 s[6:7], 64, v0
	v_add_u32_e32 v0, s33, v0
	v_and_b32_e32 v13, 15, v12
	v_bfe_i32 v14, v12, 4, 1
	v_add_u32_e32 v15, -1, v12
	v_and_b32_e32 v16, 64, v12
                                        ; implicit-def: $vgpr6_vgpr7
	s_branch .LBB185_35
.LBB185_33:                             ;   in Loop: Header=BB185_35 Depth=1
	s_or_b64 exec, exec, s[18:19]
	v_add_u32_e32 v2, v3, v2
.LBB185_34:                             ;   in Loop: Header=BB185_35 Depth=1
	s_add_i32 s34, s34, -1
	v_add_u32_e32 v4, v17, v4
	s_cmp_lg_u32 s34, 0
	v_add_u32_e32 v0, 0x100, v0
	s_cbranch_scc0 .LBB185_54
.LBB185_35:                             ; =>This Inner Loop Header: Depth=1
	v_cmp_gt_u64_e32 vcc, s[8:9], v[0:1]
	v_mov_b32_e32 v3, v1
	v_mov_b32_e32 v8, v1
	s_and_saveexec_b64 s[18:19], vcc
	s_cbranch_execz .LBB185_37
; %bb.36:                               ;   in Loop: Header=BB185_35 Depth=1
	v_mad_u64_u32 v[6:7], s[28:29], v0, s16, 0
	v_mov_b32_e32 v8, v7
	v_mad_u64_u32 v[8:9], s[28:29], v0, s17, v[8:9]
	v_mov_b32_e32 v7, v8
	v_lshlrev_b64 v[6:7], 3, v[6:7]
	v_mov_b32_e32 v3, s25
	v_add_co_u32_e32 v6, vcc, s24, v6
	v_addc_co_u32_e32 v7, vcc, v3, v7, vcc
	global_load_dwordx2 v[6:7], v[6:7], off
	s_waitcnt vmcnt(0)
	v_ashrrev_i32_e32 v3, 31, v7
	v_or_b32_e32 v8, 0x80000000, v3
	v_xor_b32_e32 v3, v3, v6
	v_xor_b32_e32 v8, v8, v7
	v_cmp_o_f64_e32 vcc, v[6:7], v[6:7]
	v_cndmask_b32_e32 v9, -1, v8, vcc
	v_cndmask_b32_e32 v8, -1, v3, vcc
	v_cmp_lt_u64_e32 vcc, s[12:13], v[8:9]
	v_cndmask_b32_e64 v3, 0, 1, vcc
	v_cmp_gt_u64_e32 vcc, s[12:13], v[8:9]
	v_cndmask_b32_e64 v17, 0, 1, vcc
	v_cndmask_b32_e64 v3, v17, v3, s[4:5]
	v_cmp_eq_u64_e32 vcc, s[12:13], v[8:9]
	v_and_b32_e32 v3, 1, v3
	v_cndmask_b32_e64 v8, 0, 1, vcc
.LBB185_37:                             ;   in Loop: Header=BB185_35 Depth=1
	s_or_b64 exec, exec, s[18:19]
	ds_write_b32 v5, v3
	s_waitcnt lgkmcnt(0)
	s_barrier
	s_and_saveexec_b64 s[18:19], s[6:7]
	s_cbranch_execz .LBB185_39
; %bb.38:                               ;   in Loop: Header=BB185_35 Depth=1
	ds_read2_b32 v[18:19], v10 offset1:1
	ds_read2_b32 v[20:21], v10 offset0:2 offset1:3
	v_cmp_ne_u32_e32 vcc, 0, v13
	; wave barrier
	s_waitcnt lgkmcnt(1)
	v_add_u32_e32 v9, v19, v18
	s_waitcnt lgkmcnt(0)
	v_add3_u32 v9, v9, v20, v21
	s_nop 1
	v_mov_b32_dpp v17, v9 row_shr:1 row_mask:0xf bank_mask:0xf
	v_cndmask_b32_e32 v17, 0, v17, vcc
	v_add_u32_e32 v9, v17, v9
	v_cmp_lt_u32_e32 vcc, 1, v13
	s_nop 0
	v_mov_b32_dpp v17, v9 row_shr:2 row_mask:0xf bank_mask:0xf
	v_cndmask_b32_e32 v17, 0, v17, vcc
	v_add_u32_e32 v9, v9, v17
	v_cmp_lt_u32_e32 vcc, 3, v13
	;; [unrolled: 5-line block ×4, first 2 shown]
	s_nop 0
	v_mov_b32_dpp v17, v9 row_bcast:15 row_mask:0xf bank_mask:0xf
	v_and_b32_e32 v17, v14, v17
	v_add_u32_e32 v9, v9, v17
	s_nop 1
	v_mov_b32_dpp v17, v9 row_bcast:31 row_mask:0xf bank_mask:0xf
	v_cndmask_b32_e32 v17, 0, v17, vcc
	v_cmp_lt_i32_e32 vcc, v15, v16
	v_add_u32_e32 v9, v9, v17
	v_cndmask_b32_e32 v17, v15, v12, vcc
	v_lshlrev_b32_e32 v17, 2, v17
	ds_bpermute_b32 v9, v17, v9
	s_waitcnt lgkmcnt(0)
	v_add_u32_e32 v9, v9, v18
	v_cndmask_b32_e64 v9, v9, v3, s[2:3]
	ds_write_b32 v10, v9
	; wave barrier
	ds_read2_b32 v[18:19], v10 offset0:1 offset1:2
	ds_read_b32 v17, v10 offset:12
	s_waitcnt lgkmcnt(1)
	v_add_u32_e32 v9, v18, v9
	v_add_u32_e32 v18, v19, v9
	ds_write2_b32 v10, v9, v18 offset0:1 offset1:2
	s_waitcnt lgkmcnt(1)
	v_add_u32_e32 v9, v17, v18
	ds_write_b32 v10, v9 offset:12
.LBB185_39:                             ;   in Loop: Header=BB185_35 Depth=1
	s_or_b64 exec, exec, s[18:19]
	v_mov_b32_e32 v9, 0
	s_waitcnt lgkmcnt(0)
	s_barrier
	s_and_saveexec_b64 s[18:19], s[0:1]
	s_cbranch_execz .LBB185_41
; %bb.40:                               ;   in Loop: Header=BB185_35 Depth=1
	ds_read_b32 v9, v11
.LBB185_41:                             ;   in Loop: Header=BB185_35 Depth=1
	s_or_b64 exec, exec, s[18:19]
	ds_read_b32 v17, v1 offset:1048
	v_cmp_ne_u32_e32 vcc, 0, v3
	s_waitcnt lgkmcnt(0)
	s_barrier
	s_and_saveexec_b64 s[18:19], vcc
	s_cbranch_execz .LBB185_43
; %bb.42:                               ;   in Loop: Header=BB185_35 Depth=1
	v_add_u32_e32 v3, v9, v4
	v_mad_u64_u32 v[18:19], s[28:29], v3, s20, 0
	v_mov_b32_e32 v20, v19
	v_mad_u64_u32 v[20:21], s[28:29], v3, s21, v[20:21]
	v_mov_b32_e32 v19, v20
	v_lshlrev_b64 v[18:19], 3, v[18:19]
	v_mov_b32_e32 v9, s27
	v_add_co_u32_e32 v18, vcc, s26, v18
	v_addc_co_u32_e32 v19, vcc, v9, v19, vcc
	global_store_dwordx2 v[18:19], v[6:7], off
	v_mad_u64_u32 v[18:19], s[28:29], v3, s14, 0
	v_mov_b32_e32 v20, v19
	v_mad_u64_u32 v[20:21], s[28:29], v3, s15, v[20:21]
	v_mov_b32_e32 v19, v20
	v_lshlrev_b64 v[18:19], 3, v[18:19]
	v_mov_b32_e32 v3, s23
	v_add_co_u32_e32 v18, vcc, s22, v18
	v_addc_co_u32_e32 v19, vcc, v3, v19, vcc
	global_store_dwordx2 v[18:19], v[0:1], off
.LBB185_43:                             ;   in Loop: Header=BB185_35 Depth=1
	s_or_b64 exec, exec, s[18:19]
	v_mov_b32_e32 v3, v1
	v_cmp_le_u64_e32 vcc, s[10:11], v[2:3]
	s_cbranch_vccnz .LBB185_34
; %bb.44:                               ;   in Loop: Header=BB185_35 Depth=1
	ds_write_b32 v5, v8
	s_waitcnt lgkmcnt(0)
	s_barrier
	s_and_saveexec_b64 s[18:19], s[6:7]
	s_cbranch_execz .LBB185_46
; %bb.45:                               ;   in Loop: Header=BB185_35 Depth=1
	ds_read2_b32 v[18:19], v10 offset1:1
	ds_read2_b32 v[20:21], v10 offset0:2 offset1:3
	v_cmp_ne_u32_e32 vcc, 0, v13
	; wave barrier
	s_waitcnt lgkmcnt(1)
	v_add_u32_e32 v3, v19, v18
	s_waitcnt lgkmcnt(0)
	v_add3_u32 v3, v3, v20, v21
	s_nop 1
	v_mov_b32_dpp v9, v3 row_shr:1 row_mask:0xf bank_mask:0xf
	v_cndmask_b32_e32 v9, 0, v9, vcc
	v_add_u32_e32 v3, v9, v3
	v_cmp_lt_u32_e32 vcc, 1, v13
	s_nop 0
	v_mov_b32_dpp v9, v3 row_shr:2 row_mask:0xf bank_mask:0xf
	v_cndmask_b32_e32 v9, 0, v9, vcc
	v_add_u32_e32 v3, v3, v9
	v_cmp_lt_u32_e32 vcc, 3, v13
	;; [unrolled: 5-line block ×4, first 2 shown]
	s_nop 0
	v_mov_b32_dpp v9, v3 row_bcast:15 row_mask:0xf bank_mask:0xf
	v_and_b32_e32 v9, v14, v9
	v_add_u32_e32 v3, v3, v9
	s_nop 1
	v_mov_b32_dpp v9, v3 row_bcast:31 row_mask:0xf bank_mask:0xf
	v_cndmask_b32_e32 v9, 0, v9, vcc
	v_cmp_lt_i32_e32 vcc, v15, v16
	v_add_u32_e32 v3, v3, v9
	v_cndmask_b32_e32 v9, v15, v12, vcc
	v_lshlrev_b32_e32 v9, 2, v9
	ds_bpermute_b32 v3, v9, v3
	s_waitcnt lgkmcnt(0)
	v_add_u32_e32 v3, v3, v18
	v_cndmask_b32_e64 v3, v3, v8, s[2:3]
	ds_write_b32 v10, v3
	; wave barrier
	ds_read2_b32 v[18:19], v10 offset0:1 offset1:2
	ds_read_b32 v9, v10 offset:12
	s_waitcnt lgkmcnt(1)
	v_add_u32_e32 v3, v18, v3
	v_add_u32_e32 v18, v19, v3
	ds_write2_b32 v10, v3, v18 offset0:1 offset1:2
	s_waitcnt lgkmcnt(1)
	v_add_u32_e32 v3, v9, v18
	ds_write_b32 v10, v3 offset:12
.LBB185_46:                             ;   in Loop: Header=BB185_35 Depth=1
	s_or_b64 exec, exec, s[18:19]
	v_mov_b32_e32 v9, 0
	s_waitcnt lgkmcnt(0)
	s_barrier
	s_and_saveexec_b64 s[18:19], s[0:1]
	s_cbranch_execz .LBB185_48
; %bb.47:                               ;   in Loop: Header=BB185_35 Depth=1
	ds_read_b32 v9, v11
.LBB185_48:                             ;   in Loop: Header=BB185_35 Depth=1
	s_or_b64 exec, exec, s[18:19]
	ds_read_b32 v3, v1 offset:1048
	v_cmp_ne_u32_e32 vcc, 0, v8
	s_waitcnt lgkmcnt(0)
	s_barrier
	s_and_saveexec_b64 s[18:19], vcc
	s_cbranch_execz .LBB185_33
; %bb.49:                               ;   in Loop: Header=BB185_35 Depth=1
	v_add_u32_e32 v8, v9, v2
	v_mov_b32_e32 v9, v1
	v_cmp_gt_u64_e32 vcc, s[10:11], v[8:9]
	s_and_b64 exec, exec, vcc
	s_cbranch_execz .LBB185_33
; %bb.50:                               ;   in Loop: Header=BB185_35 Depth=1
	v_mad_u64_u32 v[18:19], s[28:29], v8, s20, 0
	v_mov_b32_e32 v20, v19
	v_mad_u64_u32 v[20:21], s[28:29], v8, s21, v[20:21]
	v_mov_b32_e32 v19, v20
	v_lshlrev_b64 v[18:19], 3, v[18:19]
	v_mov_b32_e32 v9, s27
	v_add_co_u32_e32 v18, vcc, s26, v18
	v_addc_co_u32_e32 v19, vcc, v9, v19, vcc
	global_store_dwordx2 v[18:19], v[6:7], off
	v_mad_u64_u32 v[18:19], s[28:29], v8, s14, 0
	v_mov_b32_e32 v20, v19
	v_mad_u64_u32 v[8:9], s[28:29], v8, s15, v[20:21]
	v_mov_b32_e32 v19, v8
	v_lshlrev_b64 v[8:9], 3, v[18:19]
	v_mov_b32_e32 v18, s23
	v_add_co_u32_e32 v8, vcc, s22, v8
	v_addc_co_u32_e32 v9, vcc, v18, v9, vcc
	global_store_dwordx2 v[8:9], v[0:1], off
	s_branch .LBB185_33
.LBB185_51:                             ;   in Loop: Header=BB185_52 Depth=1
	s_add_u32 s20, s20, 4
	s_addc_u32 s21, s21, 0
	s_waitcnt lgkmcnt(0)
	s_add_i32 s51, s19, s51
	s_add_u32 s22, s22, 4
	s_addc_u32 s23, s23, 0
	s_add_i32 s18, s18, 1
	s_cmp_lt_u32 s18, s35
	s_cbranch_scc0 .LBB185_30
.LBB185_52:                             ; =>This Inner Loop Header: Depth=1
	s_load_dword s19, s[20:21], 0x0
	s_cmp_ge_u32 s18, s78
	s_cbranch_scc1 .LBB185_51
; %bb.53:                               ;   in Loop: Header=BB185_52 Depth=1
	s_load_dword s52, s[22:23], 0x0
	s_waitcnt lgkmcnt(0)
	s_add_i32 s53, s19, s53
	s_add_i32 s7, s52, s7
	s_branch .LBB185_51
.LBB185_54:
	s_endpgm
	.section	.rodata,"a",@progbits
	.p2align	6, 0x0
	.amdhsa_kernel _ZN2at6native6mbtopk10gatherTopKIdmLi3EEEvNS_4cuda6detail10TensorInfoIKT_T0_EES8_S8_bjS8_NS5_IS6_S8_EES8_NS5_IlS8_EES8_jjPS6_PjSD_j
		.amdhsa_group_segment_fixed_size 1068
		.amdhsa_private_segment_fixed_size 0
		.amdhsa_kernarg_size 1592
		.amdhsa_user_sgpr_count 6
		.amdhsa_user_sgpr_private_segment_buffer 1
		.amdhsa_user_sgpr_dispatch_ptr 0
		.amdhsa_user_sgpr_queue_ptr 0
		.amdhsa_user_sgpr_kernarg_segment_ptr 1
		.amdhsa_user_sgpr_dispatch_id 0
		.amdhsa_user_sgpr_flat_scratch_init 0
		.amdhsa_user_sgpr_kernarg_preload_length 0
		.amdhsa_user_sgpr_kernarg_preload_offset 0
		.amdhsa_user_sgpr_private_segment_size 0
		.amdhsa_uses_dynamic_stack 0
		.amdhsa_system_sgpr_private_segment_wavefront_offset 0
		.amdhsa_system_sgpr_workgroup_id_x 1
		.amdhsa_system_sgpr_workgroup_id_y 1
		.amdhsa_system_sgpr_workgroup_id_z 1
		.amdhsa_system_sgpr_workgroup_info 0
		.amdhsa_system_vgpr_workitem_id 0
		.amdhsa_next_free_vgpr 22
		.amdhsa_next_free_sgpr 79
		.amdhsa_accum_offset 24
		.amdhsa_reserve_vcc 1
		.amdhsa_reserve_flat_scratch 0
		.amdhsa_float_round_mode_32 0
		.amdhsa_float_round_mode_16_64 0
		.amdhsa_float_denorm_mode_32 3
		.amdhsa_float_denorm_mode_16_64 3
		.amdhsa_dx10_clamp 1
		.amdhsa_ieee_mode 1
		.amdhsa_fp16_overflow 0
		.amdhsa_tg_split 0
		.amdhsa_exception_fp_ieee_invalid_op 0
		.amdhsa_exception_fp_denorm_src 0
		.amdhsa_exception_fp_ieee_div_zero 0
		.amdhsa_exception_fp_ieee_overflow 0
		.amdhsa_exception_fp_ieee_underflow 0
		.amdhsa_exception_fp_ieee_inexact 0
		.amdhsa_exception_int_div_zero 0
	.end_amdhsa_kernel
	.section	.text._ZN2at6native6mbtopk10gatherTopKIdmLi3EEEvNS_4cuda6detail10TensorInfoIKT_T0_EES8_S8_bjS8_NS5_IS6_S8_EES8_NS5_IlS8_EES8_jjPS6_PjSD_j,"axG",@progbits,_ZN2at6native6mbtopk10gatherTopKIdmLi3EEEvNS_4cuda6detail10TensorInfoIKT_T0_EES8_S8_bjS8_NS5_IS6_S8_EES8_NS5_IlS8_EES8_jjPS6_PjSD_j,comdat
.Lfunc_end185:
	.size	_ZN2at6native6mbtopk10gatherTopKIdmLi3EEEvNS_4cuda6detail10TensorInfoIKT_T0_EES8_S8_bjS8_NS5_IS6_S8_EES8_NS5_IlS8_EES8_jjPS6_PjSD_j, .Lfunc_end185-_ZN2at6native6mbtopk10gatherTopKIdmLi3EEEvNS_4cuda6detail10TensorInfoIKT_T0_EES8_S8_bjS8_NS5_IS6_S8_EES8_NS5_IlS8_EES8_jjPS6_PjSD_j
                                        ; -- End function
	.section	.AMDGPU.csdata,"",@progbits
; Kernel info:
; codeLenInByte = 3280
; NumSgprs: 83
; NumVgprs: 22
; NumAgprs: 0
; TotalNumVgprs: 22
; ScratchSize: 0
; MemoryBound: 0
; FloatMode: 240
; IeeeMode: 1
; LDSByteSize: 1068 bytes/workgroup (compile time only)
; SGPRBlocks: 10
; VGPRBlocks: 2
; NumSGPRsForWavesPerEU: 83
; NumVGPRsForWavesPerEU: 22
; AccumOffset: 24
; Occupancy: 8
; WaveLimiterHint : 1
; COMPUTE_PGM_RSRC2:SCRATCH_EN: 0
; COMPUTE_PGM_RSRC2:USER_SGPR: 6
; COMPUTE_PGM_RSRC2:TRAP_HANDLER: 0
; COMPUTE_PGM_RSRC2:TGID_X_EN: 1
; COMPUTE_PGM_RSRC2:TGID_Y_EN: 1
; COMPUTE_PGM_RSRC2:TGID_Z_EN: 1
; COMPUTE_PGM_RSRC2:TIDIG_COMP_CNT: 0
; COMPUTE_PGM_RSRC3_GFX90A:ACCUM_OFFSET: 5
; COMPUTE_PGM_RSRC3_GFX90A:TG_SPLIT: 0
	.section	.text._ZN2at6native6sbtopk10gatherTopKIdmLi3ELb0EEEvNS_4cuda6detail10TensorInfoIKT_T0_EES8_S8_bS8_S8_NS5_IS6_S8_EES8_NS5_IlS8_EES8_PS6_,"axG",@progbits,_ZN2at6native6sbtopk10gatherTopKIdmLi3ELb0EEEvNS_4cuda6detail10TensorInfoIKT_T0_EES8_S8_bS8_S8_NS5_IS6_S8_EES8_NS5_IlS8_EES8_PS6_,comdat
	.protected	_ZN2at6native6sbtopk10gatherTopKIdmLi3ELb0EEEvNS_4cuda6detail10TensorInfoIKT_T0_EES8_S8_bS8_S8_NS5_IS6_S8_EES8_NS5_IlS8_EES8_PS6_ ; -- Begin function _ZN2at6native6sbtopk10gatherTopKIdmLi3ELb0EEEvNS_4cuda6detail10TensorInfoIKT_T0_EES8_S8_bS8_S8_NS5_IS6_S8_EES8_NS5_IlS8_EES8_PS6_
	.globl	_ZN2at6native6sbtopk10gatherTopKIdmLi3ELb0EEEvNS_4cuda6detail10TensorInfoIKT_T0_EES8_S8_bS8_S8_NS5_IS6_S8_EES8_NS5_IlS8_EES8_PS6_
	.p2align	8
	.type	_ZN2at6native6sbtopk10gatherTopKIdmLi3ELb0EEEvNS_4cuda6detail10TensorInfoIKT_T0_EES8_S8_bS8_S8_NS5_IS6_S8_EES8_NS5_IlS8_EES8_PS6_,@function
_ZN2at6native6sbtopk10gatherTopKIdmLi3ELb0EEEvNS_4cuda6detail10TensorInfoIKT_T0_EES8_S8_bS8_S8_NS5_IS6_S8_EES8_NS5_IlS8_EES8_PS6_: ; @_ZN2at6native6sbtopk10gatherTopKIdmLi3ELb0EEEvNS_4cuda6detail10TensorInfoIKT_T0_EES8_S8_bS8_S8_NS5_IS6_S8_EES8_NS5_IlS8_EES8_PS6_
; %bb.0:
	s_load_dwordx4 s[56:59], s[4:5], 0x1b8
	s_load_dwordx2 s[16:17], s[4:5], 0x520
	s_mov_b64 s[26:27], s[4:5]
	s_add_u32 s10, s26, 0x520
	s_addc_u32 s11, s27, 0
	s_waitcnt lgkmcnt(0)
	v_mov_b32_e32 v2, s56
	s_mul_i32 s0, s17, s8
	s_add_i32 s0, s0, s7
	s_mul_i32 s0, s0, s16
	v_mov_b32_e32 v3, s57
	s_add_i32 s28, s0, s6
	s_mov_b32 s29, 0
	v_cmp_ge_u64_e32 vcc, s[28:29], v[2:3]
	s_cbranch_vccnz .LBB186_496
; %bb.1:
	s_load_dwordx4 s[0:3], s[26:27], 0x10
	s_mov_b64 s[8:9], 0
	s_mov_b64 s[4:5], 0
	s_waitcnt lgkmcnt(0)
	v_pk_mov_b32 v[2:3], s[2:3], s[2:3] op_sel:[0,1]
	v_cmp_lt_u64_e32 vcc, s[28:29], v[2:3]
	s_cbranch_vccnz .LBB186_3
; %bb.2:
	v_cvt_f32_u32_e32 v1, s2
	s_sub_i32 s4, 0, s2
	s_mov_b32 s5, 0
	v_rcp_iflag_f32_e32 v1, v1
	v_mul_f32_e32 v1, 0x4f7ffffe, v1
	v_cvt_u32_f32_e32 v1, v1
	v_readfirstlane_b32 s7, v1
	s_mul_i32 s4, s4, s7
	s_mul_hi_u32 s4, s7, s4
	s_add_i32 s7, s7, s4
	s_mul_hi_u32 s4, s28, s7
	s_mul_i32 s9, s4, s2
	s_sub_i32 s9, s28, s9
	s_add_i32 s7, s4, 1
	s_sub_i32 s12, s9, s2
	s_cmp_ge_u32 s9, s2
	s_cselect_b32 s4, s7, s4
	s_cselect_b32 s9, s12, s9
	s_add_i32 s7, s4, 1
	s_cmp_ge_u32 s9, s2
	s_cselect_b32 s4, s7, s4
.LBB186_3:
	s_load_dwordx4 s[20:23], s[26:27], 0x1d8
	v_pk_mov_b32 v[2:3], s[0:1], s[0:1] op_sel:[0,1]
	v_cmp_lt_u64_e32 vcc, s[4:5], v[2:3]
	s_cbranch_vccnz .LBB186_5
; %bb.4:
	v_cvt_f32_u32_e32 v1, s0
	s_sub_i32 s7, 0, s0
	v_rcp_iflag_f32_e32 v1, v1
	v_mul_f32_e32 v1, 0x4f7ffffe, v1
	v_cvt_u32_f32_e32 v1, v1
	v_readfirstlane_b32 s8, v1
	s_mul_i32 s7, s7, s8
	s_mul_hi_u32 s7, s8, s7
	s_add_i32 s8, s8, s7
	s_mul_hi_u32 s7, s4, s8
	s_mul_i32 s9, s7, s0
	s_sub_i32 s9, s4, s9
	s_add_i32 s8, s7, 1
	s_sub_i32 s12, s9, s0
	s_cmp_ge_u32 s9, s0
	s_cselect_b32 s7, s8, s7
	s_cselect_b32 s9, s12, s9
	s_add_i32 s8, s7, 1
	s_cmp_ge_u32 s9, s0
	s_cselect_b32 s8, s8, s7
.LBB186_5:
	s_waitcnt lgkmcnt(0)
	v_pk_mov_b32 v[2:3], s[22:23], s[22:23] op_sel:[0,1]
	v_cmp_lt_u64_e32 vcc, s[28:29], v[2:3]
	s_mov_b64 s[12:13], 0
                                        ; implicit-def: $vgpr55 : SGPR spill to VGPR lane
	v_writelane_b32 v55, s12, 0
	s_mov_b64 s[24:25], 0
	v_writelane_b32 v55, s13, 1
	s_cbranch_vccnz .LBB186_7
; %bb.6:
	v_cvt_f32_u32_e32 v1, s22
	s_sub_i32 s7, 0, s22
	s_mov_b32 s25, 0
	v_rcp_iflag_f32_e32 v1, v1
	v_mul_f32_e32 v1, 0x4f7ffffe, v1
	v_cvt_u32_f32_e32 v1, v1
	v_readfirstlane_b32 s9, v1
	s_mul_i32 s7, s7, s9
	s_mul_hi_u32 s7, s9, s7
	s_add_i32 s9, s9, s7
	s_mul_hi_u32 s7, s28, s9
	s_mul_i32 s12, s7, s22
	s_sub_i32 s12, s28, s12
	s_add_i32 s9, s7, 1
	s_sub_i32 s13, s12, s22
	s_cmp_ge_u32 s12, s22
	s_cselect_b32 s7, s9, s7
	s_cselect_b32 s12, s13, s12
	s_add_i32 s9, s7, 1
	s_cmp_ge_u32 s12, s22
	s_cselect_b32 s24, s9, s7
.LBB186_7:
	s_load_dwordx4 s[36:39], s[26:27], 0x380
	v_pk_mov_b32 v[2:3], s[20:21], s[20:21] op_sel:[0,1]
	v_cmp_lt_u64_e32 vcc, s[24:25], v[2:3]
	s_cbranch_vccnz .LBB186_9
; %bb.8:
	v_cvt_f32_u32_e32 v1, s20
	s_sub_i32 s7, 0, s20
	v_rcp_iflag_f32_e32 v1, v1
	v_mul_f32_e32 v1, 0x4f7ffffe, v1
	v_cvt_u32_f32_e32 v1, v1
	v_readfirstlane_b32 s9, v1
	s_mul_i32 s7, s7, s9
	s_mul_hi_u32 s7, s9, s7
	s_add_i32 s9, s9, s7
	s_mul_hi_u32 s7, s24, s9
	s_mul_i32 s12, s7, s20
	s_sub_i32 s12, s24, s12
	s_add_i32 s9, s7, 1
	s_sub_i32 s13, s12, s20
	s_cmp_ge_u32 s12, s20
	s_cselect_b32 s7, s9, s7
	s_cselect_b32 s12, s13, s12
	s_add_i32 s9, s7, 1
	s_cmp_ge_u32 s12, s20
	s_cselect_b32 s12, s9, s7
	v_writelane_b32 v55, s12, 0
	v_writelane_b32 v55, s13, 1
.LBB186_9:
	v_writelane_b32 v55, s20, 2
	v_writelane_b32 v55, s21, 3
	s_load_dwordx2 s[18:19], s[26:27], 0xe0
	s_load_dwordx4 s[12:15], s[26:27], 0xd0
	v_writelane_b32 v55, s22, 4
	v_writelane_b32 v55, s23, 5
	s_waitcnt lgkmcnt(0)
	v_pk_mov_b32 v[2:3], s[38:39], s[38:39] op_sel:[0,1]
	s_mov_b64 s[20:21], 0
	v_cmp_lt_u64_e32 vcc, s[28:29], v[2:3]
	v_writelane_b32 v55, s20, 6
	v_writelane_b32 v55, s21, 7
	s_mov_b64 s[20:21], 0
	s_cbranch_vccnz .LBB186_11
; %bb.10:
	v_cvt_f32_u32_e32 v1, s38
	s_sub_i32 s7, 0, s38
	s_mov_b32 s21, 0
	v_rcp_iflag_f32_e32 v1, v1
	v_mul_f32_e32 v1, 0x4f7ffffe, v1
	v_cvt_u32_f32_e32 v1, v1
	v_readfirstlane_b32 s9, v1
	s_mul_i32 s7, s7, s9
	s_mul_hi_u32 s7, s9, s7
	s_add_i32 s9, s9, s7
	s_mul_hi_u32 s7, s28, s9
	s_mul_i32 s17, s7, s38
	s_sub_i32 s17, s28, s17
	s_add_i32 s9, s7, 1
	s_sub_i32 s20, s17, s38
	s_cmp_ge_u32 s17, s38
	s_cselect_b32 s7, s9, s7
	s_cselect_b32 s17, s20, s17
	s_add_i32 s9, s7, 1
	s_cmp_ge_u32 s17, s38
	s_cselect_b32 s20, s9, s7
.LBB186_11:
	s_load_dwordx2 s[22:23], s[26:27], 0x450
	s_load_dwordx4 s[40:43], s[26:27], 0x440
	v_writelane_b32 v55, s24, 8
	v_writelane_b32 v55, s25, 9
	v_pk_mov_b32 v[2:3], s[36:37], s[36:37] op_sel:[0,1]
	s_waitcnt lgkmcnt(0)
	v_writelane_b32 v55, s22, 10
	v_writelane_b32 v55, s23, 11
	s_load_dwordx2 s[22:23], s[26:27], 0x2a8
	v_writelane_b32 v55, s40, 12
	v_writelane_b32 v55, s41, 13
	;; [unrolled: 1-line block ×4, first 2 shown]
	s_load_dwordx4 s[40:43], s[26:27], 0x298
	s_waitcnt lgkmcnt(0)
	v_writelane_b32 v55, s22, 16
	v_writelane_b32 v55, s23, 17
	s_mov_b64 s[22:23], s[20:21]
	s_load_dwordx2 s[20:21], s[26:27], 0x0
	v_writelane_b32 v55, s40, 18
	v_writelane_b32 v55, s41, 19
	;; [unrolled: 1-line block ×5, first 2 shown]
	v_cmp_lt_u64_e32 vcc, s[22:23], v[2:3]
	v_writelane_b32 v55, s23, 23
	s_cbranch_vccnz .LBB186_13
; %bb.12:
	v_cvt_f32_u32_e32 v1, s36
	s_sub_i32 s7, 0, s36
	v_readlane_b32 s22, v55, 22
	v_readlane_b32 s23, v55, 23
	v_rcp_iflag_f32_e32 v1, v1
	v_mul_f32_e32 v1, 0x4f7ffffe, v1
	v_cvt_u32_f32_e32 v1, v1
	v_readfirstlane_b32 s9, v1
	s_mul_i32 s7, s7, s9
	s_mul_hi_u32 s7, s9, s7
	s_add_i32 s9, s9, s7
	s_mul_hi_u32 s7, s22, s9
	s_mul_i32 s17, s7, s36
	s_sub_i32 s17, s22, s17
	s_add_i32 s9, s7, 1
	s_sub_i32 s22, s17, s36
	s_cmp_ge_u32 s17, s36
	s_cselect_b32 s7, s9, s7
	s_cselect_b32 s17, s22, s17
	s_add_i32 s9, s7, 1
	s_cmp_ge_u32 s17, s36
	s_cselect_b32 s22, s9, s7
	v_writelane_b32 v55, s22, 6
	v_writelane_b32 v55, s23, 7
.LBB186_13:
	s_load_dwordx2 s[22:23], s[26:27], 0x370
	v_writelane_b32 v55, s36, 24
	v_writelane_b32 v55, s37, 25
	;; [unrolled: 1-line block ×4, first 2 shown]
	s_waitcnt lgkmcnt(0)
	v_writelane_b32 v55, s22, 28
	v_writelane_b32 v55, s23, 29
	s_load_dwordx2 s[22:23], s[26:27], 0x1c8
	s_load_dwordx4 s[60:63], s[26:27], 0x1a0
	s_mov_b32 s91, 0
	v_cmp_eq_u32_e64 s[24:25], 0, v0
	s_waitcnt lgkmcnt(0)
	v_writelane_b32 v55, s22, 30
	v_writelane_b32 v55, s23, 31
	s_mov_b64 s[22:23], exec
	v_writelane_b32 v55, s24, 32
	v_writelane_b32 v55, s25, 33
	s_and_b64 s[24:25], s[22:23], s[24:25]
	s_mov_b64 exec, s[24:25]
	s_cbranch_execz .LBB186_15
; %bb.14:
	v_mov_b32_e32 v2, 0
	v_mov_b32_e32 v4, s60
	;; [unrolled: 1-line block ×4, first 2 shown]
	ds_write_b32 v2, v2 offset:5144
	ds_write_b128 v2, v[2:5] offset:5120
.LBB186_15:
	s_or_b64 exec, exec, s[22:23]
	s_mul_i32 s1, s8, s1
	s_mul_hi_u32 s7, s8, s0
	s_add_i32 s7, s7, s1
	s_mul_i32 s0, s8, s0
	s_sub_u32 s0, s4, s0
	s_subb_u32 s1, s5, s7
	s_mul_i32 s5, s0, s15
	s_mul_hi_u32 s7, s0, s14
	s_add_i32 s5, s7, s5
	s_mul_i32 s1, s1, s14
	s_add_i32 s1, s5, s1
	s_mul_i32 s5, s8, s13
	s_mul_hi_u32 s7, s8, s12
	s_add_i32 s9, s7, s5
	s_mul_i32 s3, s4, s3
	s_mul_hi_u32 s5, s4, s2
	s_add_i32 s5, s5, s3
	s_mul_i32 s2, s4, s2
	s_mov_b32 s4, s28
	v_writelane_b32 v55, s4, 34
	s_sub_u32 s2, s28, s2
	v_writelane_b32 v55, s5, 35
	s_subb_u32 s3, 0, s5
	s_mul_i32 s4, s2, s19
	s_mul_hi_u32 s5, s2, s18
	s_mul_i32 s8, s8, s12
	s_add_i32 s4, s5, s4
	s_mul_i32 s3, s3, s18
	s_add_i32 s3, s4, s3
	s_lshl_b64 s[4:5], s[8:9], 3
	s_mul_i32 s0, s0, s14
	s_add_u32 s4, s20, s4
	s_addc_u32 s5, s21, s5
	s_lshl_b64 s[0:1], s[0:1], 3
	v_writelane_b32 v55, s26, 36
	s_load_dword s7, s[26:27], 0x1b0
	s_mul_i32 s2, s2, s18
	s_add_u32 s4, s4, s0
	s_addc_u32 s5, s5, s1
	s_lshl_b64 s[0:1], s[2:3], 3
	s_add_u32 s33, s4, s0
	s_addc_u32 s88, s5, s1
	s_waitcnt lgkmcnt(0)
	s_bitcmp1_b32 s7, 0
	v_writelane_b32 v55, s27, 37
	s_cselect_b64 s[0:1], -1, 0
	v_writelane_b32 v55, s0, 38
	v_mbcnt_lo_u32_b32 v1, -1, 0
	v_writelane_b32 v55, s1, 39
	s_xor_b64 s[0:1], s[0:1], -1
	v_mbcnt_hi_u32_b32 v37, -1, v1
	v_writelane_b32 v55, s0, 40
	v_cmp_gt_u32_e32 vcc, 64, v0
	v_cmp_gt_i32_e64 s[2:3], 4, v37
	v_writelane_b32 v55, s1, 41
	s_and_b64 s[2:3], vcc, s[2:3]
	v_mov_b32_e32 v2, 0x180
	v_writelane_b32 v55, s2, 42
	v_mov_b32_e32 v3, 0
	v_mov_b32_e32 v21, 0
	v_writelane_b32 v55, s3, 43
	v_cmp_gt_u64_e64 s[2:3], s[60:61], v[2:3]
	v_writelane_b32 v55, s2, 44
	v_mov_b32_e32 v1, v21
	v_writelane_b32 v55, s3, 45
	v_cmp_gt_u64_e64 s[2:3], s[60:61], v[0:1]
	v_writelane_b32 v55, s2, 46
	v_writelane_b32 v55, s3, 47
	v_mad_u64_u32 v[2:3], s[2:3], v0, s58, 0
	v_mov_b32_e32 v4, v3
	v_mad_u64_u32 v[4:5], s[2:3], v0, s59, v[4:5]
	v_cmp_gt_u32_e64 s[2:3], 2, v0
	v_writelane_b32 v55, s2, 48
	s_barrier
	v_writelane_b32 v55, s3, 49
	s_load_dword s2, s[10:11], 0xc
	v_mov_b32_e32 v3, v4
	v_lshlrev_b64 v[2:3], 3, v[2:3]
	v_add_co_u32_e32 v18, vcc, s33, v2
	s_waitcnt lgkmcnt(0)
	s_and_b32 s89, s2, 0xffff
	s_bfe_u32 s3, s2, 0xa0006
	v_cmp_gt_u16_e64 s[4:5], s2, 63
	v_writelane_b32 v55, s4, 50
	s_add_u32 s2, s89, -1
	v_writelane_b32 v55, s5, 51
	s_addc_u32 s4, 0, -1
	v_writelane_b32 v55, s2, 52
	s_add_u32 s2, s2, s60
	s_addc_u32 s73, s4, s61
	s_cmp_lt_u32 s6, s16
	v_writelane_b32 v55, s2, 53
	s_cselect_b32 s2, 12, 18
	v_writelane_b32 v55, s4, 54
	s_add_u32 s4, s10, s2
	s_addc_u32 s5, s11, 0
	v_writelane_b32 v55, s4, 55
	v_writelane_b32 v55, s5, 56
	s_add_i32 s2, s3, -1
	s_bfe_u32 s5, s89, 0x30006
	s_cmp_gt_u32 s2, 6
	s_cselect_b64 s[6:7], -1, 0
	v_lshrrev_b32_e32 v2, 4, v0
	v_writelane_b32 v55, s6, 57
	s_and_b32 s4, s3, 0x3f8
	v_mov_b32_e32 v4, s88
	v_and_b32_e32 v38, 60, v2
	v_lshlrev_b32_e32 v2, 2, v37
	v_writelane_b32 v55, s7, 58
	s_cmp_lg_u32 s5, 0
	v_addc_co_u32_e32 v19, vcc, v4, v3, vcc
	v_and_b32_e32 v36, 0x100, v2
	v_lshlrev_b64 v[2:3], v37, -1
	v_writelane_b32 v55, s5, 59
	s_cselect_b64 s[2:3], -1, 0
	v_lshlrev_b32_e32 v39, 3, v0
	v_not_b32_e32 v16, v2
	v_writelane_b32 v55, s2, 60
	v_mov_b32_e32 v2, 0xc00
	v_pk_mov_b32 v[24:25], 0, 0
	v_cmp_eq_u32_e64 s[0:1], 0, v37
	v_lshlrev_b32_e32 v22, 2, v0
	v_mov_b32_e32 v23, v21
	v_add_u32_e32 v40, 0xc00, v39
	v_not_b32_e32 v17, v3
	s_mov_b32 s74, s91
	v_writelane_b32 v55, s3, 61
	v_lshlrev_b32_e32 v41, 5, v0
	v_lshl_or_b32 v42, v37, 3, v2
	s_lshl_b32 s5, s89, 3
	s_mov_b32 s75, 62
	s_mov_b64 s[82:83], 0
	v_pk_mov_b32 v[6:7], 0, 0
	v_pk_mov_b32 v[28:29], s[62:63], s[62:63] op_sel:[0,1]
	v_mov_b32_e32 v3, 0x3ff00000
	v_mov_b32_e32 v43, 0x4f800000
	v_pk_mov_b32 v[26:27], v[24:25], v[24:25] op_sel:[0,1]
	s_mov_b32 s2, 0
                                        ; implicit-def: $sgpr84_sgpr85
                                        ; implicit-def: $sgpr30_sgpr31
                                        ; implicit-def: $sgpr66_sgpr67
                                        ; implicit-def: $sgpr68_sgpr69
                                        ; implicit-def: $sgpr64_sgpr65
                                        ; implicit-def: $sgpr70_sgpr71
                                        ; implicit-def: $sgpr80_sgpr81
                                        ; implicit-def: $sgpr86_sgpr87
	v_writelane_b32 v55, s2, 62
                                        ; implicit-def: $sgpr76_sgpr77
                                        ; implicit-def: $sgpr78_sgpr79
	s_branch .LBB186_18
.LBB186_16:                             ;   in Loop: Header=BB186_18 Depth=1
	s_or_b64 exec, exec, s[10:11]
	s_andn2_b64 s[10:11], s[78:79], exec
	s_and_b64 s[8:9], s[8:9], exec
	s_or_b64 s[78:79], s[10:11], s[8:9]
	s_andn2_b64 s[76:77], s[76:77], exec
	s_andn2_b64 s[86:87], s[86:87], exec
	;; [unrolled: 1-line block ×4, first 2 shown]
	s_orn2_b64 s[6:7], s[6:7], exec
	v_pk_mov_b32 v[26:27], v[14:15], v[14:15] op_sel:[0,1]
	v_pk_mov_b32 v[24:25], v[12:13], v[12:13] op_sel:[0,1]
	s_waitcnt vmcnt(0)
	v_pk_mov_b32 v[28:29], v[30:31], v[30:31] op_sel:[0,1]
	v_pk_mov_b32 v[6:7], v[10:11], v[10:11] op_sel:[0,1]
.LBB186_17:                             ;   in Loop: Header=BB186_18 Depth=1
	s_or_b64 exec, exec, s[2:3]
	s_and_b64 s[2:3], exec, s[6:7]
	s_or_b64 s[82:83], s[2:3], s[82:83]
	s_andn2_b64 s[2:3], s[64:65], exec
	s_and_b64 s[6:7], s[78:79], exec
	s_or_b64 s[64:65], s[2:3], s[6:7]
	s_andn2_b64 s[2:3], s[68:69], exec
	s_and_b64 s[6:7], s[76:77], exec
	s_or_b64 s[68:69], s[2:3], s[6:7]
	s_andn2_b64 s[2:3], s[66:67], exec
	s_and_b64 s[6:7], s[86:87], exec
	s_or_b64 s[66:67], s[2:3], s[6:7]
	s_andn2_b64 s[2:3], s[30:31], exec
	s_and_b64 s[6:7], s[80:81], exec
	s_or_b64 s[30:31], s[2:3], s[6:7]
	s_andn2_b64 s[2:3], s[84:85], exec
	s_and_b64 s[6:7], s[70:71], exec
	s_or_b64 s[84:85], s[2:3], s[6:7]
	s_andn2_b64 exec, exec, s[82:83]
	s_cbranch_execz .LBB186_492
.LBB186_18:                             ; =>This Loop Header: Depth=1
                                        ;     Child Loop BB186_26 Depth 2
                                        ;     Child Loop BB186_41 Depth 2
	;; [unrolled: 1-line block ×24, first 2 shown]
	ds_read_b128 v[8:11], v21 offset:5120
	s_waitcnt lgkmcnt(0)
	v_readfirstlane_b32 s9, v9
	v_readfirstlane_b32 s8, v8
	s_cmp_lg_u64 s[8:9], 0
	s_cbranch_scc1 .LBB186_48
; %bb.19:                               ;   in Loop: Header=BB186_18 Depth=1
	v_readlane_b32 s2, v55, 44
	v_readlane_b32 s3, v55, 45
	s_and_b64 vcc, exec, s[2:3]
	s_cbranch_vccz .LBB186_34
; %bb.20:                               ;   in Loop: Header=BB186_18 Depth=1
	s_mov_b64 s[2:3], 0x181
	v_cmp_gt_u64_e32 vcc, s[2:3], v[10:11]
	s_mov_b64 s[8:9], 0
	s_mov_b64 s[2:3], 0
	s_cbranch_vccz .LBB186_35
; %bb.21:                               ;   in Loop: Header=BB186_18 Depth=1
	s_waitcnt vmcnt(0)
	v_pk_mov_b32 v[4:5], 0, 0
	s_mov_b64 s[2:3], exec
	v_readlane_b32 s6, v55, 46
	v_readlane_b32 s7, v55, 47
	s_and_b64 s[6:7], s[2:3], s[6:7]
	s_mov_b64 exec, s[6:7]
	s_cbranch_execz .LBB186_23
; %bb.22:                               ;   in Loop: Header=BB186_18 Depth=1
	global_load_dwordx2 v[4:5], v[18:19], off
.LBB186_23:                             ;   in Loop: Header=BB186_18 Depth=1
	s_or_b64 exec, exec, s[2:3]
	s_mov_b64 s[2:3], exec
	v_readlane_b32 s6, v55, 46
	v_readlane_b32 s7, v55, 47
	s_and_b64 s[6:7], s[2:3], s[6:7]
	s_mov_b64 exec, s[6:7]
	s_cbranch_execz .LBB186_107
; %bb.24:                               ;   in Loop: Header=BB186_18 Depth=1
	v_readlane_b32 s6, v55, 55
	v_readlane_b32 s7, v55, 56
	s_mov_b64 s[10:11], 0
	v_pk_mov_b32 v[8:9], v[0:1], v[0:1] op_sel:[0,1]
	s_nop 2
	global_load_ushort v2, v21, s[6:7]
	s_branch .LBB186_26
.LBB186_25:                             ;   in Loop: Header=BB186_26 Depth=2
	s_or_b64 exec, exec, s[6:7]
	s_waitcnt vmcnt(0)
	v_pk_mov_b32 v[4:5], v[10:11], v[10:11] op_sel:[0,1]
	s_andn2_b64 exec, exec, s[10:11]
	s_cbranch_execz .LBB186_107
.LBB186_26:                             ;   Parent Loop BB186_18 Depth=1
                                        ; =>  This Inner Loop Header: Depth=2
	s_waitcnt vmcnt(0)
	v_add_co_u32_sdwa v8, vcc, v8, v2 dst_sel:DWORD dst_unused:UNUSED_PAD src0_sel:DWORD src1_sel:WORD_0
	v_addc_co_u32_e32 v9, vcc, 0, v9, vcc
	v_cmp_gt_u64_e64 s[6:7], s[60:61], v[8:9]
	v_cmp_le_u64_e32 vcc, s[60:61], v[8:9]
	v_pk_mov_b32 v[10:11], 0, 0
	s_and_saveexec_b64 s[12:13], s[6:7]
	s_cbranch_execz .LBB186_28
; %bb.27:                               ;   in Loop: Header=BB186_26 Depth=2
	s_waitcnt lgkmcnt(0)
	v_mul_lo_u32 v12, v9, s58
	v_mul_lo_u32 v13, v8, s59
	v_mad_u64_u32 v[10:11], s[6:7], v8, s58, 0
	v_add3_u32 v11, v11, v13, v12
	v_lshlrev_b64 v[10:11], 3, v[10:11]
	v_mov_b32_e32 v12, s88
	v_add_co_u32_e64 v10, s[6:7], s33, v10
	v_addc_co_u32_e64 v11, s[6:7], v12, v11, s[6:7]
	global_load_dwordx2 v[10:11], v[10:11], off
.LBB186_28:                             ;   in Loop: Header=BB186_26 Depth=2
	s_or_b64 exec, exec, s[12:13]
	s_waitcnt lgkmcnt(0)
	v_ashrrev_i32_e32 v12, 31, v5
	v_or_b32_e32 v13, 0x80000000, v12
	v_xor_b32_e32 v13, v13, v5
	v_xor_b32_e32 v12, v12, v4
	v_cmp_o_f64_e64 s[6:7], v[4:5], v[4:5]
	v_cndmask_b32_e64 v13, -1, v13, s[6:7]
	v_cndmask_b32_e64 v12, -1, v12, s[6:7]
	v_and_b32_e32 v13, v13, v27
	v_and_b32_e32 v12, v12, v26
	v_cmp_eq_u64_e64 s[14:15], v[12:13], v[24:25]
	s_cmp_lg_u64 s[14:15], 0
	s_cselect_b64 s[6:7], -1, 0
	s_and_b64 s[6:7], s[0:1], s[6:7]
	v_mov_b32_e32 v12, 0
	s_and_saveexec_b64 s[12:13], s[6:7]
	s_cbranch_execz .LBB186_32
; %bb.29:                               ;   in Loop: Header=BB186_26 Depth=2
	s_mov_b64 s[18:19], exec
	v_mbcnt_lo_u32_b32 v12, s18, 0
	v_mbcnt_hi_u32_b32 v12, s19, v12
	s_bcnt1_i32_b64 s20, s[14:15]
	v_cmp_eq_u32_e64 s[6:7], 0, v12
                                        ; implicit-def: $vgpr13
	s_and_saveexec_b64 s[16:17], s[6:7]
	s_cbranch_execz .LBB186_31
; %bb.30:                               ;   in Loop: Header=BB186_26 Depth=2
	s_bcnt1_i32_b64 s6, s[18:19]
	s_mul_i32 s6, s20, s6
	v_mov_b32_e32 v13, s6
	ds_add_rtn_u32 v13, v21, v13 offset:5144
.LBB186_31:                             ;   in Loop: Header=BB186_26 Depth=2
	s_or_b64 exec, exec, s[16:17]
	s_waitcnt lgkmcnt(0)
	v_readfirstlane_b32 s6, v13
	v_mov_b32_e32 v13, s6
	v_mad_u32_u24 v12, s20, v12, v13
.LBB186_32:                             ;   in Loop: Header=BB186_26 Depth=2
	s_or_b64 exec, exec, s[12:13]
	ds_bpermute_b32 v12, v36, v12
	s_and_b64 s[6:7], exec, vcc
	s_or_b64 s[10:11], s[6:7], s[10:11]
	s_and_saveexec_b64 s[6:7], s[14:15]
	s_cbranch_execz .LBB186_25
; %bb.33:                               ;   in Loop: Header=BB186_26 Depth=2
	v_and_b32_e32 v14, s14, v16
	v_and_b32_e32 v13, s15, v17
	v_bcnt_u32_b32 v14, v14, 0
	v_bcnt_u32_b32 v13, v13, v14
	v_lshlrev_b32_e32 v13, 3, v13
	s_waitcnt lgkmcnt(0)
	v_lshl_add_u32 v12, v12, 3, v13
	ds_write_b64 v12, v[4:5]
	s_branch .LBB186_25
.LBB186_34:                             ;   in Loop: Header=BB186_18 Depth=1
	s_mov_b64 s[8:9], -1
	s_mov_b64 s[2:3], 0
.LBB186_35:                             ;   in Loop: Header=BB186_18 Depth=1
	s_and_b64 vcc, exec, s[8:9]
	s_cbranch_vccz .LBB186_46
.LBB186_36:                             ;   in Loop: Header=BB186_18 Depth=1
	s_waitcnt vmcnt(0)
	v_pk_mov_b32 v[4:5], 0, 0
	s_mov_b64 s[2:3], exec
	v_readlane_b32 s6, v55, 46
	v_readlane_b32 s7, v55, 47
	s_and_b64 s[6:7], s[2:3], s[6:7]
	s_mov_b64 exec, s[6:7]
	s_cbranch_execz .LBB186_38
; %bb.37:                               ;   in Loop: Header=BB186_18 Depth=1
	global_load_dwordx2 v[4:5], v[18:19], off
.LBB186_38:                             ;   in Loop: Header=BB186_18 Depth=1
	s_or_b64 exec, exec, s[2:3]
	s_mov_b64 s[2:3], exec
	v_readlane_b32 s6, v55, 46
	v_readlane_b32 s7, v55, 47
	s_and_b64 s[6:7], s[2:3], s[6:7]
	s_mov_b64 exec, s[6:7]
	s_cbranch_execz .LBB186_43
; %bb.39:                               ;   in Loop: Header=BB186_18 Depth=1
	v_readlane_b32 s6, v55, 55
	v_readlane_b32 s7, v55, 56
	s_mov_b64 s[8:9], 0
	v_mov_b32_e32 v2, v39
	s_nop 2
	global_load_ushort v8, v21, s[6:7]
	s_waitcnt vmcnt(0)
	v_and_b32_e32 v12, 0xffff, v8
	v_lshlrev_b32_e32 v13, 3, v12
	v_pk_mov_b32 v[8:9], v[0:1], v[0:1] op_sel:[0,1]
	s_branch .LBB186_41
.LBB186_40:                             ;   in Loop: Header=BB186_41 Depth=2
	s_or_b64 exec, exec, s[10:11]
	s_and_b64 s[6:7], exec, vcc
	s_or_b64 s[8:9], s[6:7], s[8:9]
	ds_write_b64 v2, v[4:5]
	v_add_u32_e32 v2, v2, v13
	s_waitcnt vmcnt(0)
	v_pk_mov_b32 v[4:5], v[10:11], v[10:11] op_sel:[0,1]
	s_andn2_b64 exec, exec, s[8:9]
	s_cbranch_execz .LBB186_43
.LBB186_41:                             ;   Parent Loop BB186_18 Depth=1
                                        ; =>  This Inner Loop Header: Depth=2
	v_add_co_u32_e32 v8, vcc, v8, v12
	v_addc_co_u32_e32 v9, vcc, 0, v9, vcc
	v_cmp_gt_u64_e64 s[6:7], s[60:61], v[8:9]
	v_cmp_le_u64_e32 vcc, s[60:61], v[8:9]
	v_pk_mov_b32 v[10:11], 0, 0
	s_and_saveexec_b64 s[10:11], s[6:7]
	s_cbranch_execz .LBB186_40
; %bb.42:                               ;   in Loop: Header=BB186_41 Depth=2
	v_mul_lo_u32 v14, v9, s58
	v_mul_lo_u32 v15, v8, s59
	v_mad_u64_u32 v[10:11], s[6:7], v8, s58, 0
	v_add3_u32 v11, v11, v15, v14
	v_lshlrev_b64 v[10:11], 3, v[10:11]
	v_mov_b32_e32 v14, s88
	v_add_co_u32_e64 v10, s[6:7], s33, v10
	v_addc_co_u32_e64 v11, s[6:7], v14, v11, s[6:7]
	global_load_dwordx2 v[10:11], v[10:11], off
	s_branch .LBB186_40
.LBB186_43:                             ;   in Loop: Header=BB186_18 Depth=1
	s_or_b64 exec, exec, s[2:3]
	s_waitcnt lgkmcnt(0)
	s_barrier
	s_mov_b64 s[2:3], exec
	v_readlane_b32 s6, v55, 32
	v_readlane_b32 s7, v55, 33
	s_and_b64 s[6:7], s[2:3], s[6:7]
	s_mov_b64 exec, s[6:7]
	s_cbranch_execz .LBB186_45
; %bb.44:                               ;   in Loop: Header=BB186_18 Depth=1
	s_waitcnt vmcnt(0)
	v_pk_mov_b32 v[4:5], s[60:61], s[60:61] op_sel:[0,1]
	ds_write_b64 v21, v[4:5] offset:5120
.LBB186_45:                             ;   in Loop: Header=BB186_18 Depth=1
	s_or_b64 exec, exec, s[2:3]
	s_mov_b64 s[2:3], -1
	s_waitcnt lgkmcnt(0)
	s_barrier
                                        ; implicit-def: $sgpr8_sgpr9
.LBB186_46:                             ;   in Loop: Header=BB186_18 Depth=1
	s_and_b64 vcc, exec, s[2:3]
	s_cbranch_vccz .LBB186_48
; %bb.47:                               ;   in Loop: Header=BB186_18 Depth=1
	s_waitcnt vmcnt(0)
	ds_read_b64 v[4:5], v21 offset:5120
	s_waitcnt lgkmcnt(0)
	v_readfirstlane_b32 s8, v4
.LBB186_48:                             ;   in Loop: Header=BB186_18 Depth=1
	s_cmp_lt_i32 s8, 1
	s_cbranch_scc0 .LBB186_63
; %bb.49:                               ;   in Loop: Header=BB186_18 Depth=1
	v_readlane_b32 s2, v55, 55
	v_readlane_b32 s3, v55, 56
	s_nop 4
	global_load_ushort v2, v21, s[2:3]
	s_mov_b32 s2, s91
	s_waitcnt vmcnt(0)
	v_readfirstlane_b32 s3, v2
	s_and_b32 s3, 0xffff, s3
	s_lshl_b32 s9, s3, 2
	s_mov_b32 s3, s61
	s_cmp_lg_u64 s[2:3], 0
	s_cbranch_scc0 .LBB186_83
; %bb.50:                               ;   in Loop: Header=BB186_18 Depth=1
	v_cvt_f32_u32_e32 v4, s9
	s_sub_u32 s2, 0, s9
	s_subb_u32 s3, 0, 0
	v_mac_f32_e32 v4, 0, v43
	v_rcp_f32_e32 v4, v4
	v_mul_f32_e32 v4, 0x5f7ffffc, v4
	v_mul_f32_e32 v5, 0x2f800000, v4
	v_trunc_f32_e32 v5, v5
	v_mac_f32_e32 v4, 0xcf800000, v5
	v_cvt_u32_f32_e32 v5, v5
	v_cvt_u32_f32_e32 v4, v4
	v_readfirstlane_b32 s6, v5
	v_readfirstlane_b32 s7, v4
	s_mul_i32 s10, s2, s6
	s_mul_hi_u32 s12, s2, s7
	s_mul_i32 s11, s3, s7
	s_add_i32 s10, s12, s10
	s_mul_i32 s13, s2, s7
	s_add_i32 s10, s10, s11
	s_mul_hi_u32 s12, s7, s13
	s_mul_hi_u32 s11, s7, s10
	s_mul_i32 s7, s7, s10
	s_add_u32 s7, s12, s7
	s_addc_u32 s11, 0, s11
	s_mul_hi_u32 s14, s6, s13
	s_mul_i32 s13, s6, s13
	s_add_u32 s7, s7, s13
	s_mul_hi_u32 s12, s6, s10
	s_addc_u32 s7, s11, s14
	s_addc_u32 s11, s12, 0
	s_mul_i32 s10, s6, s10
	s_add_u32 s7, s7, s10
	s_addc_u32 s10, 0, s11
	v_add_co_u32_e32 v4, vcc, s7, v4
	s_cmp_lg_u64 vcc, 0
	s_addc_u32 s6, s6, s10
	v_readfirstlane_b32 s10, v4
	s_mul_i32 s7, s2, s6
	s_mul_hi_u32 s11, s2, s10
	s_add_i32 s7, s11, s7
	s_mul_i32 s3, s3, s10
	s_add_i32 s7, s7, s3
	s_mul_i32 s2, s2, s10
	s_mul_hi_u32 s11, s6, s2
	s_mul_i32 s12, s6, s2
	s_mul_i32 s14, s10, s7
	s_mul_hi_u32 s2, s10, s2
	s_mul_hi_u32 s13, s10, s7
	s_add_u32 s2, s2, s14
	s_addc_u32 s10, 0, s13
	s_add_u32 s2, s2, s12
	s_mul_hi_u32 s3, s6, s7
	s_addc_u32 s2, s10, s11
	s_addc_u32 s3, s3, 0
	s_mul_i32 s7, s6, s7
	s_add_u32 s2, s2, s7
	s_addc_u32 s3, 0, s3
	v_add_co_u32_e32 v4, vcc, s2, v4
	s_cmp_lg_u64 vcc, 0
	s_addc_u32 s2, s6, s3
	v_readfirstlane_b32 s7, v4
	s_mul_i32 s6, s60, s2
	s_mul_hi_u32 s10, s60, s7
	s_mul_hi_u32 s3, s60, s2
	s_add_u32 s6, s10, s6
	s_addc_u32 s3, 0, s3
	s_mul_hi_u32 s11, s61, s7
	s_mul_i32 s7, s61, s7
	s_add_u32 s6, s6, s7
	s_mul_hi_u32 s10, s61, s2
	s_addc_u32 s3, s3, s11
	s_addc_u32 s6, s10, 0
	s_mul_i32 s2, s61, s2
	s_add_u32 s2, s3, s2
	s_addc_u32 s3, 0, s6
	s_mul_hi_u32 s6, s9, s2
	s_mul_i32 s2, s9, s2
	s_mul_i32 s3, s9, s3
	v_mov_b32_e32 v4, s2
	s_add_i32 s6, s6, s3
	v_sub_co_u32_e32 v4, vcc, s60, v4
	s_cmp_lg_u64 vcc, 0
	s_subb_u32 s2, s61, s6
	v_subrev_co_u32_e32 v5, vcc, s9, v4
	s_cmp_lg_u64 vcc, 0
	s_subb_u32 s3, s2, 0
	v_subrev_co_u32_e32 v8, vcc, s9, v5
	s_cmp_lg_u64 vcc, 0
	s_subb_u32 s6, s3, 0
	v_cmp_le_u32_e32 vcc, s9, v5
	s_cmp_eq_u32 s3, 0
	v_cndmask_b32_e64 v9, 0, -1, vcc
	s_cselect_b64 vcc, -1, 0
	v_cndmask_b32_e32 v9, -1, v9, vcc
	v_mov_b32_e32 v10, s3
	v_mov_b32_e32 v11, s6
	v_cmp_ne_u32_e32 vcc, 0, v9
	v_cndmask_b32_e32 v9, v10, v11, vcc
	v_cndmask_b32_e32 v8, v5, v8, vcc
	v_cmp_le_u32_e32 vcc, s9, v4
	s_cmp_eq_u32 s2, 0
	v_cndmask_b32_e64 v5, 0, -1, vcc
	s_cselect_b64 vcc, -1, 0
	v_cndmask_b32_e32 v5, -1, v5, vcc
	v_mov_b32_e32 v10, s2
	v_cmp_ne_u32_e32 vcc, 0, v5
	v_cndmask_b32_e32 v5, v10, v9, vcc
	v_cndmask_b32_e32 v4, v4, v8, vcc
	s_cbranch_execnz .LBB186_52
.LBB186_51:                             ;   in Loop: Header=BB186_18 Depth=1
	v_cvt_f32_u32_e32 v4, s9
	s_sub_i32 s2, 0, s9
	v_rcp_iflag_f32_e32 v4, v4
	v_mul_f32_e32 v4, 0x4f7ffffe, v4
	v_cvt_u32_f32_e32 v4, v4
	v_mul_lo_u32 v5, s2, v4
	v_mul_hi_u32 v5, v4, v5
	v_add_u32_e32 v4, v4, v5
	v_mul_hi_u32 v4, s60, v4
	v_mul_lo_u32 v4, v4, s9
	v_sub_u32_e32 v4, s60, v4
	v_subrev_u32_e32 v5, s9, v4
	v_cmp_le_u32_e32 vcc, s9, v4
	v_cndmask_b32_e32 v4, v4, v5, vcc
	v_subrev_u32_e32 v5, s9, v4
	v_cmp_le_u32_e32 vcc, s9, v4
	v_cndmask_b32_e32 v20, v4, v5, vcc
	v_pk_mov_b32 v[4:5], v[20:21], v[20:21] op_sel:[0,1]
.LBB186_52:                             ;   in Loop: Header=BB186_18 Depth=1
	v_mov_b32_e32 v8, s61
	v_sub_co_u32_e32 v4, vcc, s60, v4
	v_subb_co_u32_e32 v5, vcc, v8, v5, vcc
	v_pk_mov_b32 v[8:9], 0, 0
	v_cmp_gt_u64_e32 vcc, v[4:5], v[22:23]
	s_mov_b64 s[54:55], 0
	v_pk_mov_b32 v[10:11], v[8:9], v[8:9] op_sel:[0,1]
	v_pk_mov_b32 v[12:13], v[8:9], v[8:9] op_sel:[0,1]
	;; [unrolled: 1-line block ×3, first 2 shown]
	s_and_saveexec_b64 s[10:11], vcc
	s_cbranch_execz .LBB186_56
; %bb.53:                               ;   in Loop: Header=BB186_18 Depth=1
	s_and_b32 s72, s75, 0xfe
	s_mov_b64 s[56:57], 0
	s_mov_b64 s[94:95], 0
	;; [unrolled: 1-line block ×4, first 2 shown]
	v_pk_mov_b32 v[30:31], v[22:23], v[22:23] op_sel:[0,1]
.LBB186_54:                             ;   Parent Loop BB186_18 Depth=1
                                        ; =>  This Inner Loop Header: Depth=2
	v_mul_lo_u32 v8, v31, s58
	v_mul_lo_u32 v10, v30, s59
	v_mad_u64_u32 v[14:15], s[6:7], v30, s58, 0
	v_add3_u32 v15, v15, v10, v8
	v_lshlrev_b64 v[14:15], 3, v[14:15]
	v_mov_b32_e32 v12, s88
	v_add_co_u32_e64 v14, s[6:7], s33, v14
	s_lshl_b64 s[14:15], s[58:59], 3
	v_addc_co_u32_e64 v15, s[6:7], v12, v15, s[6:7]
	v_mov_b32_e32 v8, s15
	global_load_dwordx2 v[32:33], v[14:15], off
	v_add_co_u32_e64 v14, s[6:7], s14, v14
	v_addc_co_u32_e64 v15, s[6:7], v15, v8, s[6:7]
	global_load_dwordx2 v[34:35], v[14:15], off
	v_add_co_u32_e64 v14, s[6:7], s14, v14
	v_addc_co_u32_e64 v15, s[6:7], v15, v8, s[6:7]
	;; [unrolled: 3-line block ×3, first 2 shown]
	global_load_dwordx2 v[14:15], v[14:15], off
	v_mov_b32_e32 v13, v21
	v_mov_b32_e32 v11, v21
	;; [unrolled: 1-line block ×3, first 2 shown]
	v_add_co_u32_e32 v30, vcc, s9, v30
	v_addc_co_u32_e32 v31, vcc, 0, v31, vcc
	v_cmp_ge_u64_e32 vcc, v[30:31], v[4:5]
	s_waitcnt vmcnt(3)
	v_ashrrev_i32_e32 v8, 31, v33
	v_or_b32_e32 v10, 0x80000000, v8
	v_xor_b32_e32 v8, v8, v32
	v_cmp_o_f64_e64 s[6:7], v[32:33], v[32:33]
	v_xor_b32_e32 v10, v10, v33
	s_waitcnt vmcnt(2)
	v_ashrrev_i32_e32 v12, 31, v35
	v_or_b32_e32 v20, 0x80000000, v12
	v_xor_b32_e32 v12, v12, v34
	v_cndmask_b32_e64 v32, -1, v8, s[6:7]
	v_cmp_o_f64_e64 s[14:15], v[34:35], v[34:35]
	s_waitcnt vmcnt(1)
	v_ashrrev_i32_e32 v46, 31, v45
	v_cndmask_b32_e64 v33, -1, v10, s[6:7]
	v_xor_b32_e32 v8, v20, v35
	v_or_b32_e32 v10, 0x80000000, v46
	v_xor_b32_e32 v20, v46, v44
	s_waitcnt vmcnt(0)
	v_ashrrev_i32_e32 v47, 31, v15
	v_cndmask_b32_e64 v34, -1, v12, s[14:15]
	v_and_b32_e32 v46, v32, v26
	v_cmp_o_f64_e64 s[6:7], v[44:45], v[44:45]
	v_cndmask_b32_e64 v35, -1, v8, s[14:15]
	v_xor_b32_e32 v8, v10, v45
	v_or_b32_e32 v10, 0x80000000, v47
	v_xor_b32_e32 v12, v47, v14
	v_and_b32_e32 v47, v33, v27
	v_lshrrev_b64 v[32:33], s72, v[32:33]
	v_cndmask_b32_e64 v44, -1, v20, s[6:7]
	v_cmp_o_f64_e64 s[16:17], v[14:15], v[14:15]
	v_cndmask_b32_e64 v45, -1, v8, s[6:7]
	v_xor_b32_e32 v8, v10, v15
	v_and_b32_e32 v20, 3, v32
	v_lshrrev_b64 v[14:15], s72, v[34:35]
	v_and_b32_e32 v48, v34, v26
	v_cmp_eq_u64_e64 s[14:15], v[46:47], v[24:25]
	v_and_b32_e32 v49, v35, v27
	v_cndmask_b32_e64 v32, -1, v12, s[16:17]
	v_and_b32_e32 v12, 3, v14
	v_cmp_eq_u64_e64 s[6:7], 0, v[20:21]
	v_cndmask_b32_e64 v33, -1, v8, s[16:17]
	v_cmp_eq_u64_e64 s[16:17], v[48:49], v[24:25]
	v_lshrrev_b64 v[14:15], s72, v[44:45]
	v_cmp_eq_u64_e64 s[28:29], 0, v[12:13]
	s_and_b64 s[6:7], s[14:15], s[6:7]
	v_and_b32_e32 v34, v44, v26
	v_and_b32_e32 v35, v45, v27
	;; [unrolled: 1-line block ×3, first 2 shown]
	v_lshrrev_b64 v[14:15], s72, v[32:33]
	v_cmp_eq_u64_e64 s[38:39], 1, v[12:13]
	v_cmp_eq_u64_e64 s[40:41], 2, v[12:13]
	;; [unrolled: 1-line block ×3, first 2 shown]
	v_cndmask_b32_e64 v12, 0, 1, s[6:7]
	s_and_b64 s[28:29], s[16:17], s[28:29]
	v_and_b32_e32 v44, v32, v26
	v_cmp_eq_u64_e64 s[18:19], v[34:35], v[24:25]
	v_and_b32_e32 v45, v33, v27
	v_and_b32_e32 v8, 3, v14
	v_cmp_eq_u64_e64 s[6:7], 0, v[10:11]
	v_cmp_eq_u64_e64 s[42:43], 1, v[10:11]
	;; [unrolled: 1-line block ×4, first 2 shown]
	v_cmp_ne_u32_e64 s[46:47], 0, v12
	v_cndmask_b32_e64 v10, 0, 1, s[28:29]
	v_cmp_eq_u64_e64 s[22:23], v[44:45], v[24:25]
	v_cmp_eq_u64_e64 s[48:49], 0, v[8:9]
	s_bcnt1_i32_b64 s90, s[46:47]
	v_cmp_ne_u32_e64 s[46:47], 0, v10
	s_and_b64 s[6:7], s[18:19], s[6:7]
	v_cmp_eq_u64_e64 s[50:51], 1, v[8:9]
	v_cmp_eq_u64_e64 s[52:53], 2, v[8:9]
	;; [unrolled: 1-line block ×3, first 2 shown]
	v_cndmask_b32_e64 v8, 0, 1, s[6:7]
	s_bcnt1_i32_b64 s92, s[46:47]
	s_and_b64 s[46:47], s[22:23], s[48:49]
	v_cmp_ne_u32_e64 s[6:7], 0, v8
	v_cndmask_b32_e64 v8, 0, 1, s[46:47]
	s_bcnt1_i32_b64 s46, s[6:7]
	v_cmp_ne_u32_e64 s[6:7], 0, v8
	s_bcnt1_i32_b64 s6, s[6:7]
	s_add_u32 s7, s90, s12
	s_addc_u32 s12, 0, s13
	s_add_u32 s7, s7, s92
	s_addc_u32 s12, s12, 0
	s_add_u32 s7, s7, s46
	s_addc_u32 s13, s12, 0
	v_cmp_eq_u64_e64 s[34:35], 1, v[20:21]
	s_add_u32 s12, s7, s6
	s_addc_u32 s13, s13, 0
	s_and_b64 s[6:7], s[14:15], s[34:35]
	v_cndmask_b32_e64 v10, 0, 1, s[6:7]
	s_and_b64 s[6:7], s[16:17], s[38:39]
	v_cndmask_b32_e64 v11, 0, 1, s[6:7]
	s_and_b64 s[6:7], s[18:19], s[42:43]
	v_cndmask_b32_e64 v12, 0, 1, s[6:7]
	s_and_b64 s[6:7], s[22:23], s[50:51]
	v_cndmask_b32_e64 v13, 0, 1, s[6:7]
	v_cmp_ne_u32_e64 s[6:7], 0, v10
	v_cmp_ne_u32_e64 s[34:35], 0, v11
	v_cmp_ne_u32_e64 s[38:39], 0, v12
	v_cmp_ne_u32_e64 s[42:43], 0, v13
	s_bcnt1_i32_b64 s6, s[6:7]
	s_bcnt1_i32_b64 s7, s[34:35]
	s_bcnt1_i32_b64 s34, s[38:39]
	s_bcnt1_i32_b64 s35, s[42:43]
	s_add_u32 s2, s6, s2
	s_addc_u32 s3, 0, s3
	s_add_u32 s2, s2, s7
	s_addc_u32 s3, s3, 0
	s_add_u32 s2, s2, s34
	s_addc_u32 s3, s3, 0
	v_cmp_eq_u64_e64 s[36:37], 2, v[20:21]
	s_add_u32 s2, s2, s35
	s_addc_u32 s3, s3, 0
	s_and_b64 s[6:7], s[14:15], s[36:37]
	v_cndmask_b32_e64 v12, 0, 1, s[6:7]
	s_and_b64 s[6:7], s[16:17], s[40:41]
	v_cndmask_b32_e64 v13, 0, 1, s[6:7]
	s_and_b64 s[6:7], s[18:19], s[44:45]
	v_cndmask_b32_e64 v14, 0, 1, s[6:7]
	s_and_b64 s[6:7], s[22:23], s[52:53]
	v_cndmask_b32_e64 v15, 0, 1, s[6:7]
	v_cmp_ne_u32_e64 s[6:7], 0, v12
	v_cmp_ne_u32_e64 s[34:35], 0, v13
	v_cmp_ne_u32_e64 s[36:37], 0, v14
	v_cmp_ne_u32_e64 s[38:39], 0, v15
	s_bcnt1_i32_b64 s6, s[6:7]
	s_bcnt1_i32_b64 s7, s[34:35]
	s_bcnt1_i32_b64 s34, s[36:37]
	;; [unrolled: 25-line block ×3, first 2 shown]
	s_bcnt1_i32_b64 s15, s[18:19]
	s_add_u32 s6, s6, s56
	s_addc_u32 s16, 0, s57
	s_add_u32 s6, s6, s7
	s_addc_u32 s7, s16, 0
	;; [unrolled: 2-line block ×4, first 2 shown]
	v_pk_mov_b32 v[8:9], s[12:13], s[12:13] op_sel:[0,1]
	v_pk_mov_b32 v[10:11], s[2:3], s[2:3] op_sel:[0,1]
	v_pk_mov_b32 v[12:13], s[94:95], s[94:95] op_sel:[0,1]
	s_or_b64 s[54:55], vcc, s[54:55]
	v_pk_mov_b32 v[14:15], s[56:57], s[56:57] op_sel:[0,1]
	s_andn2_b64 exec, exec, s[54:55]
	s_cbranch_execnz .LBB186_54
; %bb.55:                               ;   in Loop: Header=BB186_18 Depth=1
	s_or_b64 exec, exec, s[54:55]
.LBB186_56:                             ;   in Loop: Header=BB186_18 Depth=1
	s_or_b64 exec, exec, s[10:11]
	v_add_co_u32_e32 v4, vcc, v4, v0
	v_addc_co_u32_e32 v5, vcc, 0, v5, vcc
	v_cmp_gt_u64_e32 vcc, s[60:61], v[4:5]
	v_pk_mov_b32 v[30:31], 0, 0
	s_and_saveexec_b64 s[2:3], vcc
	s_cbranch_execz .LBB186_58
; %bb.57:                               ;   in Loop: Header=BB186_18 Depth=1
	v_mul_lo_u32 v20, v5, s58
	v_mul_lo_u32 v32, v4, s59
	v_mad_u64_u32 v[30:31], s[6:7], v4, s58, 0
	v_add3_u32 v31, v31, v32, v20
	v_lshlrev_b64 v[30:31], 3, v[30:31]
	v_mov_b32_e32 v20, s88
	v_add_co_u32_e64 v30, s[6:7], s33, v30
	v_addc_co_u32_e64 v31, s[6:7], v20, v31, s[6:7]
	global_load_dwordx2 v[30:31], v[30:31], off
.LBB186_58:                             ;   in Loop: Header=BB186_18 Depth=1
	s_or_b64 exec, exec, s[2:3]
	s_and_saveexec_b64 s[2:3], vcc
	s_cbranch_execz .LBB186_65
; %bb.59:                               ;   in Loop: Header=BB186_18 Depth=1
	s_and_b32 s9, s75, 0xfe
	s_mov_b64 s[10:11], 0
	s_branch .LBB186_61
.LBB186_60:                             ;   in Loop: Header=BB186_61 Depth=2
	s_or_b64 exec, exec, s[12:13]
	s_waitcnt vmcnt(0)
	v_ashrrev_i32_e32 v20, 31, v31
	v_or_b32_e32 v34, 0x80000000, v20
	s_and_b64 s[6:7], exec, vcc
	v_xor_b32_e32 v34, v34, v31
	v_xor_b32_e32 v20, v20, v30
	v_cmp_o_f64_e32 vcc, v[30:31], v[30:31]
	v_cndmask_b32_e32 v31, -1, v34, vcc
	v_cndmask_b32_e32 v30, -1, v20, vcc
	v_and_b32_e32 v35, v31, v27
	v_and_b32_e32 v34, v30, v26
	v_lshrrev_b64 v[30:31], s9, v[30:31]
	v_and_b32_e32 v20, 3, v30
	s_or_b64 s[10:11], s[6:7], s[10:11]
	v_cmp_eq_u64_e32 vcc, v[34:35], v[24:25]
	v_cmp_eq_u64_e64 s[6:7], 0, v[20:21]
	s_and_b64 s[6:7], vcc, s[6:7]
	v_cndmask_b32_e64 v30, 0, 1, s[6:7]
	v_cmp_ne_u32_e64 s[6:7], 0, v30
	s_bcnt1_i32_b64 s6, s[6:7]
	v_add_co_u32_e64 v8, s[6:7], s6, v8
	v_addc_co_u32_e64 v9, s[6:7], 0, v9, s[6:7]
	v_cmp_eq_u64_e64 s[6:7], 1, v[20:21]
	s_and_b64 s[6:7], vcc, s[6:7]
	v_cndmask_b32_e64 v30, 0, 1, s[6:7]
	v_cmp_ne_u32_e64 s[6:7], 0, v30
	s_bcnt1_i32_b64 s6, s[6:7]
	v_add_co_u32_e64 v10, s[6:7], s6, v10
	v_addc_co_u32_e64 v11, s[6:7], 0, v11, s[6:7]
	;; [unrolled: 7-line block ×3, first 2 shown]
	v_cmp_eq_u64_e64 s[6:7], 3, v[20:21]
	s_and_b64 s[6:7], vcc, s[6:7]
	v_cndmask_b32_e64 v20, 0, 1, s[6:7]
	v_cmp_ne_u32_e32 vcc, 0, v20
	s_bcnt1_i32_b64 s6, vcc
	v_add_co_u32_e32 v14, vcc, s6, v14
	v_addc_co_u32_e32 v15, vcc, 0, v15, vcc
	v_pk_mov_b32 v[30:31], v[32:33], v[32:33] op_sel:[0,1]
	s_andn2_b64 exec, exec, s[10:11]
	s_cbranch_execz .LBB186_64
.LBB186_61:                             ;   Parent Loop BB186_18 Depth=1
                                        ; =>  This Inner Loop Header: Depth=2
	v_add_co_u32_sdwa v4, vcc, v4, v2 dst_sel:DWORD dst_unused:UNUSED_PAD src0_sel:DWORD src1_sel:WORD_0
	v_addc_co_u32_e32 v5, vcc, 0, v5, vcc
	v_cmp_gt_u64_e64 s[6:7], s[60:61], v[4:5]
	v_cmp_le_u64_e32 vcc, s[60:61], v[4:5]
	v_pk_mov_b32 v[32:33], 0, 0
	s_and_saveexec_b64 s[12:13], s[6:7]
	s_cbranch_execz .LBB186_60
; %bb.62:                               ;   in Loop: Header=BB186_61 Depth=2
	v_mul_lo_u32 v20, v5, s58
	v_mul_lo_u32 v34, v4, s59
	v_mad_u64_u32 v[32:33], s[6:7], v4, s58, 0
	v_add3_u32 v33, v33, v34, v20
	v_lshlrev_b64 v[32:33], 3, v[32:33]
	v_mov_b32_e32 v20, s88
	v_add_co_u32_e64 v32, s[6:7], s33, v32
	v_addc_co_u32_e64 v33, s[6:7], v20, v33, s[6:7]
	global_load_dwordx2 v[32:33], v[32:33], off
	s_branch .LBB186_60
.LBB186_63:                             ;   in Loop: Header=BB186_18 Depth=1
                                        ; implicit-def: $vgpr14_vgpr15
                                        ; implicit-def: $vgpr10_vgpr11
	s_cbranch_execnz .LBB186_66
	s_branch .LBB186_75
.LBB186_64:                             ;   in Loop: Header=BB186_18 Depth=1
	s_or_b64 exec, exec, s[10:11]
.LBB186_65:                             ;   in Loop: Header=BB186_18 Depth=1
	s_or_b64 exec, exec, s[2:3]
	s_branch .LBB186_75
.LBB186_66:                             ;   in Loop: Header=BB186_18 Depth=1
	v_readlane_b32 s2, v55, 55
	v_readlane_b32 s3, v55, 56
	v_pk_mov_b32 v[8:9], 0, 0
	s_mov_b64 s[10:11], 0
	v_pk_mov_b32 v[10:11], v[8:9], v[8:9] op_sel:[0,1]
	v_pk_mov_b32 v[12:13], v[8:9], v[8:9] op_sel:[0,1]
	;; [unrolled: 1-line block ×3, first 2 shown]
	global_load_ushort v2, v21, s[2:3]
	s_waitcnt vmcnt(0)
	v_readfirstlane_b32 s2, v2
	s_and_b32 s2, 0xffff, s2
	s_lshl_b32 s9, s2, 2
	v_cvt_f32_u32_e32 v4, s9
	s_sub_i32 s2, 0, s9
	v_and_b32_e32 v2, 0xffff, v2
	v_rcp_iflag_f32_e32 v4, v4
	v_mul_f32_e32 v4, 0x4f7ffffe, v4
	v_cvt_u32_f32_e32 v4, v4
	v_readfirstlane_b32 s3, v4
	s_mul_i32 s2, s2, s3
	s_mul_hi_u32 s2, s3, s2
	s_add_i32 s3, s3, s2
	s_mul_hi_u32 s2, s8, s3
	s_mul_i32 s2, s2, s9
	s_sub_i32 s2, s8, s2
	s_sub_i32 s3, s2, s9
	s_cmp_ge_u32 s2, s9
	s_cselect_b32 s2, s3, s2
	s_sub_i32 s3, s2, s9
	s_cmp_ge_u32 s2, s9
	s_cselect_b32 s2, s3, s2
	s_sub_i32 s90, s8, s2
	v_cmp_gt_u32_e32 vcc, s90, v22
	s_and_saveexec_b64 s[2:3], vcc
	s_cbranch_execz .LBB186_70
; %bb.67:                               ;   in Loop: Header=BB186_18 Depth=1
	s_and_b32 s72, s75, 0xfe
	v_lshlrev_b32_e32 v44, 5, v2
	v_mov_b32_e32 v45, v41
	s_mov_b64 s[12:13], 0
	s_mov_b64 s[56:57], 0
	;; [unrolled: 1-line block ×4, first 2 shown]
	v_pk_mov_b32 v[4:5], v[22:23], v[22:23] op_sel:[0,1]
.LBB186_68:                             ;   Parent Loop BB186_18 Depth=1
                                        ; =>  This Inner Loop Header: Depth=2
	ds_read_b128 v[12:15], v45
	ds_read_b128 v[8:11], v45 offset:16
	v_mov_b32_e32 v31, v21
	v_mov_b32_e32 v33, v21
	;; [unrolled: 1-line block ×3, first 2 shown]
	s_waitcnt lgkmcnt(1)
	v_ashrrev_i32_e32 v20, 31, v13
	v_ashrrev_i32_e32 v30, 31, v15
	s_waitcnt lgkmcnt(0)
	v_ashrrev_i32_e32 v32, 31, v9
	v_ashrrev_i32_e32 v34, 31, v11
	v_xor_b32_e32 v46, v30, v14
	v_cmp_o_f64_e64 s[6:7], v[14:15], v[14:15]
	v_xor_b32_e32 v14, v32, v8
	v_cmp_o_f64_e64 s[14:15], v[8:9], v[8:9]
	v_or_b32_e32 v8, 0x80000000, v20
	v_xor_b32_e32 v47, v34, v10
	v_cmp_o_f64_e64 s[16:17], v[10:11], v[10:11]
	v_xor_b32_e32 v10, v20, v12
	v_or_b32_e32 v20, 0x80000000, v30
	v_or_b32_e32 v30, 0x80000000, v32
	v_cmp_o_f64_e64 s[18:19], v[12:13], v[12:13]
	v_xor_b32_e32 v13, v8, v13
	v_or_b32_e32 v32, 0x80000000, v34
	v_xor_b32_e32 v15, v20, v15
	v_xor_b32_e32 v20, v30, v9
	v_cndmask_b32_e64 v8, -1, v10, s[18:19]
	v_cndmask_b32_e64 v9, -1, v13, s[18:19]
	v_xor_b32_e32 v30, v32, v11
	v_cndmask_b32_e64 v10, -1, v46, s[6:7]
	v_cndmask_b32_e64 v12, -1, v14, s[14:15]
	;; [unrolled: 1-line block ×4, first 2 shown]
	v_and_b32_e32 v46, v8, v26
	v_and_b32_e32 v47, v9, v27
	v_lshrrev_b64 v[8:9], s72, v[8:9]
	v_cndmask_b32_e64 v13, -1, v20, s[14:15]
	v_and_b32_e32 v48, v10, v26
	v_and_b32_e32 v49, v11, v27
	v_lshrrev_b64 v[10:11], s72, v[10:11]
	v_and_b32_e32 v20, 3, v8
	v_cndmask_b32_e64 v15, -1, v30, s[16:17]
	v_and_b32_e32 v50, v12, v26
	v_and_b32_e32 v51, v13, v27
	v_lshrrev_b64 v[12:13], s72, v[12:13]
	v_cmp_eq_u64_e64 s[20:21], v[46:47], v[24:25]
	v_and_b32_e32 v30, 3, v10
	v_cmp_eq_u64_e64 s[6:7], 0, v[20:21]
	v_and_b32_e32 v52, v14, v26
	v_and_b32_e32 v53, v15, v27
	v_lshrrev_b64 v[14:15], s72, v[14:15]
	v_cmp_eq_u64_e64 s[18:19], v[48:49], v[24:25]
	v_and_b32_e32 v32, 3, v12
	v_cmp_eq_u64_e64 s[34:35], 0, v[30:31]
	s_and_b64 s[6:7], s[20:21], s[6:7]
	v_cmp_eq_u64_e64 s[16:17], v[50:51], v[24:25]
	v_and_b32_e32 v34, 3, v14
	v_cmp_eq_u64_e64 s[36:37], 0, v[32:33]
	v_cndmask_b32_e64 v8, 0, 1, s[6:7]
	s_and_b64 s[6:7], s[18:19], s[34:35]
	v_cmp_eq_u64_e64 s[14:15], v[52:53], v[24:25]
	v_cmp_eq_u64_e64 s[38:39], 0, v[34:35]
	v_cndmask_b32_e64 v9, 0, 1, s[6:7]
	s_and_b64 s[6:7], s[16:17], s[36:37]
	v_cndmask_b32_e64 v10, 0, 1, s[6:7]
	s_and_b64 s[6:7], s[14:15], s[38:39]
	v_cndmask_b32_e64 v11, 0, 1, s[6:7]
	v_cmp_ne_u32_e64 s[6:7], 0, v8
	v_cmp_ne_u32_e64 s[34:35], 0, v9
	v_cmp_ne_u32_e64 s[36:37], 0, v10
	v_cmp_ne_u32_e64 s[38:39], 0, v11
	s_bcnt1_i32_b64 s6, s[6:7]
	s_bcnt1_i32_b64 s7, s[34:35]
	s_bcnt1_i32_b64 s34, s[36:37]
	s_bcnt1_i32_b64 s35, s[38:39]
	s_add_u32 s6, s6, s92
	s_addc_u32 s36, 0, s93
	s_add_u32 s6, s6, s7
	s_addc_u32 s7, s36, 0
	s_add_u32 s6, s6, s34
	s_addc_u32 s7, s7, 0
	v_cmp_eq_u64_e64 s[40:41], 1, v[20:21]
	s_add_u32 s92, s6, s35
	v_cmp_eq_u64_e64 s[42:43], 1, v[30:31]
	s_addc_u32 s93, s7, 0
	s_and_b64 s[6:7], s[20:21], s[40:41]
	v_cmp_eq_u64_e64 s[44:45], 1, v[32:33]
	v_cndmask_b32_e64 v10, 0, 1, s[6:7]
	s_and_b64 s[6:7], s[18:19], s[42:43]
	v_cmp_eq_u64_e64 s[46:47], 1, v[34:35]
	v_cndmask_b32_e64 v11, 0, 1, s[6:7]
	s_and_b64 s[6:7], s[16:17], s[44:45]
	v_cndmask_b32_e64 v12, 0, 1, s[6:7]
	s_and_b64 s[6:7], s[14:15], s[46:47]
	v_cndmask_b32_e64 v13, 0, 1, s[6:7]
	v_cmp_ne_u32_e64 s[6:7], 0, v10
	v_cmp_ne_u32_e64 s[34:35], 0, v11
	v_cmp_ne_u32_e64 s[36:37], 0, v12
	v_cmp_ne_u32_e64 s[38:39], 0, v13
	s_bcnt1_i32_b64 s6, s[6:7]
	s_bcnt1_i32_b64 s7, s[34:35]
	s_bcnt1_i32_b64 s34, s[36:37]
	s_bcnt1_i32_b64 s35, s[38:39]
	s_add_u32 s6, s6, s94
	s_addc_u32 s36, 0, s95
	s_add_u32 s6, s6, s7
	s_addc_u32 s7, s36, 0
	s_add_u32 s6, s6, s34
	s_addc_u32 s7, s7, 0
	v_cmp_eq_u64_e64 s[48:49], 2, v[20:21]
	s_add_u32 s94, s6, s35
	v_cmp_eq_u64_e64 s[50:51], 2, v[30:31]
	s_addc_u32 s95, s7, 0
	s_and_b64 s[6:7], s[20:21], s[48:49]
	v_cmp_eq_u64_e64 s[52:53], 2, v[32:33]
	v_cndmask_b32_e64 v12, 0, 1, s[6:7]
	s_and_b64 s[6:7], s[18:19], s[50:51]
	;; [unrolled: 28-line block ×3, first 2 shown]
	v_cmp_eq_u64_e64 s[22:23], 3, v[34:35]
	v_cndmask_b32_e64 v15, 0, 1, s[6:7]
	s_and_b64 s[6:7], s[16:17], s[24:25]
	v_cndmask_b32_e64 v20, 0, 1, s[6:7]
	s_and_b64 s[6:7], s[14:15], s[22:23]
	v_cndmask_b32_e64 v30, 0, 1, s[6:7]
	v_cmp_ne_u32_e64 s[6:7], 0, v14
	v_cmp_ne_u32_e64 s[14:15], 0, v15
	;; [unrolled: 1-line block ×4, first 2 shown]
	s_bcnt1_i32_b64 s6, s[6:7]
	s_bcnt1_i32_b64 s7, s[14:15]
	;; [unrolled: 1-line block ×4, first 2 shown]
	s_add_u32 s6, s6, s12
	s_addc_u32 s12, 0, s13
	s_add_u32 s6, s6, s7
	s_addc_u32 s7, s12, 0
	s_add_u32 s6, s6, s14
	v_add_co_u32_e32 v4, vcc, s9, v4
	s_addc_u32 s7, s7, 0
	v_addc_co_u32_e32 v5, vcc, 0, v5, vcc
	s_add_u32 s12, s6, s15
	v_cmp_le_u64_e32 vcc, s[90:91], v[4:5]
	s_addc_u32 s13, s7, 0
	v_add_u32_e32 v45, v45, v44
	v_pk_mov_b32 v[8:9], s[92:93], s[92:93] op_sel:[0,1]
	v_pk_mov_b32 v[10:11], s[94:95], s[94:95] op_sel:[0,1]
	;; [unrolled: 1-line block ×3, first 2 shown]
	s_or_b64 s[10:11], vcc, s[10:11]
	v_pk_mov_b32 v[14:15], s[12:13], s[12:13] op_sel:[0,1]
	s_andn2_b64 exec, exec, s[10:11]
	s_cbranch_execnz .LBB186_68
; %bb.69:                               ;   in Loop: Header=BB186_18 Depth=1
	s_or_b64 exec, exec, s[10:11]
.LBB186_70:                             ;   in Loop: Header=BB186_18 Depth=1
	s_or_b64 exec, exec, s[2:3]
	v_add_u32_e32 v20, s90, v0
	v_cmp_gt_u32_e32 vcc, s8, v20
	s_and_saveexec_b64 s[2:3], vcc
	s_cbranch_execz .LBB186_74
; %bb.71:                               ;   in Loop: Header=BB186_18 Depth=1
	s_and_b32 s90, s8, 0x7fffffff
	s_and_b32 s10, s75, 0xfe
	v_lshlrev_b32_e32 v30, 3, v20
	v_lshlrev_b32_e32 v31, 3, v2
	s_mov_b64 s[8:9], 0
	v_pk_mov_b32 v[4:5], v[20:21], v[20:21] op_sel:[0,1]
.LBB186_72:                             ;   Parent Loop BB186_18 Depth=1
                                        ; =>  This Inner Loop Header: Depth=2
	ds_read_b64 v[32:33], v30
	v_add_co_u32_e32 v4, vcc, v4, v2
	v_addc_co_u32_e32 v5, vcc, 0, v5, vcc
	s_waitcnt lgkmcnt(0)
	v_ashrrev_i32_e32 v20, 31, v33
	v_or_b32_e32 v34, 0x80000000, v20
	v_xor_b32_e32 v20, v20, v32
	v_cmp_o_f64_e64 s[6:7], v[32:33], v[32:33]
	v_xor_b32_e32 v33, v34, v33
	v_cndmask_b32_e64 v32, -1, v20, s[6:7]
	v_cndmask_b32_e64 v33, -1, v33, s[6:7]
	v_and_b32_e32 v34, v32, v26
	v_and_b32_e32 v35, v33, v27
	v_lshrrev_b64 v[32:33], s10, v[32:33]
	v_and_b32_e32 v20, 3, v32
	v_cmp_eq_u64_e64 s[6:7], v[34:35], v[24:25]
	v_cmp_eq_u64_e64 s[14:15], 0, v[20:21]
	;; [unrolled: 1-line block ×3, first 2 shown]
	s_and_b64 s[12:13], s[6:7], s[14:15]
	v_cmp_eq_u64_e64 s[18:19], 2, v[20:21]
	v_cmp_eq_u64_e64 s[20:21], 3, v[20:21]
	v_cndmask_b32_e64 v20, 0, 1, s[12:13]
	s_and_b64 s[12:13], s[6:7], s[16:17]
	v_cndmask_b32_e64 v32, 0, 1, s[12:13]
	s_and_b64 s[12:13], s[6:7], s[18:19]
	s_and_b64 s[6:7], s[6:7], s[20:21]
	v_cndmask_b32_e64 v33, 0, 1, s[12:13]
	v_cndmask_b32_e64 v34, 0, 1, s[6:7]
	v_cmp_ne_u32_e64 s[6:7], 0, v20
	v_cmp_ne_u32_e64 s[14:15], 0, v32
	;; [unrolled: 1-line block ×4, first 2 shown]
	v_cmp_le_u64_e32 vcc, s[90:91], v[4:5]
	s_bcnt1_i32_b64 s6, s[6:7]
	s_bcnt1_i32_b64 s7, s[14:15]
	;; [unrolled: 1-line block ×4, first 2 shown]
	s_or_b64 s[8:9], vcc, s[8:9]
	v_add_co_u32_e32 v8, vcc, s6, v8
	v_addc_co_u32_e32 v9, vcc, 0, v9, vcc
	v_add_co_u32_e32 v10, vcc, s7, v10
	v_addc_co_u32_e32 v11, vcc, 0, v11, vcc
	;; [unrolled: 2-line block ×3, first 2 shown]
	v_add_co_u32_e32 v14, vcc, s12, v14
	v_add_u32_e32 v30, v30, v31
	v_addc_co_u32_e32 v15, vcc, 0, v15, vcc
	s_andn2_b64 exec, exec, s[8:9]
	s_cbranch_execnz .LBB186_72
; %bb.73:                               ;   in Loop: Header=BB186_18 Depth=1
	s_or_b64 exec, exec, s[8:9]
.LBB186_74:                             ;   in Loop: Header=BB186_18 Depth=1
	s_or_b64 exec, exec, s[2:3]
.LBB186_75:                             ;   in Loop: Header=BB186_18 Depth=1
	v_readlane_b32 s2, v55, 62
	s_lshl_b32 s6, s2, 6
	s_and_saveexec_b64 s[2:3], s[0:1]
	s_cbranch_execz .LBB186_77
; %bb.76:                               ;   in Loop: Header=BB186_18 Depth=1
	v_or_b32_e32 v2, s6, v38
	v_lshlrev_b32_e32 v2, 3, v2
	ds_write_b128 v2, v[8:11] offset:3072
	ds_write_b128 v2, v[12:15] offset:3088
.LBB186_77:                             ;   in Loop: Header=BB186_18 Depth=1
	s_or_b64 exec, exec, s[2:3]
	s_waitcnt lgkmcnt(0)
	s_barrier
	s_mov_b64 s[2:3], exec
	v_readlane_b32 s8, v55, 42
	v_readlane_b32 s9, v55, 43
	s_and_b64 s[8:9], s[2:3], s[8:9]
	s_mov_b64 exec, s[8:9]
	s_cbranch_execz .LBB186_89
; %bb.78:                               ;   in Loop: Header=BB186_18 Depth=1
	v_readlane_b32 s8, v55, 50
	v_readlane_b32 s9, v55, 51
	s_andn2_b64 vcc, exec, s[8:9]
	s_waitcnt vmcnt(0)
	v_pk_mov_b32 v[4:5], 0, 0
	s_cbranch_vccnz .LBB186_88
; %bb.79:                               ;   in Loop: Header=BB186_18 Depth=1
	v_readlane_b32 s8, v55, 57
	v_readlane_b32 s9, v55, 58
	s_andn2_b64 vcc, exec, s[8:9]
	s_cbranch_vccnz .LBB186_84
; %bb.80:                               ;   in Loop: Header=BB186_18 Depth=1
	v_readlane_b32 s7, v55, 62
	v_lshl_add_u32 v2, s7, 9, v42
	s_mov_b32 s7, 0
	v_pk_mov_b32 v[4:5], 0, 0
.LBB186_81:                             ;   Parent Loop BB186_18 Depth=1
                                        ; =>  This Inner Loop Header: Depth=2
	ds_read2_b64 v[8:11], v2 offset1:4
	ds_read2_b64 v[12:15], v2 offset0:8 offset1:12
	ds_read2_b64 v[30:33], v2 offset0:16 offset1:20
	;; [unrolled: 1-line block ×3, first 2 shown]
	s_add_i32 s7, s7, 8
	s_waitcnt lgkmcnt(3)
	v_add_co_u32_e32 v4, vcc, v8, v4
	v_addc_co_u32_e32 v5, vcc, v9, v5, vcc
	v_add_co_u32_e32 v4, vcc, v10, v4
	v_addc_co_u32_e32 v5, vcc, v11, v5, vcc
	s_waitcnt lgkmcnt(2)
	v_add_co_u32_e32 v4, vcc, v12, v4
	v_addc_co_u32_e32 v5, vcc, v13, v5, vcc
	v_add_co_u32_e32 v4, vcc, v14, v4
	v_addc_co_u32_e32 v5, vcc, v15, v5, vcc
	;; [unrolled: 5-line block ×3, first 2 shown]
	s_waitcnt lgkmcnt(0)
	v_add_co_u32_e32 v4, vcc, v44, v4
	v_addc_co_u32_e32 v5, vcc, v45, v5, vcc
	v_add_co_u32_e32 v4, vcc, v46, v4
	v_add_u32_e32 v2, 0x100, v2
	s_cmp_eq_u32 s4, s7
	v_addc_co_u32_e32 v5, vcc, v47, v5, vcc
	s_cbranch_scc0 .LBB186_81
; %bb.82:                               ;   in Loop: Header=BB186_18 Depth=1
	s_mov_b32 s7, s4
	s_branch .LBB186_85
.LBB186_83:                             ;   in Loop: Header=BB186_18 Depth=1
                                        ; implicit-def: $vgpr4_vgpr5
	s_branch .LBB186_51
.LBB186_84:                             ;   in Loop: Header=BB186_18 Depth=1
	s_mov_b32 s7, 0
	v_pk_mov_b32 v[4:5], 0, 0
.LBB186_85:                             ;   in Loop: Header=BB186_18 Depth=1
	v_readlane_b32 s8, v55, 60
	v_readlane_b32 s9, v55, 61
	s_andn2_b64 vcc, exec, s[8:9]
	s_cbranch_vccnz .LBB186_88
; %bb.86:                               ;   in Loop: Header=BB186_18 Depth=1
	v_readlane_b32 s8, v55, 62
	s_lshl_b32 s8, s8, 9
	s_lshl_b32 s7, s7, 5
	s_add_i32 s8, s8, s7
	v_add_u32_e32 v2, s8, v42
	v_readlane_b32 s7, v55, 59
.LBB186_87:                             ;   Parent Loop BB186_18 Depth=1
                                        ; =>  This Inner Loop Header: Depth=2
	ds_read_b64 v[8:9], v2
	s_add_i32 s7, s7, -1
	v_add_u32_e32 v2, 32, v2
	s_cmp_lg_u32 s7, 0
	s_waitcnt lgkmcnt(0)
	v_add_co_u32_e32 v4, vcc, v8, v4
	v_addc_co_u32_e32 v5, vcc, v9, v5, vcc
	s_cbranch_scc1 .LBB186_87
.LBB186_88:                             ;   in Loop: Header=BB186_18 Depth=1
	v_add_lshl_u32 v2, s6, v37, 3
	ds_write_b64 v2, v[4:5] offset:3072
.LBB186_89:                             ;   in Loop: Header=BB186_18 Depth=1
	s_or_b64 exec, exec, s[2:3]
	s_lshl_b32 s2, s6, 3
	v_mov_b32_e32 v2, s2
	s_waitcnt lgkmcnt(0)
	s_barrier
	ds_read_b128 v[8:11], v2 offset:3072
	ds_read_b128 v[12:15], v2 offset:3088
	s_and_b32 s90, s75, 0xfe
	v_readlane_b32 s2, v55, 40
	s_lshl_b64 s[18:19], 3, s90
	v_readlane_b32 s3, v55, 41
	s_waitcnt lgkmcnt(1)
	v_readfirstlane_b32 s17, v9
	v_readfirstlane_b32 s16, v8
	v_readfirstlane_b32 s23, v11
	v_readfirstlane_b32 s22, v10
	s_waitcnt lgkmcnt(0)
	v_readfirstlane_b32 s27, v13
	v_readfirstlane_b32 s26, v12
	;; [unrolled: 1-line block ×4, first 2 shown]
	s_not_b64 s[20:21], s[18:19]
	s_andn2_b64 vcc, exec, s[2:3]
	v_cmp_eq_u64_e64 s[14:15], 1, v[28:29]
                                        ; implicit-def: $vgpr54 : SGPR spill to VGPR lane
	s_cbranch_vccnz .LBB186_105
; %bb.90:                               ;   in Loop: Header=BB186_18 Depth=1
	s_cmp_eq_u64 s[16:17], 1
	s_cselect_b64 s[2:3], -1, 0
	s_and_b64 s[8:9], s[2:3], s[14:15]
	s_mov_b64 s[2:3], -1
	v_pk_mov_b32 v[12:13], v[24:25], v[24:25] op_sel:[0,1]
	v_pk_mov_b32 v[14:15], v[26:27], v[26:27] op_sel:[0,1]
	;; [unrolled: 1-line block ×3, first 2 shown]
                                        ; implicit-def: $sgpr24_sgpr25
                                        ; implicit-def: $sgpr40_sgpr41
                                        ; implicit-def: $sgpr38_sgpr39
	s_and_saveexec_b64 s[10:11], s[8:9]
	s_cbranch_execz .LBB186_127
; %bb.91:                               ;   in Loop: Header=BB186_18 Depth=1
	s_waitcnt vmcnt(0)
	ds_read_b64 v[4:5], v21 offset:5120
	s_waitcnt lgkmcnt(0)
	s_barrier
	v_readfirstlane_b32 s2, v4
	v_readfirstlane_b32 s3, v5
	s_mov_b64 s[6:7], exec
	v_readlane_b32 s12, v55, 48
	v_readlane_b32 s13, v55, 49
	s_and_b64 s[12:13], s[6:7], s[12:13]
	s_mov_b64 exec, s[12:13]
	s_cbranch_execz .LBB186_93
; %bb.92:                               ;   in Loop: Header=BB186_18 Depth=1
	v_mov_b32_e32 v20, v21
	ds_write_b64 v40, v[20:21]
.LBB186_93:                             ;   in Loop: Header=BB186_18 Depth=1
	s_or_b64 exec, exec, s[6:7]
	v_and_b32_e32 v13, s21, v25
	v_and_b32_e32 v12, s20, v24
	v_or_b32_e32 v15, s19, v27
	v_or_b32_e32 v14, s18, v26
	s_cmp_eq_u64 s[2:3], 0
	s_waitcnt lgkmcnt(0)
	s_barrier
	s_cbranch_scc1 .LBB186_110
; %bb.94:                               ;   in Loop: Header=BB186_18 Depth=1
	v_readlane_b32 s6, v55, 52
	s_add_u32 s24, s6, s2
	v_readlane_b32 s6, v55, 54
	s_addc_u32 s7, s6, s3
	s_mov_b32 s6, s91
	s_cmp_lg_u64 s[6:7], 0
	s_cbranch_scc0 .LBB186_154
; %bb.95:                               ;   in Loop: Header=BB186_18 Depth=1
	v_cvt_f32_u32_e32 v2, s89
	s_sub_u32 s6, 0, s89
	s_subb_u32 s12, 0, 0
	v_mac_f32_e32 v2, 0, v43
	v_rcp_f32_e32 v2, v2
	v_mul_f32_e32 v2, 0x5f7ffffc, v2
	v_mul_f32_e32 v4, 0x2f800000, v2
	v_trunc_f32_e32 v4, v4
	v_mac_f32_e32 v2, 0xcf800000, v4
	v_cvt_u32_f32_e32 v4, v4
	v_cvt_u32_f32_e32 v2, v2
	v_readfirstlane_b32 s13, v4
	v_readfirstlane_b32 s25, v2
	s_mul_i32 s34, s6, s13
	s_mul_hi_u32 s36, s6, s25
	s_mul_i32 s35, s12, s25
	s_add_i32 s34, s36, s34
	s_mul_i32 s37, s6, s25
	s_add_i32 s34, s34, s35
	s_mul_hi_u32 s36, s25, s37
	s_mul_hi_u32 s35, s25, s34
	s_mul_i32 s25, s25, s34
	s_add_u32 s25, s36, s25
	s_addc_u32 s35, 0, s35
	s_mul_hi_u32 s38, s13, s37
	s_mul_i32 s37, s13, s37
	s_add_u32 s25, s25, s37
	s_mul_hi_u32 s36, s13, s34
	s_addc_u32 s25, s35, s38
	s_addc_u32 s35, s36, 0
	s_mul_i32 s34, s13, s34
	s_add_u32 s25, s25, s34
	s_addc_u32 s34, 0, s35
	v_add_co_u32_e32 v2, vcc, s25, v2
	s_cmp_lg_u64 vcc, 0
	s_addc_u32 s13, s13, s34
	v_readfirstlane_b32 s34, v2
	s_mul_i32 s25, s6, s13
	s_mul_hi_u32 s35, s6, s34
	s_add_i32 s25, s35, s25
	s_mul_i32 s12, s12, s34
	s_add_i32 s25, s25, s12
	s_mul_i32 s6, s6, s34
	s_mul_hi_u32 s35, s13, s6
	s_mul_i32 s36, s13, s6
	s_mul_i32 s38, s34, s25
	s_mul_hi_u32 s6, s34, s6
	s_mul_hi_u32 s37, s34, s25
	s_add_u32 s6, s6, s38
	s_addc_u32 s34, 0, s37
	s_add_u32 s6, s6, s36
	s_mul_hi_u32 s12, s13, s25
	s_addc_u32 s6, s34, s35
	s_addc_u32 s12, s12, 0
	s_mul_i32 s25, s13, s25
	s_add_u32 s6, s6, s25
	s_addc_u32 s12, 0, s12
	v_add_co_u32_e32 v2, vcc, s6, v2
	s_cmp_lg_u64 vcc, 0
	s_addc_u32 s6, s13, s12
	v_readfirstlane_b32 s25, v2
	s_mul_i32 s13, s24, s6
	s_mul_hi_u32 s34, s24, s25
	s_mul_hi_u32 s12, s24, s6
	s_add_u32 s13, s34, s13
	s_addc_u32 s12, 0, s12
	s_mul_hi_u32 s35, s7, s25
	s_mul_i32 s25, s7, s25
	s_add_u32 s13, s13, s25
	s_mul_hi_u32 s34, s7, s6
	s_addc_u32 s12, s12, s35
	s_addc_u32 s13, s34, 0
	s_mul_i32 s6, s7, s6
	s_add_u32 s6, s12, s6
	s_addc_u32 s12, 0, s13
	s_mul_hi_u32 s13, s89, s6
	s_mul_i32 s6, s89, s6
	s_mul_i32 s12, s89, s12
	v_mov_b32_e32 v2, s6
	s_add_i32 s13, s13, s12
	v_sub_co_u32_e32 v2, vcc, s24, v2
	s_cmp_lg_u64 vcc, 0
	s_subb_u32 s6, s7, s13
	v_subrev_co_u32_e32 v4, vcc, s89, v2
	s_cmp_lg_u64 vcc, 0
	s_subb_u32 s12, s6, 0
	v_subrev_co_u32_e32 v5, vcc, s89, v4
	s_cmp_lg_u64 vcc, 0
	s_subb_u32 s13, s12, 0
	v_cmp_le_u32_e32 vcc, s89, v4
	s_cmp_eq_u32 s12, 0
	v_cndmask_b32_e64 v8, 0, -1, vcc
	s_cselect_b64 vcc, -1, 0
	v_cndmask_b32_e32 v8, -1, v8, vcc
	v_mov_b32_e32 v9, s12
	v_mov_b32_e32 v10, s13
	v_cmp_ne_u32_e32 vcc, 0, v8
	v_cndmask_b32_e32 v8, v9, v10, vcc
	v_cndmask_b32_e32 v4, v4, v5, vcc
	v_cmp_le_u32_e32 vcc, s89, v2
	s_cmp_eq_u32 s6, 0
	v_cndmask_b32_e64 v5, 0, -1, vcc
	s_cselect_b64 vcc, -1, 0
	v_cndmask_b32_e32 v5, -1, v5, vcc
	v_mov_b32_e32 v9, s6
	v_cmp_ne_u32_e32 vcc, 0, v5
	v_cndmask_b32_e32 v5, v9, v8, vcc
	v_cndmask_b32_e32 v4, v2, v4, vcc
	s_cbranch_execnz .LBB186_97
.LBB186_96:                             ;   in Loop: Header=BB186_18 Depth=1
	v_cvt_f32_u32_e32 v2, s89
	s_sub_i32 s6, 0, s89
	v_rcp_iflag_f32_e32 v2, v2
	v_mul_f32_e32 v2, 0x4f7ffffe, v2
	v_cvt_u32_f32_e32 v2, v2
	v_mul_lo_u32 v4, s6, v2
	v_mul_hi_u32 v4, v2, v4
	v_add_u32_e32 v2, v2, v4
	v_mul_hi_u32 v2, s24, v2
	v_mul_lo_u32 v2, v2, s89
	v_sub_u32_e32 v2, s24, v2
	v_subrev_u32_e32 v4, s89, v2
	v_cmp_le_u32_e32 vcc, s89, v2
	v_cndmask_b32_e32 v2, v2, v4, vcc
	v_subrev_u32_e32 v4, s89, v2
	v_cmp_le_u32_e32 vcc, s89, v2
	v_cndmask_b32_e32 v20, v2, v4, vcc
	v_pk_mov_b32 v[4:5], v[20:21], v[20:21] op_sel:[0,1]
.LBB186_97:                             ;   in Loop: Header=BB186_18 Depth=1
	v_mov_b32_e32 v2, s7
	v_sub_co_u32_e32 v30, vcc, s24, v4
	v_subb_co_u32_e32 v31, vcc, v2, v5, vcc
	v_cmp_gt_u64_e32 vcc, v[30:31], v[0:1]
	s_mov_b64 s[6:7], 0
                                        ; implicit-def: $vgpr10_vgpr11
	s_and_saveexec_b64 s[12:13], vcc
	s_cbranch_execz .LBB186_112
; %bb.98:                               ;   in Loop: Header=BB186_18 Depth=1
	s_mov_b64 s[34:35], 0
	v_mov_b32_e32 v20, v39
	v_pk_mov_b32 v[32:33], v[0:1], v[0:1] op_sel:[0,1]
                                        ; implicit-def: $sgpr24_sgpr25
	s_branch .LBB186_100
.LBB186_99:                             ;   in Loop: Header=BB186_100 Depth=2
	s_or_b64 exec, exec, s[6:7]
	s_waitcnt lgkmcnt(0)
	s_barrier
	ds_read_b128 v[8:11], v21 offset:3072
	v_mov_b32_e32 v2, s74
	v_add_co_u32_e64 v32, s[6:7], s89, v32
	v_addc_co_u32_e64 v33, s[6:7], v33, v2, s[6:7]
	s_waitcnt lgkmcnt(0)
	v_cmp_neq_f64_e32 vcc, 0, v[8:9]
	v_cmp_ge_u64_e64 s[6:7], v[32:33], v[30:31]
	s_or_b64 s[6:7], s[6:7], vcc
	s_and_b64 s[6:7], exec, s[6:7]
	s_or_b64 s[34:35], s[6:7], s[34:35]
	s_andn2_b64 s[6:7], s[24:25], exec
	s_and_b64 s[24:25], vcc, exec
	v_add_u32_e32 v20, s5, v20
	s_or_b64 s[24:25], s[6:7], s[24:25]
	s_barrier
	s_andn2_b64 exec, exec, s[34:35]
	s_cbranch_execz .LBB186_111
.LBB186_100:                            ;   Parent Loop BB186_18 Depth=1
                                        ; =>  This Inner Loop Header: Depth=2
	v_cmp_gt_u64_e32 vcc, s[2:3], v[32:33]
	v_pk_mov_b32 v[4:5], 0, 0
	s_and_saveexec_b64 s[6:7], vcc
	s_cbranch_execz .LBB186_102
; %bb.101:                              ;   in Loop: Header=BB186_100 Depth=2
	ds_read_b64 v[4:5], v20
.LBB186_102:                            ;   in Loop: Header=BB186_100 Depth=2
	s_or_b64 exec, exec, s[6:7]
	s_and_saveexec_b64 s[6:7], vcc
	s_cbranch_execz .LBB186_99
; %bb.103:                              ;   in Loop: Header=BB186_100 Depth=2
	s_waitcnt lgkmcnt(0)
	v_ashrrev_i32_e32 v2, 31, v5
	v_or_b32_e32 v8, 0x80000000, v2
	v_xor_b32_e32 v8, v8, v5
	v_xor_b32_e32 v2, v2, v4
	v_cmp_o_f64_e32 vcc, v[4:5], v[4:5]
	v_cndmask_b32_e32 v8, -1, v8, vcc
	v_cndmask_b32_e32 v2, -1, v2, vcc
	v_and_b32_e32 v9, v8, v15
	v_and_b32_e32 v8, v2, v14
	v_cmp_eq_u64_e32 vcc, v[8:9], v[12:13]
	s_and_b64 exec, exec, vcc
	s_cbranch_execz .LBB186_99
; %bb.104:                              ;   in Loop: Header=BB186_100 Depth=2
	v_mov_b32_e32 v2, v21
	ds_write_b128 v21, v[2:5] offset:3072
	s_branch .LBB186_99
.LBB186_105:                            ;   in Loop: Header=BB186_18 Depth=1
	s_mov_b64 s[36:37], 0
	s_mov_b64 s[34:35], 0
                                        ; implicit-def: $sgpr38_sgpr39
                                        ; implicit-def: $sgpr40_sgpr41
                                        ; implicit-def: $sgpr24_sgpr25
                                        ; implicit-def: $vgpr2
                                        ; implicit-def: $vgpr30_vgpr31
                                        ; implicit-def: $vgpr12_vgpr13
                                        ; implicit-def: $vgpr14_vgpr15
                                        ; implicit-def: $vgpr10_vgpr11
	s_cbranch_execnz .LBB186_292
.LBB186_106:                            ;   in Loop: Header=BB186_18 Depth=1
	s_mov_b64 s[14:15], s[24:25]
	s_mov_b64 s[42:43], s[24:25]
	s_and_saveexec_b64 s[2:3], s[36:37]
	s_cbranch_execnz .LBB186_488
	s_branch .LBB186_489
.LBB186_107:                            ;   in Loop: Header=BB186_18 Depth=1
	s_or_b64 exec, exec, s[2:3]
	s_waitcnt lgkmcnt(0)
	s_barrier
	s_mov_b64 s[2:3], exec
	v_readlane_b32 s6, v55, 32
	v_readlane_b32 s7, v55, 33
	s_and_b64 s[6:7], s[2:3], s[6:7]
	s_mov_b64 exec, s[6:7]
	s_cbranch_execz .LBB186_109
; %bb.108:                              ;   in Loop: Header=BB186_18 Depth=1
	s_waitcnt vmcnt(0)
	ds_read_b32 v4, v21 offset:5144
	s_waitcnt lgkmcnt(0)
	v_ashrrev_i32_e32 v5, 31, v4
	ds_write_b64 v21, v[4:5] offset:5120
.LBB186_109:                            ;   in Loop: Header=BB186_18 Depth=1
	s_or_b64 exec, exec, s[2:3]
	s_waitcnt lgkmcnt(0)
	s_barrier
	s_mov_b64 s[2:3], -1
	s_and_b64 vcc, exec, s[8:9]
	s_cbranch_vccnz .LBB186_36
	s_branch .LBB186_46
.LBB186_110:                            ;   in Loop: Header=BB186_18 Depth=1
	s_mov_b64 s[24:25], -1
	s_mov_b64 s[6:7], 0
                                        ; implicit-def: $sgpr38_sgpr39
                                        ; implicit-def: $vgpr10_vgpr11
	s_mov_b64 s[40:41], s[24:25]
	s_cbranch_execnz .LBB186_113
	s_branch .LBB186_126
.LBB186_111:                            ;   in Loop: Header=BB186_18 Depth=1
	s_or_b64 exec, exec, s[34:35]
	s_and_b64 s[6:7], s[24:25], exec
.LBB186_112:                            ;   in Loop: Header=BB186_18 Depth=1
	s_or_b64 exec, exec, s[12:13]
	s_mov_b64 s[38:39], -1
	s_mov_b64 s[24:25], 0
	s_mov_b64 s[40:41], s[24:25]
	s_branch .LBB186_126
.LBB186_113:                            ;   in Loop: Header=BB186_18 Depth=1
	s_mov_b32 s72, s91
	s_cmp_lg_u64 s[72:73], 0
	s_cbranch_scc0 .LBB186_155
; %bb.114:                              ;   in Loop: Header=BB186_18 Depth=1
	v_cvt_f32_u32_e32 v2, s89
	s_sub_u32 s2, 0, s89
	s_subb_u32 s3, 0, 0
	v_mac_f32_e32 v2, 0, v43
	v_rcp_f32_e32 v2, v2
	v_mul_f32_e32 v2, 0x5f7ffffc, v2
	v_mul_f32_e32 v4, 0x2f800000, v2
	v_trunc_f32_e32 v4, v4
	v_mac_f32_e32 v2, 0xcf800000, v4
	v_cvt_u32_f32_e32 v4, v4
	v_cvt_u32_f32_e32 v2, v2
	v_readfirstlane_b32 s6, v4
	v_readfirstlane_b32 s7, v2
	s_mul_i32 s12, s2, s6
	s_mul_hi_u32 s24, s2, s7
	s_mul_i32 s13, s3, s7
	s_add_i32 s12, s24, s12
	s_mul_i32 s25, s2, s7
	s_add_i32 s12, s12, s13
	s_mul_hi_u32 s24, s7, s25
	s_mul_hi_u32 s13, s7, s12
	s_mul_i32 s7, s7, s12
	s_add_u32 s7, s24, s7
	s_addc_u32 s13, 0, s13
	s_mul_hi_u32 s34, s6, s25
	s_mul_i32 s25, s6, s25
	s_add_u32 s7, s7, s25
	s_mul_hi_u32 s24, s6, s12
	s_addc_u32 s7, s13, s34
	s_addc_u32 s13, s24, 0
	s_mul_i32 s12, s6, s12
	s_add_u32 s7, s7, s12
	s_addc_u32 s12, 0, s13
	v_add_co_u32_e32 v2, vcc, s7, v2
	s_cmp_lg_u64 vcc, 0
	s_addc_u32 s6, s6, s12
	v_readfirstlane_b32 s12, v2
	s_mul_i32 s7, s2, s6
	s_mul_hi_u32 s13, s2, s12
	s_add_i32 s7, s13, s7
	s_mul_i32 s3, s3, s12
	s_add_i32 s7, s7, s3
	s_mul_i32 s2, s2, s12
	s_mul_hi_u32 s13, s6, s2
	s_mul_i32 s24, s6, s2
	s_mul_i32 s34, s12, s7
	s_mul_hi_u32 s2, s12, s2
	s_mul_hi_u32 s25, s12, s7
	s_add_u32 s2, s2, s34
	s_addc_u32 s12, 0, s25
	s_add_u32 s2, s2, s24
	s_mul_hi_u32 s3, s6, s7
	s_addc_u32 s2, s12, s13
	s_addc_u32 s3, s3, 0
	s_mul_i32 s7, s6, s7
	s_add_u32 s2, s2, s7
	s_addc_u32 s3, 0, s3
	v_add_co_u32_e32 v2, vcc, s2, v2
	s_cmp_lg_u64 vcc, 0
	s_addc_u32 s2, s6, s3
	v_readlane_b32 s24, v55, 53
	v_readfirstlane_b32 s7, v2
	s_mul_i32 s6, s24, s2
	s_mul_hi_u32 s12, s24, s7
	s_mul_hi_u32 s3, s24, s2
	s_add_u32 s6, s12, s6
	s_addc_u32 s3, 0, s3
	s_mul_hi_u32 s13, s73, s7
	s_mul_i32 s7, s73, s7
	s_add_u32 s6, s6, s7
	s_mul_hi_u32 s12, s73, s2
	s_addc_u32 s3, s3, s13
	s_addc_u32 s6, s12, 0
	s_mul_i32 s2, s73, s2
	s_add_u32 s2, s3, s2
	s_addc_u32 s3, 0, s6
	s_mul_hi_u32 s6, s89, s2
	s_mul_i32 s2, s89, s2
	s_mul_i32 s3, s89, s3
	v_mov_b32_e32 v2, s2
	s_add_i32 s6, s6, s3
	v_sub_co_u32_e32 v2, vcc, s24, v2
	s_cmp_lg_u64 vcc, 0
	s_subb_u32 s2, s73, s6
	v_subrev_co_u32_e32 v4, vcc, s89, v2
	s_cmp_lg_u64 vcc, 0
	s_subb_u32 s3, s2, 0
	v_subrev_co_u32_e32 v5, vcc, s89, v4
	s_cmp_lg_u64 vcc, 0
	s_subb_u32 s6, s3, 0
	v_cmp_le_u32_e32 vcc, s89, v4
	s_cmp_eq_u32 s3, 0
	v_cndmask_b32_e64 v8, 0, -1, vcc
	s_cselect_b64 vcc, -1, 0
	v_cndmask_b32_e32 v8, -1, v8, vcc
	v_mov_b32_e32 v9, s3
	v_mov_b32_e32 v10, s6
	v_cmp_ne_u32_e32 vcc, 0, v8
	v_cndmask_b32_e32 v8, v9, v10, vcc
	v_cndmask_b32_e32 v4, v4, v5, vcc
	v_cmp_le_u32_e32 vcc, s89, v2
	s_cmp_eq_u32 s2, 0
	v_cndmask_b32_e64 v5, 0, -1, vcc
	s_cselect_b64 vcc, -1, 0
	v_cndmask_b32_e32 v5, -1, v5, vcc
	v_mov_b32_e32 v9, s2
	v_cmp_ne_u32_e32 vcc, 0, v5
	v_cndmask_b32_e32 v5, v9, v8, vcc
	v_cndmask_b32_e32 v4, v2, v4, vcc
	s_cbranch_execnz .LBB186_116
.LBB186_115:                            ;   in Loop: Header=BB186_18 Depth=1
	v_cvt_f32_u32_e32 v2, s89
	s_sub_i32 s2, 0, s89
	v_rcp_iflag_f32_e32 v2, v2
	v_mul_f32_e32 v2, 0x4f7ffffe, v2
	v_cvt_u32_f32_e32 v2, v2
	v_mul_lo_u32 v4, s2, v2
	v_mul_hi_u32 v4, v2, v4
	v_add_u32_e32 v2, v2, v4
	v_readlane_b32 s2, v55, 53
	v_mul_hi_u32 v2, s2, v2
	v_mul_lo_u32 v2, v2, s89
	v_sub_u32_e32 v2, s2, v2
	v_subrev_u32_e32 v4, s89, v2
	v_cmp_le_u32_e32 vcc, s89, v2
	v_cndmask_b32_e32 v2, v2, v4, vcc
	v_subrev_u32_e32 v4, s89, v2
	v_cmp_le_u32_e32 vcc, s89, v2
	v_cndmask_b32_e32 v20, v2, v4, vcc
	v_pk_mov_b32 v[4:5], v[20:21], v[20:21] op_sel:[0,1]
.LBB186_116:                            ;   in Loop: Header=BB186_18 Depth=1
	v_readlane_b32 s2, v55, 53
	v_mov_b32_e32 v2, s73
	v_sub_co_u32_e32 v30, vcc, s2, v4
	v_subb_co_u32_e32 v31, vcc, v2, v5, vcc
	v_cmp_gt_u64_e32 vcc, v[30:31], v[0:1]
	s_mov_b64 s[6:7], 0
                                        ; implicit-def: $vgpr10_vgpr11
	s_and_saveexec_b64 s[2:3], vcc
	s_cbranch_execz .LBB186_125
; %bb.117:                              ;   in Loop: Header=BB186_18 Depth=1
	s_mov_b64 s[24:25], 0
	v_pk_mov_b32 v[32:33], v[0:1], v[0:1] op_sel:[0,1]
                                        ; implicit-def: $sgpr12_sgpr13
	s_branch .LBB186_119
.LBB186_118:                            ;   in Loop: Header=BB186_119 Depth=2
	s_or_b64 exec, exec, s[6:7]
	s_waitcnt lgkmcnt(0)
	s_barrier
	ds_read_b128 v[8:11], v21 offset:3072
	v_mov_b32_e32 v2, s74
	v_add_co_u32_e64 v32, s[6:7], s89, v32
	v_addc_co_u32_e64 v33, s[6:7], v33, v2, s[6:7]
	s_waitcnt lgkmcnt(0)
	v_cmp_neq_f64_e32 vcc, 0, v[8:9]
	v_cmp_ge_u64_e64 s[6:7], v[32:33], v[30:31]
	s_or_b64 s[6:7], s[6:7], vcc
	s_and_b64 s[6:7], exec, s[6:7]
	s_or_b64 s[24:25], s[6:7], s[24:25]
	s_andn2_b64 s[6:7], s[12:13], exec
	s_and_b64 s[12:13], vcc, exec
	s_or_b64 s[12:13], s[6:7], s[12:13]
	s_barrier
	s_andn2_b64 exec, exec, s[24:25]
	s_cbranch_execz .LBB186_124
.LBB186_119:                            ;   Parent Loop BB186_18 Depth=1
                                        ; =>  This Inner Loop Header: Depth=2
	v_cmp_gt_u64_e32 vcc, s[60:61], v[32:33]
	s_waitcnt vmcnt(0)
	v_pk_mov_b32 v[4:5], 0, 0
	s_and_saveexec_b64 s[34:35], vcc
	s_cbranch_execz .LBB186_121
; %bb.120:                              ;   in Loop: Header=BB186_119 Depth=2
	v_mul_lo_u32 v2, v33, s58
	v_mul_lo_u32 v8, v32, s59
	v_mad_u64_u32 v[4:5], s[6:7], v32, s58, 0
	v_add3_u32 v5, v5, v8, v2
	v_lshlrev_b64 v[4:5], 3, v[4:5]
	v_mov_b32_e32 v2, s88
	v_add_co_u32_e64 v4, s[6:7], s33, v4
	v_addc_co_u32_e64 v5, s[6:7], v2, v5, s[6:7]
	global_load_dwordx2 v[4:5], v[4:5], off
.LBB186_121:                            ;   in Loop: Header=BB186_119 Depth=2
	s_or_b64 exec, exec, s[34:35]
	s_and_saveexec_b64 s[6:7], vcc
	s_cbranch_execz .LBB186_118
; %bb.122:                              ;   in Loop: Header=BB186_119 Depth=2
	s_waitcnt vmcnt(0)
	v_ashrrev_i32_e32 v2, 31, v5
	v_or_b32_e32 v8, 0x80000000, v2
	v_xor_b32_e32 v8, v8, v5
	v_xor_b32_e32 v2, v2, v4
	v_cmp_o_f64_e32 vcc, v[4:5], v[4:5]
	v_cndmask_b32_e32 v8, -1, v8, vcc
	v_cndmask_b32_e32 v2, -1, v2, vcc
	v_and_b32_e32 v9, v8, v15
	v_and_b32_e32 v8, v2, v14
	v_cmp_eq_u64_e32 vcc, v[8:9], v[12:13]
	s_and_b64 exec, exec, vcc
	s_cbranch_execz .LBB186_118
; %bb.123:                              ;   in Loop: Header=BB186_119 Depth=2
	v_mov_b32_e32 v2, v21
	ds_write_b128 v21, v[2:5] offset:3072
	s_branch .LBB186_118
.LBB186_124:                            ;   in Loop: Header=BB186_18 Depth=1
	s_or_b64 exec, exec, s[24:25]
	s_and_b64 s[6:7], s[12:13], exec
.LBB186_125:                            ;   in Loop: Header=BB186_18 Depth=1
	s_or_b64 exec, exec, s[2:3]
	s_mov_b64 s[40:41], -1
	s_mov_b64 s[24:25], 0
	s_mov_b64 s[38:39], 0
.LBB186_126:                            ;   in Loop: Header=BB186_18 Depth=1
	s_orn2_b64 s[2:3], s[6:7], exec
.LBB186_127:                            ;   in Loop: Header=BB186_18 Depth=1
	s_or_b64 exec, exec, s[10:11]
	s_mov_b64 s[42:43], 0
	s_mov_b64 s[36:37], 0
	;; [unrolled: 1-line block ×3, first 2 shown]
                                        ; implicit-def: $vgpr2
                                        ; implicit-def: $vgpr30_vgpr31
	s_and_saveexec_b64 s[44:45], s[2:3]
	s_cbranch_execz .LBB186_291
; %bb.128:                              ;   in Loop: Header=BB186_18 Depth=1
	s_waitcnt vmcnt(0)
	v_mov_b32_e32 v30, 1
	s_xor_b64 s[8:9], s[8:9], -1
	s_mov_b64 s[6:7], 0
	v_mov_b32_e32 v31, 0
	v_mov_b32_e32 v2, 1
	s_and_saveexec_b64 s[2:3], s[8:9]
	s_cbranch_execz .LBB186_138
; %bb.129:                              ;   in Loop: Header=BB186_18 Depth=1
	v_cmp_ge_u64_e32 vcc, s[16:17], v[28:29]
                                        ; implicit-def: $sgpr10
                                        ; implicit-def: $sgpr6_sgpr7
	s_and_saveexec_b64 s[8:9], vcc
	s_xor_b64 s[8:9], exec, s[8:9]
	s_cbranch_execz .LBB186_135
; %bb.130:                              ;   in Loop: Header=BB186_18 Depth=1
	ds_read_b64 v[4:5], v21 offset:5120
	s_waitcnt lgkmcnt(0)
	v_cmp_ne_u64_e32 vcc, 0, v[4:5]
	s_cbranch_vccnz .LBB186_134
; %bb.131:                              ;   in Loop: Header=BB186_18 Depth=1
	s_mov_b64 s[6:7], exec
	v_readlane_b32 s10, v55, 32
	v_readlane_b32 s11, v55, 33
	s_and_b64 s[10:11], s[6:7], s[10:11]
	s_mov_b64 exec, s[10:11]
	s_cbranch_execz .LBB186_133
; %bb.132:                              ;   in Loop: Header=BB186_18 Depth=1
	v_pk_mov_b32 v[4:5], s[16:17], s[16:17] op_sel:[0,1]
	ds_write_b64 v21, v[4:5] offset:5128
.LBB186_133:                            ;   in Loop: Header=BB186_18 Depth=1
	s_or_b64 exec, exec, s[6:7]
	s_waitcnt lgkmcnt(0)
	s_barrier
.LBB186_134:                            ;   in Loop: Header=BB186_18 Depth=1
	v_and_b32_e32 v13, s21, v13
	v_and_b32_e32 v12, s20, v12
	v_or_b32_e32 v15, s19, v15
	v_or_b32_e32 v14, s18, v14
	s_mov_b64 s[6:7], 0
	s_mov_b32 s10, 8
.LBB186_135:                            ;   in Loop: Header=BB186_18 Depth=1
	s_or_saveexec_b64 s[8:9], s[8:9]
	v_mov_b32_e32 v2, s10
	v_pk_mov_b32 v[30:31], v[28:29], v[28:29] op_sel:[0,1]
	s_xor_b64 exec, exec, s[8:9]
; %bb.136:                              ;   in Loop: Header=BB186_18 Depth=1
	v_mov_b32_e32 v2, s17
	v_subrev_co_u32_e32 v30, vcc, s16, v28
	v_subb_co_u32_e32 v31, vcc, v29, v2, vcc
	v_mov_b32_e32 v2, 0
	s_or_b64 s[6:7], s[6:7], exec
; %bb.137:                              ;   in Loop: Header=BB186_18 Depth=1
	s_or_b64 exec, exec, s[8:9]
	s_and_b64 s[6:7], s[6:7], exec
.LBB186_138:                            ;   in Loop: Header=BB186_18 Depth=1
	s_or_b64 exec, exec, s[2:3]
	s_mov_b64 s[36:37], -1
                                        ; implicit-def: $sgpr2_sgpr3
                                        ; implicit-def: $sgpr8_sgpr9
                                        ; implicit-def: $sgpr10_sgpr11
	s_and_saveexec_b64 s[12:13], s[6:7]
	s_xor_b64 s[34:35], exec, s[12:13]
	s_cbranch_execz .LBB186_288
; %bb.139:                              ;   in Loop: Header=BB186_18 Depth=1
	s_cmp_eq_u64 s[22:23], 1
	s_cselect_b64 s[2:3], -1, 0
	v_cmp_eq_u64_e32 vcc, 1, v[30:31]
	s_and_b64 s[8:9], s[2:3], vcc
	s_mov_b64 s[2:3], -1
                                        ; implicit-def: $sgpr36_sgpr37
                                        ; implicit-def: $sgpr48_sgpr49
                                        ; implicit-def: $sgpr46_sgpr47
	s_and_saveexec_b64 s[10:11], s[8:9]
	s_cbranch_execz .LBB186_173
; %bb.140:                              ;   in Loop: Header=BB186_18 Depth=1
	ds_read_b64 v[4:5], v21 offset:5120
	s_waitcnt lgkmcnt(0)
	s_barrier
	v_readfirstlane_b32 s2, v4
	v_readfirstlane_b32 s3, v5
	s_mov_b64 s[6:7], exec
	v_readlane_b32 s12, v55, 48
	v_readlane_b32 s13, v55, 49
	s_and_b64 s[12:13], s[6:7], s[12:13]
	s_mov_b64 exec, s[12:13]
	s_cbranch_execz .LBB186_142
; %bb.141:                              ;   in Loop: Header=BB186_18 Depth=1
	v_mov_b32_e32 v20, v21
	ds_write_b64 v40, v[20:21]
.LBB186_142:                            ;   in Loop: Header=BB186_18 Depth=1
	s_or_b64 exec, exec, s[6:7]
	s_lshl_b64 s[6:7], 1, s90
	v_and_b32_e32 v2, s21, v13
	v_and_b32_e32 v4, s20, v12
	v_or_b32_e32 v13, s7, v2
	v_or_b32_e32 v12, s6, v4
	;; [unrolled: 1-line block ×4, first 2 shown]
	s_cmp_eq_u64 s[2:3], 0
	s_waitcnt lgkmcnt(0)
	s_barrier
	s_cbranch_scc1 .LBB186_156
; %bb.143:                              ;   in Loop: Header=BB186_18 Depth=1
	v_readlane_b32 s6, v55, 52
	s_add_u32 s36, s6, s2
	v_readlane_b32 s6, v55, 54
	s_addc_u32 s7, s6, s3
	s_mov_b32 s6, s91
	s_cmp_lg_u64 s[6:7], 0
	s_cbranch_scc0 .LBB186_200
; %bb.144:                              ;   in Loop: Header=BB186_18 Depth=1
	v_cvt_f32_u32_e32 v2, s89
	s_sub_u32 s6, 0, s89
	s_subb_u32 s12, 0, 0
	v_mac_f32_e32 v2, 0, v43
	v_rcp_f32_e32 v2, v2
	v_mul_f32_e32 v2, 0x5f7ffffc, v2
	v_mul_f32_e32 v4, 0x2f800000, v2
	v_trunc_f32_e32 v4, v4
	v_mac_f32_e32 v2, 0xcf800000, v4
	v_cvt_u32_f32_e32 v4, v4
	v_cvt_u32_f32_e32 v2, v2
	v_readfirstlane_b32 s13, v4
	v_readfirstlane_b32 s37, v2
	s_mul_i32 s46, s6, s13
	s_mul_hi_u32 s48, s6, s37
	s_mul_i32 s47, s12, s37
	s_add_i32 s46, s48, s46
	s_mul_i32 s49, s6, s37
	s_add_i32 s46, s46, s47
	s_mul_hi_u32 s48, s37, s49
	s_mul_hi_u32 s47, s37, s46
	s_mul_i32 s37, s37, s46
	s_add_u32 s37, s48, s37
	s_addc_u32 s47, 0, s47
	s_mul_hi_u32 s50, s13, s49
	s_mul_i32 s49, s13, s49
	s_add_u32 s37, s37, s49
	s_mul_hi_u32 s48, s13, s46
	s_addc_u32 s37, s47, s50
	s_addc_u32 s47, s48, 0
	s_mul_i32 s46, s13, s46
	s_add_u32 s37, s37, s46
	s_addc_u32 s46, 0, s47
	v_add_co_u32_e32 v2, vcc, s37, v2
	s_cmp_lg_u64 vcc, 0
	s_addc_u32 s13, s13, s46
	v_readfirstlane_b32 s46, v2
	s_mul_i32 s37, s6, s13
	s_mul_hi_u32 s47, s6, s46
	s_add_i32 s37, s47, s37
	s_mul_i32 s12, s12, s46
	s_add_i32 s37, s37, s12
	s_mul_i32 s6, s6, s46
	s_mul_hi_u32 s47, s13, s6
	s_mul_i32 s48, s13, s6
	s_mul_i32 s50, s46, s37
	s_mul_hi_u32 s6, s46, s6
	s_mul_hi_u32 s49, s46, s37
	s_add_u32 s6, s6, s50
	s_addc_u32 s46, 0, s49
	s_add_u32 s6, s6, s48
	s_mul_hi_u32 s12, s13, s37
	s_addc_u32 s6, s46, s47
	s_addc_u32 s12, s12, 0
	s_mul_i32 s37, s13, s37
	s_add_u32 s6, s6, s37
	s_addc_u32 s12, 0, s12
	v_add_co_u32_e32 v2, vcc, s6, v2
	s_cmp_lg_u64 vcc, 0
	s_addc_u32 s6, s13, s12
	v_readfirstlane_b32 s37, v2
	s_mul_i32 s13, s36, s6
	s_mul_hi_u32 s46, s36, s37
	s_mul_hi_u32 s12, s36, s6
	s_add_u32 s13, s46, s13
	s_addc_u32 s12, 0, s12
	s_mul_hi_u32 s47, s7, s37
	s_mul_i32 s37, s7, s37
	s_add_u32 s13, s13, s37
	s_mul_hi_u32 s46, s7, s6
	s_addc_u32 s12, s12, s47
	s_addc_u32 s13, s46, 0
	s_mul_i32 s6, s7, s6
	s_add_u32 s6, s12, s6
	s_addc_u32 s12, 0, s13
	s_mul_hi_u32 s13, s89, s6
	s_mul_i32 s6, s89, s6
	s_mul_i32 s12, s89, s12
	v_mov_b32_e32 v2, s6
	s_add_i32 s13, s13, s12
	v_sub_co_u32_e32 v2, vcc, s36, v2
	s_cmp_lg_u64 vcc, 0
	s_subb_u32 s6, s7, s13
	v_subrev_co_u32_e32 v4, vcc, s89, v2
	s_cmp_lg_u64 vcc, 0
	s_subb_u32 s12, s6, 0
	v_subrev_co_u32_e32 v5, vcc, s89, v4
	s_cmp_lg_u64 vcc, 0
	s_subb_u32 s13, s12, 0
	v_cmp_le_u32_e32 vcc, s89, v4
	s_cmp_eq_u32 s12, 0
	v_cndmask_b32_e64 v8, 0, -1, vcc
	s_cselect_b64 vcc, -1, 0
	v_cndmask_b32_e32 v8, -1, v8, vcc
	v_mov_b32_e32 v9, s12
	v_mov_b32_e32 v10, s13
	v_cmp_ne_u32_e32 vcc, 0, v8
	v_cndmask_b32_e32 v8, v9, v10, vcc
	v_cndmask_b32_e32 v4, v4, v5, vcc
	v_cmp_le_u32_e32 vcc, s89, v2
	s_cmp_eq_u32 s6, 0
	v_cndmask_b32_e64 v5, 0, -1, vcc
	s_cselect_b64 vcc, -1, 0
	v_cndmask_b32_e32 v5, -1, v5, vcc
	v_mov_b32_e32 v9, s6
	v_cmp_ne_u32_e32 vcc, 0, v5
	v_cndmask_b32_e32 v5, v9, v8, vcc
	v_cndmask_b32_e32 v4, v2, v4, vcc
	s_cbranch_execnz .LBB186_146
.LBB186_145:                            ;   in Loop: Header=BB186_18 Depth=1
	v_cvt_f32_u32_e32 v2, s89
	s_sub_i32 s6, 0, s89
	v_rcp_iflag_f32_e32 v2, v2
	v_mul_f32_e32 v2, 0x4f7ffffe, v2
	v_cvt_u32_f32_e32 v2, v2
	v_mul_lo_u32 v4, s6, v2
	v_mul_hi_u32 v4, v2, v4
	v_add_u32_e32 v2, v2, v4
	v_mul_hi_u32 v2, s36, v2
	v_mul_lo_u32 v2, v2, s89
	v_sub_u32_e32 v2, s36, v2
	v_subrev_u32_e32 v4, s89, v2
	v_cmp_le_u32_e32 vcc, s89, v2
	v_cndmask_b32_e32 v2, v2, v4, vcc
	v_subrev_u32_e32 v4, s89, v2
	v_cmp_le_u32_e32 vcc, s89, v2
	v_cndmask_b32_e32 v20, v2, v4, vcc
	v_pk_mov_b32 v[4:5], v[20:21], v[20:21] op_sel:[0,1]
.LBB186_146:                            ;   in Loop: Header=BB186_18 Depth=1
	v_mov_b32_e32 v2, s7
	v_sub_co_u32_e32 v32, vcc, s36, v4
	v_subb_co_u32_e32 v33, vcc, v2, v5, vcc
	v_cmp_gt_u64_e32 vcc, v[32:33], v[0:1]
	s_mov_b64 s[6:7], 0
                                        ; implicit-def: $vgpr10_vgpr11
	s_and_saveexec_b64 s[12:13], vcc
	s_cbranch_execz .LBB186_158
; %bb.147:                              ;   in Loop: Header=BB186_18 Depth=1
	s_mov_b64 s[46:47], 0
	v_mov_b32_e32 v20, v39
	v_pk_mov_b32 v[34:35], v[0:1], v[0:1] op_sel:[0,1]
                                        ; implicit-def: $sgpr36_sgpr37
	s_branch .LBB186_149
.LBB186_148:                            ;   in Loop: Header=BB186_149 Depth=2
	s_or_b64 exec, exec, s[6:7]
	s_waitcnt lgkmcnt(0)
	s_barrier
	ds_read_b128 v[8:11], v21 offset:3072
	v_mov_b32_e32 v2, s74
	v_add_co_u32_e64 v34, s[6:7], s89, v34
	v_addc_co_u32_e64 v35, s[6:7], v35, v2, s[6:7]
	s_waitcnt lgkmcnt(0)
	v_cmp_neq_f64_e32 vcc, 0, v[8:9]
	v_cmp_ge_u64_e64 s[6:7], v[34:35], v[32:33]
	s_or_b64 s[6:7], s[6:7], vcc
	s_and_b64 s[6:7], exec, s[6:7]
	s_or_b64 s[46:47], s[6:7], s[46:47]
	s_andn2_b64 s[6:7], s[36:37], exec
	s_and_b64 s[36:37], vcc, exec
	v_add_u32_e32 v20, s5, v20
	s_or_b64 s[36:37], s[6:7], s[36:37]
	s_barrier
	s_andn2_b64 exec, exec, s[46:47]
	s_cbranch_execz .LBB186_157
.LBB186_149:                            ;   Parent Loop BB186_18 Depth=1
                                        ; =>  This Inner Loop Header: Depth=2
	v_cmp_gt_u64_e32 vcc, s[2:3], v[34:35]
	v_pk_mov_b32 v[4:5], 0, 0
	s_and_saveexec_b64 s[6:7], vcc
	s_cbranch_execz .LBB186_151
; %bb.150:                              ;   in Loop: Header=BB186_149 Depth=2
	ds_read_b64 v[4:5], v20
.LBB186_151:                            ;   in Loop: Header=BB186_149 Depth=2
	s_or_b64 exec, exec, s[6:7]
	s_and_saveexec_b64 s[6:7], vcc
	s_cbranch_execz .LBB186_148
; %bb.152:                              ;   in Loop: Header=BB186_149 Depth=2
	s_waitcnt lgkmcnt(0)
	v_ashrrev_i32_e32 v2, 31, v5
	v_or_b32_e32 v8, 0x80000000, v2
	v_xor_b32_e32 v8, v8, v5
	v_xor_b32_e32 v2, v2, v4
	v_cmp_o_f64_e32 vcc, v[4:5], v[4:5]
	v_cndmask_b32_e32 v8, -1, v8, vcc
	v_cndmask_b32_e32 v2, -1, v2, vcc
	v_and_b32_e32 v9, v8, v15
	v_and_b32_e32 v8, v2, v14
	v_cmp_eq_u64_e32 vcc, v[8:9], v[12:13]
	s_and_b64 exec, exec, vcc
	s_cbranch_execz .LBB186_148
; %bb.153:                              ;   in Loop: Header=BB186_149 Depth=2
	v_mov_b32_e32 v2, v21
	ds_write_b128 v21, v[2:5] offset:3072
	s_branch .LBB186_148
.LBB186_154:                            ;   in Loop: Header=BB186_18 Depth=1
                                        ; implicit-def: $vgpr4_vgpr5
	s_branch .LBB186_96
.LBB186_155:                            ;   in Loop: Header=BB186_18 Depth=1
                                        ; implicit-def: $vgpr4_vgpr5
	s_branch .LBB186_115
.LBB186_156:                            ;   in Loop: Header=BB186_18 Depth=1
	s_mov_b64 s[36:37], -1
	s_mov_b64 s[6:7], 0
                                        ; implicit-def: $sgpr46_sgpr47
                                        ; implicit-def: $vgpr10_vgpr11
	s_mov_b64 s[48:49], s[36:37]
	s_cbranch_execnz .LBB186_159
	s_branch .LBB186_172
.LBB186_157:                            ;   in Loop: Header=BB186_18 Depth=1
	s_or_b64 exec, exec, s[46:47]
	s_and_b64 s[6:7], s[36:37], exec
.LBB186_158:                            ;   in Loop: Header=BB186_18 Depth=1
	s_or_b64 exec, exec, s[12:13]
	s_mov_b64 s[46:47], -1
	s_mov_b64 s[36:37], 0
	s_mov_b64 s[48:49], s[36:37]
	s_branch .LBB186_172
.LBB186_159:                            ;   in Loop: Header=BB186_18 Depth=1
	s_mov_b32 s72, s91
	s_cmp_lg_u64 s[72:73], 0
	s_cbranch_scc0 .LBB186_201
; %bb.160:                              ;   in Loop: Header=BB186_18 Depth=1
	v_cvt_f32_u32_e32 v2, s89
	s_sub_u32 s2, 0, s89
	s_subb_u32 s3, 0, 0
	v_mac_f32_e32 v2, 0, v43
	v_rcp_f32_e32 v2, v2
	v_mul_f32_e32 v2, 0x5f7ffffc, v2
	v_mul_f32_e32 v4, 0x2f800000, v2
	v_trunc_f32_e32 v4, v4
	v_mac_f32_e32 v2, 0xcf800000, v4
	v_cvt_u32_f32_e32 v4, v4
	v_cvt_u32_f32_e32 v2, v2
	v_readfirstlane_b32 s6, v4
	v_readfirstlane_b32 s7, v2
	s_mul_i32 s12, s2, s6
	s_mul_hi_u32 s36, s2, s7
	s_mul_i32 s13, s3, s7
	s_add_i32 s12, s36, s12
	s_mul_i32 s37, s2, s7
	s_add_i32 s12, s12, s13
	s_mul_hi_u32 s36, s7, s37
	s_mul_hi_u32 s13, s7, s12
	s_mul_i32 s7, s7, s12
	s_add_u32 s7, s36, s7
	s_addc_u32 s13, 0, s13
	s_mul_hi_u32 s46, s6, s37
	s_mul_i32 s37, s6, s37
	s_add_u32 s7, s7, s37
	s_mul_hi_u32 s36, s6, s12
	s_addc_u32 s7, s13, s46
	s_addc_u32 s13, s36, 0
	s_mul_i32 s12, s6, s12
	s_add_u32 s7, s7, s12
	s_addc_u32 s12, 0, s13
	v_add_co_u32_e32 v2, vcc, s7, v2
	s_cmp_lg_u64 vcc, 0
	s_addc_u32 s6, s6, s12
	v_readfirstlane_b32 s12, v2
	s_mul_i32 s7, s2, s6
	s_mul_hi_u32 s13, s2, s12
	s_add_i32 s7, s13, s7
	s_mul_i32 s3, s3, s12
	s_add_i32 s7, s7, s3
	s_mul_i32 s2, s2, s12
	s_mul_hi_u32 s13, s6, s2
	s_mul_i32 s36, s6, s2
	s_mul_i32 s46, s12, s7
	s_mul_hi_u32 s2, s12, s2
	s_mul_hi_u32 s37, s12, s7
	s_add_u32 s2, s2, s46
	s_addc_u32 s12, 0, s37
	s_add_u32 s2, s2, s36
	s_mul_hi_u32 s3, s6, s7
	s_addc_u32 s2, s12, s13
	s_addc_u32 s3, s3, 0
	s_mul_i32 s7, s6, s7
	s_add_u32 s2, s2, s7
	s_addc_u32 s3, 0, s3
	v_add_co_u32_e32 v2, vcc, s2, v2
	s_cmp_lg_u64 vcc, 0
	s_addc_u32 s2, s6, s3
	v_readlane_b32 s36, v55, 53
	v_readfirstlane_b32 s7, v2
	s_mul_i32 s6, s36, s2
	s_mul_hi_u32 s12, s36, s7
	s_mul_hi_u32 s3, s36, s2
	s_add_u32 s6, s12, s6
	s_addc_u32 s3, 0, s3
	s_mul_hi_u32 s13, s73, s7
	s_mul_i32 s7, s73, s7
	s_add_u32 s6, s6, s7
	s_mul_hi_u32 s12, s73, s2
	s_addc_u32 s3, s3, s13
	s_addc_u32 s6, s12, 0
	s_mul_i32 s2, s73, s2
	s_add_u32 s2, s3, s2
	s_addc_u32 s3, 0, s6
	s_mul_hi_u32 s6, s89, s2
	s_mul_i32 s2, s89, s2
	s_mul_i32 s3, s89, s3
	v_mov_b32_e32 v2, s2
	s_add_i32 s6, s6, s3
	v_sub_co_u32_e32 v2, vcc, s36, v2
	s_cmp_lg_u64 vcc, 0
	s_subb_u32 s2, s73, s6
	v_subrev_co_u32_e32 v4, vcc, s89, v2
	s_cmp_lg_u64 vcc, 0
	s_subb_u32 s3, s2, 0
	v_subrev_co_u32_e32 v5, vcc, s89, v4
	s_cmp_lg_u64 vcc, 0
	s_subb_u32 s6, s3, 0
	v_cmp_le_u32_e32 vcc, s89, v4
	s_cmp_eq_u32 s3, 0
	v_cndmask_b32_e64 v8, 0, -1, vcc
	s_cselect_b64 vcc, -1, 0
	v_cndmask_b32_e32 v8, -1, v8, vcc
	v_mov_b32_e32 v9, s3
	v_mov_b32_e32 v10, s6
	v_cmp_ne_u32_e32 vcc, 0, v8
	v_cndmask_b32_e32 v8, v9, v10, vcc
	v_cndmask_b32_e32 v4, v4, v5, vcc
	v_cmp_le_u32_e32 vcc, s89, v2
	s_cmp_eq_u32 s2, 0
	v_cndmask_b32_e64 v5, 0, -1, vcc
	s_cselect_b64 vcc, -1, 0
	v_cndmask_b32_e32 v5, -1, v5, vcc
	v_mov_b32_e32 v9, s2
	v_cmp_ne_u32_e32 vcc, 0, v5
	v_cndmask_b32_e32 v5, v9, v8, vcc
	v_cndmask_b32_e32 v4, v2, v4, vcc
	s_cbranch_execnz .LBB186_162
.LBB186_161:                            ;   in Loop: Header=BB186_18 Depth=1
	v_cvt_f32_u32_e32 v2, s89
	s_sub_i32 s2, 0, s89
	v_rcp_iflag_f32_e32 v2, v2
	v_mul_f32_e32 v2, 0x4f7ffffe, v2
	v_cvt_u32_f32_e32 v2, v2
	v_mul_lo_u32 v4, s2, v2
	v_mul_hi_u32 v4, v2, v4
	v_add_u32_e32 v2, v2, v4
	v_readlane_b32 s2, v55, 53
	v_mul_hi_u32 v2, s2, v2
	v_mul_lo_u32 v2, v2, s89
	v_sub_u32_e32 v2, s2, v2
	v_subrev_u32_e32 v4, s89, v2
	v_cmp_le_u32_e32 vcc, s89, v2
	v_cndmask_b32_e32 v2, v2, v4, vcc
	v_subrev_u32_e32 v4, s89, v2
	v_cmp_le_u32_e32 vcc, s89, v2
	v_cndmask_b32_e32 v20, v2, v4, vcc
	v_pk_mov_b32 v[4:5], v[20:21], v[20:21] op_sel:[0,1]
.LBB186_162:                            ;   in Loop: Header=BB186_18 Depth=1
	v_readlane_b32 s2, v55, 53
	v_mov_b32_e32 v2, s73
	v_sub_co_u32_e32 v32, vcc, s2, v4
	v_subb_co_u32_e32 v33, vcc, v2, v5, vcc
	v_cmp_gt_u64_e32 vcc, v[32:33], v[0:1]
	s_mov_b64 s[6:7], 0
                                        ; implicit-def: $vgpr10_vgpr11
	s_and_saveexec_b64 s[2:3], vcc
	s_cbranch_execz .LBB186_171
; %bb.163:                              ;   in Loop: Header=BB186_18 Depth=1
	s_mov_b64 s[36:37], 0
	v_pk_mov_b32 v[34:35], v[0:1], v[0:1] op_sel:[0,1]
                                        ; implicit-def: $sgpr12_sgpr13
	s_branch .LBB186_165
.LBB186_164:                            ;   in Loop: Header=BB186_165 Depth=2
	s_or_b64 exec, exec, s[6:7]
	s_waitcnt lgkmcnt(0)
	s_barrier
	ds_read_b128 v[8:11], v21 offset:3072
	v_mov_b32_e32 v2, s74
	v_add_co_u32_e64 v34, s[6:7], s89, v34
	v_addc_co_u32_e64 v35, s[6:7], v35, v2, s[6:7]
	s_waitcnt lgkmcnt(0)
	v_cmp_neq_f64_e32 vcc, 0, v[8:9]
	v_cmp_ge_u64_e64 s[6:7], v[34:35], v[32:33]
	s_or_b64 s[6:7], s[6:7], vcc
	s_and_b64 s[6:7], exec, s[6:7]
	s_or_b64 s[36:37], s[6:7], s[36:37]
	s_andn2_b64 s[6:7], s[12:13], exec
	s_and_b64 s[12:13], vcc, exec
	s_or_b64 s[12:13], s[6:7], s[12:13]
	s_barrier
	s_andn2_b64 exec, exec, s[36:37]
	s_cbranch_execz .LBB186_170
.LBB186_165:                            ;   Parent Loop BB186_18 Depth=1
                                        ; =>  This Inner Loop Header: Depth=2
	v_cmp_gt_u64_e32 vcc, s[60:61], v[34:35]
	s_waitcnt vmcnt(0)
	v_pk_mov_b32 v[4:5], 0, 0
	s_and_saveexec_b64 s[46:47], vcc
	s_cbranch_execz .LBB186_167
; %bb.166:                              ;   in Loop: Header=BB186_165 Depth=2
	v_mul_lo_u32 v2, v35, s58
	v_mul_lo_u32 v8, v34, s59
	v_mad_u64_u32 v[4:5], s[6:7], v34, s58, 0
	v_add3_u32 v5, v5, v8, v2
	v_lshlrev_b64 v[4:5], 3, v[4:5]
	v_mov_b32_e32 v2, s88
	v_add_co_u32_e64 v4, s[6:7], s33, v4
	v_addc_co_u32_e64 v5, s[6:7], v2, v5, s[6:7]
	global_load_dwordx2 v[4:5], v[4:5], off
.LBB186_167:                            ;   in Loop: Header=BB186_165 Depth=2
	s_or_b64 exec, exec, s[46:47]
	s_and_saveexec_b64 s[6:7], vcc
	s_cbranch_execz .LBB186_164
; %bb.168:                              ;   in Loop: Header=BB186_165 Depth=2
	s_waitcnt vmcnt(0)
	v_ashrrev_i32_e32 v2, 31, v5
	v_or_b32_e32 v8, 0x80000000, v2
	v_xor_b32_e32 v8, v8, v5
	v_xor_b32_e32 v2, v2, v4
	v_cmp_o_f64_e32 vcc, v[4:5], v[4:5]
	v_cndmask_b32_e32 v8, -1, v8, vcc
	v_cndmask_b32_e32 v2, -1, v2, vcc
	v_and_b32_e32 v9, v8, v15
	v_and_b32_e32 v8, v2, v14
	v_cmp_eq_u64_e32 vcc, v[8:9], v[12:13]
	s_and_b64 exec, exec, vcc
	s_cbranch_execz .LBB186_164
; %bb.169:                              ;   in Loop: Header=BB186_165 Depth=2
	v_mov_b32_e32 v2, v21
	ds_write_b128 v21, v[2:5] offset:3072
	s_branch .LBB186_164
.LBB186_170:                            ;   in Loop: Header=BB186_18 Depth=1
	s_or_b64 exec, exec, s[36:37]
	s_and_b64 s[6:7], s[12:13], exec
.LBB186_171:                            ;   in Loop: Header=BB186_18 Depth=1
	s_or_b64 exec, exec, s[2:3]
	s_mov_b64 s[48:49], -1
	s_mov_b64 s[36:37], 0
	s_mov_b64 s[46:47], 0
.LBB186_172:                            ;   in Loop: Header=BB186_18 Depth=1
	s_orn2_b64 s[2:3], s[6:7], exec
.LBB186_173:                            ;   in Loop: Header=BB186_18 Depth=1
	s_or_b64 exec, exec, s[10:11]
	s_mov_b64 s[6:7], 0
                                        ; implicit-def: $vgpr2
	s_and_saveexec_b64 s[50:51], s[2:3]
	s_cbranch_execz .LBB186_287
; %bb.174:                              ;   in Loop: Header=BB186_18 Depth=1
	v_mov_b32_e32 v32, 1
	s_xor_b64 s[6:7], s[8:9], -1
	s_mov_b64 s[10:11], 0
	v_mov_b32_e32 v33, 0
	v_mov_b32_e32 v2, 1
	s_and_saveexec_b64 s[2:3], s[6:7]
	s_cbranch_execz .LBB186_184
; %bb.175:                              ;   in Loop: Header=BB186_18 Depth=1
	v_cmp_ge_u64_e32 vcc, s[22:23], v[30:31]
                                        ; implicit-def: $sgpr10
                                        ; implicit-def: $sgpr6_sgpr7
	s_and_saveexec_b64 s[8:9], vcc
	s_xor_b64 s[8:9], exec, s[8:9]
	s_cbranch_execz .LBB186_181
; %bb.176:                              ;   in Loop: Header=BB186_18 Depth=1
	s_waitcnt vmcnt(0)
	ds_read_b64 v[4:5], v21 offset:5120
	s_waitcnt lgkmcnt(0)
	v_cmp_ne_u64_e32 vcc, 0, v[4:5]
	s_cbranch_vccnz .LBB186_180
; %bb.177:                              ;   in Loop: Header=BB186_18 Depth=1
	s_mov_b64 s[6:7], exec
	v_readlane_b32 s10, v55, 32
	v_readlane_b32 s11, v55, 33
	s_and_b64 s[10:11], s[6:7], s[10:11]
	s_mov_b64 exec, s[10:11]
	s_cbranch_execz .LBB186_179
; %bb.178:                              ;   in Loop: Header=BB186_18 Depth=1
	v_pk_mov_b32 v[4:5], s[22:23], s[22:23] op_sel:[0,1]
	ds_write_b64 v21, v[4:5] offset:5128
.LBB186_179:                            ;   in Loop: Header=BB186_18 Depth=1
	s_or_b64 exec, exec, s[6:7]
	s_waitcnt lgkmcnt(0)
	s_barrier
.LBB186_180:                            ;   in Loop: Header=BB186_18 Depth=1
	s_lshl_b64 s[6:7], 1, s90
	v_and_b32_e32 v2, s21, v13
	v_and_b32_e32 v4, s20, v12
	v_or_b32_e32 v13, s7, v2
	v_or_b32_e32 v12, s6, v4
	;; [unrolled: 1-line block ×4, first 2 shown]
	s_mov_b64 s[6:7], 0
	s_mov_b32 s10, 8
.LBB186_181:                            ;   in Loop: Header=BB186_18 Depth=1
	s_or_saveexec_b64 s[8:9], s[8:9]
	v_mov_b32_e32 v2, s10
	s_xor_b64 exec, exec, s[8:9]
; %bb.182:                              ;   in Loop: Header=BB186_18 Depth=1
	v_mov_b32_e32 v2, s23
	v_subrev_co_u32_e32 v30, vcc, s22, v30
	v_subb_co_u32_e32 v31, vcc, v31, v2, vcc
	v_mov_b32_e32 v2, 0
	s_or_b64 s[6:7], s[6:7], exec
; %bb.183:                              ;   in Loop: Header=BB186_18 Depth=1
	s_or_b64 exec, exec, s[8:9]
	s_and_b64 s[10:11], s[6:7], exec
	v_pk_mov_b32 v[32:33], v[30:31], v[30:31] op_sel:[0,1]
.LBB186_184:                            ;   in Loop: Header=BB186_18 Depth=1
	s_or_b64 exec, exec, s[2:3]
	s_mov_b64 s[2:3], -1
                                        ; implicit-def: $sgpr6_sgpr7
                                        ; implicit-def: $sgpr8_sgpr9
                                        ; implicit-def: $sgpr12_sgpr13
	s_and_saveexec_b64 s[52:53], s[10:11]
	s_cbranch_execz .LBB186_286
; %bb.185:                              ;   in Loop: Header=BB186_18 Depth=1
	s_cmp_eq_u64 s[26:27], 1
	s_cselect_b64 s[2:3], -1, 0
	v_cmp_eq_u64_e32 vcc, 1, v[32:33]
	s_and_b64 s[94:95], s[2:3], vcc
	s_mov_b64 s[6:7], -1
                                        ; implicit-def: $sgpr8_sgpr9
                                        ; implicit-def: $sgpr2_sgpr3
                                        ; kill: killed $sgpr2_sgpr3
                                        ; implicit-def: $vcc
	s_and_saveexec_b64 s[56:57], s[94:95]
	s_cbranch_execz .LBB186_220
; %bb.186:                              ;   in Loop: Header=BB186_18 Depth=1
	s_waitcnt vmcnt(0)
	ds_read_b64 v[4:5], v21 offset:5120
	s_waitcnt lgkmcnt(0)
	s_barrier
	v_readfirstlane_b32 s2, v4
	v_readfirstlane_b32 s3, v5
	s_mov_b64 s[6:7], exec
	v_readlane_b32 s8, v55, 48
	v_readlane_b32 s9, v55, 49
	s_and_b64 s[8:9], s[6:7], s[8:9]
	s_mov_b64 exec, s[8:9]
	s_cbranch_execz .LBB186_188
; %bb.187:                              ;   in Loop: Header=BB186_18 Depth=1
	v_mov_b32_e32 v20, v21
	ds_write_b64 v40, v[20:21]
.LBB186_188:                            ;   in Loop: Header=BB186_18 Depth=1
	s_or_b64 exec, exec, s[6:7]
	s_lshl_b64 s[6:7], 2, s90
	v_and_b32_e32 v2, s21, v13
	v_and_b32_e32 v4, s20, v12
	v_or_b32_e32 v13, s7, v2
	v_or_b32_e32 v12, s6, v4
	;; [unrolled: 1-line block ×4, first 2 shown]
	s_cmp_eq_u64 s[2:3], 0
	s_waitcnt lgkmcnt(0)
	s_barrier
	s_cbranch_scc1 .LBB186_202
; %bb.189:                              ;   in Loop: Header=BB186_18 Depth=1
	v_readlane_b32 s6, v55, 52
	s_add_u32 s10, s6, s2
	v_readlane_b32 s6, v55, 54
	s_addc_u32 s7, s6, s3
	s_mov_b32 s6, s91
	s_cmp_lg_u64 s[6:7], 0
	s_cbranch_scc0 .LBB186_238
; %bb.190:                              ;   in Loop: Header=BB186_18 Depth=1
	v_cvt_f32_u32_e32 v2, s89
	s_sub_u32 s6, 0, s89
	s_subb_u32 s8, 0, 0
	v_mac_f32_e32 v2, 0, v43
	v_rcp_f32_e32 v2, v2
	v_mul_f32_e32 v2, 0x5f7ffffc, v2
	v_mul_f32_e32 v4, 0x2f800000, v2
	v_trunc_f32_e32 v4, v4
	v_mac_f32_e32 v2, 0xcf800000, v4
	v_cvt_u32_f32_e32 v4, v4
	v_cvt_u32_f32_e32 v2, v2
	v_readfirstlane_b32 s9, v4
	v_readfirstlane_b32 s11, v2
	s_mul_i32 s12, s6, s9
	s_mul_hi_u32 s54, s6, s11
	s_mul_i32 s13, s8, s11
	s_add_i32 s12, s54, s12
	s_mul_i32 s55, s6, s11
	s_add_i32 s12, s12, s13
	s_mul_hi_u32 s54, s11, s55
	s_mul_hi_u32 s13, s11, s12
	s_mul_i32 s11, s11, s12
	s_add_u32 s11, s54, s11
	s_addc_u32 s13, 0, s13
	s_mul_hi_u32 s72, s9, s55
	s_mul_i32 s55, s9, s55
	s_add_u32 s11, s11, s55
	s_mul_hi_u32 s54, s9, s12
	s_addc_u32 s11, s13, s72
	s_addc_u32 s13, s54, 0
	s_mul_i32 s12, s9, s12
	s_add_u32 s11, s11, s12
	s_addc_u32 s12, 0, s13
	v_add_co_u32_e32 v2, vcc, s11, v2
	s_cmp_lg_u64 vcc, 0
	s_addc_u32 s9, s9, s12
	v_readfirstlane_b32 s12, v2
	s_mul_i32 s11, s6, s9
	s_mul_hi_u32 s13, s6, s12
	s_add_i32 s11, s13, s11
	s_mul_i32 s8, s8, s12
	s_add_i32 s11, s11, s8
	s_mul_i32 s6, s6, s12
	s_mul_hi_u32 s13, s9, s6
	s_mul_i32 s54, s9, s6
	s_mul_i32 s72, s12, s11
	s_mul_hi_u32 s6, s12, s6
	s_mul_hi_u32 s55, s12, s11
	s_add_u32 s6, s6, s72
	s_addc_u32 s12, 0, s55
	s_add_u32 s6, s6, s54
	s_mul_hi_u32 s8, s9, s11
	s_addc_u32 s6, s12, s13
	s_addc_u32 s8, s8, 0
	s_mul_i32 s11, s9, s11
	s_add_u32 s6, s6, s11
	s_addc_u32 s8, 0, s8
	v_add_co_u32_e32 v2, vcc, s6, v2
	s_cmp_lg_u64 vcc, 0
	s_addc_u32 s6, s9, s8
	v_readfirstlane_b32 s11, v2
	s_mul_i32 s9, s10, s6
	s_mul_hi_u32 s12, s10, s11
	s_mul_hi_u32 s8, s10, s6
	s_add_u32 s9, s12, s9
	s_addc_u32 s8, 0, s8
	s_mul_hi_u32 s13, s7, s11
	s_mul_i32 s11, s7, s11
	s_add_u32 s9, s9, s11
	s_mul_hi_u32 s12, s7, s6
	s_addc_u32 s8, s8, s13
	s_addc_u32 s9, s12, 0
	s_mul_i32 s6, s7, s6
	s_add_u32 s6, s8, s6
	s_addc_u32 s8, 0, s9
	s_mul_hi_u32 s9, s89, s6
	s_mul_i32 s6, s89, s6
	s_mul_i32 s8, s89, s8
	v_mov_b32_e32 v2, s6
	s_add_i32 s9, s9, s8
	v_sub_co_u32_e32 v2, vcc, s10, v2
	s_cmp_lg_u64 vcc, 0
	s_subb_u32 s6, s7, s9
	v_subrev_co_u32_e32 v4, vcc, s89, v2
	s_cmp_lg_u64 vcc, 0
	s_subb_u32 s8, s6, 0
	v_subrev_co_u32_e32 v5, vcc, s89, v4
	s_cmp_lg_u64 vcc, 0
	s_subb_u32 s9, s8, 0
	v_cmp_le_u32_e32 vcc, s89, v4
	s_cmp_eq_u32 s8, 0
	v_cndmask_b32_e64 v8, 0, -1, vcc
	s_cselect_b64 vcc, -1, 0
	v_cndmask_b32_e32 v8, -1, v8, vcc
	v_mov_b32_e32 v9, s8
	v_mov_b32_e32 v10, s9
	v_cmp_ne_u32_e32 vcc, 0, v8
	v_cndmask_b32_e32 v8, v9, v10, vcc
	v_cndmask_b32_e32 v4, v4, v5, vcc
	v_cmp_le_u32_e32 vcc, s89, v2
	s_cmp_eq_u32 s6, 0
	v_cndmask_b32_e64 v5, 0, -1, vcc
	s_cselect_b64 vcc, -1, 0
	v_cndmask_b32_e32 v5, -1, v5, vcc
	v_mov_b32_e32 v9, s6
	v_cmp_ne_u32_e32 vcc, 0, v5
	v_cndmask_b32_e32 v5, v9, v8, vcc
	v_cndmask_b32_e32 v4, v2, v4, vcc
	s_cbranch_execnz .LBB186_192
.LBB186_191:                            ;   in Loop: Header=BB186_18 Depth=1
	v_cvt_f32_u32_e32 v2, s89
	s_sub_i32 s6, 0, s89
	v_rcp_iflag_f32_e32 v2, v2
	v_mul_f32_e32 v2, 0x4f7ffffe, v2
	v_cvt_u32_f32_e32 v2, v2
	v_mul_lo_u32 v4, s6, v2
	v_mul_hi_u32 v4, v2, v4
	v_add_u32_e32 v2, v2, v4
	v_mul_hi_u32 v2, s10, v2
	v_mul_lo_u32 v2, v2, s89
	v_sub_u32_e32 v2, s10, v2
	v_subrev_u32_e32 v4, s89, v2
	v_cmp_le_u32_e32 vcc, s89, v2
	v_cndmask_b32_e32 v2, v2, v4, vcc
	v_subrev_u32_e32 v4, s89, v2
	v_cmp_le_u32_e32 vcc, s89, v2
	v_cndmask_b32_e32 v20, v2, v4, vcc
	v_pk_mov_b32 v[4:5], v[20:21], v[20:21] op_sel:[0,1]
.LBB186_192:                            ;   in Loop: Header=BB186_18 Depth=1
	v_mov_b32_e32 v2, s7
	v_sub_co_u32_e32 v30, vcc, s10, v4
	v_subb_co_u32_e32 v31, vcc, v2, v5, vcc
	v_cmp_gt_u64_e32 vcc, v[30:31], v[0:1]
	s_mov_b64 s[6:7], 0
                                        ; implicit-def: $vgpr10_vgpr11
	s_and_saveexec_b64 s[8:9], vcc
	s_cbranch_execz .LBB186_204
; %bb.193:                              ;   in Loop: Header=BB186_18 Depth=1
	s_mov_b64 s[12:13], 0
	v_mov_b32_e32 v20, v39
	v_pk_mov_b32 v[34:35], v[0:1], v[0:1] op_sel:[0,1]
                                        ; implicit-def: $sgpr10_sgpr11
	s_branch .LBB186_195
.LBB186_194:                            ;   in Loop: Header=BB186_195 Depth=2
	s_or_b64 exec, exec, s[6:7]
	s_waitcnt lgkmcnt(0)
	s_barrier
	ds_read_b128 v[8:11], v21 offset:3072
	v_mov_b32_e32 v2, s74
	v_add_co_u32_e64 v34, s[6:7], s89, v34
	v_addc_co_u32_e64 v35, s[6:7], v35, v2, s[6:7]
	s_waitcnt lgkmcnt(0)
	v_cmp_neq_f64_e32 vcc, 0, v[8:9]
	v_cmp_ge_u64_e64 s[6:7], v[34:35], v[30:31]
	s_or_b64 s[6:7], s[6:7], vcc
	s_and_b64 s[6:7], exec, s[6:7]
	s_or_b64 s[12:13], s[6:7], s[12:13]
	s_andn2_b64 s[6:7], s[10:11], exec
	s_and_b64 s[10:11], vcc, exec
	v_add_u32_e32 v20, s5, v20
	s_or_b64 s[10:11], s[6:7], s[10:11]
	s_barrier
	s_andn2_b64 exec, exec, s[12:13]
	s_cbranch_execz .LBB186_203
.LBB186_195:                            ;   Parent Loop BB186_18 Depth=1
                                        ; =>  This Inner Loop Header: Depth=2
	v_cmp_gt_u64_e32 vcc, s[2:3], v[34:35]
	v_pk_mov_b32 v[4:5], 0, 0
	s_and_saveexec_b64 s[6:7], vcc
	s_cbranch_execz .LBB186_197
; %bb.196:                              ;   in Loop: Header=BB186_195 Depth=2
	ds_read_b64 v[4:5], v20
.LBB186_197:                            ;   in Loop: Header=BB186_195 Depth=2
	s_or_b64 exec, exec, s[6:7]
	s_and_saveexec_b64 s[6:7], vcc
	s_cbranch_execz .LBB186_194
; %bb.198:                              ;   in Loop: Header=BB186_195 Depth=2
	s_waitcnt lgkmcnt(0)
	v_ashrrev_i32_e32 v2, 31, v5
	v_or_b32_e32 v8, 0x80000000, v2
	v_xor_b32_e32 v8, v8, v5
	v_xor_b32_e32 v2, v2, v4
	v_cmp_o_f64_e32 vcc, v[4:5], v[4:5]
	v_cndmask_b32_e32 v8, -1, v8, vcc
	v_cndmask_b32_e32 v2, -1, v2, vcc
	v_and_b32_e32 v9, v8, v15
	v_and_b32_e32 v8, v2, v14
	v_cmp_eq_u64_e32 vcc, v[8:9], v[12:13]
	s_and_b64 exec, exec, vcc
	s_cbranch_execz .LBB186_194
; %bb.199:                              ;   in Loop: Header=BB186_195 Depth=2
	v_mov_b32_e32 v2, v21
	ds_write_b128 v21, v[2:5] offset:3072
	s_branch .LBB186_194
.LBB186_200:                            ;   in Loop: Header=BB186_18 Depth=1
                                        ; implicit-def: $vgpr4_vgpr5
	s_branch .LBB186_145
.LBB186_201:                            ;   in Loop: Header=BB186_18 Depth=1
                                        ; implicit-def: $vgpr4_vgpr5
	s_branch .LBB186_161
.LBB186_202:                            ;   in Loop: Header=BB186_18 Depth=1
	s_mov_b64 s[8:9], -1
	s_mov_b64 s[6:7], 0
                                        ; implicit-def: $sgpr2_sgpr3
                                        ; implicit-def: $vgpr10_vgpr11
	s_branch .LBB186_205
.LBB186_203:                            ;   in Loop: Header=BB186_18 Depth=1
	s_or_b64 exec, exec, s[12:13]
	s_and_b64 s[6:7], s[10:11], exec
.LBB186_204:                            ;   in Loop: Header=BB186_18 Depth=1
	s_or_b64 exec, exec, s[8:9]
	s_mov_b64 s[2:3], -1
	s_mov_b64 s[8:9], 0
.LBB186_205:                            ;   in Loop: Header=BB186_18 Depth=1
	s_and_b64 vcc, exec, s[8:9]
	v_writelane_b32 v54, s8, 1
	v_writelane_b32 v54, s9, 2
	s_cbranch_vccz .LBB186_219
; %bb.206:                              ;   in Loop: Header=BB186_18 Depth=1
	s_mov_b32 s72, s91
	s_cmp_lg_u64 s[72:73], 0
	s_cbranch_scc0 .LBB186_239
; %bb.207:                              ;   in Loop: Header=BB186_18 Depth=1
	v_cvt_f32_u32_e32 v2, s89
	s_sub_u32 s2, 0, s89
	s_subb_u32 s3, 0, 0
	v_mac_f32_e32 v2, 0, v43
	v_rcp_f32_e32 v2, v2
	v_mul_f32_e32 v2, 0x5f7ffffc, v2
	v_mul_f32_e32 v4, 0x2f800000, v2
	v_trunc_f32_e32 v4, v4
	v_mac_f32_e32 v2, 0xcf800000, v4
	v_cvt_u32_f32_e32 v4, v4
	v_cvt_u32_f32_e32 v2, v2
	v_readfirstlane_b32 s6, v4
	v_readfirstlane_b32 s7, v2
	s_mul_i32 s8, s2, s6
	s_mul_hi_u32 s10, s2, s7
	s_mul_i32 s9, s3, s7
	s_add_i32 s8, s10, s8
	s_mul_i32 s11, s2, s7
	s_add_i32 s8, s8, s9
	s_mul_hi_u32 s10, s7, s11
	s_mul_hi_u32 s9, s7, s8
	s_mul_i32 s7, s7, s8
	s_add_u32 s7, s10, s7
	s_addc_u32 s9, 0, s9
	s_mul_hi_u32 s12, s6, s11
	s_mul_i32 s11, s6, s11
	s_add_u32 s7, s7, s11
	s_mul_hi_u32 s10, s6, s8
	s_addc_u32 s7, s9, s12
	s_addc_u32 s9, s10, 0
	s_mul_i32 s8, s6, s8
	s_add_u32 s7, s7, s8
	s_addc_u32 s8, 0, s9
	v_add_co_u32_e32 v2, vcc, s7, v2
	s_cmp_lg_u64 vcc, 0
	s_addc_u32 s6, s6, s8
	v_readfirstlane_b32 s8, v2
	s_mul_i32 s7, s2, s6
	s_mul_hi_u32 s9, s2, s8
	s_add_i32 s7, s9, s7
	s_mul_i32 s3, s3, s8
	s_add_i32 s7, s7, s3
	s_mul_i32 s2, s2, s8
	s_mul_hi_u32 s9, s6, s2
	s_mul_i32 s10, s6, s2
	s_mul_i32 s12, s8, s7
	s_mul_hi_u32 s2, s8, s2
	s_mul_hi_u32 s11, s8, s7
	s_add_u32 s2, s2, s12
	s_addc_u32 s8, 0, s11
	s_add_u32 s2, s2, s10
	s_mul_hi_u32 s3, s6, s7
	s_addc_u32 s2, s8, s9
	s_addc_u32 s3, s3, 0
	s_mul_i32 s7, s6, s7
	s_add_u32 s2, s2, s7
	s_addc_u32 s3, 0, s3
	v_add_co_u32_e32 v2, vcc, s2, v2
	s_cmp_lg_u64 vcc, 0
	s_addc_u32 s2, s6, s3
	v_readlane_b32 s10, v55, 53
	v_readfirstlane_b32 s7, v2
	s_mul_i32 s6, s10, s2
	s_mul_hi_u32 s8, s10, s7
	s_mul_hi_u32 s3, s10, s2
	s_add_u32 s6, s8, s6
	s_addc_u32 s3, 0, s3
	s_mul_hi_u32 s9, s73, s7
	s_mul_i32 s7, s73, s7
	s_add_u32 s6, s6, s7
	s_mul_hi_u32 s8, s73, s2
	s_addc_u32 s3, s3, s9
	s_addc_u32 s6, s8, 0
	s_mul_i32 s2, s73, s2
	s_add_u32 s2, s3, s2
	s_addc_u32 s3, 0, s6
	s_mul_hi_u32 s6, s89, s2
	s_mul_i32 s2, s89, s2
	s_mul_i32 s3, s89, s3
	v_mov_b32_e32 v2, s2
	s_add_i32 s6, s6, s3
	v_sub_co_u32_e32 v2, vcc, s10, v2
	s_cmp_lg_u64 vcc, 0
	s_subb_u32 s2, s73, s6
	v_subrev_co_u32_e32 v4, vcc, s89, v2
	s_cmp_lg_u64 vcc, 0
	s_subb_u32 s3, s2, 0
	v_subrev_co_u32_e32 v5, vcc, s89, v4
	s_cmp_lg_u64 vcc, 0
	s_subb_u32 s6, s3, 0
	v_cmp_le_u32_e32 vcc, s89, v4
	s_cmp_eq_u32 s3, 0
	v_cndmask_b32_e64 v8, 0, -1, vcc
	s_cselect_b64 vcc, -1, 0
	v_cndmask_b32_e32 v8, -1, v8, vcc
	v_mov_b32_e32 v9, s3
	v_mov_b32_e32 v10, s6
	v_cmp_ne_u32_e32 vcc, 0, v8
	v_cndmask_b32_e32 v8, v9, v10, vcc
	v_cndmask_b32_e32 v4, v4, v5, vcc
	v_cmp_le_u32_e32 vcc, s89, v2
	s_cmp_eq_u32 s2, 0
	v_cndmask_b32_e64 v5, 0, -1, vcc
	s_cselect_b64 vcc, -1, 0
	v_cndmask_b32_e32 v5, -1, v5, vcc
	v_mov_b32_e32 v9, s2
	v_cmp_ne_u32_e32 vcc, 0, v5
	v_cndmask_b32_e32 v5, v9, v8, vcc
	v_cndmask_b32_e32 v4, v2, v4, vcc
	s_cbranch_execnz .LBB186_209
.LBB186_208:                            ;   in Loop: Header=BB186_18 Depth=1
	v_cvt_f32_u32_e32 v2, s89
	s_sub_i32 s2, 0, s89
	v_rcp_iflag_f32_e32 v2, v2
	v_mul_f32_e32 v2, 0x4f7ffffe, v2
	v_cvt_u32_f32_e32 v2, v2
	v_mul_lo_u32 v4, s2, v2
	v_mul_hi_u32 v4, v2, v4
	v_add_u32_e32 v2, v2, v4
	v_readlane_b32 s2, v55, 53
	v_mul_hi_u32 v2, s2, v2
	v_mul_lo_u32 v2, v2, s89
	v_sub_u32_e32 v2, s2, v2
	v_subrev_u32_e32 v4, s89, v2
	v_cmp_le_u32_e32 vcc, s89, v2
	v_cndmask_b32_e32 v2, v2, v4, vcc
	v_subrev_u32_e32 v4, s89, v2
	v_cmp_le_u32_e32 vcc, s89, v2
	v_cndmask_b32_e32 v20, v2, v4, vcc
	v_pk_mov_b32 v[4:5], v[20:21], v[20:21] op_sel:[0,1]
.LBB186_209:                            ;   in Loop: Header=BB186_18 Depth=1
	v_readlane_b32 s2, v55, 53
	v_mov_b32_e32 v2, s73
	v_sub_co_u32_e32 v30, vcc, s2, v4
	v_subb_co_u32_e32 v31, vcc, v2, v5, vcc
	v_cmp_gt_u64_e32 vcc, v[30:31], v[0:1]
	s_mov_b64 s[6:7], 0
                                        ; implicit-def: $vgpr10_vgpr11
	s_and_saveexec_b64 s[2:3], vcc
	s_cbranch_execz .LBB186_218
; %bb.210:                              ;   in Loop: Header=BB186_18 Depth=1
	s_mov_b64 s[10:11], 0
	v_pk_mov_b32 v[34:35], v[0:1], v[0:1] op_sel:[0,1]
                                        ; implicit-def: $sgpr8_sgpr9
	s_branch .LBB186_212
.LBB186_211:                            ;   in Loop: Header=BB186_212 Depth=2
	s_or_b64 exec, exec, s[6:7]
	s_waitcnt lgkmcnt(0)
	s_barrier
	ds_read_b128 v[8:11], v21 offset:3072
	v_mov_b32_e32 v2, s74
	v_add_co_u32_e64 v34, s[6:7], s89, v34
	v_addc_co_u32_e64 v35, s[6:7], v35, v2, s[6:7]
	s_waitcnt lgkmcnt(0)
	v_cmp_neq_f64_e32 vcc, 0, v[8:9]
	v_cmp_ge_u64_e64 s[6:7], v[34:35], v[30:31]
	s_or_b64 s[6:7], s[6:7], vcc
	s_and_b64 s[6:7], exec, s[6:7]
	s_or_b64 s[10:11], s[6:7], s[10:11]
	s_andn2_b64 s[6:7], s[8:9], exec
	s_and_b64 s[8:9], vcc, exec
	s_or_b64 s[8:9], s[6:7], s[8:9]
	s_barrier
	s_andn2_b64 exec, exec, s[10:11]
	s_cbranch_execz .LBB186_217
.LBB186_212:                            ;   Parent Loop BB186_18 Depth=1
                                        ; =>  This Inner Loop Header: Depth=2
	v_cmp_gt_u64_e32 vcc, s[60:61], v[34:35]
	s_waitcnt vmcnt(0)
	v_pk_mov_b32 v[4:5], 0, 0
	s_and_saveexec_b64 s[12:13], vcc
	s_cbranch_execz .LBB186_214
; %bb.213:                              ;   in Loop: Header=BB186_212 Depth=2
	v_mul_lo_u32 v2, v35, s58
	v_mul_lo_u32 v8, v34, s59
	v_mad_u64_u32 v[4:5], s[6:7], v34, s58, 0
	v_add3_u32 v5, v5, v8, v2
	v_lshlrev_b64 v[4:5], 3, v[4:5]
	v_mov_b32_e32 v2, s88
	v_add_co_u32_e64 v4, s[6:7], s33, v4
	v_addc_co_u32_e64 v5, s[6:7], v2, v5, s[6:7]
	global_load_dwordx2 v[4:5], v[4:5], off
.LBB186_214:                            ;   in Loop: Header=BB186_212 Depth=2
	s_or_b64 exec, exec, s[12:13]
	s_and_saveexec_b64 s[6:7], vcc
	s_cbranch_execz .LBB186_211
; %bb.215:                              ;   in Loop: Header=BB186_212 Depth=2
	s_waitcnt vmcnt(0)
	v_ashrrev_i32_e32 v2, 31, v5
	v_or_b32_e32 v8, 0x80000000, v2
	v_xor_b32_e32 v8, v8, v5
	v_xor_b32_e32 v2, v2, v4
	v_cmp_o_f64_e32 vcc, v[4:5], v[4:5]
	v_cndmask_b32_e32 v8, -1, v8, vcc
	v_cndmask_b32_e32 v2, -1, v2, vcc
	v_and_b32_e32 v9, v8, v15
	v_and_b32_e32 v8, v2, v14
	v_cmp_eq_u64_e32 vcc, v[8:9], v[12:13]
	s_and_b64 exec, exec, vcc
	s_cbranch_execz .LBB186_211
; %bb.216:                              ;   in Loop: Header=BB186_212 Depth=2
	v_mov_b32_e32 v2, v21
	ds_write_b128 v21, v[2:5] offset:3072
	s_branch .LBB186_211
.LBB186_217:                            ;   in Loop: Header=BB186_18 Depth=1
	s_or_b64 exec, exec, s[10:11]
	s_and_b64 s[6:7], s[8:9], exec
.LBB186_218:                            ;   in Loop: Header=BB186_18 Depth=1
	s_or_b64 exec, exec, s[2:3]
	s_mov_b64 s[2:3], -1
	v_writelane_b32 v54, s2, 1
	v_writelane_b32 v54, s3, 2
	s_mov_b64 s[8:9], 0
	s_mov_b64 s[2:3], 0
.LBB186_219:                            ;   in Loop: Header=BB186_18 Depth=1
	s_orn2_b64 s[6:7], s[6:7], exec
	s_mov_b64 vcc, s[2:3]
.LBB186_220:                            ;   in Loop: Header=BB186_18 Depth=1
	s_or_b64 exec, exec, s[56:57]
	s_mov_b64 s[2:3], 0
                                        ; implicit-def: $vgpr2
	s_and_saveexec_b64 s[56:57], s[6:7]
	s_cbranch_execz .LBB186_285
; %bb.221:                              ;   in Loop: Header=BB186_18 Depth=1
	v_mov_b32_e32 v30, 1
	s_xor_b64 s[6:7], s[94:95], -1
	s_mov_b64 s[94:95], 0
	v_mov_b32_e32 v31, 0
	v_mov_b32_e32 v2, 1
	s_and_saveexec_b64 s[2:3], s[6:7]
	s_cbranch_execz .LBB186_231
; %bb.222:                              ;   in Loop: Header=BB186_18 Depth=1
	s_mov_b64 s[10:11], vcc
	v_cmp_ge_u64_e32 vcc, s[26:27], v[32:33]
                                        ; implicit-def: $sgpr54
                                        ; implicit-def: $sgpr6_sgpr7
	s_and_saveexec_b64 s[12:13], vcc
	s_xor_b64 s[12:13], exec, s[12:13]
	s_cbranch_execz .LBB186_228
; %bb.223:                              ;   in Loop: Header=BB186_18 Depth=1
	s_waitcnt vmcnt(0)
	ds_read_b64 v[4:5], v21 offset:5120
	s_waitcnt lgkmcnt(0)
	v_cmp_ne_u64_e32 vcc, 0, v[4:5]
	s_cbranch_vccnz .LBB186_227
; %bb.224:                              ;   in Loop: Header=BB186_18 Depth=1
	s_mov_b64 s[6:7], exec
	v_readlane_b32 s54, v55, 32
	v_readlane_b32 s55, v55, 33
	s_and_b64 s[54:55], s[6:7], s[54:55]
	s_mov_b64 exec, s[54:55]
	s_cbranch_execz .LBB186_226
; %bb.225:                              ;   in Loop: Header=BB186_18 Depth=1
	v_pk_mov_b32 v[4:5], s[26:27], s[26:27] op_sel:[0,1]
	ds_write_b64 v21, v[4:5] offset:5128
.LBB186_226:                            ;   in Loop: Header=BB186_18 Depth=1
	s_or_b64 exec, exec, s[6:7]
	s_waitcnt lgkmcnt(0)
	s_barrier
.LBB186_227:                            ;   in Loop: Header=BB186_18 Depth=1
	s_lshl_b64 s[6:7], 2, s90
	v_and_b32_e32 v2, s21, v13
	v_and_b32_e32 v4, s20, v12
	v_or_b32_e32 v13, s7, v2
	v_or_b32_e32 v12, s6, v4
	;; [unrolled: 1-line block ×4, first 2 shown]
	s_mov_b64 s[6:7], 0
	s_mov_b32 s54, 8
.LBB186_228:                            ;   in Loop: Header=BB186_18 Depth=1
	s_or_saveexec_b64 s[12:13], s[12:13]
	v_mov_b32_e32 v2, s54
	s_xor_b64 exec, exec, s[12:13]
; %bb.229:                              ;   in Loop: Header=BB186_18 Depth=1
	v_mov_b32_e32 v2, s27
	v_subrev_co_u32_e32 v32, vcc, s26, v32
	v_subb_co_u32_e32 v33, vcc, v33, v2, vcc
	v_mov_b32_e32 v2, 0
	s_or_b64 s[6:7], s[6:7], exec
; %bb.230:                              ;   in Loop: Header=BB186_18 Depth=1
	s_or_b64 exec, exec, s[12:13]
	s_and_b64 s[94:95], s[6:7], exec
	v_pk_mov_b32 v[30:31], v[32:33], v[32:33] op_sel:[0,1]
	s_mov_b64 vcc, s[10:11]
.LBB186_231:                            ;   in Loop: Header=BB186_18 Depth=1
	s_or_b64 exec, exec, s[2:3]
	s_mov_b64 s[92:93], -1
                                        ; implicit-def: $sgpr2_sgpr3
                                        ; implicit-def: $sgpr12_sgpr13
                                        ; implicit-def: $sgpr6_sgpr7
	s_and_saveexec_b64 s[10:11], s[94:95]
	s_cbranch_execz .LBB186_284
; %bb.232:                              ;   in Loop: Header=BB186_18 Depth=1
	v_writelane_b32 v54, vcc_lo, 3
	s_cmp_eq_u64 s[28:29], 1
	v_writelane_b32 v54, vcc_hi, 4
	s_cselect_b64 s[2:3], -1, 0
	v_cmp_eq_u64_e32 vcc, 1, v[30:31]
	s_mov_b64 s[94:95], -1
	s_and_b64 s[54:55], s[2:3], vcc
                                        ; implicit-def: $sgpr2_sgpr3
                                        ; implicit-def: $sgpr12_sgpr13
                                        ; implicit-def: $sgpr6_sgpr7
	s_mov_b64 s[92:93], exec
	v_writelane_b32 v54, s54, 5
	v_writelane_b32 v54, s55, 6
	s_and_b64 s[54:55], s[92:93], s[54:55]
	s_mov_b64 exec, s[54:55]
	s_cbranch_execz .LBB186_271
; %bb.233:                              ;   in Loop: Header=BB186_18 Depth=1
	s_waitcnt vmcnt(0)
	ds_read_b64 v[4:5], v21 offset:5120
	s_waitcnt lgkmcnt(0)
	s_barrier
	v_readfirstlane_b32 s2, v4
	v_readfirstlane_b32 s3, v5
	s_mov_b64 s[6:7], exec
	v_readlane_b32 s12, v55, 48
	v_readlane_b32 s13, v55, 49
	s_and_b64 s[12:13], s[6:7], s[12:13]
	s_mov_b64 exec, s[12:13]
	s_cbranch_execz .LBB186_235
; %bb.234:                              ;   in Loop: Header=BB186_18 Depth=1
	v_mov_b32_e32 v20, v21
	ds_write_b64 v40, v[20:21]
.LBB186_235:                            ;   in Loop: Header=BB186_18 Depth=1
	s_or_b64 exec, exec, s[6:7]
	v_or_b32_e32 v13, s19, v13
	v_or_b32_e32 v12, s18, v12
	;; [unrolled: 1-line block ×4, first 2 shown]
	s_cmp_eq_u64 s[2:3], 0
	v_writelane_b32 v54, s92, 7
	s_waitcnt lgkmcnt(0)
	s_barrier
	v_writelane_b32 v54, s93, 8
	s_cbranch_scc1 .LBB186_240
; %bb.236:                              ;   in Loop: Header=BB186_18 Depth=1
	v_readlane_b32 s6, v55, 52
	s_add_u32 s54, s6, s2
	v_readlane_b32 s6, v55, 54
	s_addc_u32 s7, s6, s3
	s_mov_b32 s6, s91
	s_cmp_lg_u64 s[6:7], 0
	s_cbranch_scc0 .LBB186_241
; %bb.237:                              ;   in Loop: Header=BB186_18 Depth=1
	v_cvt_f32_u32_e32 v2, s89
	s_sub_u32 s6, 0, s89
	s_subb_u32 s12, 0, 0
	v_mac_f32_e32 v2, 0, v43
	v_rcp_f32_e32 v2, v2
	v_mul_f32_e32 v2, 0x5f7ffffc, v2
	v_mul_f32_e32 v4, 0x2f800000, v2
	v_trunc_f32_e32 v4, v4
	v_mac_f32_e32 v2, 0xcf800000, v4
	v_cvt_u32_f32_e32 v4, v4
	v_cvt_u32_f32_e32 v2, v2
	v_readfirstlane_b32 s13, v4
	v_readfirstlane_b32 s55, v2
	s_mul_i32 s72, s6, s13
	s_mul_hi_u32 s93, s6, s55
	s_mul_i32 s92, s12, s55
	s_add_i32 s72, s93, s72
	s_mul_i32 s94, s6, s55
	s_add_i32 s72, s72, s92
	s_mul_hi_u32 s93, s55, s94
	s_mul_hi_u32 s92, s55, s72
	s_mul_i32 s55, s55, s72
	s_add_u32 s55, s93, s55
	s_addc_u32 s92, 0, s92
	s_mul_hi_u32 s95, s13, s94
	s_mul_i32 s94, s13, s94
	s_add_u32 s55, s55, s94
	s_mul_hi_u32 s93, s13, s72
	s_addc_u32 s55, s92, s95
	s_addc_u32 s92, s93, 0
	s_mul_i32 s72, s13, s72
	s_add_u32 s55, s55, s72
	s_addc_u32 s72, 0, s92
	v_add_co_u32_e32 v2, vcc, s55, v2
	s_cmp_lg_u64 vcc, 0
	s_addc_u32 s13, s13, s72
	v_readfirstlane_b32 s72, v2
	s_mul_i32 s55, s6, s13
	s_mul_hi_u32 s92, s6, s72
	s_add_i32 s55, s92, s55
	s_mul_i32 s12, s12, s72
	s_add_i32 s55, s55, s12
	s_mul_i32 s6, s6, s72
	s_mul_hi_u32 s92, s13, s6
	s_mul_i32 s93, s13, s6
	s_mul_i32 s95, s72, s55
	s_mul_hi_u32 s6, s72, s6
	s_mul_hi_u32 s94, s72, s55
	s_add_u32 s6, s6, s95
	s_addc_u32 s72, 0, s94
	s_add_u32 s6, s6, s93
	s_mul_hi_u32 s12, s13, s55
	s_addc_u32 s6, s72, s92
	s_addc_u32 s12, s12, 0
	s_mul_i32 s55, s13, s55
	s_add_u32 s6, s6, s55
	s_addc_u32 s12, 0, s12
	v_add_co_u32_e32 v2, vcc, s6, v2
	s_cmp_lg_u64 vcc, 0
	s_addc_u32 s6, s13, s12
	v_readfirstlane_b32 s55, v2
	s_mul_i32 s13, s54, s6
	s_mul_hi_u32 s72, s54, s55
	s_mul_hi_u32 s12, s54, s6
	s_add_u32 s13, s72, s13
	s_addc_u32 s12, 0, s12
	s_mul_hi_u32 s92, s7, s55
	s_mul_i32 s55, s7, s55
	s_add_u32 s13, s13, s55
	s_mul_hi_u32 s72, s7, s6
	s_addc_u32 s12, s12, s92
	s_addc_u32 s13, s72, 0
	s_mul_i32 s6, s7, s6
	s_add_u32 s6, s12, s6
	s_addc_u32 s12, 0, s13
	s_mul_hi_u32 s13, s89, s6
	s_mul_i32 s6, s89, s6
	s_mul_i32 s12, s89, s12
	v_mov_b32_e32 v2, s6
	s_add_i32 s13, s13, s12
	v_sub_co_u32_e32 v2, vcc, s54, v2
	s_cmp_lg_u64 vcc, 0
	s_subb_u32 s6, s7, s13
	v_subrev_co_u32_e32 v4, vcc, s89, v2
	s_cmp_lg_u64 vcc, 0
	s_subb_u32 s12, s6, 0
	v_subrev_co_u32_e32 v5, vcc, s89, v4
	s_cmp_lg_u64 vcc, 0
	s_subb_u32 s13, s12, 0
	v_cmp_le_u32_e32 vcc, s89, v4
	s_cmp_eq_u32 s12, 0
	v_cndmask_b32_e64 v8, 0, -1, vcc
	s_cselect_b64 vcc, -1, 0
	v_cndmask_b32_e32 v8, -1, v8, vcc
	v_mov_b32_e32 v9, s12
	v_mov_b32_e32 v10, s13
	v_cmp_ne_u32_e32 vcc, 0, v8
	v_cndmask_b32_e32 v8, v9, v10, vcc
	v_cndmask_b32_e32 v4, v4, v5, vcc
	v_cmp_le_u32_e32 vcc, s89, v2
	s_cmp_eq_u32 s6, 0
	v_cndmask_b32_e64 v5, 0, -1, vcc
	s_cselect_b64 vcc, -1, 0
	v_cndmask_b32_e32 v5, -1, v5, vcc
	v_mov_b32_e32 v9, s6
	v_cmp_ne_u32_e32 vcc, 0, v5
	v_cndmask_b32_e32 v5, v9, v8, vcc
	v_cndmask_b32_e32 v4, v2, v4, vcc
	s_mov_b64 s[12:13], 0
	s_branch .LBB186_242
.LBB186_238:                            ;   in Loop: Header=BB186_18 Depth=1
                                        ; implicit-def: $vgpr4_vgpr5
	s_branch .LBB186_191
.LBB186_239:                            ;   in Loop: Header=BB186_18 Depth=1
                                        ; implicit-def: $vgpr4_vgpr5
	s_branch .LBB186_208
.LBB186_240:                            ;   in Loop: Header=BB186_18 Depth=1
	s_mov_b64 s[2:3], -1
	s_mov_b64 s[92:93], 0
                                        ; implicit-def: $sgpr6_sgpr7
                                        ; implicit-def: $vgpr10_vgpr11
	s_branch .LBB186_254
.LBB186_241:                            ;   in Loop: Header=BB186_18 Depth=1
	s_mov_b64 s[12:13], -1
                                        ; implicit-def: $vgpr4_vgpr5
.LBB186_242:                            ;   in Loop: Header=BB186_18 Depth=1
	s_andn2_b64 vcc, exec, s[12:13]
	s_cbranch_vccnz .LBB186_244
; %bb.243:                              ;   in Loop: Header=BB186_18 Depth=1
	v_cvt_f32_u32_e32 v2, s89
	s_sub_i32 s6, 0, s89
	v_rcp_iflag_f32_e32 v2, v2
	v_mul_f32_e32 v2, 0x4f7ffffe, v2
	v_cvt_u32_f32_e32 v2, v2
	v_mul_lo_u32 v4, s6, v2
	v_mul_hi_u32 v4, v2, v4
	v_add_u32_e32 v2, v2, v4
	v_mul_hi_u32 v2, s54, v2
	v_mul_lo_u32 v2, v2, s89
	v_sub_u32_e32 v2, s54, v2
	v_subrev_u32_e32 v4, s89, v2
	v_cmp_le_u32_e32 vcc, s89, v2
	v_cndmask_b32_e32 v2, v2, v4, vcc
	v_subrev_u32_e32 v4, s89, v2
	v_cmp_le_u32_e32 vcc, s89, v2
	v_cndmask_b32_e32 v20, v2, v4, vcc
	v_pk_mov_b32 v[4:5], v[20:21], v[20:21] op_sel:[0,1]
.LBB186_244:                            ;   in Loop: Header=BB186_18 Depth=1
	v_mov_b32_e32 v2, s7
	v_sub_co_u32_e32 v32, vcc, s54, v4
	v_subb_co_u32_e32 v33, vcc, v2, v5, vcc
	v_cmp_gt_u64_e32 vcc, v[32:33], v[0:1]
	s_mov_b64 s[92:93], 0
                                        ; implicit-def: $vgpr10_vgpr11
	s_and_saveexec_b64 s[12:13], vcc
	s_cbranch_execz .LBB186_253
; %bb.245:                              ;   in Loop: Header=BB186_18 Depth=1
	s_mov_b64 s[94:95], 0
	v_mov_b32_e32 v20, v39
	v_pk_mov_b32 v[34:35], v[0:1], v[0:1] op_sel:[0,1]
                                        ; implicit-def: $sgpr92_sgpr93
	s_branch .LBB186_247
.LBB186_246:                            ;   in Loop: Header=BB186_247 Depth=2
	s_or_b64 exec, exec, s[6:7]
	s_waitcnt lgkmcnt(0)
	s_barrier
	ds_read_b128 v[8:11], v21 offset:3072
	v_mov_b32_e32 v2, s74
	v_add_co_u32_e64 v34, s[6:7], s89, v34
	v_addc_co_u32_e64 v35, s[6:7], v35, v2, s[6:7]
	s_waitcnt lgkmcnt(0)
	v_cmp_neq_f64_e32 vcc, 0, v[8:9]
	v_cmp_ge_u64_e64 s[6:7], v[34:35], v[32:33]
	s_or_b64 s[6:7], s[6:7], vcc
	s_and_b64 s[6:7], exec, s[6:7]
	s_or_b64 s[94:95], s[6:7], s[94:95]
	s_andn2_b64 s[6:7], s[92:93], exec
	s_and_b64 s[54:55], vcc, exec
	v_add_u32_e32 v20, s5, v20
	s_or_b64 s[92:93], s[6:7], s[54:55]
	s_barrier
	s_andn2_b64 exec, exec, s[94:95]
	s_cbranch_execz .LBB186_252
.LBB186_247:                            ;   Parent Loop BB186_18 Depth=1
                                        ; =>  This Inner Loop Header: Depth=2
	v_cmp_gt_u64_e32 vcc, s[2:3], v[34:35]
	v_pk_mov_b32 v[4:5], 0, 0
	s_and_saveexec_b64 s[6:7], vcc
	s_cbranch_execz .LBB186_249
; %bb.248:                              ;   in Loop: Header=BB186_247 Depth=2
	ds_read_b64 v[4:5], v20
.LBB186_249:                            ;   in Loop: Header=BB186_247 Depth=2
	s_or_b64 exec, exec, s[6:7]
	s_and_saveexec_b64 s[6:7], vcc
	s_cbranch_execz .LBB186_246
; %bb.250:                              ;   in Loop: Header=BB186_247 Depth=2
	s_waitcnt lgkmcnt(0)
	v_ashrrev_i32_e32 v2, 31, v5
	v_or_b32_e32 v8, 0x80000000, v2
	v_xor_b32_e32 v8, v8, v5
	v_xor_b32_e32 v2, v2, v4
	v_cmp_o_f64_e32 vcc, v[4:5], v[4:5]
	v_cndmask_b32_e32 v8, -1, v8, vcc
	v_cndmask_b32_e32 v2, -1, v2, vcc
	v_and_b32_e32 v9, v8, v15
	v_and_b32_e32 v8, v2, v14
	v_cmp_eq_u64_e32 vcc, v[8:9], v[12:13]
	s_and_b64 exec, exec, vcc
	s_cbranch_execz .LBB186_246
; %bb.251:                              ;   in Loop: Header=BB186_247 Depth=2
	v_mov_b32_e32 v2, v21
	ds_write_b128 v21, v[2:5] offset:3072
	s_branch .LBB186_246
.LBB186_252:                            ;   in Loop: Header=BB186_18 Depth=1
	s_or_b64 exec, exec, s[94:95]
	s_and_b64 s[92:93], s[92:93], exec
.LBB186_253:                            ;   in Loop: Header=BB186_18 Depth=1
	s_or_b64 exec, exec, s[12:13]
	s_mov_b64 s[6:7], -1
	s_mov_b64 s[2:3], 0
.LBB186_254:                            ;   in Loop: Header=BB186_18 Depth=1
	s_and_b64 vcc, exec, s[2:3]
	s_mov_b64 s[12:13], s[2:3]
	s_cbranch_vccz .LBB186_270
; %bb.255:                              ;   in Loop: Header=BB186_18 Depth=1
	s_mov_b32 s72, s91
	s_cmp_lg_u64 s[72:73], 0
	s_cbranch_scc0 .LBB186_257
; %bb.256:                              ;   in Loop: Header=BB186_18 Depth=1
	v_cvt_f32_u32_e32 v2, s89
	s_sub_u32 s2, 0, s89
	s_subb_u32 s3, 0, 0
	v_mac_f32_e32 v2, 0, v43
	v_rcp_f32_e32 v2, v2
	v_mul_f32_e32 v2, 0x5f7ffffc, v2
	v_mul_f32_e32 v4, 0x2f800000, v2
	v_trunc_f32_e32 v4, v4
	v_mac_f32_e32 v2, 0xcf800000, v4
	v_cvt_u32_f32_e32 v4, v4
	v_cvt_u32_f32_e32 v2, v2
	v_readfirstlane_b32 s6, v4
	v_readfirstlane_b32 s7, v2
	s_mul_i32 s12, s2, s6
	s_mul_hi_u32 s54, s2, s7
	s_mul_i32 s13, s3, s7
	s_add_i32 s12, s54, s12
	s_mul_i32 s55, s2, s7
	s_add_i32 s12, s12, s13
	s_mul_hi_u32 s54, s7, s55
	s_mul_hi_u32 s13, s7, s12
	s_mul_i32 s7, s7, s12
	s_add_u32 s7, s54, s7
	s_addc_u32 s13, 0, s13
	s_mul_hi_u32 s72, s6, s55
	s_mul_i32 s55, s6, s55
	s_add_u32 s7, s7, s55
	s_mul_hi_u32 s54, s6, s12
	s_addc_u32 s7, s13, s72
	s_addc_u32 s13, s54, 0
	s_mul_i32 s12, s6, s12
	s_add_u32 s7, s7, s12
	s_addc_u32 s12, 0, s13
	v_add_co_u32_e32 v2, vcc, s7, v2
	s_cmp_lg_u64 vcc, 0
	s_addc_u32 s6, s6, s12
	v_readfirstlane_b32 s12, v2
	s_mul_i32 s7, s2, s6
	s_mul_hi_u32 s13, s2, s12
	s_add_i32 s7, s13, s7
	s_mul_i32 s3, s3, s12
	s_add_i32 s7, s7, s3
	s_mul_i32 s2, s2, s12
	s_mul_hi_u32 s13, s6, s2
	s_mul_i32 s54, s6, s2
	s_mul_i32 s72, s12, s7
	s_mul_hi_u32 s2, s12, s2
	s_mul_hi_u32 s55, s12, s7
	s_add_u32 s2, s2, s72
	s_addc_u32 s12, 0, s55
	s_add_u32 s2, s2, s54
	s_mul_hi_u32 s3, s6, s7
	s_addc_u32 s2, s12, s13
	s_addc_u32 s3, s3, 0
	s_mul_i32 s7, s6, s7
	s_add_u32 s2, s2, s7
	s_addc_u32 s3, 0, s3
	v_add_co_u32_e32 v2, vcc, s2, v2
	s_cmp_lg_u64 vcc, 0
	s_addc_u32 s2, s6, s3
	v_readlane_b32 s54, v55, 53
	v_readfirstlane_b32 s7, v2
	s_mul_i32 s6, s54, s2
	s_mul_hi_u32 s12, s54, s7
	s_mul_hi_u32 s3, s54, s2
	s_add_u32 s6, s12, s6
	s_addc_u32 s3, 0, s3
	s_mul_hi_u32 s13, s73, s7
	s_mul_i32 s7, s73, s7
	s_add_u32 s6, s6, s7
	s_mul_hi_u32 s12, s73, s2
	s_addc_u32 s3, s3, s13
	s_addc_u32 s6, s12, 0
	s_mul_i32 s2, s73, s2
	s_add_u32 s2, s3, s2
	s_addc_u32 s3, 0, s6
	s_mul_hi_u32 s6, s89, s2
	s_mul_i32 s2, s89, s2
	s_mul_i32 s3, s89, s3
	v_mov_b32_e32 v2, s2
	s_add_i32 s6, s6, s3
	v_sub_co_u32_e32 v2, vcc, s54, v2
	s_cmp_lg_u64 vcc, 0
	s_subb_u32 s2, s73, s6
	v_subrev_co_u32_e32 v4, vcc, s89, v2
	s_cmp_lg_u64 vcc, 0
	s_subb_u32 s3, s2, 0
	v_subrev_co_u32_e32 v5, vcc, s89, v4
	s_cmp_lg_u64 vcc, 0
	s_subb_u32 s6, s3, 0
	v_cmp_le_u32_e32 vcc, s89, v4
	s_cmp_eq_u32 s3, 0
	v_cndmask_b32_e64 v8, 0, -1, vcc
	s_cselect_b64 vcc, -1, 0
	v_cndmask_b32_e32 v8, -1, v8, vcc
	v_mov_b32_e32 v9, s3
	v_mov_b32_e32 v10, s6
	v_cmp_ne_u32_e32 vcc, 0, v8
	v_cndmask_b32_e32 v8, v9, v10, vcc
	v_cndmask_b32_e32 v4, v4, v5, vcc
	v_cmp_le_u32_e32 vcc, s89, v2
	s_cmp_eq_u32 s2, 0
	v_cndmask_b32_e64 v5, 0, -1, vcc
	s_cselect_b64 vcc, -1, 0
	v_cndmask_b32_e32 v5, -1, v5, vcc
	v_mov_b32_e32 v9, s2
	v_cmp_ne_u32_e32 vcc, 0, v5
	v_cndmask_b32_e32 v5, v9, v8, vcc
	v_cndmask_b32_e32 v4, v2, v4, vcc
	s_mov_b64 s[2:3], 0
	s_branch .LBB186_258
.LBB186_257:                            ;   in Loop: Header=BB186_18 Depth=1
	s_mov_b64 s[2:3], -1
                                        ; implicit-def: $vgpr4_vgpr5
.LBB186_258:                            ;   in Loop: Header=BB186_18 Depth=1
	s_andn2_b64 vcc, exec, s[2:3]
	s_cbranch_vccnz .LBB186_260
; %bb.259:                              ;   in Loop: Header=BB186_18 Depth=1
	v_cvt_f32_u32_e32 v2, s89
	s_sub_i32 s2, 0, s89
	v_rcp_iflag_f32_e32 v2, v2
	v_mul_f32_e32 v2, 0x4f7ffffe, v2
	v_cvt_u32_f32_e32 v2, v2
	v_mul_lo_u32 v4, s2, v2
	v_mul_hi_u32 v4, v2, v4
	v_add_u32_e32 v2, v2, v4
	v_readlane_b32 s2, v55, 53
	v_mul_hi_u32 v2, s2, v2
	v_mul_lo_u32 v2, v2, s89
	v_sub_u32_e32 v2, s2, v2
	v_subrev_u32_e32 v4, s89, v2
	v_cmp_le_u32_e32 vcc, s89, v2
	v_cndmask_b32_e32 v2, v2, v4, vcc
	v_subrev_u32_e32 v4, s89, v2
	v_cmp_le_u32_e32 vcc, s89, v2
	v_cndmask_b32_e32 v20, v2, v4, vcc
	v_pk_mov_b32 v[4:5], v[20:21], v[20:21] op_sel:[0,1]
.LBB186_260:                            ;   in Loop: Header=BB186_18 Depth=1
	v_readlane_b32 s2, v55, 53
	v_mov_b32_e32 v2, s73
	v_sub_co_u32_e32 v32, vcc, s2, v4
	v_subb_co_u32_e32 v33, vcc, v2, v5, vcc
	v_cmp_gt_u64_e32 vcc, v[32:33], v[0:1]
	s_mov_b64 s[92:93], 0
                                        ; implicit-def: $vgpr10_vgpr11
	s_and_saveexec_b64 s[2:3], vcc
	s_cbranch_execz .LBB186_269
; %bb.261:                              ;   in Loop: Header=BB186_18 Depth=1
	v_pk_mov_b32 v[34:35], v[0:1], v[0:1] op_sel:[0,1]
                                        ; implicit-def: $sgpr12_sgpr13
	s_branch .LBB186_263
.LBB186_262:                            ;   in Loop: Header=BB186_263 Depth=2
	s_or_b64 exec, exec, s[6:7]
	s_waitcnt lgkmcnt(0)
	s_barrier
	ds_read_b128 v[8:11], v21 offset:3072
	v_mov_b32_e32 v2, s74
	v_add_co_u32_e64 v34, s[6:7], s89, v34
	v_addc_co_u32_e64 v35, s[6:7], v35, v2, s[6:7]
	s_waitcnt lgkmcnt(0)
	v_cmp_neq_f64_e32 vcc, 0, v[8:9]
	v_cmp_ge_u64_e64 s[6:7], v[34:35], v[32:33]
	s_or_b64 s[6:7], s[6:7], vcc
	s_and_b64 s[6:7], exec, s[6:7]
	s_or_b64 s[92:93], s[6:7], s[92:93]
	s_andn2_b64 s[6:7], s[12:13], exec
	s_and_b64 s[12:13], vcc, exec
	s_or_b64 s[12:13], s[6:7], s[12:13]
	s_barrier
	s_andn2_b64 exec, exec, s[92:93]
	s_cbranch_execz .LBB186_268
.LBB186_263:                            ;   Parent Loop BB186_18 Depth=1
                                        ; =>  This Inner Loop Header: Depth=2
	v_cmp_gt_u64_e32 vcc, s[60:61], v[34:35]
	s_waitcnt vmcnt(0)
	v_pk_mov_b32 v[4:5], 0, 0
	s_and_saveexec_b64 s[54:55], vcc
	s_cbranch_execz .LBB186_265
; %bb.264:                              ;   in Loop: Header=BB186_263 Depth=2
	v_mul_lo_u32 v2, v35, s58
	v_mul_lo_u32 v8, v34, s59
	v_mad_u64_u32 v[4:5], s[6:7], v34, s58, 0
	v_add3_u32 v5, v5, v8, v2
	v_lshlrev_b64 v[4:5], 3, v[4:5]
	v_mov_b32_e32 v2, s88
	v_add_co_u32_e64 v4, s[6:7], s33, v4
	v_addc_co_u32_e64 v5, s[6:7], v2, v5, s[6:7]
	global_load_dwordx2 v[4:5], v[4:5], off
.LBB186_265:                            ;   in Loop: Header=BB186_263 Depth=2
	s_or_b64 exec, exec, s[54:55]
	s_and_saveexec_b64 s[6:7], vcc
	s_cbranch_execz .LBB186_262
; %bb.266:                              ;   in Loop: Header=BB186_263 Depth=2
	s_waitcnt vmcnt(0)
	v_ashrrev_i32_e32 v2, 31, v5
	v_or_b32_e32 v8, 0x80000000, v2
	v_xor_b32_e32 v8, v8, v5
	v_xor_b32_e32 v2, v2, v4
	v_cmp_o_f64_e32 vcc, v[4:5], v[4:5]
	v_cndmask_b32_e32 v8, -1, v8, vcc
	v_cndmask_b32_e32 v2, -1, v2, vcc
	v_and_b32_e32 v9, v8, v15
	v_and_b32_e32 v8, v2, v14
	v_cmp_eq_u64_e32 vcc, v[8:9], v[12:13]
	s_and_b64 exec, exec, vcc
	s_cbranch_execz .LBB186_262
; %bb.267:                              ;   in Loop: Header=BB186_263 Depth=2
	v_mov_b32_e32 v2, v21
	ds_write_b128 v21, v[2:5] offset:3072
	s_branch .LBB186_262
.LBB186_268:                            ;   in Loop: Header=BB186_18 Depth=1
	s_or_b64 exec, exec, s[92:93]
	s_and_b64 s[92:93], s[12:13], exec
.LBB186_269:                            ;   in Loop: Header=BB186_18 Depth=1
	s_or_b64 exec, exec, s[2:3]
	s_mov_b64 s[12:13], -1
	s_mov_b64 s[2:3], 0
	s_mov_b64 s[6:7], 0
.LBB186_270:                            ;   in Loop: Header=BB186_18 Depth=1
	s_orn2_b64 s[94:95], s[92:93], exec
	v_readlane_b32 s92, v54, 7
	v_readlane_b32 s93, v54, 8
.LBB186_271:                            ;   in Loop: Header=BB186_18 Depth=1
	s_or_b64 exec, exec, s[92:93]
	s_mov_b64 s[54:55], 0
                                        ; implicit-def: $vgpr2
                                        ; implicit-def: $vgpr4_vgpr5
	s_and_saveexec_b64 s[92:93], s[94:95]
	v_readlane_b32 vcc_lo, v54, 3
	v_readlane_b32 vcc_hi, v54, 4
	s_cbranch_execz .LBB186_283
; %bb.272:                              ;   in Loop: Header=BB186_18 Depth=1
	v_readlane_b32 s54, v54, 5
	v_readlane_b32 s55, v54, 6
	s_waitcnt vmcnt(0)
	v_mov_b32_e32 v4, 1
	s_xor_b64 s[54:55], s[54:55], -1
	v_mov_b32_e32 v2, 1
	v_mov_b32_e32 v5, 0
	s_and_saveexec_b64 s[94:95], s[54:55]
	s_cbranch_execz .LBB186_282
; %bb.273:                              ;   in Loop: Header=BB186_18 Depth=1
	v_cmp_ge_u64_e32 vcc, s[28:29], v[30:31]
                                        ; implicit-def: $sgpr72
	s_and_saveexec_b64 s[54:55], vcc
	s_xor_b64 s[54:55], exec, s[54:55]
	v_writelane_b32 v54, s54, 9
	v_writelane_b32 v54, s55, 10
	s_cbranch_execz .LBB186_279
; %bb.274:                              ;   in Loop: Header=BB186_18 Depth=1
	ds_read_b64 v[4:5], v21 offset:5120
	s_waitcnt lgkmcnt(0)
	v_cmp_ne_u64_e32 vcc, 0, v[4:5]
	s_cbranch_vccnz .LBB186_278
; %bb.275:                              ;   in Loop: Header=BB186_18 Depth=1
	s_mov_b64 s[54:55], exec
	v_readlane_b32 vcc_lo, v55, 32
	v_readlane_b32 vcc_hi, v55, 33
	s_and_b64 vcc, s[54:55], vcc
	s_mov_b64 exec, vcc
	s_cbranch_execz .LBB186_277
; %bb.276:                              ;   in Loop: Header=BB186_18 Depth=1
	v_pk_mov_b32 v[4:5], s[28:29], s[28:29] op_sel:[0,1]
	ds_write_b64 v21, v[4:5] offset:5128
.LBB186_277:                            ;   in Loop: Header=BB186_18 Depth=1
	s_or_b64 exec, exec, s[54:55]
	s_waitcnt lgkmcnt(0)
	s_barrier
.LBB186_278:                            ;   in Loop: Header=BB186_18 Depth=1
	v_or_b32_e32 v13, s19, v13
	v_or_b32_e32 v12, s18, v12
	;; [unrolled: 1-line block ×4, first 2 shown]
	s_mov_b32 s72, 8
.LBB186_279:                            ;   in Loop: Header=BB186_18 Depth=1
	v_readlane_b32 s54, v54, 9
	v_readlane_b32 s55, v54, 10
	s_or_saveexec_b64 s[54:55], s[54:55]
	v_mov_b32_e32 v2, s72
	s_xor_b64 exec, exec, s[54:55]
; %bb.280:                              ;   in Loop: Header=BB186_18 Depth=1
	v_mov_b32_e32 v2, s29
	v_subrev_co_u32_e32 v30, vcc, s28, v30
	v_subb_co_u32_e32 v31, vcc, v31, v2, vcc
	v_mov_b32_e32 v2, 8
; %bb.281:                              ;   in Loop: Header=BB186_18 Depth=1
	s_or_b64 exec, exec, s[54:55]
	v_readlane_b32 vcc_lo, v54, 3
	v_pk_mov_b32 v[4:5], v[30:31], v[30:31] op_sel:[0,1]
	v_readlane_b32 vcc_hi, v54, 4
.LBB186_282:                            ;   in Loop: Header=BB186_18 Depth=1
	s_or_b64 exec, exec, s[94:95]
	s_mov_b64 s[54:55], exec
.LBB186_283:                            ;   in Loop: Header=BB186_18 Depth=1
	s_or_b64 exec, exec, s[92:93]
	s_orn2_b64 s[92:93], s[54:55], exec
	s_waitcnt vmcnt(0)
	v_pk_mov_b32 v[30:31], v[4:5], v[4:5] op_sel:[0,1]
.LBB186_284:                            ;   in Loop: Header=BB186_18 Depth=1
	s_or_b64 exec, exec, s[10:11]
	s_andn2_b64 s[8:9], s[8:9], exec
	s_and_b64 s[2:3], s[2:3], exec
	s_or_b64 s[8:9], s[8:9], s[2:3]
	v_readlane_b32 s2, v54, 1
	v_readlane_b32 s3, v54, 2
	s_andn2_b64 s[2:3], s[2:3], exec
	s_and_b64 s[10:11], s[12:13], exec
	s_or_b64 s[2:3], s[2:3], s[10:11]
	v_writelane_b32 v54, s2, 1
	v_writelane_b32 v54, s3, 2
	s_andn2_b64 s[2:3], vcc, exec
	s_and_b64 s[6:7], s[6:7], exec
	s_or_b64 vcc, s[2:3], s[6:7]
	s_and_b64 s[2:3], s[92:93], exec
	v_pk_mov_b32 v[32:33], v[30:31], v[30:31] op_sel:[0,1]
.LBB186_285:                            ;   in Loop: Header=BB186_18 Depth=1
	s_or_b64 exec, exec, s[56:57]
	v_readlane_b32 s6, v54, 1
	v_readlane_b32 s7, v54, 2
	s_and_b64 s[12:13], s[8:9], exec
	s_and_b64 s[8:9], s[6:7], exec
	s_and_b64 s[6:7], vcc, exec
	s_orn2_b64 s[2:3], s[2:3], exec
.LBB186_286:                            ;   in Loop: Header=BB186_18 Depth=1
	s_or_b64 exec, exec, s[52:53]
	s_andn2_b64 s[10:11], s[36:37], exec
	s_and_b64 s[12:13], s[12:13], exec
	s_or_b64 s[36:37], s[10:11], s[12:13]
	s_andn2_b64 s[10:11], s[48:49], exec
	s_and_b64 s[8:9], s[8:9], exec
	s_or_b64 s[48:49], s[10:11], s[8:9]
	;; [unrolled: 3-line block ×3, first 2 shown]
	s_and_b64 s[6:7], s[2:3], exec
	v_pk_mov_b32 v[30:31], v[32:33], v[32:33] op_sel:[0,1]
.LBB186_287:                            ;   in Loop: Header=BB186_18 Depth=1
	s_or_b64 exec, exec, s[50:51]
	s_and_b64 s[10:11], s[36:37], exec
	s_and_b64 s[8:9], s[48:49], exec
	;; [unrolled: 1-line block ×3, first 2 shown]
	s_orn2_b64 s[36:37], s[6:7], exec
.LBB186_288:                            ;   in Loop: Header=BB186_18 Depth=1
	s_or_b64 exec, exec, s[34:35]
	s_mov_b64 s[6:7], 0
	s_mov_b64 s[12:13], 0
	s_and_saveexec_b64 s[34:35], s[36:37]
	s_xor_b64 s[34:35], exec, s[34:35]
; %bb.289:                              ;   in Loop: Header=BB186_18 Depth=1
	v_cmp_eq_u32_e32 vcc, 8, v2
	v_cmp_ne_u32_e64 s[6:7], 8, v2
	s_andn2_b64 s[10:11], s[10:11], exec
	s_andn2_b64 s[8:9], s[8:9], exec
	;; [unrolled: 1-line block ×3, first 2 shown]
	s_and_b64 s[12:13], s[6:7], exec
	s_and_b64 s[6:7], vcc, exec
; %bb.290:                              ;   in Loop: Header=BB186_18 Depth=1
	s_or_b64 exec, exec, s[34:35]
	s_andn2_b64 s[24:25], s[24:25], exec
	s_and_b64 s[10:11], s[10:11], exec
	s_or_b64 s[24:25], s[24:25], s[10:11]
	s_andn2_b64 s[10:11], s[40:41], exec
	s_and_b64 s[8:9], s[8:9], exec
	s_or_b64 s[40:41], s[10:11], s[8:9]
	;; [unrolled: 3-line block ×3, first 2 shown]
	s_and_b64 s[34:35], s[12:13], exec
	s_and_b64 s[36:37], s[6:7], exec
.LBB186_291:                            ;   in Loop: Header=BB186_18 Depth=1
	s_or_b64 exec, exec, s[44:45]
	s_and_b64 vcc, exec, s[42:43]
	s_cbranch_vccz .LBB186_106
.LBB186_292:                            ;   in Loop: Header=BB186_18 Depth=1
	s_cmp_eq_u64 s[28:29], 1
	s_cselect_b64 s[2:3], -1, 0
	s_and_b64 s[8:9], s[2:3], s[14:15]
	s_mov_b64 s[2:3], -1
                                        ; implicit-def: $sgpr14_sgpr15
                                        ; implicit-def: $sgpr42_sgpr43
                                        ; implicit-def: $sgpr24_sgpr25
	s_and_saveexec_b64 s[10:11], s[8:9]
	s_cbranch_execz .LBB186_324
; %bb.293:                              ;   in Loop: Header=BB186_18 Depth=1
	s_waitcnt vmcnt(0)
	ds_read_b64 v[4:5], v21 offset:5120
	s_waitcnt lgkmcnt(0)
	s_barrier
	v_readfirstlane_b32 s2, v4
	v_readfirstlane_b32 s3, v5
	s_mov_b64 s[6:7], exec
	v_readlane_b32 s12, v55, 48
	v_readlane_b32 s13, v55, 49
	s_and_b64 s[12:13], s[6:7], s[12:13]
	s_mov_b64 exec, s[12:13]
	s_cbranch_execz .LBB186_295
; %bb.294:                              ;   in Loop: Header=BB186_18 Depth=1
	v_mov_b32_e32 v20, v21
	ds_write_b64 v40, v[20:21]
.LBB186_295:                            ;   in Loop: Header=BB186_18 Depth=1
	s_or_b64 exec, exec, s[6:7]
	v_or_b32_e32 v25, s19, v25
	v_or_b32_e32 v24, s18, v24
	;; [unrolled: 1-line block ×4, first 2 shown]
	s_cmp_eq_u64 s[2:3], 0
	s_waitcnt lgkmcnt(0)
	s_barrier
	s_cbranch_scc1 .LBB186_307
; %bb.296:                              ;   in Loop: Header=BB186_18 Depth=1
	v_readlane_b32 s6, v55, 52
	s_add_u32 s14, s6, s2
	v_readlane_b32 s6, v55, 54
	s_addc_u32 s7, s6, s3
	s_mov_b32 s6, s91
	s_cmp_lg_u64 s[6:7], 0
	s_cbranch_scc0 .LBB186_351
; %bb.297:                              ;   in Loop: Header=BB186_18 Depth=1
	v_cvt_f32_u32_e32 v2, s89
	s_sub_u32 s6, 0, s89
	s_subb_u32 s12, 0, 0
	v_mac_f32_e32 v2, 0, v43
	v_rcp_f32_e32 v2, v2
	v_mul_f32_e32 v2, 0x5f7ffffc, v2
	v_mul_f32_e32 v4, 0x2f800000, v2
	v_trunc_f32_e32 v4, v4
	v_mac_f32_e32 v2, 0xcf800000, v4
	v_cvt_u32_f32_e32 v4, v4
	v_cvt_u32_f32_e32 v2, v2
	v_readfirstlane_b32 s13, v4
	v_readfirstlane_b32 s15, v2
	s_mul_i32 s24, s6, s13
	s_mul_hi_u32 s38, s6, s15
	s_mul_i32 s25, s12, s15
	s_add_i32 s24, s38, s24
	s_mul_i32 s39, s6, s15
	s_add_i32 s24, s24, s25
	s_mul_hi_u32 s38, s15, s39
	s_mul_hi_u32 s25, s15, s24
	s_mul_i32 s15, s15, s24
	s_add_u32 s15, s38, s15
	s_addc_u32 s25, 0, s25
	s_mul_hi_u32 s40, s13, s39
	s_mul_i32 s39, s13, s39
	s_add_u32 s15, s15, s39
	s_mul_hi_u32 s38, s13, s24
	s_addc_u32 s15, s25, s40
	s_addc_u32 s25, s38, 0
	s_mul_i32 s24, s13, s24
	s_add_u32 s15, s15, s24
	s_addc_u32 s24, 0, s25
	v_add_co_u32_e32 v2, vcc, s15, v2
	s_cmp_lg_u64 vcc, 0
	s_addc_u32 s13, s13, s24
	v_readfirstlane_b32 s24, v2
	s_mul_i32 s15, s6, s13
	s_mul_hi_u32 s25, s6, s24
	s_add_i32 s15, s25, s15
	s_mul_i32 s12, s12, s24
	s_add_i32 s15, s15, s12
	s_mul_i32 s6, s6, s24
	s_mul_hi_u32 s25, s13, s6
	s_mul_i32 s38, s13, s6
	s_mul_i32 s40, s24, s15
	s_mul_hi_u32 s6, s24, s6
	s_mul_hi_u32 s39, s24, s15
	s_add_u32 s6, s6, s40
	s_addc_u32 s24, 0, s39
	s_add_u32 s6, s6, s38
	s_mul_hi_u32 s12, s13, s15
	s_addc_u32 s6, s24, s25
	s_addc_u32 s12, s12, 0
	s_mul_i32 s15, s13, s15
	s_add_u32 s6, s6, s15
	s_addc_u32 s12, 0, s12
	v_add_co_u32_e32 v2, vcc, s6, v2
	s_cmp_lg_u64 vcc, 0
	s_addc_u32 s6, s13, s12
	v_readfirstlane_b32 s15, v2
	s_mul_i32 s13, s14, s6
	s_mul_hi_u32 s24, s14, s15
	s_mul_hi_u32 s12, s14, s6
	s_add_u32 s13, s24, s13
	s_addc_u32 s12, 0, s12
	s_mul_hi_u32 s25, s7, s15
	s_mul_i32 s15, s7, s15
	s_add_u32 s13, s13, s15
	s_mul_hi_u32 s24, s7, s6
	s_addc_u32 s12, s12, s25
	s_addc_u32 s13, s24, 0
	s_mul_i32 s6, s7, s6
	s_add_u32 s6, s12, s6
	s_addc_u32 s12, 0, s13
	s_mul_hi_u32 s13, s89, s6
	s_mul_i32 s6, s89, s6
	s_mul_i32 s12, s89, s12
	v_mov_b32_e32 v2, s6
	s_add_i32 s13, s13, s12
	v_sub_co_u32_e32 v2, vcc, s14, v2
	s_cmp_lg_u64 vcc, 0
	s_subb_u32 s6, s7, s13
	v_subrev_co_u32_e32 v4, vcc, s89, v2
	s_cmp_lg_u64 vcc, 0
	s_subb_u32 s12, s6, 0
	v_subrev_co_u32_e32 v5, vcc, s89, v4
	s_cmp_lg_u64 vcc, 0
	s_subb_u32 s13, s12, 0
	v_cmp_le_u32_e32 vcc, s89, v4
	s_cmp_eq_u32 s12, 0
	v_cndmask_b32_e64 v6, 0, -1, vcc
	s_cselect_b64 vcc, -1, 0
	v_cndmask_b32_e32 v6, -1, v6, vcc
	v_mov_b32_e32 v7, s12
	v_mov_b32_e32 v8, s13
	v_cmp_ne_u32_e32 vcc, 0, v6
	v_cndmask_b32_e32 v6, v7, v8, vcc
	v_cndmask_b32_e32 v4, v4, v5, vcc
	v_cmp_le_u32_e32 vcc, s89, v2
	s_cmp_eq_u32 s6, 0
	v_cndmask_b32_e64 v5, 0, -1, vcc
	s_cselect_b64 vcc, -1, 0
	v_cndmask_b32_e32 v5, -1, v5, vcc
	v_mov_b32_e32 v7, s6
	v_cmp_ne_u32_e32 vcc, 0, v5
	v_cndmask_b32_e32 v5, v7, v6, vcc
	v_cndmask_b32_e32 v4, v2, v4, vcc
	s_cbranch_execnz .LBB186_299
.LBB186_298:                            ;   in Loop: Header=BB186_18 Depth=1
	v_cvt_f32_u32_e32 v2, s89
	s_sub_i32 s6, 0, s89
	v_rcp_iflag_f32_e32 v2, v2
	v_mul_f32_e32 v2, 0x4f7ffffe, v2
	v_cvt_u32_f32_e32 v2, v2
	v_mul_lo_u32 v4, s6, v2
	v_mul_hi_u32 v4, v2, v4
	v_add_u32_e32 v2, v2, v4
	v_mul_hi_u32 v2, s14, v2
	v_mul_lo_u32 v2, v2, s89
	v_sub_u32_e32 v2, s14, v2
	v_subrev_u32_e32 v4, s89, v2
	v_cmp_le_u32_e32 vcc, s89, v2
	v_cndmask_b32_e32 v2, v2, v4, vcc
	v_subrev_u32_e32 v4, s89, v2
	v_cmp_le_u32_e32 vcc, s89, v2
	v_cndmask_b32_e32 v20, v2, v4, vcc
	v_pk_mov_b32 v[4:5], v[20:21], v[20:21] op_sel:[0,1]
.LBB186_299:                            ;   in Loop: Header=BB186_18 Depth=1
	v_mov_b32_e32 v2, s7
	v_sub_co_u32_e32 v8, vcc, s14, v4
	v_subb_co_u32_e32 v9, vcc, v2, v5, vcc
	v_cmp_gt_u64_e32 vcc, v[8:9], v[0:1]
	s_mov_b64 s[6:7], 0
                                        ; implicit-def: $vgpr6_vgpr7
	s_and_saveexec_b64 s[12:13], vcc
	s_cbranch_execz .LBB186_309
; %bb.300:                              ;   in Loop: Header=BB186_18 Depth=1
	s_mov_b64 s[24:25], 0
	v_mov_b32_e32 v12, v39
	v_pk_mov_b32 v[10:11], v[0:1], v[0:1] op_sel:[0,1]
                                        ; implicit-def: $sgpr14_sgpr15
	s_branch .LBB186_302
.LBB186_301:                            ;   in Loop: Header=BB186_302 Depth=2
	s_or_b64 exec, exec, s[6:7]
	s_waitcnt lgkmcnt(0)
	s_barrier
	ds_read_b128 v[4:7], v21 offset:3072
	v_mov_b32_e32 v2, s74
	v_add_co_u32_e64 v10, s[6:7], s89, v10
	v_addc_co_u32_e64 v11, s[6:7], v11, v2, s[6:7]
	s_waitcnt lgkmcnt(0)
	v_cmp_neq_f64_e32 vcc, 0, v[4:5]
	v_cmp_ge_u64_e64 s[6:7], v[10:11], v[8:9]
	s_or_b64 s[6:7], s[6:7], vcc
	s_and_b64 s[6:7], exec, s[6:7]
	s_or_b64 s[24:25], s[6:7], s[24:25]
	s_andn2_b64 s[6:7], s[14:15], exec
	s_and_b64 s[14:15], vcc, exec
	v_add_u32_e32 v12, s5, v12
	s_or_b64 s[14:15], s[6:7], s[14:15]
	s_barrier
	s_andn2_b64 exec, exec, s[24:25]
	s_cbranch_execz .LBB186_308
.LBB186_302:                            ;   Parent Loop BB186_18 Depth=1
                                        ; =>  This Inner Loop Header: Depth=2
	v_cmp_gt_u64_e32 vcc, s[2:3], v[10:11]
	v_pk_mov_b32 v[4:5], 0, 0
	s_and_saveexec_b64 s[6:7], vcc
	s_cbranch_execz .LBB186_304
; %bb.303:                              ;   in Loop: Header=BB186_302 Depth=2
	ds_read_b64 v[4:5], v12
.LBB186_304:                            ;   in Loop: Header=BB186_302 Depth=2
	s_or_b64 exec, exec, s[6:7]
	s_and_saveexec_b64 s[6:7], vcc
	s_cbranch_execz .LBB186_301
; %bb.305:                              ;   in Loop: Header=BB186_302 Depth=2
	s_waitcnt lgkmcnt(0)
	v_ashrrev_i32_e32 v2, 31, v5
	v_or_b32_e32 v6, 0x80000000, v2
	v_xor_b32_e32 v6, v6, v5
	v_xor_b32_e32 v2, v2, v4
	v_cmp_o_f64_e32 vcc, v[4:5], v[4:5]
	v_cndmask_b32_e32 v6, -1, v6, vcc
	v_cndmask_b32_e32 v2, -1, v2, vcc
	v_and_b32_e32 v7, v6, v27
	v_and_b32_e32 v6, v2, v26
	v_cmp_eq_u64_e32 vcc, v[6:7], v[24:25]
	s_and_b64 exec, exec, vcc
	s_cbranch_execz .LBB186_301
; %bb.306:                              ;   in Loop: Header=BB186_302 Depth=2
	v_mov_b32_e32 v2, v21
	ds_write_b128 v21, v[2:5] offset:3072
	s_branch .LBB186_301
.LBB186_307:                            ;   in Loop: Header=BB186_18 Depth=1
	s_mov_b64 s[14:15], -1
	s_mov_b64 s[6:7], 0
                                        ; implicit-def: $sgpr42_sgpr43
                                        ; implicit-def: $vgpr6_vgpr7
	s_mov_b64 s[24:25], s[14:15]
	s_cbranch_execnz .LBB186_310
	s_branch .LBB186_323
.LBB186_308:                            ;   in Loop: Header=BB186_18 Depth=1
	s_or_b64 exec, exec, s[24:25]
	s_and_b64 s[6:7], s[14:15], exec
.LBB186_309:                            ;   in Loop: Header=BB186_18 Depth=1
	s_or_b64 exec, exec, s[12:13]
	s_mov_b64 s[14:15], 0
	s_mov_b64 s[42:43], -1
	s_mov_b64 s[24:25], s[14:15]
	s_branch .LBB186_323
.LBB186_310:                            ;   in Loop: Header=BB186_18 Depth=1
	s_mov_b32 s72, s91
	s_cmp_lg_u64 s[72:73], 0
	s_cbranch_scc0 .LBB186_352
; %bb.311:                              ;   in Loop: Header=BB186_18 Depth=1
	v_cvt_f32_u32_e32 v2, s89
	s_sub_u32 s2, 0, s89
	s_subb_u32 s3, 0, 0
	v_mac_f32_e32 v2, 0, v43
	v_rcp_f32_e32 v2, v2
	v_mul_f32_e32 v2, 0x5f7ffffc, v2
	v_mul_f32_e32 v4, 0x2f800000, v2
	v_trunc_f32_e32 v4, v4
	v_mac_f32_e32 v2, 0xcf800000, v4
	v_cvt_u32_f32_e32 v4, v4
	v_cvt_u32_f32_e32 v2, v2
	v_readfirstlane_b32 s6, v4
	v_readfirstlane_b32 s7, v2
	s_mul_i32 s12, s2, s6
	s_mul_hi_u32 s14, s2, s7
	s_mul_i32 s13, s3, s7
	s_add_i32 s12, s14, s12
	s_mul_i32 s15, s2, s7
	s_add_i32 s12, s12, s13
	s_mul_hi_u32 s14, s7, s15
	s_mul_hi_u32 s13, s7, s12
	s_mul_i32 s7, s7, s12
	s_add_u32 s7, s14, s7
	s_addc_u32 s13, 0, s13
	s_mul_hi_u32 s24, s6, s15
	s_mul_i32 s15, s6, s15
	s_add_u32 s7, s7, s15
	s_mul_hi_u32 s14, s6, s12
	s_addc_u32 s7, s13, s24
	s_addc_u32 s13, s14, 0
	s_mul_i32 s12, s6, s12
	s_add_u32 s7, s7, s12
	s_addc_u32 s12, 0, s13
	v_add_co_u32_e32 v2, vcc, s7, v2
	s_cmp_lg_u64 vcc, 0
	s_addc_u32 s6, s6, s12
	v_readfirstlane_b32 s12, v2
	s_mul_i32 s7, s2, s6
	s_mul_hi_u32 s13, s2, s12
	s_add_i32 s7, s13, s7
	s_mul_i32 s3, s3, s12
	s_add_i32 s7, s7, s3
	s_mul_i32 s2, s2, s12
	s_mul_hi_u32 s13, s6, s2
	s_mul_i32 s14, s6, s2
	s_mul_i32 s24, s12, s7
	s_mul_hi_u32 s2, s12, s2
	s_mul_hi_u32 s15, s12, s7
	s_add_u32 s2, s2, s24
	s_addc_u32 s12, 0, s15
	s_add_u32 s2, s2, s14
	s_mul_hi_u32 s3, s6, s7
	s_addc_u32 s2, s12, s13
	s_addc_u32 s3, s3, 0
	s_mul_i32 s7, s6, s7
	s_add_u32 s2, s2, s7
	s_addc_u32 s3, 0, s3
	v_add_co_u32_e32 v2, vcc, s2, v2
	s_cmp_lg_u64 vcc, 0
	s_addc_u32 s2, s6, s3
	v_readlane_b32 s14, v55, 53
	v_readfirstlane_b32 s7, v2
	s_mul_i32 s6, s14, s2
	s_mul_hi_u32 s12, s14, s7
	s_mul_hi_u32 s3, s14, s2
	s_add_u32 s6, s12, s6
	s_addc_u32 s3, 0, s3
	s_mul_hi_u32 s13, s73, s7
	s_mul_i32 s7, s73, s7
	s_add_u32 s6, s6, s7
	s_mul_hi_u32 s12, s73, s2
	s_addc_u32 s3, s3, s13
	s_addc_u32 s6, s12, 0
	s_mul_i32 s2, s73, s2
	s_add_u32 s2, s3, s2
	s_addc_u32 s3, 0, s6
	s_mul_hi_u32 s6, s89, s2
	s_mul_i32 s2, s89, s2
	s_mul_i32 s3, s89, s3
	v_mov_b32_e32 v2, s2
	s_add_i32 s6, s6, s3
	v_sub_co_u32_e32 v2, vcc, s14, v2
	s_cmp_lg_u64 vcc, 0
	s_subb_u32 s2, s73, s6
	v_subrev_co_u32_e32 v4, vcc, s89, v2
	s_cmp_lg_u64 vcc, 0
	s_subb_u32 s3, s2, 0
	v_subrev_co_u32_e32 v5, vcc, s89, v4
	s_cmp_lg_u64 vcc, 0
	s_subb_u32 s6, s3, 0
	v_cmp_le_u32_e32 vcc, s89, v4
	s_cmp_eq_u32 s3, 0
	v_cndmask_b32_e64 v6, 0, -1, vcc
	s_cselect_b64 vcc, -1, 0
	v_cndmask_b32_e32 v6, -1, v6, vcc
	v_mov_b32_e32 v7, s3
	v_mov_b32_e32 v8, s6
	v_cmp_ne_u32_e32 vcc, 0, v6
	v_cndmask_b32_e32 v6, v7, v8, vcc
	v_cndmask_b32_e32 v4, v4, v5, vcc
	v_cmp_le_u32_e32 vcc, s89, v2
	s_cmp_eq_u32 s2, 0
	v_cndmask_b32_e64 v5, 0, -1, vcc
	s_cselect_b64 vcc, -1, 0
	v_cndmask_b32_e32 v5, -1, v5, vcc
	v_mov_b32_e32 v7, s2
	v_cmp_ne_u32_e32 vcc, 0, v5
	v_cndmask_b32_e32 v5, v7, v6, vcc
	v_cndmask_b32_e32 v4, v2, v4, vcc
	s_cbranch_execnz .LBB186_313
.LBB186_312:                            ;   in Loop: Header=BB186_18 Depth=1
	v_cvt_f32_u32_e32 v2, s89
	s_sub_i32 s2, 0, s89
	v_rcp_iflag_f32_e32 v2, v2
	v_mul_f32_e32 v2, 0x4f7ffffe, v2
	v_cvt_u32_f32_e32 v2, v2
	v_mul_lo_u32 v4, s2, v2
	v_mul_hi_u32 v4, v2, v4
	v_add_u32_e32 v2, v2, v4
	v_readlane_b32 s2, v55, 53
	v_mul_hi_u32 v2, s2, v2
	v_mul_lo_u32 v2, v2, s89
	v_sub_u32_e32 v2, s2, v2
	v_subrev_u32_e32 v4, s89, v2
	v_cmp_le_u32_e32 vcc, s89, v2
	v_cndmask_b32_e32 v2, v2, v4, vcc
	v_subrev_u32_e32 v4, s89, v2
	v_cmp_le_u32_e32 vcc, s89, v2
	v_cndmask_b32_e32 v20, v2, v4, vcc
	v_pk_mov_b32 v[4:5], v[20:21], v[20:21] op_sel:[0,1]
.LBB186_313:                            ;   in Loop: Header=BB186_18 Depth=1
	v_readlane_b32 s2, v55, 53
	v_mov_b32_e32 v2, s73
	v_sub_co_u32_e32 v8, vcc, s2, v4
	v_subb_co_u32_e32 v9, vcc, v2, v5, vcc
	v_cmp_gt_u64_e32 vcc, v[8:9], v[0:1]
	s_mov_b64 s[6:7], 0
                                        ; implicit-def: $vgpr6_vgpr7
	s_and_saveexec_b64 s[2:3], vcc
	s_cbranch_execz .LBB186_322
; %bb.314:                              ;   in Loop: Header=BB186_18 Depth=1
	s_mov_b64 s[14:15], 0
	v_pk_mov_b32 v[10:11], v[0:1], v[0:1] op_sel:[0,1]
                                        ; implicit-def: $sgpr12_sgpr13
	s_branch .LBB186_316
.LBB186_315:                            ;   in Loop: Header=BB186_316 Depth=2
	s_or_b64 exec, exec, s[6:7]
	s_waitcnt lgkmcnt(0)
	s_barrier
	s_waitcnt vmcnt(0)
	ds_read_b128 v[4:7], v21 offset:3072
	v_mov_b32_e32 v2, s74
	v_add_co_u32_e64 v10, s[6:7], s89, v10
	v_addc_co_u32_e64 v11, s[6:7], v11, v2, s[6:7]
	s_waitcnt lgkmcnt(0)
	v_cmp_neq_f64_e32 vcc, 0, v[4:5]
	v_cmp_ge_u64_e64 s[6:7], v[10:11], v[8:9]
	s_or_b64 s[6:7], s[6:7], vcc
	s_and_b64 s[6:7], exec, s[6:7]
	s_or_b64 s[14:15], s[6:7], s[14:15]
	s_andn2_b64 s[6:7], s[12:13], exec
	s_and_b64 s[12:13], vcc, exec
	s_or_b64 s[12:13], s[6:7], s[12:13]
	s_barrier
	s_andn2_b64 exec, exec, s[14:15]
	s_cbranch_execz .LBB186_321
.LBB186_316:                            ;   Parent Loop BB186_18 Depth=1
                                        ; =>  This Inner Loop Header: Depth=2
	v_cmp_gt_u64_e32 vcc, s[60:61], v[10:11]
	v_pk_mov_b32 v[4:5], 0, 0
	s_and_saveexec_b64 s[24:25], vcc
	s_cbranch_execz .LBB186_318
; %bb.317:                              ;   in Loop: Header=BB186_316 Depth=2
	v_mul_lo_u32 v2, v11, s58
	v_mul_lo_u32 v6, v10, s59
	v_mad_u64_u32 v[4:5], s[6:7], v10, s58, 0
	v_add3_u32 v5, v5, v6, v2
	v_lshlrev_b64 v[4:5], 3, v[4:5]
	v_mov_b32_e32 v2, s88
	v_add_co_u32_e64 v4, s[6:7], s33, v4
	v_addc_co_u32_e64 v5, s[6:7], v2, v5, s[6:7]
	global_load_dwordx2 v[4:5], v[4:5], off
.LBB186_318:                            ;   in Loop: Header=BB186_316 Depth=2
	s_or_b64 exec, exec, s[24:25]
	s_and_saveexec_b64 s[6:7], vcc
	s_cbranch_execz .LBB186_315
; %bb.319:                              ;   in Loop: Header=BB186_316 Depth=2
	s_waitcnt vmcnt(0)
	v_ashrrev_i32_e32 v2, 31, v5
	v_or_b32_e32 v6, 0x80000000, v2
	v_xor_b32_e32 v6, v6, v5
	v_xor_b32_e32 v2, v2, v4
	v_cmp_o_f64_e32 vcc, v[4:5], v[4:5]
	v_cndmask_b32_e32 v6, -1, v6, vcc
	v_cndmask_b32_e32 v2, -1, v2, vcc
	v_and_b32_e32 v7, v6, v27
	v_and_b32_e32 v6, v2, v26
	v_cmp_eq_u64_e32 vcc, v[6:7], v[24:25]
	s_and_b64 exec, exec, vcc
	s_cbranch_execz .LBB186_315
; %bb.320:                              ;   in Loop: Header=BB186_316 Depth=2
	v_mov_b32_e32 v2, v21
	ds_write_b128 v21, v[2:5] offset:3072
	s_branch .LBB186_315
.LBB186_321:                            ;   in Loop: Header=BB186_18 Depth=1
	s_or_b64 exec, exec, s[14:15]
	s_and_b64 s[6:7], s[12:13], exec
.LBB186_322:                            ;   in Loop: Header=BB186_18 Depth=1
	s_or_b64 exec, exec, s[2:3]
	s_mov_b64 s[42:43], 0
	s_mov_b64 s[14:15], -1
	s_mov_b64 s[24:25], 0
.LBB186_323:                            ;   in Loop: Header=BB186_18 Depth=1
	s_orn2_b64 s[2:3], s[6:7], exec
.LBB186_324:                            ;   in Loop: Header=BB186_18 Depth=1
	s_or_b64 exec, exec, s[10:11]
                                        ; implicit-def: $vgpr2
                                        ; implicit-def: $vgpr30_vgpr31
                                        ; implicit-def: $vgpr12_vgpr13
                                        ; implicit-def: $vgpr14_vgpr15
                                        ; implicit-def: $vgpr10_vgpr11
	s_and_saveexec_b64 s[38:39], s[2:3]
	s_cbranch_execz .LBB186_487
; %bb.325:                              ;   in Loop: Header=BB186_18 Depth=1
	s_waitcnt vmcnt(0)
	v_mov_b32_e32 v30, 1
	s_xor_b64 s[8:9], s[8:9], -1
	s_mov_b64 s[6:7], 0
	v_mov_b32_e32 v31, 0
	v_mov_b32_e32 v2, 1
	s_and_saveexec_b64 s[2:3], s[8:9]
	s_cbranch_execz .LBB186_335
; %bb.326:                              ;   in Loop: Header=BB186_18 Depth=1
	v_cmp_ge_u64_e32 vcc, s[28:29], v[28:29]
                                        ; implicit-def: $sgpr10
                                        ; implicit-def: $sgpr6_sgpr7
	s_and_saveexec_b64 s[8:9], vcc
	s_xor_b64 s[8:9], exec, s[8:9]
	s_cbranch_execz .LBB186_332
; %bb.327:                              ;   in Loop: Header=BB186_18 Depth=1
	ds_read_b64 v[4:5], v21 offset:5120
	s_waitcnt lgkmcnt(0)
	v_cmp_ne_u64_e32 vcc, 0, v[4:5]
	s_cbranch_vccnz .LBB186_331
; %bb.328:                              ;   in Loop: Header=BB186_18 Depth=1
	s_mov_b64 s[6:7], exec
	v_readlane_b32 s10, v55, 32
	v_readlane_b32 s11, v55, 33
	s_and_b64 s[10:11], s[6:7], s[10:11]
	s_mov_b64 exec, s[10:11]
	s_cbranch_execz .LBB186_330
; %bb.329:                              ;   in Loop: Header=BB186_18 Depth=1
	v_pk_mov_b32 v[4:5], s[28:29], s[28:29] op_sel:[0,1]
	ds_write_b64 v21, v[4:5] offset:5128
.LBB186_330:                            ;   in Loop: Header=BB186_18 Depth=1
	s_or_b64 exec, exec, s[6:7]
	s_waitcnt lgkmcnt(0)
	s_barrier
.LBB186_331:                            ;   in Loop: Header=BB186_18 Depth=1
	v_or_b32_e32 v25, s19, v25
	v_or_b32_e32 v24, s18, v24
	;; [unrolled: 1-line block ×4, first 2 shown]
	s_mov_b64 s[6:7], 0
	s_mov_b32 s10, 5
.LBB186_332:                            ;   in Loop: Header=BB186_18 Depth=1
	s_or_saveexec_b64 s[8:9], s[8:9]
	v_mov_b32_e32 v2, s10
	s_xor_b64 exec, exec, s[8:9]
; %bb.333:                              ;   in Loop: Header=BB186_18 Depth=1
	v_mov_b32_e32 v2, s29
	v_subrev_co_u32_e32 v28, vcc, s28, v28
	v_subb_co_u32_e32 v29, vcc, v29, v2, vcc
	v_mov_b32_e32 v2, 0
	s_or_b64 s[6:7], s[6:7], exec
; %bb.334:                              ;   in Loop: Header=BB186_18 Depth=1
	s_or_b64 exec, exec, s[8:9]
	s_and_b64 s[6:7], s[6:7], exec
	v_pk_mov_b32 v[30:31], v[28:29], v[28:29] op_sel:[0,1]
.LBB186_335:                            ;   in Loop: Header=BB186_18 Depth=1
	s_or_b64 exec, exec, s[2:3]
	s_mov_b64 s[40:41], -1
                                        ; implicit-def: $sgpr2_sgpr3
                                        ; implicit-def: $sgpr8_sgpr9
                                        ; implicit-def: $sgpr10_sgpr11
	s_and_saveexec_b64 s[12:13], s[6:7]
	s_xor_b64 s[28:29], exec, s[12:13]
	s_cbranch_execz .LBB186_484
; %bb.336:                              ;   in Loop: Header=BB186_18 Depth=1
	s_cmp_eq_u64 s[26:27], 1
	s_cselect_b64 s[2:3], -1, 0
	v_cmp_eq_u64_e32 vcc, 1, v[30:31]
	s_and_b64 s[8:9], s[2:3], vcc
	s_mov_b64 s[2:3], -1
                                        ; implicit-def: $sgpr40_sgpr41
                                        ; implicit-def: $sgpr44_sgpr45
                                        ; implicit-def: $sgpr46_sgpr47
	s_and_saveexec_b64 s[10:11], s[8:9]
	s_cbranch_execz .LBB186_370
; %bb.337:                              ;   in Loop: Header=BB186_18 Depth=1
	ds_read_b64 v[4:5], v21 offset:5120
	s_waitcnt lgkmcnt(0)
	s_barrier
	v_readfirstlane_b32 s2, v4
	v_readfirstlane_b32 s3, v5
	s_mov_b64 s[6:7], exec
	v_readlane_b32 s12, v55, 48
	v_readlane_b32 s13, v55, 49
	s_and_b64 s[12:13], s[6:7], s[12:13]
	s_mov_b64 exec, s[12:13]
	s_cbranch_execz .LBB186_339
; %bb.338:                              ;   in Loop: Header=BB186_18 Depth=1
	v_mov_b32_e32 v20, v21
	ds_write_b64 v40, v[20:21]
.LBB186_339:                            ;   in Loop: Header=BB186_18 Depth=1
	s_or_b64 exec, exec, s[6:7]
	s_lshl_b64 s[6:7], 2, s90
	v_and_b32_e32 v2, s21, v25
	v_and_b32_e32 v4, s20, v24
	v_or_b32_e32 v25, s7, v2
	v_or_b32_e32 v24, s6, v4
	;; [unrolled: 1-line block ×4, first 2 shown]
	s_cmp_eq_u64 s[2:3], 0
	s_waitcnt lgkmcnt(0)
	s_barrier
	s_cbranch_scc1 .LBB186_353
; %bb.340:                              ;   in Loop: Header=BB186_18 Depth=1
	v_readlane_b32 s6, v55, 52
	s_add_u32 s40, s6, s2
	v_readlane_b32 s6, v55, 54
	s_addc_u32 s7, s6, s3
	s_mov_b32 s6, s91
	s_cmp_lg_u64 s[6:7], 0
	s_cbranch_scc0 .LBB186_397
; %bb.341:                              ;   in Loop: Header=BB186_18 Depth=1
	v_cvt_f32_u32_e32 v2, s89
	s_sub_u32 s6, 0, s89
	s_subb_u32 s12, 0, 0
	v_mac_f32_e32 v2, 0, v43
	v_rcp_f32_e32 v2, v2
	v_mul_f32_e32 v2, 0x5f7ffffc, v2
	v_mul_f32_e32 v4, 0x2f800000, v2
	v_trunc_f32_e32 v4, v4
	v_mac_f32_e32 v2, 0xcf800000, v4
	v_cvt_u32_f32_e32 v4, v4
	v_cvt_u32_f32_e32 v2, v2
	v_readfirstlane_b32 s13, v4
	v_readfirstlane_b32 s41, v2
	s_mul_i32 s44, s6, s13
	s_mul_hi_u32 s46, s6, s41
	s_mul_i32 s45, s12, s41
	s_add_i32 s44, s46, s44
	s_mul_i32 s47, s6, s41
	s_add_i32 s44, s44, s45
	s_mul_hi_u32 s46, s41, s47
	s_mul_hi_u32 s45, s41, s44
	s_mul_i32 s41, s41, s44
	s_add_u32 s41, s46, s41
	s_addc_u32 s45, 0, s45
	s_mul_hi_u32 s48, s13, s47
	s_mul_i32 s47, s13, s47
	s_add_u32 s41, s41, s47
	s_mul_hi_u32 s46, s13, s44
	s_addc_u32 s41, s45, s48
	s_addc_u32 s45, s46, 0
	s_mul_i32 s44, s13, s44
	s_add_u32 s41, s41, s44
	s_addc_u32 s44, 0, s45
	v_add_co_u32_e32 v2, vcc, s41, v2
	s_cmp_lg_u64 vcc, 0
	s_addc_u32 s13, s13, s44
	v_readfirstlane_b32 s44, v2
	s_mul_i32 s41, s6, s13
	s_mul_hi_u32 s45, s6, s44
	s_add_i32 s41, s45, s41
	s_mul_i32 s12, s12, s44
	s_add_i32 s41, s41, s12
	s_mul_i32 s6, s6, s44
	s_mul_hi_u32 s45, s13, s6
	s_mul_i32 s46, s13, s6
	s_mul_i32 s48, s44, s41
	s_mul_hi_u32 s6, s44, s6
	s_mul_hi_u32 s47, s44, s41
	s_add_u32 s6, s6, s48
	s_addc_u32 s44, 0, s47
	s_add_u32 s6, s6, s46
	s_mul_hi_u32 s12, s13, s41
	s_addc_u32 s6, s44, s45
	s_addc_u32 s12, s12, 0
	s_mul_i32 s41, s13, s41
	s_add_u32 s6, s6, s41
	s_addc_u32 s12, 0, s12
	v_add_co_u32_e32 v2, vcc, s6, v2
	s_cmp_lg_u64 vcc, 0
	s_addc_u32 s6, s13, s12
	v_readfirstlane_b32 s41, v2
	s_mul_i32 s13, s40, s6
	s_mul_hi_u32 s44, s40, s41
	s_mul_hi_u32 s12, s40, s6
	s_add_u32 s13, s44, s13
	s_addc_u32 s12, 0, s12
	s_mul_hi_u32 s45, s7, s41
	s_mul_i32 s41, s7, s41
	s_add_u32 s13, s13, s41
	s_mul_hi_u32 s44, s7, s6
	s_addc_u32 s12, s12, s45
	s_addc_u32 s13, s44, 0
	s_mul_i32 s6, s7, s6
	s_add_u32 s6, s12, s6
	s_addc_u32 s12, 0, s13
	s_mul_hi_u32 s13, s89, s6
	s_mul_i32 s6, s89, s6
	s_mul_i32 s12, s89, s12
	v_mov_b32_e32 v2, s6
	s_add_i32 s13, s13, s12
	v_sub_co_u32_e32 v2, vcc, s40, v2
	s_cmp_lg_u64 vcc, 0
	s_subb_u32 s6, s7, s13
	v_subrev_co_u32_e32 v4, vcc, s89, v2
	s_cmp_lg_u64 vcc, 0
	s_subb_u32 s12, s6, 0
	v_subrev_co_u32_e32 v5, vcc, s89, v4
	s_cmp_lg_u64 vcc, 0
	s_subb_u32 s13, s12, 0
	v_cmp_le_u32_e32 vcc, s89, v4
	s_cmp_eq_u32 s12, 0
	v_cndmask_b32_e64 v6, 0, -1, vcc
	s_cselect_b64 vcc, -1, 0
	v_cndmask_b32_e32 v6, -1, v6, vcc
	v_mov_b32_e32 v7, s12
	v_mov_b32_e32 v8, s13
	v_cmp_ne_u32_e32 vcc, 0, v6
	v_cndmask_b32_e32 v6, v7, v8, vcc
	v_cndmask_b32_e32 v4, v4, v5, vcc
	v_cmp_le_u32_e32 vcc, s89, v2
	s_cmp_eq_u32 s6, 0
	v_cndmask_b32_e64 v5, 0, -1, vcc
	s_cselect_b64 vcc, -1, 0
	v_cndmask_b32_e32 v5, -1, v5, vcc
	v_mov_b32_e32 v7, s6
	v_cmp_ne_u32_e32 vcc, 0, v5
	v_cndmask_b32_e32 v5, v7, v6, vcc
	v_cndmask_b32_e32 v4, v2, v4, vcc
	s_cbranch_execnz .LBB186_343
.LBB186_342:                            ;   in Loop: Header=BB186_18 Depth=1
	v_cvt_f32_u32_e32 v2, s89
	s_sub_i32 s6, 0, s89
	v_rcp_iflag_f32_e32 v2, v2
	v_mul_f32_e32 v2, 0x4f7ffffe, v2
	v_cvt_u32_f32_e32 v2, v2
	v_mul_lo_u32 v4, s6, v2
	v_mul_hi_u32 v4, v2, v4
	v_add_u32_e32 v2, v2, v4
	v_mul_hi_u32 v2, s40, v2
	v_mul_lo_u32 v2, v2, s89
	v_sub_u32_e32 v2, s40, v2
	v_subrev_u32_e32 v4, s89, v2
	v_cmp_le_u32_e32 vcc, s89, v2
	v_cndmask_b32_e32 v2, v2, v4, vcc
	v_subrev_u32_e32 v4, s89, v2
	v_cmp_le_u32_e32 vcc, s89, v2
	v_cndmask_b32_e32 v20, v2, v4, vcc
	v_pk_mov_b32 v[4:5], v[20:21], v[20:21] op_sel:[0,1]
.LBB186_343:                            ;   in Loop: Header=BB186_18 Depth=1
	v_mov_b32_e32 v2, s7
	v_sub_co_u32_e32 v8, vcc, s40, v4
	v_subb_co_u32_e32 v9, vcc, v2, v5, vcc
	v_cmp_gt_u64_e32 vcc, v[8:9], v[0:1]
	s_mov_b64 s[6:7], 0
                                        ; implicit-def: $vgpr6_vgpr7
	s_and_saveexec_b64 s[12:13], vcc
	s_cbranch_execz .LBB186_355
; %bb.344:                              ;   in Loop: Header=BB186_18 Depth=1
	s_mov_b64 s[44:45], 0
	v_mov_b32_e32 v12, v39
	v_pk_mov_b32 v[10:11], v[0:1], v[0:1] op_sel:[0,1]
                                        ; implicit-def: $sgpr40_sgpr41
	s_branch .LBB186_346
.LBB186_345:                            ;   in Loop: Header=BB186_346 Depth=2
	s_or_b64 exec, exec, s[6:7]
	s_waitcnt lgkmcnt(0)
	s_barrier
	ds_read_b128 v[4:7], v21 offset:3072
	v_mov_b32_e32 v2, s74
	v_add_co_u32_e64 v10, s[6:7], s89, v10
	v_addc_co_u32_e64 v11, s[6:7], v11, v2, s[6:7]
	s_waitcnt lgkmcnt(0)
	v_cmp_neq_f64_e32 vcc, 0, v[4:5]
	v_cmp_ge_u64_e64 s[6:7], v[10:11], v[8:9]
	s_or_b64 s[6:7], s[6:7], vcc
	s_and_b64 s[6:7], exec, s[6:7]
	s_or_b64 s[44:45], s[6:7], s[44:45]
	s_andn2_b64 s[6:7], s[40:41], exec
	s_and_b64 s[40:41], vcc, exec
	v_add_u32_e32 v12, s5, v12
	s_or_b64 s[40:41], s[6:7], s[40:41]
	s_barrier
	s_andn2_b64 exec, exec, s[44:45]
	s_cbranch_execz .LBB186_354
.LBB186_346:                            ;   Parent Loop BB186_18 Depth=1
                                        ; =>  This Inner Loop Header: Depth=2
	v_cmp_gt_u64_e32 vcc, s[2:3], v[10:11]
	v_pk_mov_b32 v[4:5], 0, 0
	s_and_saveexec_b64 s[6:7], vcc
	s_cbranch_execz .LBB186_348
; %bb.347:                              ;   in Loop: Header=BB186_346 Depth=2
	ds_read_b64 v[4:5], v12
.LBB186_348:                            ;   in Loop: Header=BB186_346 Depth=2
	s_or_b64 exec, exec, s[6:7]
	s_and_saveexec_b64 s[6:7], vcc
	s_cbranch_execz .LBB186_345
; %bb.349:                              ;   in Loop: Header=BB186_346 Depth=2
	s_waitcnt lgkmcnt(0)
	v_ashrrev_i32_e32 v2, 31, v5
	v_or_b32_e32 v6, 0x80000000, v2
	v_xor_b32_e32 v6, v6, v5
	v_xor_b32_e32 v2, v2, v4
	v_cmp_o_f64_e32 vcc, v[4:5], v[4:5]
	v_cndmask_b32_e32 v6, -1, v6, vcc
	v_cndmask_b32_e32 v2, -1, v2, vcc
	v_and_b32_e32 v7, v6, v27
	v_and_b32_e32 v6, v2, v26
	v_cmp_eq_u64_e32 vcc, v[6:7], v[24:25]
	s_and_b64 exec, exec, vcc
	s_cbranch_execz .LBB186_345
; %bb.350:                              ;   in Loop: Header=BB186_346 Depth=2
	v_mov_b32_e32 v2, v21
	ds_write_b128 v21, v[2:5] offset:3072
	s_branch .LBB186_345
.LBB186_351:                            ;   in Loop: Header=BB186_18 Depth=1
                                        ; implicit-def: $vgpr4_vgpr5
	s_branch .LBB186_298
.LBB186_352:                            ;   in Loop: Header=BB186_18 Depth=1
                                        ; implicit-def: $vgpr4_vgpr5
	s_branch .LBB186_312
.LBB186_353:                            ;   in Loop: Header=BB186_18 Depth=1
	s_mov_b64 s[40:41], -1
	s_mov_b64 s[6:7], 0
                                        ; implicit-def: $sgpr44_sgpr45
                                        ; implicit-def: $vgpr6_vgpr7
	s_mov_b64 s[46:47], s[40:41]
	s_cbranch_execnz .LBB186_356
	s_branch .LBB186_369
.LBB186_354:                            ;   in Loop: Header=BB186_18 Depth=1
	s_or_b64 exec, exec, s[44:45]
	s_and_b64 s[6:7], s[40:41], exec
.LBB186_355:                            ;   in Loop: Header=BB186_18 Depth=1
	s_or_b64 exec, exec, s[12:13]
	s_mov_b64 s[40:41], 0
	s_mov_b64 s[44:45], -1
	s_mov_b64 s[46:47], s[40:41]
	s_branch .LBB186_369
.LBB186_356:                            ;   in Loop: Header=BB186_18 Depth=1
	s_mov_b32 s72, s91
	s_cmp_lg_u64 s[72:73], 0
	s_cbranch_scc0 .LBB186_398
; %bb.357:                              ;   in Loop: Header=BB186_18 Depth=1
	v_cvt_f32_u32_e32 v2, s89
	s_sub_u32 s2, 0, s89
	s_subb_u32 s3, 0, 0
	v_mac_f32_e32 v2, 0, v43
	v_rcp_f32_e32 v2, v2
	v_mul_f32_e32 v2, 0x5f7ffffc, v2
	v_mul_f32_e32 v4, 0x2f800000, v2
	v_trunc_f32_e32 v4, v4
	v_mac_f32_e32 v2, 0xcf800000, v4
	v_cvt_u32_f32_e32 v4, v4
	v_cvt_u32_f32_e32 v2, v2
	v_readfirstlane_b32 s6, v4
	v_readfirstlane_b32 s7, v2
	s_mul_i32 s12, s2, s6
	s_mul_hi_u32 s40, s2, s7
	s_mul_i32 s13, s3, s7
	s_add_i32 s12, s40, s12
	s_mul_i32 s41, s2, s7
	s_add_i32 s12, s12, s13
	s_mul_hi_u32 s40, s7, s41
	s_mul_hi_u32 s13, s7, s12
	s_mul_i32 s7, s7, s12
	s_add_u32 s7, s40, s7
	s_addc_u32 s13, 0, s13
	s_mul_hi_u32 s44, s6, s41
	s_mul_i32 s41, s6, s41
	s_add_u32 s7, s7, s41
	s_mul_hi_u32 s40, s6, s12
	s_addc_u32 s7, s13, s44
	s_addc_u32 s13, s40, 0
	s_mul_i32 s12, s6, s12
	s_add_u32 s7, s7, s12
	s_addc_u32 s12, 0, s13
	v_add_co_u32_e32 v2, vcc, s7, v2
	s_cmp_lg_u64 vcc, 0
	s_addc_u32 s6, s6, s12
	v_readfirstlane_b32 s12, v2
	s_mul_i32 s7, s2, s6
	s_mul_hi_u32 s13, s2, s12
	s_add_i32 s7, s13, s7
	s_mul_i32 s3, s3, s12
	s_add_i32 s7, s7, s3
	s_mul_i32 s2, s2, s12
	s_mul_hi_u32 s13, s6, s2
	s_mul_i32 s40, s6, s2
	s_mul_i32 s44, s12, s7
	s_mul_hi_u32 s2, s12, s2
	s_mul_hi_u32 s41, s12, s7
	s_add_u32 s2, s2, s44
	s_addc_u32 s12, 0, s41
	s_add_u32 s2, s2, s40
	s_mul_hi_u32 s3, s6, s7
	s_addc_u32 s2, s12, s13
	s_addc_u32 s3, s3, 0
	s_mul_i32 s7, s6, s7
	s_add_u32 s2, s2, s7
	s_addc_u32 s3, 0, s3
	v_add_co_u32_e32 v2, vcc, s2, v2
	s_cmp_lg_u64 vcc, 0
	s_addc_u32 s2, s6, s3
	v_readlane_b32 s40, v55, 53
	v_readfirstlane_b32 s7, v2
	s_mul_i32 s6, s40, s2
	s_mul_hi_u32 s12, s40, s7
	s_mul_hi_u32 s3, s40, s2
	s_add_u32 s6, s12, s6
	s_addc_u32 s3, 0, s3
	s_mul_hi_u32 s13, s73, s7
	s_mul_i32 s7, s73, s7
	s_add_u32 s6, s6, s7
	s_mul_hi_u32 s12, s73, s2
	s_addc_u32 s3, s3, s13
	s_addc_u32 s6, s12, 0
	s_mul_i32 s2, s73, s2
	s_add_u32 s2, s3, s2
	s_addc_u32 s3, 0, s6
	s_mul_hi_u32 s6, s89, s2
	s_mul_i32 s2, s89, s2
	s_mul_i32 s3, s89, s3
	v_mov_b32_e32 v2, s2
	s_add_i32 s6, s6, s3
	v_sub_co_u32_e32 v2, vcc, s40, v2
	s_cmp_lg_u64 vcc, 0
	s_subb_u32 s2, s73, s6
	v_subrev_co_u32_e32 v4, vcc, s89, v2
	s_cmp_lg_u64 vcc, 0
	s_subb_u32 s3, s2, 0
	v_subrev_co_u32_e32 v5, vcc, s89, v4
	s_cmp_lg_u64 vcc, 0
	s_subb_u32 s6, s3, 0
	v_cmp_le_u32_e32 vcc, s89, v4
	s_cmp_eq_u32 s3, 0
	v_cndmask_b32_e64 v6, 0, -1, vcc
	s_cselect_b64 vcc, -1, 0
	v_cndmask_b32_e32 v6, -1, v6, vcc
	v_mov_b32_e32 v7, s3
	v_mov_b32_e32 v8, s6
	v_cmp_ne_u32_e32 vcc, 0, v6
	v_cndmask_b32_e32 v6, v7, v8, vcc
	v_cndmask_b32_e32 v4, v4, v5, vcc
	v_cmp_le_u32_e32 vcc, s89, v2
	s_cmp_eq_u32 s2, 0
	v_cndmask_b32_e64 v5, 0, -1, vcc
	s_cselect_b64 vcc, -1, 0
	v_cndmask_b32_e32 v5, -1, v5, vcc
	v_mov_b32_e32 v7, s2
	v_cmp_ne_u32_e32 vcc, 0, v5
	v_cndmask_b32_e32 v5, v7, v6, vcc
	v_cndmask_b32_e32 v4, v2, v4, vcc
	s_cbranch_execnz .LBB186_359
.LBB186_358:                            ;   in Loop: Header=BB186_18 Depth=1
	v_cvt_f32_u32_e32 v2, s89
	s_sub_i32 s2, 0, s89
	v_rcp_iflag_f32_e32 v2, v2
	v_mul_f32_e32 v2, 0x4f7ffffe, v2
	v_cvt_u32_f32_e32 v2, v2
	v_mul_lo_u32 v4, s2, v2
	v_mul_hi_u32 v4, v2, v4
	v_add_u32_e32 v2, v2, v4
	v_readlane_b32 s2, v55, 53
	v_mul_hi_u32 v2, s2, v2
	v_mul_lo_u32 v2, v2, s89
	v_sub_u32_e32 v2, s2, v2
	v_subrev_u32_e32 v4, s89, v2
	v_cmp_le_u32_e32 vcc, s89, v2
	v_cndmask_b32_e32 v2, v2, v4, vcc
	v_subrev_u32_e32 v4, s89, v2
	v_cmp_le_u32_e32 vcc, s89, v2
	v_cndmask_b32_e32 v20, v2, v4, vcc
	v_pk_mov_b32 v[4:5], v[20:21], v[20:21] op_sel:[0,1]
.LBB186_359:                            ;   in Loop: Header=BB186_18 Depth=1
	v_readlane_b32 s2, v55, 53
	v_mov_b32_e32 v2, s73
	v_sub_co_u32_e32 v8, vcc, s2, v4
	v_subb_co_u32_e32 v9, vcc, v2, v5, vcc
	v_cmp_gt_u64_e32 vcc, v[8:9], v[0:1]
	s_mov_b64 s[6:7], 0
                                        ; implicit-def: $vgpr6_vgpr7
	s_and_saveexec_b64 s[2:3], vcc
	s_cbranch_execz .LBB186_368
; %bb.360:                              ;   in Loop: Header=BB186_18 Depth=1
	s_mov_b64 s[40:41], 0
	v_pk_mov_b32 v[10:11], v[0:1], v[0:1] op_sel:[0,1]
                                        ; implicit-def: $sgpr12_sgpr13
	s_branch .LBB186_362
.LBB186_361:                            ;   in Loop: Header=BB186_362 Depth=2
	s_or_b64 exec, exec, s[6:7]
	s_waitcnt lgkmcnt(0)
	s_barrier
	s_waitcnt vmcnt(0)
	ds_read_b128 v[4:7], v21 offset:3072
	v_mov_b32_e32 v2, s74
	v_add_co_u32_e64 v10, s[6:7], s89, v10
	v_addc_co_u32_e64 v11, s[6:7], v11, v2, s[6:7]
	s_waitcnt lgkmcnt(0)
	v_cmp_neq_f64_e32 vcc, 0, v[4:5]
	v_cmp_ge_u64_e64 s[6:7], v[10:11], v[8:9]
	s_or_b64 s[6:7], s[6:7], vcc
	s_and_b64 s[6:7], exec, s[6:7]
	s_or_b64 s[40:41], s[6:7], s[40:41]
	s_andn2_b64 s[6:7], s[12:13], exec
	s_and_b64 s[12:13], vcc, exec
	s_or_b64 s[12:13], s[6:7], s[12:13]
	s_barrier
	s_andn2_b64 exec, exec, s[40:41]
	s_cbranch_execz .LBB186_367
.LBB186_362:                            ;   Parent Loop BB186_18 Depth=1
                                        ; =>  This Inner Loop Header: Depth=2
	v_cmp_gt_u64_e32 vcc, s[60:61], v[10:11]
	v_pk_mov_b32 v[4:5], 0, 0
	s_and_saveexec_b64 s[44:45], vcc
	s_cbranch_execz .LBB186_364
; %bb.363:                              ;   in Loop: Header=BB186_362 Depth=2
	v_mul_lo_u32 v2, v11, s58
	v_mul_lo_u32 v6, v10, s59
	v_mad_u64_u32 v[4:5], s[6:7], v10, s58, 0
	v_add3_u32 v5, v5, v6, v2
	v_lshlrev_b64 v[4:5], 3, v[4:5]
	v_mov_b32_e32 v2, s88
	v_add_co_u32_e64 v4, s[6:7], s33, v4
	v_addc_co_u32_e64 v5, s[6:7], v2, v5, s[6:7]
	global_load_dwordx2 v[4:5], v[4:5], off
.LBB186_364:                            ;   in Loop: Header=BB186_362 Depth=2
	s_or_b64 exec, exec, s[44:45]
	s_and_saveexec_b64 s[6:7], vcc
	s_cbranch_execz .LBB186_361
; %bb.365:                              ;   in Loop: Header=BB186_362 Depth=2
	s_waitcnt vmcnt(0)
	v_ashrrev_i32_e32 v2, 31, v5
	v_or_b32_e32 v6, 0x80000000, v2
	v_xor_b32_e32 v6, v6, v5
	v_xor_b32_e32 v2, v2, v4
	v_cmp_o_f64_e32 vcc, v[4:5], v[4:5]
	v_cndmask_b32_e32 v6, -1, v6, vcc
	v_cndmask_b32_e32 v2, -1, v2, vcc
	v_and_b32_e32 v7, v6, v27
	v_and_b32_e32 v6, v2, v26
	v_cmp_eq_u64_e32 vcc, v[6:7], v[24:25]
	s_and_b64 exec, exec, vcc
	s_cbranch_execz .LBB186_361
; %bb.366:                              ;   in Loop: Header=BB186_362 Depth=2
	v_mov_b32_e32 v2, v21
	ds_write_b128 v21, v[2:5] offset:3072
	s_branch .LBB186_361
.LBB186_367:                            ;   in Loop: Header=BB186_18 Depth=1
	s_or_b64 exec, exec, s[40:41]
	s_and_b64 s[6:7], s[12:13], exec
.LBB186_368:                            ;   in Loop: Header=BB186_18 Depth=1
	s_or_b64 exec, exec, s[2:3]
	s_mov_b64 s[44:45], 0
	s_mov_b64 s[40:41], -1
	s_mov_b64 s[46:47], 0
.LBB186_369:                            ;   in Loop: Header=BB186_18 Depth=1
	s_orn2_b64 s[2:3], s[6:7], exec
.LBB186_370:                            ;   in Loop: Header=BB186_18 Depth=1
	s_or_b64 exec, exec, s[10:11]
	s_mov_b64 s[6:7], 0
                                        ; implicit-def: $vgpr2
	s_and_saveexec_b64 s[48:49], s[2:3]
	s_cbranch_execz .LBB186_483
; %bb.371:                              ;   in Loop: Header=BB186_18 Depth=1
	v_mov_b32_e32 v8, 1
	s_xor_b64 s[6:7], s[8:9], -1
	s_mov_b64 s[10:11], 0
	v_mov_b32_e32 v9, 0
	v_mov_b32_e32 v2, 1
	s_and_saveexec_b64 s[2:3], s[6:7]
	s_cbranch_execz .LBB186_381
; %bb.372:                              ;   in Loop: Header=BB186_18 Depth=1
	v_cmp_ge_u64_e32 vcc, s[26:27], v[30:31]
                                        ; implicit-def: $sgpr10
                                        ; implicit-def: $sgpr6_sgpr7
	s_and_saveexec_b64 s[8:9], vcc
	s_xor_b64 s[8:9], exec, s[8:9]
	s_cbranch_execz .LBB186_378
; %bb.373:                              ;   in Loop: Header=BB186_18 Depth=1
	ds_read_b64 v[4:5], v21 offset:5120
	s_waitcnt lgkmcnt(0)
	v_cmp_ne_u64_e32 vcc, 0, v[4:5]
	s_cbranch_vccnz .LBB186_377
; %bb.374:                              ;   in Loop: Header=BB186_18 Depth=1
	s_mov_b64 s[6:7], exec
	v_readlane_b32 s10, v55, 32
	v_readlane_b32 s11, v55, 33
	s_and_b64 s[10:11], s[6:7], s[10:11]
	s_mov_b64 exec, s[10:11]
	s_cbranch_execz .LBB186_376
; %bb.375:                              ;   in Loop: Header=BB186_18 Depth=1
	v_pk_mov_b32 v[4:5], s[26:27], s[26:27] op_sel:[0,1]
	ds_write_b64 v21, v[4:5] offset:5128
.LBB186_376:                            ;   in Loop: Header=BB186_18 Depth=1
	s_or_b64 exec, exec, s[6:7]
	s_waitcnt lgkmcnt(0)
	s_barrier
.LBB186_377:                            ;   in Loop: Header=BB186_18 Depth=1
	s_lshl_b64 s[6:7], 2, s90
	v_and_b32_e32 v2, s21, v25
	v_and_b32_e32 v4, s20, v24
	v_or_b32_e32 v25, s7, v2
	v_or_b32_e32 v24, s6, v4
	;; [unrolled: 1-line block ×4, first 2 shown]
	s_mov_b64 s[6:7], 0
	s_mov_b32 s10, 5
.LBB186_378:                            ;   in Loop: Header=BB186_18 Depth=1
	s_or_saveexec_b64 s[8:9], s[8:9]
	v_mov_b32_e32 v2, s10
	s_xor_b64 exec, exec, s[8:9]
; %bb.379:                              ;   in Loop: Header=BB186_18 Depth=1
	v_mov_b32_e32 v2, s27
	v_subrev_co_u32_e32 v30, vcc, s26, v30
	v_subb_co_u32_e32 v31, vcc, v31, v2, vcc
	v_mov_b32_e32 v2, 0
	s_or_b64 s[6:7], s[6:7], exec
; %bb.380:                              ;   in Loop: Header=BB186_18 Depth=1
	s_or_b64 exec, exec, s[8:9]
	s_and_b64 s[10:11], s[6:7], exec
	v_pk_mov_b32 v[8:9], v[30:31], v[30:31] op_sel:[0,1]
.LBB186_381:                            ;   in Loop: Header=BB186_18 Depth=1
	s_or_b64 exec, exec, s[2:3]
	s_mov_b64 s[2:3], -1
                                        ; implicit-def: $sgpr6_sgpr7
                                        ; implicit-def: $sgpr8_sgpr9
                                        ; implicit-def: $sgpr12_sgpr13
	s_and_saveexec_b64 s[26:27], s[10:11]
	s_cbranch_execz .LBB186_482
; %bb.382:                              ;   in Loop: Header=BB186_18 Depth=1
	s_cmp_eq_u64 s[22:23], 1
	s_cselect_b64 s[2:3], -1, 0
	v_cmp_eq_u64_e32 vcc, 1, v[8:9]
	s_and_b64 s[54:55], s[2:3], vcc
	s_mov_b64 s[6:7], -1
                                        ; implicit-def: $sgpr8_sgpr9
                                        ; implicit-def: $sgpr50_sgpr51
                                        ; implicit-def: $sgpr10_sgpr11
	s_and_saveexec_b64 s[52:53], s[54:55]
	s_cbranch_execz .LBB186_416
; %bb.383:                              ;   in Loop: Header=BB186_18 Depth=1
	ds_read_b64 v[4:5], v21 offset:5120
	s_waitcnt lgkmcnt(0)
	s_barrier
	v_readfirstlane_b32 s2, v4
	v_readfirstlane_b32 s3, v5
	s_mov_b64 s[6:7], exec
	v_readlane_b32 s8, v55, 48
	v_readlane_b32 s9, v55, 49
	s_and_b64 s[8:9], s[6:7], s[8:9]
	s_mov_b64 exec, s[8:9]
	s_cbranch_execz .LBB186_385
; %bb.384:                              ;   in Loop: Header=BB186_18 Depth=1
	v_mov_b32_e32 v20, v21
	ds_write_b64 v40, v[20:21]
.LBB186_385:                            ;   in Loop: Header=BB186_18 Depth=1
	s_or_b64 exec, exec, s[6:7]
	s_lshl_b64 s[6:7], 1, s90
	v_and_b32_e32 v2, s21, v25
	v_and_b32_e32 v4, s20, v24
	v_or_b32_e32 v25, s7, v2
	v_or_b32_e32 v24, s6, v4
	;; [unrolled: 1-line block ×4, first 2 shown]
	s_cmp_eq_u64 s[2:3], 0
	s_waitcnt lgkmcnt(0)
	s_barrier
	s_cbranch_scc1 .LBB186_399
; %bb.386:                              ;   in Loop: Header=BB186_18 Depth=1
	v_readlane_b32 s6, v55, 52
	s_add_u32 s10, s6, s2
	v_readlane_b32 s6, v55, 54
	s_addc_u32 s7, s6, s3
	s_mov_b32 s6, s91
	s_cmp_lg_u64 s[6:7], 0
	s_cbranch_scc0 .LBB186_434
; %bb.387:                              ;   in Loop: Header=BB186_18 Depth=1
	v_cvt_f32_u32_e32 v2, s89
	s_sub_u32 s6, 0, s89
	s_subb_u32 s8, 0, 0
	v_mac_f32_e32 v2, 0, v43
	v_rcp_f32_e32 v2, v2
	v_mul_f32_e32 v2, 0x5f7ffffc, v2
	v_mul_f32_e32 v4, 0x2f800000, v2
	v_trunc_f32_e32 v4, v4
	v_mac_f32_e32 v2, 0xcf800000, v4
	v_cvt_u32_f32_e32 v4, v4
	v_cvt_u32_f32_e32 v2, v2
	v_readfirstlane_b32 s9, v4
	v_readfirstlane_b32 s11, v2
	s_mul_i32 s12, s6, s9
	s_mul_hi_u32 s50, s6, s11
	s_mul_i32 s13, s8, s11
	s_add_i32 s12, s50, s12
	s_mul_i32 s51, s6, s11
	s_add_i32 s12, s12, s13
	s_mul_hi_u32 s50, s11, s51
	s_mul_hi_u32 s13, s11, s12
	s_mul_i32 s11, s11, s12
	s_add_u32 s11, s50, s11
	s_addc_u32 s13, 0, s13
	s_mul_hi_u32 s56, s9, s51
	s_mul_i32 s51, s9, s51
	s_add_u32 s11, s11, s51
	s_mul_hi_u32 s50, s9, s12
	s_addc_u32 s11, s13, s56
	s_addc_u32 s13, s50, 0
	s_mul_i32 s12, s9, s12
	s_add_u32 s11, s11, s12
	s_addc_u32 s12, 0, s13
	v_add_co_u32_e32 v2, vcc, s11, v2
	s_cmp_lg_u64 vcc, 0
	s_addc_u32 s9, s9, s12
	v_readfirstlane_b32 s12, v2
	s_mul_i32 s11, s6, s9
	s_mul_hi_u32 s13, s6, s12
	s_add_i32 s11, s13, s11
	s_mul_i32 s8, s8, s12
	s_add_i32 s11, s11, s8
	s_mul_i32 s6, s6, s12
	s_mul_hi_u32 s13, s9, s6
	s_mul_i32 s50, s9, s6
	s_mul_i32 s56, s12, s11
	s_mul_hi_u32 s6, s12, s6
	s_mul_hi_u32 s51, s12, s11
	s_add_u32 s6, s6, s56
	s_addc_u32 s12, 0, s51
	s_add_u32 s6, s6, s50
	s_mul_hi_u32 s8, s9, s11
	s_addc_u32 s6, s12, s13
	s_addc_u32 s8, s8, 0
	s_mul_i32 s11, s9, s11
	s_add_u32 s6, s6, s11
	s_addc_u32 s8, 0, s8
	v_add_co_u32_e32 v2, vcc, s6, v2
	s_cmp_lg_u64 vcc, 0
	s_addc_u32 s6, s9, s8
	v_readfirstlane_b32 s11, v2
	s_mul_i32 s9, s10, s6
	s_mul_hi_u32 s12, s10, s11
	s_mul_hi_u32 s8, s10, s6
	s_add_u32 s9, s12, s9
	s_addc_u32 s8, 0, s8
	s_mul_hi_u32 s13, s7, s11
	s_mul_i32 s11, s7, s11
	s_add_u32 s9, s9, s11
	s_mul_hi_u32 s12, s7, s6
	s_addc_u32 s8, s8, s13
	s_addc_u32 s9, s12, 0
	s_mul_i32 s6, s7, s6
	s_add_u32 s6, s8, s6
	s_addc_u32 s8, 0, s9
	s_mul_hi_u32 s9, s89, s6
	s_mul_i32 s6, s89, s6
	s_mul_i32 s8, s89, s8
	v_mov_b32_e32 v2, s6
	s_add_i32 s9, s9, s8
	v_sub_co_u32_e32 v2, vcc, s10, v2
	s_cmp_lg_u64 vcc, 0
	s_subb_u32 s6, s7, s9
	v_subrev_co_u32_e32 v4, vcc, s89, v2
	s_cmp_lg_u64 vcc, 0
	s_subb_u32 s8, s6, 0
	v_subrev_co_u32_e32 v5, vcc, s89, v4
	s_cmp_lg_u64 vcc, 0
	s_subb_u32 s9, s8, 0
	v_cmp_le_u32_e32 vcc, s89, v4
	s_cmp_eq_u32 s8, 0
	v_cndmask_b32_e64 v6, 0, -1, vcc
	s_cselect_b64 vcc, -1, 0
	v_cndmask_b32_e32 v6, -1, v6, vcc
	v_mov_b32_e32 v7, s8
	v_mov_b32_e32 v10, s9
	v_cmp_ne_u32_e32 vcc, 0, v6
	v_cndmask_b32_e32 v6, v7, v10, vcc
	v_cndmask_b32_e32 v4, v4, v5, vcc
	v_cmp_le_u32_e32 vcc, s89, v2
	s_cmp_eq_u32 s6, 0
	v_cndmask_b32_e64 v5, 0, -1, vcc
	s_cselect_b64 vcc, -1, 0
	v_cndmask_b32_e32 v5, -1, v5, vcc
	v_mov_b32_e32 v7, s6
	v_cmp_ne_u32_e32 vcc, 0, v5
	v_cndmask_b32_e32 v5, v7, v6, vcc
	v_cndmask_b32_e32 v4, v2, v4, vcc
	s_cbranch_execnz .LBB186_389
.LBB186_388:                            ;   in Loop: Header=BB186_18 Depth=1
	v_cvt_f32_u32_e32 v2, s89
	s_sub_i32 s6, 0, s89
	v_rcp_iflag_f32_e32 v2, v2
	v_mul_f32_e32 v2, 0x4f7ffffe, v2
	v_cvt_u32_f32_e32 v2, v2
	v_mul_lo_u32 v4, s6, v2
	v_mul_hi_u32 v4, v2, v4
	v_add_u32_e32 v2, v2, v4
	v_mul_hi_u32 v2, s10, v2
	v_mul_lo_u32 v2, v2, s89
	v_sub_u32_e32 v2, s10, v2
	v_subrev_u32_e32 v4, s89, v2
	v_cmp_le_u32_e32 vcc, s89, v2
	v_cndmask_b32_e32 v2, v2, v4, vcc
	v_subrev_u32_e32 v4, s89, v2
	v_cmp_le_u32_e32 vcc, s89, v2
	v_cndmask_b32_e32 v20, v2, v4, vcc
	v_pk_mov_b32 v[4:5], v[20:21], v[20:21] op_sel:[0,1]
.LBB186_389:                            ;   in Loop: Header=BB186_18 Depth=1
	v_mov_b32_e32 v2, s7
	v_sub_co_u32_e32 v10, vcc, s10, v4
	v_subb_co_u32_e32 v11, vcc, v2, v5, vcc
	v_cmp_gt_u64_e32 vcc, v[10:11], v[0:1]
	s_mov_b64 s[6:7], 0
                                        ; implicit-def: $vgpr6_vgpr7
	s_and_saveexec_b64 s[8:9], vcc
	s_cbranch_execz .LBB186_401
; %bb.390:                              ;   in Loop: Header=BB186_18 Depth=1
	s_mov_b64 s[12:13], 0
	v_mov_b32_e32 v14, v39
	v_pk_mov_b32 v[12:13], v[0:1], v[0:1] op_sel:[0,1]
                                        ; implicit-def: $sgpr10_sgpr11
	s_branch .LBB186_392
.LBB186_391:                            ;   in Loop: Header=BB186_392 Depth=2
	s_or_b64 exec, exec, s[6:7]
	s_waitcnt lgkmcnt(0)
	s_barrier
	ds_read_b128 v[4:7], v21 offset:3072
	v_mov_b32_e32 v2, s74
	v_add_co_u32_e64 v12, s[6:7], s89, v12
	v_addc_co_u32_e64 v13, s[6:7], v13, v2, s[6:7]
	s_waitcnt lgkmcnt(0)
	v_cmp_neq_f64_e32 vcc, 0, v[4:5]
	v_cmp_ge_u64_e64 s[6:7], v[12:13], v[10:11]
	s_or_b64 s[6:7], s[6:7], vcc
	s_and_b64 s[6:7], exec, s[6:7]
	s_or_b64 s[12:13], s[6:7], s[12:13]
	s_andn2_b64 s[6:7], s[10:11], exec
	s_and_b64 s[10:11], vcc, exec
	v_add_u32_e32 v14, s5, v14
	s_or_b64 s[10:11], s[6:7], s[10:11]
	s_barrier
	s_andn2_b64 exec, exec, s[12:13]
	s_cbranch_execz .LBB186_400
.LBB186_392:                            ;   Parent Loop BB186_18 Depth=1
                                        ; =>  This Inner Loop Header: Depth=2
	v_cmp_gt_u64_e32 vcc, s[2:3], v[12:13]
	v_pk_mov_b32 v[4:5], 0, 0
	s_and_saveexec_b64 s[6:7], vcc
	s_cbranch_execz .LBB186_394
; %bb.393:                              ;   in Loop: Header=BB186_392 Depth=2
	ds_read_b64 v[4:5], v14
.LBB186_394:                            ;   in Loop: Header=BB186_392 Depth=2
	s_or_b64 exec, exec, s[6:7]
	s_and_saveexec_b64 s[6:7], vcc
	s_cbranch_execz .LBB186_391
; %bb.395:                              ;   in Loop: Header=BB186_392 Depth=2
	s_waitcnt lgkmcnt(0)
	v_ashrrev_i32_e32 v2, 31, v5
	v_or_b32_e32 v6, 0x80000000, v2
	v_xor_b32_e32 v6, v6, v5
	v_xor_b32_e32 v2, v2, v4
	v_cmp_o_f64_e32 vcc, v[4:5], v[4:5]
	v_cndmask_b32_e32 v6, -1, v6, vcc
	v_cndmask_b32_e32 v2, -1, v2, vcc
	v_and_b32_e32 v7, v6, v27
	v_and_b32_e32 v6, v2, v26
	v_cmp_eq_u64_e32 vcc, v[6:7], v[24:25]
	s_and_b64 exec, exec, vcc
	s_cbranch_execz .LBB186_391
; %bb.396:                              ;   in Loop: Header=BB186_392 Depth=2
	v_mov_b32_e32 v2, v21
	ds_write_b128 v21, v[2:5] offset:3072
	s_branch .LBB186_391
.LBB186_397:                            ;   in Loop: Header=BB186_18 Depth=1
                                        ; implicit-def: $vgpr4_vgpr5
	s_branch .LBB186_342
.LBB186_398:                            ;   in Loop: Header=BB186_18 Depth=1
                                        ; implicit-def: $vgpr4_vgpr5
	s_branch .LBB186_358
.LBB186_399:                            ;   in Loop: Header=BB186_18 Depth=1
	s_mov_b64 s[8:9], -1
	s_mov_b64 s[6:7], 0
                                        ; implicit-def: $sgpr50_sgpr51
                                        ; implicit-def: $vgpr6_vgpr7
	s_mov_b64 s[10:11], s[8:9]
	s_cbranch_execnz .LBB186_402
	s_branch .LBB186_415
.LBB186_400:                            ;   in Loop: Header=BB186_18 Depth=1
	s_or_b64 exec, exec, s[12:13]
	s_and_b64 s[6:7], s[10:11], exec
.LBB186_401:                            ;   in Loop: Header=BB186_18 Depth=1
	s_or_b64 exec, exec, s[8:9]
	s_mov_b64 s[8:9], 0
	s_mov_b64 s[50:51], -1
	s_mov_b64 s[10:11], s[8:9]
	s_branch .LBB186_415
.LBB186_402:                            ;   in Loop: Header=BB186_18 Depth=1
	s_mov_b32 s72, s91
	s_cmp_lg_u64 s[72:73], 0
	s_cbranch_scc0 .LBB186_435
; %bb.403:                              ;   in Loop: Header=BB186_18 Depth=1
	v_cvt_f32_u32_e32 v2, s89
	s_sub_u32 s2, 0, s89
	s_subb_u32 s3, 0, 0
	v_mac_f32_e32 v2, 0, v43
	v_rcp_f32_e32 v2, v2
	v_mul_f32_e32 v2, 0x5f7ffffc, v2
	v_mul_f32_e32 v4, 0x2f800000, v2
	v_trunc_f32_e32 v4, v4
	v_mac_f32_e32 v2, 0xcf800000, v4
	v_cvt_u32_f32_e32 v4, v4
	v_cvt_u32_f32_e32 v2, v2
	v_readfirstlane_b32 s6, v4
	v_readfirstlane_b32 s7, v2
	s_mul_i32 s8, s2, s6
	s_mul_hi_u32 s10, s2, s7
	s_mul_i32 s9, s3, s7
	s_add_i32 s8, s10, s8
	s_mul_i32 s11, s2, s7
	s_add_i32 s8, s8, s9
	s_mul_hi_u32 s10, s7, s11
	s_mul_hi_u32 s9, s7, s8
	s_mul_i32 s7, s7, s8
	s_add_u32 s7, s10, s7
	s_addc_u32 s9, 0, s9
	s_mul_hi_u32 s12, s6, s11
	s_mul_i32 s11, s6, s11
	s_add_u32 s7, s7, s11
	s_mul_hi_u32 s10, s6, s8
	s_addc_u32 s7, s9, s12
	s_addc_u32 s9, s10, 0
	s_mul_i32 s8, s6, s8
	s_add_u32 s7, s7, s8
	s_addc_u32 s8, 0, s9
	v_add_co_u32_e32 v2, vcc, s7, v2
	s_cmp_lg_u64 vcc, 0
	s_addc_u32 s6, s6, s8
	v_readfirstlane_b32 s8, v2
	s_mul_i32 s7, s2, s6
	s_mul_hi_u32 s9, s2, s8
	s_add_i32 s7, s9, s7
	s_mul_i32 s3, s3, s8
	s_add_i32 s7, s7, s3
	s_mul_i32 s2, s2, s8
	s_mul_hi_u32 s9, s6, s2
	s_mul_i32 s10, s6, s2
	s_mul_i32 s12, s8, s7
	s_mul_hi_u32 s2, s8, s2
	s_mul_hi_u32 s11, s8, s7
	s_add_u32 s2, s2, s12
	s_addc_u32 s8, 0, s11
	s_add_u32 s2, s2, s10
	s_mul_hi_u32 s3, s6, s7
	s_addc_u32 s2, s8, s9
	s_addc_u32 s3, s3, 0
	s_mul_i32 s7, s6, s7
	s_add_u32 s2, s2, s7
	s_addc_u32 s3, 0, s3
	v_add_co_u32_e32 v2, vcc, s2, v2
	s_cmp_lg_u64 vcc, 0
	s_addc_u32 s2, s6, s3
	v_readlane_b32 s10, v55, 53
	v_readfirstlane_b32 s7, v2
	s_mul_i32 s6, s10, s2
	s_mul_hi_u32 s8, s10, s7
	s_mul_hi_u32 s3, s10, s2
	s_add_u32 s6, s8, s6
	s_addc_u32 s3, 0, s3
	s_mul_hi_u32 s9, s73, s7
	s_mul_i32 s7, s73, s7
	s_add_u32 s6, s6, s7
	s_mul_hi_u32 s8, s73, s2
	s_addc_u32 s3, s3, s9
	s_addc_u32 s6, s8, 0
	s_mul_i32 s2, s73, s2
	s_add_u32 s2, s3, s2
	s_addc_u32 s3, 0, s6
	s_mul_hi_u32 s6, s89, s2
	s_mul_i32 s2, s89, s2
	s_mul_i32 s3, s89, s3
	v_mov_b32_e32 v2, s2
	s_add_i32 s6, s6, s3
	v_sub_co_u32_e32 v2, vcc, s10, v2
	s_cmp_lg_u64 vcc, 0
	s_subb_u32 s2, s73, s6
	v_subrev_co_u32_e32 v4, vcc, s89, v2
	s_cmp_lg_u64 vcc, 0
	s_subb_u32 s3, s2, 0
	v_subrev_co_u32_e32 v5, vcc, s89, v4
	s_cmp_lg_u64 vcc, 0
	s_subb_u32 s6, s3, 0
	v_cmp_le_u32_e32 vcc, s89, v4
	s_cmp_eq_u32 s3, 0
	v_cndmask_b32_e64 v6, 0, -1, vcc
	s_cselect_b64 vcc, -1, 0
	v_cndmask_b32_e32 v6, -1, v6, vcc
	v_mov_b32_e32 v7, s3
	v_mov_b32_e32 v10, s6
	v_cmp_ne_u32_e32 vcc, 0, v6
	v_cndmask_b32_e32 v6, v7, v10, vcc
	v_cndmask_b32_e32 v4, v4, v5, vcc
	v_cmp_le_u32_e32 vcc, s89, v2
	s_cmp_eq_u32 s2, 0
	v_cndmask_b32_e64 v5, 0, -1, vcc
	s_cselect_b64 vcc, -1, 0
	v_cndmask_b32_e32 v5, -1, v5, vcc
	v_mov_b32_e32 v7, s2
	v_cmp_ne_u32_e32 vcc, 0, v5
	v_cndmask_b32_e32 v5, v7, v6, vcc
	v_cndmask_b32_e32 v4, v2, v4, vcc
	s_cbranch_execnz .LBB186_405
.LBB186_404:                            ;   in Loop: Header=BB186_18 Depth=1
	v_cvt_f32_u32_e32 v2, s89
	s_sub_i32 s2, 0, s89
	v_rcp_iflag_f32_e32 v2, v2
	v_mul_f32_e32 v2, 0x4f7ffffe, v2
	v_cvt_u32_f32_e32 v2, v2
	v_mul_lo_u32 v4, s2, v2
	v_mul_hi_u32 v4, v2, v4
	v_add_u32_e32 v2, v2, v4
	v_readlane_b32 s2, v55, 53
	v_mul_hi_u32 v2, s2, v2
	v_mul_lo_u32 v2, v2, s89
	v_sub_u32_e32 v2, s2, v2
	v_subrev_u32_e32 v4, s89, v2
	v_cmp_le_u32_e32 vcc, s89, v2
	v_cndmask_b32_e32 v2, v2, v4, vcc
	v_subrev_u32_e32 v4, s89, v2
	v_cmp_le_u32_e32 vcc, s89, v2
	v_cndmask_b32_e32 v20, v2, v4, vcc
	v_pk_mov_b32 v[4:5], v[20:21], v[20:21] op_sel:[0,1]
.LBB186_405:                            ;   in Loop: Header=BB186_18 Depth=1
	v_readlane_b32 s2, v55, 53
	v_mov_b32_e32 v2, s73
	v_sub_co_u32_e32 v10, vcc, s2, v4
	v_subb_co_u32_e32 v11, vcc, v2, v5, vcc
	v_cmp_gt_u64_e32 vcc, v[10:11], v[0:1]
	s_mov_b64 s[6:7], 0
                                        ; implicit-def: $vgpr6_vgpr7
	s_and_saveexec_b64 s[2:3], vcc
	s_cbranch_execz .LBB186_414
; %bb.406:                              ;   in Loop: Header=BB186_18 Depth=1
	s_mov_b64 s[10:11], 0
	v_pk_mov_b32 v[12:13], v[0:1], v[0:1] op_sel:[0,1]
                                        ; implicit-def: $sgpr8_sgpr9
	s_branch .LBB186_408
.LBB186_407:                            ;   in Loop: Header=BB186_408 Depth=2
	s_or_b64 exec, exec, s[6:7]
	s_waitcnt lgkmcnt(0)
	s_barrier
	s_waitcnt vmcnt(0)
	ds_read_b128 v[4:7], v21 offset:3072
	v_mov_b32_e32 v2, s74
	v_add_co_u32_e64 v12, s[6:7], s89, v12
	v_addc_co_u32_e64 v13, s[6:7], v13, v2, s[6:7]
	s_waitcnt lgkmcnt(0)
	v_cmp_neq_f64_e32 vcc, 0, v[4:5]
	v_cmp_ge_u64_e64 s[6:7], v[12:13], v[10:11]
	s_or_b64 s[6:7], s[6:7], vcc
	s_and_b64 s[6:7], exec, s[6:7]
	s_or_b64 s[10:11], s[6:7], s[10:11]
	s_andn2_b64 s[6:7], s[8:9], exec
	s_and_b64 s[8:9], vcc, exec
	s_or_b64 s[8:9], s[6:7], s[8:9]
	s_barrier
	s_andn2_b64 exec, exec, s[10:11]
	s_cbranch_execz .LBB186_413
.LBB186_408:                            ;   Parent Loop BB186_18 Depth=1
                                        ; =>  This Inner Loop Header: Depth=2
	v_cmp_gt_u64_e32 vcc, s[60:61], v[12:13]
	v_pk_mov_b32 v[4:5], 0, 0
	s_and_saveexec_b64 s[12:13], vcc
	s_cbranch_execz .LBB186_410
; %bb.409:                              ;   in Loop: Header=BB186_408 Depth=2
	v_mul_lo_u32 v2, v13, s58
	v_mul_lo_u32 v6, v12, s59
	v_mad_u64_u32 v[4:5], s[6:7], v12, s58, 0
	v_add3_u32 v5, v5, v6, v2
	v_lshlrev_b64 v[4:5], 3, v[4:5]
	v_mov_b32_e32 v2, s88
	v_add_co_u32_e64 v4, s[6:7], s33, v4
	v_addc_co_u32_e64 v5, s[6:7], v2, v5, s[6:7]
	global_load_dwordx2 v[4:5], v[4:5], off
.LBB186_410:                            ;   in Loop: Header=BB186_408 Depth=2
	s_or_b64 exec, exec, s[12:13]
	s_and_saveexec_b64 s[6:7], vcc
	s_cbranch_execz .LBB186_407
; %bb.411:                              ;   in Loop: Header=BB186_408 Depth=2
	s_waitcnt vmcnt(0)
	v_ashrrev_i32_e32 v2, 31, v5
	v_or_b32_e32 v6, 0x80000000, v2
	v_xor_b32_e32 v6, v6, v5
	v_xor_b32_e32 v2, v2, v4
	v_cmp_o_f64_e32 vcc, v[4:5], v[4:5]
	v_cndmask_b32_e32 v6, -1, v6, vcc
	v_cndmask_b32_e32 v2, -1, v2, vcc
	v_and_b32_e32 v7, v6, v27
	v_and_b32_e32 v6, v2, v26
	v_cmp_eq_u64_e32 vcc, v[6:7], v[24:25]
	s_and_b64 exec, exec, vcc
	s_cbranch_execz .LBB186_407
; %bb.412:                              ;   in Loop: Header=BB186_408 Depth=2
	v_mov_b32_e32 v2, v21
	ds_write_b128 v21, v[2:5] offset:3072
	s_branch .LBB186_407
.LBB186_413:                            ;   in Loop: Header=BB186_18 Depth=1
	s_or_b64 exec, exec, s[10:11]
	s_and_b64 s[6:7], s[8:9], exec
.LBB186_414:                            ;   in Loop: Header=BB186_18 Depth=1
	s_or_b64 exec, exec, s[2:3]
	s_mov_b64 s[50:51], 0
	s_mov_b64 s[8:9], -1
	s_mov_b64 s[10:11], 0
.LBB186_415:                            ;   in Loop: Header=BB186_18 Depth=1
	s_orn2_b64 s[6:7], s[6:7], exec
.LBB186_416:                            ;   in Loop: Header=BB186_18 Depth=1
	s_or_b64 exec, exec, s[52:53]
	s_mov_b64 s[2:3], 0
                                        ; implicit-def: $vgpr2
	s_and_saveexec_b64 s[52:53], s[6:7]
	s_cbranch_execz .LBB186_481
; %bb.417:                              ;   in Loop: Header=BB186_18 Depth=1
	v_mov_b32_e32 v10, 1
	s_xor_b64 s[6:7], s[54:55], -1
	s_mov_b64 s[56:57], 0
	v_mov_b32_e32 v11, 0
	v_mov_b32_e32 v2, 1
	s_and_saveexec_b64 s[2:3], s[6:7]
	s_cbranch_execz .LBB186_427
; %bb.418:                              ;   in Loop: Header=BB186_18 Depth=1
	v_cmp_ge_u64_e32 vcc, s[22:23], v[8:9]
                                        ; implicit-def: $sgpr54
                                        ; implicit-def: $sgpr6_sgpr7
	s_and_saveexec_b64 s[12:13], vcc
	s_xor_b64 s[12:13], exec, s[12:13]
	s_cbranch_execz .LBB186_424
; %bb.419:                              ;   in Loop: Header=BB186_18 Depth=1
	ds_read_b64 v[4:5], v21 offset:5120
	s_waitcnt lgkmcnt(0)
	v_cmp_ne_u64_e32 vcc, 0, v[4:5]
	s_cbranch_vccnz .LBB186_423
; %bb.420:                              ;   in Loop: Header=BB186_18 Depth=1
	s_mov_b64 s[6:7], exec
	v_readlane_b32 s54, v55, 32
	v_readlane_b32 s55, v55, 33
	s_and_b64 s[54:55], s[6:7], s[54:55]
	s_mov_b64 exec, s[54:55]
	s_cbranch_execz .LBB186_422
; %bb.421:                              ;   in Loop: Header=BB186_18 Depth=1
	v_pk_mov_b32 v[4:5], s[22:23], s[22:23] op_sel:[0,1]
	ds_write_b64 v21, v[4:5] offset:5128
.LBB186_422:                            ;   in Loop: Header=BB186_18 Depth=1
	s_or_b64 exec, exec, s[6:7]
	s_waitcnt lgkmcnt(0)
	s_barrier
.LBB186_423:                            ;   in Loop: Header=BB186_18 Depth=1
	s_lshl_b64 s[6:7], 1, s90
	v_and_b32_e32 v2, s21, v25
	v_and_b32_e32 v4, s20, v24
	v_or_b32_e32 v25, s7, v2
	v_or_b32_e32 v24, s6, v4
	;; [unrolled: 1-line block ×4, first 2 shown]
	s_mov_b64 s[6:7], 0
	s_mov_b32 s54, 5
.LBB186_424:                            ;   in Loop: Header=BB186_18 Depth=1
	s_or_saveexec_b64 s[12:13], s[12:13]
	v_mov_b32_e32 v2, s54
	s_xor_b64 exec, exec, s[12:13]
; %bb.425:                              ;   in Loop: Header=BB186_18 Depth=1
	v_mov_b32_e32 v2, s23
	v_subrev_co_u32_e32 v8, vcc, s22, v8
	v_subb_co_u32_e32 v9, vcc, v9, v2, vcc
	v_mov_b32_e32 v2, 0
	s_or_b64 s[6:7], s[6:7], exec
; %bb.426:                              ;   in Loop: Header=BB186_18 Depth=1
	s_or_b64 exec, exec, s[12:13]
	s_and_b64 s[56:57], s[6:7], exec
	v_pk_mov_b32 v[10:11], v[8:9], v[8:9] op_sel:[0,1]
.LBB186_427:                            ;   in Loop: Header=BB186_18 Depth=1
	s_or_b64 exec, exec, s[2:3]
	s_mov_b64 s[54:55], -1
                                        ; implicit-def: $sgpr2_sgpr3
                                        ; implicit-def: $sgpr6_sgpr7
                                        ; implicit-def: $sgpr12_sgpr13
	s_and_saveexec_b64 s[22:23], s[56:57]
	s_cbranch_execz .LBB186_480
; %bb.428:                              ;   in Loop: Header=BB186_18 Depth=1
	s_cmp_eq_u64 s[16:17], 1
	s_cselect_b64 s[2:3], -1, 0
	v_cmp_eq_u64_e32 vcc, 1, v[10:11]
	s_and_b64 s[54:55], s[2:3], vcc
	s_mov_b64 s[92:93], -1
                                        ; implicit-def: $sgpr2_sgpr3
                                        ; implicit-def: $sgpr6_sgpr7
                                        ; implicit-def: $sgpr12_sgpr13
	s_and_saveexec_b64 s[56:57], s[54:55]
	s_cbranch_execz .LBB186_467
; %bb.429:                              ;   in Loop: Header=BB186_18 Depth=1
	ds_read_b64 v[4:5], v21 offset:5120
	s_waitcnt lgkmcnt(0)
	s_barrier
	v_readfirstlane_b32 s2, v4
	v_readfirstlane_b32 s3, v5
	s_mov_b64 s[6:7], exec
	v_readlane_b32 s12, v55, 48
	v_readlane_b32 s13, v55, 49
	s_and_b64 s[12:13], s[6:7], s[12:13]
	s_mov_b64 exec, s[12:13]
	s_cbranch_execz .LBB186_431
; %bb.430:                              ;   in Loop: Header=BB186_18 Depth=1
	v_mov_b32_e32 v20, v21
	ds_write_b64 v40, v[20:21]
.LBB186_431:                            ;   in Loop: Header=BB186_18 Depth=1
	s_or_b64 exec, exec, s[6:7]
	v_and_b32_e32 v25, s21, v25
	v_and_b32_e32 v24, s20, v24
	v_or_b32_e32 v27, s19, v27
	v_or_b32_e32 v26, s18, v26
	s_cmp_eq_u64 s[2:3], 0
	s_waitcnt lgkmcnt(0)
	s_barrier
	v_writelane_b32 v55, s54, 63
	v_writelane_b32 v54, s55, 0
	s_cbranch_scc1 .LBB186_436
; %bb.432:                              ;   in Loop: Header=BB186_18 Depth=1
	v_readlane_b32 s6, v55, 52
	s_add_u32 s72, s6, s2
	v_readlane_b32 s6, v55, 54
	s_addc_u32 s7, s6, s3
	s_mov_b32 s6, s91
	s_cmp_lg_u64 s[6:7], 0
	s_cbranch_scc0 .LBB186_437
; %bb.433:                              ;   in Loop: Header=BB186_18 Depth=1
	v_cvt_f32_u32_e32 v2, s89
	s_sub_u32 s6, 0, s89
	s_subb_u32 s12, 0, 0
	v_mac_f32_e32 v2, 0, v43
	v_rcp_f32_e32 v2, v2
	v_mul_f32_e32 v2, 0x5f7ffffc, v2
	v_mul_f32_e32 v4, 0x2f800000, v2
	v_trunc_f32_e32 v4, v4
	v_mac_f32_e32 v2, 0xcf800000, v4
	v_cvt_u32_f32_e32 v4, v4
	v_cvt_u32_f32_e32 v2, v2
	v_readfirstlane_b32 s13, v4
	v_readfirstlane_b32 s54, v2
	s_mul_i32 s55, s6, s13
	s_mul_hi_u32 s92, s6, s54
	s_mul_i32 s90, s12, s54
	s_add_i32 s55, s92, s55
	s_mul_i32 s93, s6, s54
	s_add_i32 s55, s55, s90
	s_mul_hi_u32 s92, s54, s93
	s_mul_hi_u32 s90, s54, s55
	s_mul_i32 s54, s54, s55
	s_add_u32 s54, s92, s54
	s_addc_u32 s90, 0, s90
	s_mul_hi_u32 s94, s13, s93
	s_mul_i32 s93, s13, s93
	s_add_u32 s54, s54, s93
	s_mul_hi_u32 s92, s13, s55
	s_addc_u32 s54, s90, s94
	s_addc_u32 s90, s92, 0
	s_mul_i32 s55, s13, s55
	s_add_u32 s54, s54, s55
	s_addc_u32 s55, 0, s90
	v_add_co_u32_e32 v2, vcc, s54, v2
	s_cmp_lg_u64 vcc, 0
	s_addc_u32 s13, s13, s55
	v_readfirstlane_b32 s55, v2
	s_mul_i32 s54, s6, s13
	s_mul_hi_u32 s90, s6, s55
	s_add_i32 s54, s90, s54
	s_mul_i32 s12, s12, s55
	s_add_i32 s54, s54, s12
	s_mul_i32 s6, s6, s55
	s_mul_hi_u32 s90, s13, s6
	s_mul_i32 s92, s13, s6
	s_mul_i32 s94, s55, s54
	s_mul_hi_u32 s6, s55, s6
	s_mul_hi_u32 s93, s55, s54
	s_add_u32 s6, s6, s94
	s_addc_u32 s55, 0, s93
	s_add_u32 s6, s6, s92
	s_mul_hi_u32 s12, s13, s54
	s_addc_u32 s6, s55, s90
	s_addc_u32 s12, s12, 0
	s_mul_i32 s54, s13, s54
	s_add_u32 s6, s6, s54
	s_addc_u32 s12, 0, s12
	v_add_co_u32_e32 v2, vcc, s6, v2
	s_cmp_lg_u64 vcc, 0
	s_addc_u32 s6, s13, s12
	v_readfirstlane_b32 s54, v2
	s_mul_i32 s13, s72, s6
	s_mul_hi_u32 s55, s72, s54
	s_mul_hi_u32 s12, s72, s6
	s_add_u32 s13, s55, s13
	s_addc_u32 s12, 0, s12
	s_mul_hi_u32 s90, s7, s54
	s_mul_i32 s54, s7, s54
	s_add_u32 s13, s13, s54
	s_mul_hi_u32 s55, s7, s6
	s_addc_u32 s12, s12, s90
	s_addc_u32 s13, s55, 0
	s_mul_i32 s6, s7, s6
	s_add_u32 s6, s12, s6
	s_addc_u32 s12, 0, s13
	s_mul_hi_u32 s13, s89, s6
	s_mul_i32 s6, s89, s6
	s_mul_i32 s12, s89, s12
	v_mov_b32_e32 v2, s6
	s_add_i32 s13, s13, s12
	v_sub_co_u32_e32 v2, vcc, s72, v2
	s_cmp_lg_u64 vcc, 0
	s_subb_u32 s6, s7, s13
	v_subrev_co_u32_e32 v4, vcc, s89, v2
	s_cmp_lg_u64 vcc, 0
	s_subb_u32 s12, s6, 0
	v_subrev_co_u32_e32 v5, vcc, s89, v4
	s_cmp_lg_u64 vcc, 0
	s_subb_u32 s13, s12, 0
	v_cmp_le_u32_e32 vcc, s89, v4
	s_cmp_eq_u32 s12, 0
	v_cndmask_b32_e64 v6, 0, -1, vcc
	s_cselect_b64 vcc, -1, 0
	v_cndmask_b32_e32 v6, -1, v6, vcc
	v_mov_b32_e32 v7, s12
	v_mov_b32_e32 v8, s13
	v_cmp_ne_u32_e32 vcc, 0, v6
	v_cndmask_b32_e32 v6, v7, v8, vcc
	v_cndmask_b32_e32 v4, v4, v5, vcc
	v_cmp_le_u32_e32 vcc, s89, v2
	s_cmp_eq_u32 s6, 0
	v_cndmask_b32_e64 v5, 0, -1, vcc
	s_cselect_b64 vcc, -1, 0
	v_cndmask_b32_e32 v5, -1, v5, vcc
	v_mov_b32_e32 v7, s6
	v_cmp_ne_u32_e32 vcc, 0, v5
	v_cndmask_b32_e32 v5, v7, v6, vcc
	v_cndmask_b32_e32 v4, v2, v4, vcc
	s_mov_b64 s[12:13], 0
	s_branch .LBB186_438
.LBB186_434:                            ;   in Loop: Header=BB186_18 Depth=1
                                        ; implicit-def: $vgpr4_vgpr5
	s_branch .LBB186_388
.LBB186_435:                            ;   in Loop: Header=BB186_18 Depth=1
                                        ; implicit-def: $vgpr4_vgpr5
	s_branch .LBB186_404
.LBB186_436:                            ;   in Loop: Header=BB186_18 Depth=1
	s_mov_b64 s[2:3], -1
	s_mov_b64 s[92:93], 0
                                        ; implicit-def: $sgpr6_sgpr7
                                        ; implicit-def: $vgpr6_vgpr7
	s_branch .LBB186_450
.LBB186_437:                            ;   in Loop: Header=BB186_18 Depth=1
	s_mov_b64 s[12:13], -1
                                        ; implicit-def: $vgpr4_vgpr5
.LBB186_438:                            ;   in Loop: Header=BB186_18 Depth=1
	s_andn2_b64 vcc, exec, s[12:13]
	s_cbranch_vccnz .LBB186_440
; %bb.439:                              ;   in Loop: Header=BB186_18 Depth=1
	v_cvt_f32_u32_e32 v2, s89
	s_sub_i32 s6, 0, s89
	v_rcp_iflag_f32_e32 v2, v2
	v_mul_f32_e32 v2, 0x4f7ffffe, v2
	v_cvt_u32_f32_e32 v2, v2
	v_mul_lo_u32 v4, s6, v2
	v_mul_hi_u32 v4, v2, v4
	v_add_u32_e32 v2, v2, v4
	v_mul_hi_u32 v2, s72, v2
	v_mul_lo_u32 v2, v2, s89
	v_sub_u32_e32 v2, s72, v2
	v_subrev_u32_e32 v4, s89, v2
	v_cmp_le_u32_e32 vcc, s89, v2
	v_cndmask_b32_e32 v2, v2, v4, vcc
	v_subrev_u32_e32 v4, s89, v2
	v_cmp_le_u32_e32 vcc, s89, v2
	v_cndmask_b32_e32 v20, v2, v4, vcc
	v_pk_mov_b32 v[4:5], v[20:21], v[20:21] op_sel:[0,1]
.LBB186_440:                            ;   in Loop: Header=BB186_18 Depth=1
	v_mov_b32_e32 v2, s7
	v_sub_co_u32_e32 v8, vcc, s72, v4
	v_subb_co_u32_e32 v9, vcc, v2, v5, vcc
	v_cmp_gt_u64_e32 vcc, v[8:9], v[0:1]
	s_mov_b64 s[92:93], 0
                                        ; implicit-def: $vgpr6_vgpr7
	s_and_saveexec_b64 s[12:13], vcc
	s_cbranch_execz .LBB186_449
; %bb.441:                              ;   in Loop: Header=BB186_18 Depth=1
	s_mov_b64 s[94:95], 0
	v_mov_b32_e32 v14, v39
	v_pk_mov_b32 v[12:13], v[0:1], v[0:1] op_sel:[0,1]
                                        ; implicit-def: $sgpr92_sgpr93
	s_branch .LBB186_443
.LBB186_442:                            ;   in Loop: Header=BB186_443 Depth=2
	s_or_b64 exec, exec, s[6:7]
	s_waitcnt lgkmcnt(0)
	s_barrier
	ds_read_b128 v[4:7], v21 offset:3072
	v_mov_b32_e32 v2, s74
	v_add_co_u32_e64 v12, s[6:7], s89, v12
	v_addc_co_u32_e64 v13, s[6:7], v13, v2, s[6:7]
	s_waitcnt lgkmcnt(0)
	v_cmp_neq_f64_e32 vcc, 0, v[4:5]
	v_cmp_ge_u64_e64 s[6:7], v[12:13], v[8:9]
	s_or_b64 s[6:7], s[6:7], vcc
	s_and_b64 s[6:7], exec, s[6:7]
	s_or_b64 s[94:95], s[6:7], s[94:95]
	s_andn2_b64 s[6:7], s[92:93], exec
	s_and_b64 s[54:55], vcc, exec
	v_add_u32_e32 v14, s5, v14
	s_or_b64 s[92:93], s[6:7], s[54:55]
	s_barrier
	s_andn2_b64 exec, exec, s[94:95]
	s_cbranch_execz .LBB186_448
.LBB186_443:                            ;   Parent Loop BB186_18 Depth=1
                                        ; =>  This Inner Loop Header: Depth=2
	v_cmp_gt_u64_e32 vcc, s[2:3], v[12:13]
	v_pk_mov_b32 v[4:5], 0, 0
	s_and_saveexec_b64 s[6:7], vcc
	s_cbranch_execz .LBB186_445
; %bb.444:                              ;   in Loop: Header=BB186_443 Depth=2
	ds_read_b64 v[4:5], v14
.LBB186_445:                            ;   in Loop: Header=BB186_443 Depth=2
	s_or_b64 exec, exec, s[6:7]
	s_and_saveexec_b64 s[6:7], vcc
	s_cbranch_execz .LBB186_442
; %bb.446:                              ;   in Loop: Header=BB186_443 Depth=2
	s_waitcnt lgkmcnt(0)
	v_ashrrev_i32_e32 v2, 31, v5
	v_or_b32_e32 v6, 0x80000000, v2
	v_xor_b32_e32 v6, v6, v5
	v_xor_b32_e32 v2, v2, v4
	v_cmp_o_f64_e32 vcc, v[4:5], v[4:5]
	v_cndmask_b32_e32 v6, -1, v6, vcc
	v_cndmask_b32_e32 v2, -1, v2, vcc
	v_and_b32_e32 v7, v6, v27
	v_and_b32_e32 v6, v2, v26
	v_cmp_eq_u64_e32 vcc, v[6:7], v[24:25]
	s_and_b64 exec, exec, vcc
	s_cbranch_execz .LBB186_442
; %bb.447:                              ;   in Loop: Header=BB186_443 Depth=2
	v_mov_b32_e32 v2, v21
	ds_write_b128 v21, v[2:5] offset:3072
	s_branch .LBB186_442
.LBB186_448:                            ;   in Loop: Header=BB186_18 Depth=1
	s_or_b64 exec, exec, s[94:95]
	s_and_b64 s[92:93], s[92:93], exec
.LBB186_449:                            ;   in Loop: Header=BB186_18 Depth=1
	s_or_b64 exec, exec, s[12:13]
	s_mov_b64 s[2:3], 0
	s_mov_b64 s[6:7], -1
.LBB186_450:                            ;   in Loop: Header=BB186_18 Depth=1
	s_and_b64 vcc, exec, s[2:3]
	s_mov_b64 s[12:13], s[2:3]
	s_cbranch_vccz .LBB186_466
; %bb.451:                              ;   in Loop: Header=BB186_18 Depth=1
	s_mov_b32 s72, s91
	s_cmp_lg_u64 s[72:73], 0
	s_cbranch_scc0 .LBB186_453
; %bb.452:                              ;   in Loop: Header=BB186_18 Depth=1
	v_cvt_f32_u32_e32 v2, s89
	s_sub_u32 s2, 0, s89
	s_subb_u32 s3, 0, 0
	v_mac_f32_e32 v2, 0, v43
	v_rcp_f32_e32 v2, v2
	v_mul_f32_e32 v2, 0x5f7ffffc, v2
	v_mul_f32_e32 v4, 0x2f800000, v2
	v_trunc_f32_e32 v4, v4
	v_mac_f32_e32 v2, 0xcf800000, v4
	v_cvt_u32_f32_e32 v4, v4
	v_cvt_u32_f32_e32 v2, v2
	v_readfirstlane_b32 s6, v4
	v_readfirstlane_b32 s7, v2
	s_mul_i32 s12, s2, s6
	s_mul_hi_u32 s54, s2, s7
	s_mul_i32 s13, s3, s7
	s_add_i32 s12, s54, s12
	s_mul_i32 s55, s2, s7
	s_add_i32 s12, s12, s13
	s_mul_hi_u32 s54, s7, s55
	s_mul_hi_u32 s13, s7, s12
	s_mul_i32 s7, s7, s12
	s_add_u32 s7, s54, s7
	s_addc_u32 s13, 0, s13
	s_mul_hi_u32 s72, s6, s55
	s_mul_i32 s55, s6, s55
	s_add_u32 s7, s7, s55
	s_mul_hi_u32 s54, s6, s12
	s_addc_u32 s7, s13, s72
	s_addc_u32 s13, s54, 0
	s_mul_i32 s12, s6, s12
	s_add_u32 s7, s7, s12
	s_addc_u32 s12, 0, s13
	v_add_co_u32_e32 v2, vcc, s7, v2
	s_cmp_lg_u64 vcc, 0
	s_addc_u32 s6, s6, s12
	v_readfirstlane_b32 s12, v2
	s_mul_i32 s7, s2, s6
	s_mul_hi_u32 s13, s2, s12
	s_add_i32 s7, s13, s7
	s_mul_i32 s3, s3, s12
	s_add_i32 s7, s7, s3
	s_mul_i32 s2, s2, s12
	s_mul_hi_u32 s13, s6, s2
	s_mul_i32 s54, s6, s2
	s_mul_i32 s72, s12, s7
	s_mul_hi_u32 s2, s12, s2
	s_mul_hi_u32 s55, s12, s7
	s_add_u32 s2, s2, s72
	s_addc_u32 s12, 0, s55
	s_add_u32 s2, s2, s54
	s_mul_hi_u32 s3, s6, s7
	s_addc_u32 s2, s12, s13
	s_addc_u32 s3, s3, 0
	s_mul_i32 s7, s6, s7
	s_add_u32 s2, s2, s7
	s_addc_u32 s3, 0, s3
	v_add_co_u32_e32 v2, vcc, s2, v2
	s_cmp_lg_u64 vcc, 0
	s_addc_u32 s2, s6, s3
	v_readlane_b32 s54, v55, 53
	v_readfirstlane_b32 s7, v2
	s_mul_i32 s6, s54, s2
	s_mul_hi_u32 s12, s54, s7
	s_mul_hi_u32 s3, s54, s2
	s_add_u32 s6, s12, s6
	s_addc_u32 s3, 0, s3
	s_mul_hi_u32 s13, s73, s7
	s_mul_i32 s7, s73, s7
	s_add_u32 s6, s6, s7
	s_mul_hi_u32 s12, s73, s2
	s_addc_u32 s3, s3, s13
	s_addc_u32 s6, s12, 0
	s_mul_i32 s2, s73, s2
	s_add_u32 s2, s3, s2
	s_addc_u32 s3, 0, s6
	s_mul_hi_u32 s6, s89, s2
	s_mul_i32 s2, s89, s2
	s_mul_i32 s3, s89, s3
	v_mov_b32_e32 v2, s2
	s_add_i32 s6, s6, s3
	v_sub_co_u32_e32 v2, vcc, s54, v2
	s_cmp_lg_u64 vcc, 0
	s_subb_u32 s2, s73, s6
	v_subrev_co_u32_e32 v4, vcc, s89, v2
	s_cmp_lg_u64 vcc, 0
	s_subb_u32 s3, s2, 0
	v_subrev_co_u32_e32 v5, vcc, s89, v4
	s_cmp_lg_u64 vcc, 0
	s_subb_u32 s6, s3, 0
	v_cmp_le_u32_e32 vcc, s89, v4
	s_cmp_eq_u32 s3, 0
	v_cndmask_b32_e64 v6, 0, -1, vcc
	s_cselect_b64 vcc, -1, 0
	v_cndmask_b32_e32 v6, -1, v6, vcc
	v_mov_b32_e32 v7, s3
	v_mov_b32_e32 v8, s6
	v_cmp_ne_u32_e32 vcc, 0, v6
	v_cndmask_b32_e32 v6, v7, v8, vcc
	v_cndmask_b32_e32 v4, v4, v5, vcc
	v_cmp_le_u32_e32 vcc, s89, v2
	s_cmp_eq_u32 s2, 0
	v_cndmask_b32_e64 v5, 0, -1, vcc
	s_cselect_b64 vcc, -1, 0
	v_cndmask_b32_e32 v5, -1, v5, vcc
	v_mov_b32_e32 v7, s2
	v_cmp_ne_u32_e32 vcc, 0, v5
	v_cndmask_b32_e32 v5, v7, v6, vcc
	v_cndmask_b32_e32 v4, v2, v4, vcc
	s_mov_b64 s[2:3], 0
	s_branch .LBB186_454
.LBB186_453:                            ;   in Loop: Header=BB186_18 Depth=1
	s_mov_b64 s[2:3], -1
                                        ; implicit-def: $vgpr4_vgpr5
.LBB186_454:                            ;   in Loop: Header=BB186_18 Depth=1
	s_andn2_b64 vcc, exec, s[2:3]
	s_cbranch_vccnz .LBB186_456
; %bb.455:                              ;   in Loop: Header=BB186_18 Depth=1
	v_cvt_f32_u32_e32 v2, s89
	s_sub_i32 s2, 0, s89
	v_rcp_iflag_f32_e32 v2, v2
	v_mul_f32_e32 v2, 0x4f7ffffe, v2
	v_cvt_u32_f32_e32 v2, v2
	v_mul_lo_u32 v4, s2, v2
	v_mul_hi_u32 v4, v2, v4
	v_add_u32_e32 v2, v2, v4
	v_readlane_b32 s2, v55, 53
	v_mul_hi_u32 v2, s2, v2
	v_mul_lo_u32 v2, v2, s89
	v_sub_u32_e32 v2, s2, v2
	v_subrev_u32_e32 v4, s89, v2
	v_cmp_le_u32_e32 vcc, s89, v2
	v_cndmask_b32_e32 v2, v2, v4, vcc
	v_subrev_u32_e32 v4, s89, v2
	v_cmp_le_u32_e32 vcc, s89, v2
	v_cndmask_b32_e32 v20, v2, v4, vcc
	v_pk_mov_b32 v[4:5], v[20:21], v[20:21] op_sel:[0,1]
.LBB186_456:                            ;   in Loop: Header=BB186_18 Depth=1
	v_readlane_b32 s2, v55, 53
	v_mov_b32_e32 v2, s73
	v_sub_co_u32_e32 v8, vcc, s2, v4
	v_subb_co_u32_e32 v9, vcc, v2, v5, vcc
	v_cmp_gt_u64_e32 vcc, v[8:9], v[0:1]
	s_mov_b64 s[92:93], 0
                                        ; implicit-def: $vgpr6_vgpr7
	s_and_saveexec_b64 s[2:3], vcc
	s_cbranch_execz .LBB186_465
; %bb.457:                              ;   in Loop: Header=BB186_18 Depth=1
	v_pk_mov_b32 v[12:13], v[0:1], v[0:1] op_sel:[0,1]
                                        ; implicit-def: $sgpr12_sgpr13
	s_branch .LBB186_459
.LBB186_458:                            ;   in Loop: Header=BB186_459 Depth=2
	s_or_b64 exec, exec, s[6:7]
	s_waitcnt lgkmcnt(0)
	s_barrier
	s_waitcnt vmcnt(0)
	ds_read_b128 v[4:7], v21 offset:3072
	v_mov_b32_e32 v2, s74
	v_add_co_u32_e64 v12, s[6:7], s89, v12
	v_addc_co_u32_e64 v13, s[6:7], v13, v2, s[6:7]
	s_waitcnt lgkmcnt(0)
	v_cmp_neq_f64_e32 vcc, 0, v[4:5]
	v_cmp_ge_u64_e64 s[6:7], v[12:13], v[8:9]
	s_or_b64 s[6:7], s[6:7], vcc
	s_and_b64 s[6:7], exec, s[6:7]
	s_or_b64 s[92:93], s[6:7], s[92:93]
	s_andn2_b64 s[6:7], s[12:13], exec
	s_and_b64 s[12:13], vcc, exec
	s_or_b64 s[12:13], s[6:7], s[12:13]
	s_barrier
	s_andn2_b64 exec, exec, s[92:93]
	s_cbranch_execz .LBB186_464
.LBB186_459:                            ;   Parent Loop BB186_18 Depth=1
                                        ; =>  This Inner Loop Header: Depth=2
	v_cmp_gt_u64_e32 vcc, s[60:61], v[12:13]
	v_pk_mov_b32 v[4:5], 0, 0
	s_and_saveexec_b64 s[94:95], vcc
	s_cbranch_execz .LBB186_461
; %bb.460:                              ;   in Loop: Header=BB186_459 Depth=2
	v_mul_lo_u32 v2, v13, s58
	v_mul_lo_u32 v6, v12, s59
	v_mad_u64_u32 v[4:5], s[6:7], v12, s58, 0
	v_add3_u32 v5, v5, v6, v2
	v_lshlrev_b64 v[4:5], 3, v[4:5]
	v_mov_b32_e32 v2, s88
	v_add_co_u32_e64 v4, s[6:7], s33, v4
	v_addc_co_u32_e64 v5, s[6:7], v2, v5, s[6:7]
	global_load_dwordx2 v[4:5], v[4:5], off
.LBB186_461:                            ;   in Loop: Header=BB186_459 Depth=2
	s_or_b64 exec, exec, s[94:95]
	s_and_saveexec_b64 s[6:7], vcc
	s_cbranch_execz .LBB186_458
; %bb.462:                              ;   in Loop: Header=BB186_459 Depth=2
	s_waitcnt vmcnt(0)
	v_ashrrev_i32_e32 v2, 31, v5
	v_or_b32_e32 v6, 0x80000000, v2
	v_xor_b32_e32 v6, v6, v5
	v_xor_b32_e32 v2, v2, v4
	v_cmp_o_f64_e32 vcc, v[4:5], v[4:5]
	v_cndmask_b32_e32 v6, -1, v6, vcc
	v_cndmask_b32_e32 v2, -1, v2, vcc
	v_and_b32_e32 v7, v6, v27
	v_and_b32_e32 v6, v2, v26
	v_cmp_eq_u64_e32 vcc, v[6:7], v[24:25]
	s_and_b64 exec, exec, vcc
	s_cbranch_execz .LBB186_458
; %bb.463:                              ;   in Loop: Header=BB186_459 Depth=2
	v_mov_b32_e32 v2, v21
	ds_write_b128 v21, v[2:5] offset:3072
	s_branch .LBB186_458
.LBB186_464:                            ;   in Loop: Header=BB186_18 Depth=1
	s_or_b64 exec, exec, s[92:93]
	s_and_b64 s[92:93], s[12:13], exec
.LBB186_465:                            ;   in Loop: Header=BB186_18 Depth=1
	s_or_b64 exec, exec, s[2:3]
	s_mov_b64 s[6:7], 0
	s_mov_b64 s[2:3], -1
	s_mov_b64 s[12:13], 0
.LBB186_466:                            ;   in Loop: Header=BB186_18 Depth=1
	v_readlane_b32 s54, v55, 63
	s_orn2_b64 s[92:93], s[92:93], exec
	v_readlane_b32 s55, v54, 0
.LBB186_467:                            ;   in Loop: Header=BB186_18 Depth=1
	s_or_b64 exec, exec, s[56:57]
	s_mov_b64 s[94:95], 0
                                        ; implicit-def: $vgpr2
                                        ; implicit-def: $vgpr4_vgpr5
	s_and_saveexec_b64 s[56:57], s[92:93]
	s_cbranch_execz .LBB186_479
; %bb.468:                              ;   in Loop: Header=BB186_18 Depth=1
	v_mov_b32_e32 v4, 1
	s_xor_b64 s[92:93], s[54:55], -1
	v_mov_b32_e32 v2, 1
	v_mov_b32_e32 v5, 0
	s_and_saveexec_b64 s[54:55], s[92:93]
	s_cbranch_execz .LBB186_478
; %bb.469:                              ;   in Loop: Header=BB186_18 Depth=1
	v_cmp_ge_u64_e32 vcc, s[16:17], v[10:11]
                                        ; implicit-def: $sgpr72
	s_and_saveexec_b64 s[92:93], vcc
	s_xor_b64 s[92:93], exec, s[92:93]
	s_cbranch_execz .LBB186_475
; %bb.470:                              ;   in Loop: Header=BB186_18 Depth=1
	ds_read_b64 v[4:5], v21 offset:5120
	s_waitcnt lgkmcnt(0)
	v_cmp_ne_u64_e32 vcc, 0, v[4:5]
	s_cbranch_vccnz .LBB186_474
; %bb.471:                              ;   in Loop: Header=BB186_18 Depth=1
	s_mov_b64 s[94:95], exec
	v_readlane_b32 vcc_lo, v55, 32
	v_readlane_b32 vcc_hi, v55, 33
	s_and_b64 vcc, s[94:95], vcc
	s_mov_b64 exec, vcc
	s_cbranch_execz .LBB186_473
; %bb.472:                              ;   in Loop: Header=BB186_18 Depth=1
	v_pk_mov_b32 v[4:5], s[16:17], s[16:17] op_sel:[0,1]
	ds_write_b64 v21, v[4:5] offset:5128
.LBB186_473:                            ;   in Loop: Header=BB186_18 Depth=1
	s_or_b64 exec, exec, s[94:95]
	s_waitcnt lgkmcnt(0)
	s_barrier
.LBB186_474:                            ;   in Loop: Header=BB186_18 Depth=1
	v_and_b32_e32 v25, s21, v25
	v_and_b32_e32 v24, s20, v24
	v_or_b32_e32 v27, s19, v27
	v_or_b32_e32 v26, s18, v26
	s_mov_b32 s72, 5
.LBB186_475:                            ;   in Loop: Header=BB186_18 Depth=1
	s_or_saveexec_b64 s[18:19], s[92:93]
	v_mov_b32_e32 v2, s72
	s_xor_b64 exec, exec, s[18:19]
; %bb.476:                              ;   in Loop: Header=BB186_18 Depth=1
	v_mov_b32_e32 v2, s17
	v_subrev_co_u32_e32 v10, vcc, s16, v10
	v_subb_co_u32_e32 v11, vcc, v11, v2, vcc
	v_mov_b32_e32 v2, 5
; %bb.477:                              ;   in Loop: Header=BB186_18 Depth=1
	s_or_b64 exec, exec, s[18:19]
	v_pk_mov_b32 v[4:5], v[10:11], v[10:11] op_sel:[0,1]
.LBB186_478:                            ;   in Loop: Header=BB186_18 Depth=1
	s_or_b64 exec, exec, s[54:55]
	s_mov_b64 s[94:95], exec
.LBB186_479:                            ;   in Loop: Header=BB186_18 Depth=1
	s_or_b64 exec, exec, s[56:57]
	s_orn2_b64 s[54:55], s[94:95], exec
	v_pk_mov_b32 v[10:11], v[4:5], v[4:5] op_sel:[0,1]
.LBB186_480:                            ;   in Loop: Header=BB186_18 Depth=1
	s_or_b64 exec, exec, s[22:23]
	s_andn2_b64 s[8:9], s[8:9], exec
	s_and_b64 s[2:3], s[2:3], exec
	s_or_b64 s[8:9], s[8:9], s[2:3]
	s_andn2_b64 s[2:3], s[50:51], exec
	s_and_b64 s[6:7], s[6:7], exec
	s_or_b64 s[50:51], s[2:3], s[6:7]
	;; [unrolled: 3-line block ×3, first 2 shown]
	s_and_b64 s[2:3], s[54:55], exec
	v_pk_mov_b32 v[8:9], v[10:11], v[10:11] op_sel:[0,1]
.LBB186_481:                            ;   in Loop: Header=BB186_18 Depth=1
	s_or_b64 exec, exec, s[52:53]
	s_and_b64 s[12:13], s[8:9], exec
	s_and_b64 s[8:9], s[50:51], exec
	;; [unrolled: 1-line block ×3, first 2 shown]
	s_orn2_b64 s[2:3], s[2:3], exec
.LBB186_482:                            ;   in Loop: Header=BB186_18 Depth=1
	s_or_b64 exec, exec, s[26:27]
	s_andn2_b64 s[10:11], s[40:41], exec
	s_and_b64 s[12:13], s[12:13], exec
	s_or_b64 s[40:41], s[10:11], s[12:13]
	s_andn2_b64 s[10:11], s[44:45], exec
	s_and_b64 s[8:9], s[8:9], exec
	s_or_b64 s[44:45], s[10:11], s[8:9]
	s_andn2_b64 s[8:9], s[46:47], exec
	s_and_b64 s[6:7], s[6:7], exec
	s_or_b64 s[46:47], s[8:9], s[6:7]
	s_and_b64 s[6:7], s[2:3], exec
	v_pk_mov_b32 v[30:31], v[8:9], v[8:9] op_sel:[0,1]
.LBB186_483:                            ;   in Loop: Header=BB186_18 Depth=1
	s_or_b64 exec, exec, s[48:49]
	s_and_b64 s[10:11], s[40:41], exec
	s_and_b64 s[8:9], s[44:45], exec
	;; [unrolled: 1-line block ×3, first 2 shown]
	s_orn2_b64 s[40:41], s[6:7], exec
.LBB186_484:                            ;   in Loop: Header=BB186_18 Depth=1
	s_or_b64 exec, exec, s[28:29]
	s_mov_b64 s[6:7], s[36:37]
	s_mov_b64 s[12:13], s[34:35]
	s_and_saveexec_b64 s[16:17], s[40:41]
; %bb.485:                              ;   in Loop: Header=BB186_18 Depth=1
	v_cmp_ne_u32_e64 s[6:7], 5, v2
	v_cmp_eq_u32_e32 vcc, 5, v2
	s_andn2_b64 s[12:13], s[34:35], exec
	s_and_b64 s[6:7], s[6:7], exec
	s_or_b64 s[12:13], s[12:13], s[6:7]
	s_andn2_b64 s[6:7], s[36:37], exec
	s_and_b64 s[18:19], vcc, exec
	s_andn2_b64 s[10:11], s[10:11], exec
	s_andn2_b64 s[8:9], s[8:9], exec
	;; [unrolled: 1-line block ×3, first 2 shown]
	s_or_b64 s[6:7], s[6:7], s[18:19]
; %bb.486:                              ;   in Loop: Header=BB186_18 Depth=1
	s_or_b64 exec, exec, s[16:17]
	s_andn2_b64 s[14:15], s[14:15], exec
	s_and_b64 s[10:11], s[10:11], exec
	s_or_b64 s[14:15], s[14:15], s[10:11]
	s_andn2_b64 s[10:11], s[42:43], exec
	s_and_b64 s[8:9], s[8:9], exec
	s_or_b64 s[42:43], s[10:11], s[8:9]
	;; [unrolled: 3-line block ×5, first 2 shown]
	v_pk_mov_b32 v[12:13], v[24:25], v[24:25] op_sel:[0,1]
	v_pk_mov_b32 v[14:15], v[26:27], v[26:27] op_sel:[0,1]
	;; [unrolled: 1-line block ×3, first 2 shown]
.LBB186_487:                            ;   in Loop: Header=BB186_18 Depth=1
	s_or_b64 exec, exec, s[38:39]
	s_mov_b64 s[40:41], s[24:25]
	s_mov_b64 s[38:39], s[24:25]
	s_and_saveexec_b64 s[2:3], s[36:37]
.LBB186_488:                            ;   in Loop: Header=BB186_18 Depth=1
	v_mov_b32_e32 v2, 0
	s_andn2_b64 s[24:25], s[24:25], exec
	s_andn2_b64 s[14:15], s[14:15], exec
	;; [unrolled: 1-line block ×5, first 2 shown]
	s_or_b64 s[34:35], s[34:35], exec
.LBB186_489:                            ;   in Loop: Header=BB186_18 Depth=1
	s_or_b64 exec, exec, s[2:3]
	s_andn2_b64 s[2:3], s[78:79], exec
	s_and_b64 s[8:9], s[24:25], exec
	s_or_b64 s[78:79], s[2:3], s[8:9]
	s_andn2_b64 s[2:3], s[76:77], exec
	s_and_b64 s[8:9], s[14:15], exec
	s_or_b64 s[76:77], s[2:3], s[8:9]
	;; [unrolled: 3-line block ×4, first 2 shown]
	s_andn2_b64 s[2:3], s[70:71], exec
	s_and_b64 s[8:9], s[38:39], exec
	s_mov_b64 s[6:7], -1
	s_or_b64 s[70:71], s[2:3], s[8:9]
                                        ; implicit-def: $vgpr26_vgpr27
                                        ; implicit-def: $vgpr24_vgpr25
                                        ; implicit-def: $vgpr28_vgpr29
                                        ; implicit-def: $vgpr6_vgpr7
	s_and_saveexec_b64 s[2:3], s[34:35]
	s_xor_b64 s[2:3], exec, s[2:3]
	s_cbranch_execz .LBB186_17
; %bb.490:                              ;   in Loop: Header=BB186_18 Depth=1
	v_cmp_eq_u32_e32 vcc, 0, v2
	s_mov_b64 s[8:9], -1
	s_and_saveexec_b64 s[10:11], vcc
	s_cbranch_execz .LBB186_16
; %bb.491:                              ;   in Loop: Header=BB186_18 Depth=1
	v_readlane_b32 s6, v55, 62
	s_xor_b32 s6, s6, 1
	s_add_i32 s12, s75, -2
	s_cmp_eq_u32 s75, 0
	v_writelane_b32 v55, s6, 62
	s_cselect_b64 s[6:7], -1, 0
	s_xor_b64 s[8:9], exec, -1
	s_orn2_b64 s[6:7], s[6:7], exec
	s_mov_b32 s75, s12
	s_branch .LBB186_16
.LBB186_492:
	s_or_b64 exec, exec, s[82:83]
	s_xor_b64 s[4:5], s[68:69], -1
	s_xor_b64 s[14:15], s[66:67], -1
	;; [unrolled: 1-line block ×5, first 2 shown]
	s_mov_b64 s[8:9], 0
	s_and_saveexec_b64 s[10:11], s[6:7]
	s_xor_b64 s[6:7], exec, s[10:11]
	s_cbranch_execnz .LBB186_497
; %bb.493:
	s_andn2_saveexec_b64 s[0:1], s[6:7]
	s_cbranch_execnz .LBB186_516
.LBB186_494:
	s_or_b64 exec, exec, s[0:1]
	s_and_saveexec_b64 s[0:1], s[8:9]
.LBB186_495:
	; divergent unreachable
.LBB186_496:
	s_endpgm
.LBB186_497:
	s_mov_b64 s[10:11], 0
	s_and_saveexec_b64 s[8:9], s[12:13]
	s_xor_b64 s[8:9], exec, s[8:9]
	s_cbranch_execz .LBB186_514
; %bb.498:
	s_mov_b64 s[12:13], 0
	s_and_saveexec_b64 s[10:11], s[14:15]
	s_xor_b64 s[10:11], exec, s[10:11]
	s_cbranch_execz .LBB186_512
; %bb.499:
	;; [unrolled: 5-line block ×3, first 2 shown]
	s_and_saveexec_b64 s[4:5], s[2:3]
	s_xor_b64 s[2:3], exec, s[4:5]
; %bb.501:
	v_lshrrev_b32_e32 v2, 31, v13
	v_add_co_u32_e32 v2, vcc, -1, v2
	v_addc_co_u32_e64 v3, s[4:5], 0, -1, vcc
	v_or_b32_e32 v3, 0x80000000, v3
	v_xor_b32_e32 v11, v3, v13
	v_xor_b32_e32 v10, v2, v12
; %bb.502:
	s_or_b64 exec, exec, s[2:3]
	s_mov_b64 s[2:3], exec
	v_readlane_b32 s4, v55, 32
	v_readlane_b32 s5, v55, 33
	;; [unrolled: 1-line block ×4, first 2 shown]
	s_and_b64 s[4:5], s[2:3], s[4:5]
	v_readlane_b32 s25, v55, 37
	v_readlane_b32 s20, v55, 34
	;; [unrolled: 1-line block ×4, first 2 shown]
	s_mov_b64 exec, s[4:5]
	s_cbranch_execz .LBB186_504
; %bb.503:
	v_mov_b32_e32 v2, 0
	v_mov_b32_e32 v3, v2
	ds_write_b64 v2, v[2:3] offset:5136
.LBB186_504:
	s_or_b64 exec, exec, s[2:3]
	s_waitcnt vmcnt(0)
	v_pk_mov_b32 v[4:5], 0, 0
	s_waitcnt lgkmcnt(0)
	s_barrier
	s_mov_b64 s[2:3], exec
	v_readlane_b32 s4, v55, 46
	v_readlane_b32 s5, v55, 47
	s_and_b64 s[4:5], s[2:3], s[4:5]
	s_mov_b64 exec, s[4:5]
	s_cbranch_execz .LBB186_506
; %bb.505:
	global_load_dwordx2 v[4:5], v[18:19], off
.LBB186_506:
	s_or_b64 exec, exec, s[2:3]
	v_readlane_b32 s40, v55, 24
	s_add_u32 s2, s60, 63
	v_readlane_b32 s42, v55, 26
	v_readlane_b32 s43, v55, 27
	;; [unrolled: 1-line block ×3, first 2 shown]
	s_addc_u32 s15, s61, 0
	s_and_b32 s14, s2, 0xffffffc0
	s_mul_i32 s2, s34, s43
	s_mul_hi_u32 s3, s34, s42
	s_add_i32 s3, s3, s2
	s_mul_i32 s2, s34, s42
	v_readlane_b32 s16, v55, 10
	s_sub_u32 s2, s20, s2
	v_readlane_b32 s17, v55, 11
	s_subb_u32 s3, 0, s3
	s_mul_i32 s4, s2, s17
	s_mul_hi_u32 s5, s2, s16
	s_add_i32 s4, s5, s4
	s_mul_i32 s3, s3, s16
	s_add_i32 s3, s4, s3
	v_readlane_b32 s28, v55, 2
	v_readlane_b32 s4, v55, 0
	;; [unrolled: 1-line block ×4, first 2 shown]
	s_mov_b32 s18, s4
	s_mul_i32 s4, s4, s29
	s_mul_hi_u32 s5, s18, s28
	s_add_i32 s5, s5, s4
	s_mul_i32 s4, s18, s28
	v_readlane_b32 s22, v55, 8
	v_readlane_b32 s44, v55, 18
	;; [unrolled: 1-line block ×3, first 2 shown]
	s_sub_u32 s4, s22, s4
	v_readlane_b32 s46, v55, 20
	v_readlane_b32 s47, v55, 21
	s_mul_i32 s2, s2, s16
	s_subb_u32 s5, s23, s5
	s_mul_i32 s16, s4, s47
	s_mul_hi_u32 s17, s4, s46
	v_readlane_b32 s45, v55, 19
	s_add_i32 s16, s17, s16
	s_mul_i32 s5, s5, s46
	v_readlane_b32 s30, v55, 4
	v_readlane_b32 s31, v55, 5
	s_add_i32 s5, s16, s5
	s_mul_i32 s16, s18, s45
	s_mul_hi_u32 s17, s18, s44
	s_add_i32 s17, s17, s16
	s_mul_i32 s16, s18, s44
	s_mul_i32 s18, s22, s31
	s_mul_hi_u32 s19, s22, s30
	s_add_i32 s19, s19, s18
	s_mul_i32 s18, s22, s30
	v_readlane_b32 s22, v55, 16
	s_sub_u32 s18, s20, s18
	v_readlane_b32 s23, v55, 17
	s_subb_u32 s19, 0, s19
	s_mul_i32 s20, s18, s23
	s_mul_hi_u32 s21, s18, s22
	s_add_i32 s20, s21, s20
	s_mul_i32 s19, s19, s22
	s_add_i32 s19, s20, s19
	v_readlane_b32 s20, v55, 6
	v_readlane_b32 s41, v55, 25
	;; [unrolled: 1-line block ×3, first 2 shown]
	s_mov_b32 s26, s20
	s_mul_i32 s20, s20, s41
	s_mul_hi_u32 s21, s26, s40
	s_add_i32 s21, s21, s20
	s_mul_i32 s20, s26, s40
	v_readlane_b32 s28, v55, 12
	v_readlane_b32 s35, v55, 23
	s_sub_u32 s20, s34, s20
	v_readlane_b32 s30, v55, 14
	v_readlane_b32 s31, v55, 15
	s_mul_i32 s18, s18, s22
	s_subb_u32 s21, s35, s21
	s_mul_i32 s22, s20, s31
	s_mul_hi_u32 s23, s20, s30
	v_readlane_b32 s29, v55, 13
	s_add_i32 s22, s23, s22
	s_mul_i32 s21, s21, s30
	s_add_i32 s21, s22, s21
	s_mul_i32 s22, s26, s29
	s_mul_hi_u32 s23, s26, s28
	s_add_i32 s23, s23, s22
	s_mul_i32 s22, s26, s28
	s_lshl_b64 s[16:17], s[16:17], 3
	v_readlane_b32 s26, v55, 30
	s_mul_i32 s4, s4, s46
	v_readlane_b32 s27, v55, 31
	s_add_u32 s16, s26, s16
	s_addc_u32 s17, s27, s17
	s_lshl_b64 s[4:5], s[4:5], 3
	s_add_u32 s16, s16, s4
	s_addc_u32 s17, s17, s5
	s_lshl_b64 s[4:5], s[18:19], 3
	;; [unrolled: 3-line block ×3, first 2 shown]
	v_readlane_b32 s16, v55, 28
	s_mul_i32 s20, s20, s30
	v_readlane_b32 s17, v55, 29
	s_add_u32 s16, s16, s4
	s_addc_u32 s17, s17, s5
	s_lshl_b64 s[4:5], s[20:21], 3
	s_add_u32 s4, s16, s4
	s_addc_u32 s5, s17, s5
	s_load_dwordx2 s[16:17], s[24:25], 0x368
	s_load_dwordx2 s[18:19], s[24:25], 0x510
	v_ashrrev_i32_e32 v2, 31, v11
	v_or_b32_e32 v3, 0x80000000, v2
	s_lshl_b64 s[2:3], s[2:3], 3
	v_xor_b32_e32 v3, v3, v11
	v_xor_b32_e32 v2, v2, v10
	v_cmp_o_f64_e32 vcc, v[10:11], v[10:11]
	s_add_u32 s48, s4, s2
	v_cndmask_b32_e32 v3, -1, v3, vcc
	v_cndmask_b32_e32 v2, -1, v2, vcc
	s_addc_u32 s49, s5, s3
	v_cmp_gt_u64_e32 vcc, s[14:15], v[0:1]
	s_mov_b64 s[22:23], -1
	s_mov_b64 s[2:3], 0
	s_mov_b64 s[4:5], 0
	s_and_saveexec_b64 s[20:21], vcc
	s_cbranch_execnz .LBB186_517
; %bb.507:
	s_or_b64 exec, exec, s[20:21]
	s_and_saveexec_b64 s[20:21], s[22:23]
	s_cbranch_execnz .LBB186_534
.LBB186_508:
	s_or_b64 exec, exec, s[20:21]
	s_and_saveexec_b64 s[0:1], s[4:5]
	s_xor_b64 s[0:1], exec, s[0:1]
	s_cbranch_execnz .LBB186_558
.LBB186_509:
	s_or_b64 exec, exec, s[0:1]
	s_and_b64 s[14:15], s[2:3], exec
.LBB186_510:
	s_andn2_saveexec_b64 s[0:1], s[12:13]
	s_cbranch_execnz .LBB186_561
.LBB186_511:
	s_or_b64 exec, exec, s[0:1]
	s_and_b64 s[12:13], s[14:15], exec
.LBB186_512:
	s_andn2_saveexec_b64 s[0:1], s[10:11]
	s_cbranch_execnz .LBB186_560
.LBB186_513:
	s_or_b64 exec, exec, s[0:1]
	s_and_b64 s[10:11], s[12:13], exec
.LBB186_514:
	s_andn2_saveexec_b64 s[0:1], s[8:9]
	s_cbranch_execnz .LBB186_559
.LBB186_515:
	s_or_b64 exec, exec, s[0:1]
	s_and_b64 s[8:9], s[10:11], exec
	s_andn2_saveexec_b64 s[0:1], s[6:7]
	s_cbranch_execz .LBB186_494
.LBB186_516:
	s_or_b64 s[8:9], s[8:9], exec
	s_trap 2
	s_or_b64 exec, exec, s[0:1]
	s_and_saveexec_b64 s[0:1], s[8:9]
	s_cbranch_execnz .LBB186_495
	s_branch .LBB186_496
.LBB186_517:
	s_mov_b64 s[22:23], 0
	v_mov_b32_e32 v22, s74
	v_mov_b32_e32 v7, 0
	v_pk_mov_b32 v[14:15], v[0:1], v[0:1] op_sel:[0,1]
                                        ; implicit-def: $sgpr24_sgpr25
                                        ; implicit-def: $vgpr10_vgpr11
	s_branch .LBB186_519
.LBB186_518:                            ;   in Loop: Header=BB186_519 Depth=1
	s_or_b64 exec, exec, s[26:27]
	s_xor_b64 s[26:27], s[30:31], -1
	s_and_b64 s[4:5], exec, s[4:5]
	s_or_b64 s[22:23], s[4:5], s[22:23]
	s_andn2_b64 s[4:5], s[24:25], exec
	s_and_b64 s[24:25], s[26:27], exec
	s_or_b64 s[24:25], s[4:5], s[24:25]
	s_waitcnt vmcnt(0)
	v_pk_mov_b32 v[4:5], v[12:13], v[12:13] op_sel:[0,1]
	v_pk_mov_b32 v[14:15], v[8:9], v[8:9] op_sel:[0,1]
	s_andn2_b64 exec, exec, s[22:23]
	s_cbranch_execz .LBB186_533
.LBB186_519:                            ; =>This Inner Loop Header: Depth=1
	v_add_co_u32_e32 v8, vcc, s89, v14
	v_addc_co_u32_e32 v9, vcc, v15, v22, vcc
	v_cmp_gt_u64_e32 vcc, s[60:61], v[8:9]
	v_pk_mov_b32 v[12:13], 0, 0
	s_and_saveexec_b64 s[4:5], vcc
	s_cbranch_execz .LBB186_521
; %bb.520:                              ;   in Loop: Header=BB186_519 Depth=1
	v_mul_lo_u32 v6, v9, s58
	v_mul_lo_u32 v20, v8, s59
	v_mad_u64_u32 v[12:13], s[26:27], v8, s58, 0
	v_add3_u32 v13, v13, v20, v6
	v_lshlrev_b64 v[12:13], 3, v[12:13]
	v_mov_b32_e32 v6, s88
	v_add_co_u32_e32 v12, vcc, s33, v12
	v_addc_co_u32_e32 v13, vcc, v6, v13, vcc
	global_load_dwordx2 v[12:13], v[12:13], off
.LBB186_521:                            ;   in Loop: Header=BB186_519 Depth=1
	s_or_b64 exec, exec, s[4:5]
	v_cmp_gt_u64_e32 vcc, s[60:61], v[14:15]
	s_mov_b64 s[26:27], 0
	s_and_saveexec_b64 s[4:5], vcc
	s_cbranch_execz .LBB186_523
; %bb.522:                              ;   in Loop: Header=BB186_519 Depth=1
	s_waitcnt vmcnt(0)
	v_ashrrev_i32_e32 v6, 31, v5
	v_or_b32_e32 v20, 0x80000000, v6
	v_xor_b32_e32 v20, v20, v5
	v_xor_b32_e32 v6, v6, v4
	v_cmp_o_f64_e32 vcc, v[4:5], v[4:5]
	v_cndmask_b32_e32 v21, -1, v20, vcc
	v_cndmask_b32_e32 v20, -1, v6, vcc
	v_cmp_gt_u64_e32 vcc, v[20:21], v[2:3]
	v_cndmask_b32_e64 v6, 0, 1, vcc
	v_cmp_lt_u64_e32 vcc, v[20:21], v[2:3]
	v_cndmask_b32_e64 v20, 0, 1, vcc
	v_cndmask_b32_e64 v6, v20, v6, s[38:39]
	v_and_b32_e32 v6, 1, v6
	v_cmp_eq_u32_e32 vcc, 1, v6
	s_and_b64 s[26:27], vcc, exec
.LBB186_523:                            ;   in Loop: Header=BB186_519 Depth=1
	s_or_b64 exec, exec, s[4:5]
	v_cndmask_b32_e64 v6, 0, 1, s[26:27]
	v_cmp_ne_u32_e32 vcc, 0, v6
	s_cmp_lg_u64 vcc, 0
	s_cselect_b64 s[4:5], -1, 0
	s_and_b64 s[4:5], s[0:1], s[4:5]
	s_and_saveexec_b64 s[28:29], s[4:5]
	s_cbranch_execz .LBB186_527
; %bb.524:                              ;   in Loop: Header=BB186_519 Depth=1
	s_mov_b64 s[34:35], exec
	v_mbcnt_lo_u32_b32 v6, s34, 0
	v_mbcnt_hi_u32_b32 v20, s35, v6
	s_bcnt1_i32_b64 s36, vcc
	v_cmp_eq_u32_e64 s[4:5], 0, v20
                                        ; implicit-def: $vgpr10_vgpr11
	s_and_saveexec_b64 s[30:31], s[4:5]
	s_cbranch_execz .LBB186_526
; %bb.525:                              ;   in Loop: Header=BB186_519 Depth=1
	s_bcnt1_i32_b64 s4, s[34:35]
	s_mul_i32 s4, s36, s4
	v_mov_b32_e32 v6, s4
	s_waitcnt lgkmcnt(0)
	ds_add_rtn_u64 v[10:11], v7, v[6:7] offset:5136
.LBB186_526:                            ;   in Loop: Header=BB186_519 Depth=1
	s_or_b64 exec, exec, s[30:31]
	s_waitcnt lgkmcnt(0)
	v_readfirstlane_b32 s4, v11
	v_readfirstlane_b32 s5, v10
	v_mov_b32_e32 v10, s5
	v_mov_b32_e32 v11, s4
	v_mad_u64_u32 v[10:11], s[4:5], s36, v20, v[10:11]
.LBB186_527:                            ;   in Loop: Header=BB186_519 Depth=1
	s_or_b64 exec, exec, s[28:29]
	s_waitcnt lgkmcnt(0)
	ds_bpermute_b32 v10, v36, v10
	ds_bpermute_b32 v11, v36, v11
	s_mov_b64 s[4:5], -1
	s_mov_b64 s[34:35], -1
                                        ; implicit-def: $sgpr30_sgpr31
	s_and_saveexec_b64 s[28:29], s[26:27]
	s_cbranch_execz .LBB186_531
; %bb.528:                              ;   in Loop: Header=BB186_519 Depth=1
	v_and_b32_e32 v20, vcc_lo, v16
	v_and_b32_e32 v6, vcc_hi, v17
	v_bcnt_u32_b32 v20, v20, 0
	v_bcnt_u32_b32 v6, v6, v20
	s_waitcnt lgkmcnt(0)
	v_add_co_u32_e32 v20, vcc, v10, v6
	v_addc_co_u32_e32 v21, vcc, 0, v11, vcc
	v_cmp_gt_u64_e32 vcc, s[62:63], v[20:21]
	s_mov_b64 s[26:27], 0
	s_and_saveexec_b64 s[30:31], vcc
	s_cbranch_execz .LBB186_530
; %bb.529:                              ;   in Loop: Header=BB186_519 Depth=1
	v_mul_lo_u32 v6, v21, s16
	v_mul_lo_u32 v23, v20, s17
	v_mad_u64_u32 v[24:25], s[34:35], v20, s16, 0
	v_add3_u32 v25, v25, v23, v6
	v_mul_lo_u32 v6, v21, s18
	v_mul_lo_u32 v23, v20, s19
	v_mad_u64_u32 v[20:21], s[34:35], v20, s18, 0
	v_lshlrev_b64 v[24:25], 3, v[24:25]
	v_add3_u32 v21, v21, v23, v6
	v_mov_b32_e32 v6, s47
	v_add_co_u32_e32 v24, vcc, s46, v24
	v_addc_co_u32_e32 v25, vcc, v6, v25, vcc
	s_waitcnt vmcnt(0)
	global_store_dwordx2 v[24:25], v[4:5], off
	v_lshlrev_b64 v[4:5], 3, v[20:21]
	v_mov_b32_e32 v6, s49
	v_add_co_u32_e32 v4, vcc, s48, v4
	s_mov_b64 s[26:27], exec
	v_addc_co_u32_e32 v5, vcc, v6, v5, vcc
	global_store_dwordx2 v[4:5], v[14:15], off
.LBB186_530:                            ;   in Loop: Header=BB186_519 Depth=1
	s_or_b64 exec, exec, s[30:31]
	s_mov_b64 s[30:31], -1
	s_orn2_b64 s[34:35], s[26:27], exec
.LBB186_531:                            ;   in Loop: Header=BB186_519 Depth=1
	s_or_b64 exec, exec, s[28:29]
	s_and_saveexec_b64 s[26:27], s[34:35]
	s_cbranch_execz .LBB186_518
; %bb.532:                              ;   in Loop: Header=BB186_519 Depth=1
	v_cmp_le_u64_e32 vcc, s[14:15], v[8:9]
	s_andn2_b64 s[30:31], s[30:31], exec
	s_orn2_b64 s[4:5], vcc, exec
	s_branch .LBB186_518
.LBB186_533:
	s_or_b64 exec, exec, s[22:23]
	s_mov_b64 s[4:5], exec
	s_orn2_b64 s[22:23], s[24:25], exec
	s_or_b64 exec, exec, s[20:21]
	s_and_saveexec_b64 s[20:21], s[22:23]
	s_cbranch_execz .LBB186_508
.LBB186_534:
	s_waitcnt lgkmcnt(0)
	v_pk_mov_b32 v[10:11], 0, 0
	s_barrier
	s_mov_b64 s[2:3], exec
	v_readlane_b32 s22, v55, 46
	v_readlane_b32 s23, v55, 47
	s_and_b64 s[22:23], s[2:3], s[22:23]
	s_mov_b64 exec, s[22:23]
	s_cbranch_execz .LBB186_536
; %bb.535:
	global_load_dwordx2 v[10:11], v[18:19], off
.LBB186_536:
	s_or_b64 exec, exec, s[2:3]
	s_mov_b64 s[22:23], 0
	s_waitcnt vmcnt(0)
	v_mov_b32_e32 v5, 0
                                        ; implicit-def: $sgpr24_sgpr25
                                        ; implicit-def: $sgpr26_sgpr27
                                        ; implicit-def: $sgpr28_sgpr29
                                        ; implicit-def: $vgpr6_vgpr7
	s_branch .LBB186_539
.LBB186_537:                            ;   in Loop: Header=BB186_539 Depth=1
	s_or_b64 exec, exec, s[36:37]
	s_andn2_b64 s[28:29], s[28:29], exec
	s_and_b64 s[34:35], s[40:41], exec
	s_andn2_b64 s[26:27], s[26:27], exec
	s_and_b64 s[2:3], s[2:3], exec
	s_or_b64 s[28:29], s[28:29], s[34:35]
	s_or_b64 s[26:27], s[26:27], s[2:3]
	v_pk_mov_b32 v[0:1], v[8:9], v[8:9] op_sel:[0,1]
	v_pk_mov_b32 v[10:11], v[14:15], v[14:15] op_sel:[0,1]
.LBB186_538:                            ;   in Loop: Header=BB186_539 Depth=1
	s_or_b64 exec, exec, s[30:31]
	s_xor_b64 s[2:3], s[28:29], -1
	s_and_b64 s[30:31], exec, s[26:27]
	s_or_b64 s[22:23], s[30:31], s[22:23]
	s_andn2_b64 s[24:25], s[24:25], exec
	s_and_b64 s[2:3], s[2:3], exec
	s_or_b64 s[24:25], s[24:25], s[2:3]
	s_andn2_b64 exec, exec, s[22:23]
	s_cbranch_execz .LBB186_556
.LBB186_539:                            ; =>This Inner Loop Header: Depth=1
	v_cmp_gt_u64_e32 vcc, s[14:15], v[0:1]
	s_or_b64 s[28:29], s[28:29], exec
	s_or_b64 s[26:27], s[26:27], exec
	s_and_saveexec_b64 s[30:31], vcc
	s_cbranch_execz .LBB186_538
; %bb.540:                              ;   in Loop: Header=BB186_539 Depth=1
	v_mov_b32_e32 v4, s74
	v_add_co_u32_e32 v8, vcc, s89, v0
	v_addc_co_u32_e32 v9, vcc, v1, v4, vcc
	v_cmp_gt_u64_e32 vcc, s[60:61], v[8:9]
	v_pk_mov_b32 v[12:13], 0, 0
	s_and_saveexec_b64 s[2:3], vcc
	s_cbranch_execz .LBB186_542
; %bb.541:                              ;   in Loop: Header=BB186_539 Depth=1
	v_mul_lo_u32 v4, v9, s58
	v_mul_lo_u32 v14, v8, s59
	v_mad_u64_u32 v[12:13], s[34:35], v8, s58, 0
	v_add3_u32 v13, v13, v14, v4
	v_lshlrev_b64 v[12:13], 3, v[12:13]
	v_mov_b32_e32 v4, s88
	v_add_co_u32_e32 v12, vcc, s33, v12
	v_addc_co_u32_e32 v13, vcc, v4, v13, vcc
	global_load_dwordx2 v[12:13], v[12:13], off
.LBB186_542:                            ;   in Loop: Header=BB186_539 Depth=1
	s_or_b64 exec, exec, s[2:3]
	v_cmp_gt_u64_e32 vcc, s[60:61], v[0:1]
	s_mov_b64 s[36:37], 0
	s_and_saveexec_b64 s[2:3], vcc
; %bb.543:                              ;   in Loop: Header=BB186_539 Depth=1
	v_ashrrev_i32_e32 v4, 31, v11
	v_or_b32_e32 v14, 0x80000000, v4
	v_xor_b32_e32 v14, v14, v11
	v_xor_b32_e32 v4, v4, v10
	v_cmp_o_f64_e32 vcc, v[10:11], v[10:11]
	v_cndmask_b32_e32 v15, -1, v14, vcc
	v_cndmask_b32_e32 v14, -1, v4, vcc
	v_cmp_eq_u64_e32 vcc, v[14:15], v[2:3]
	s_and_b64 s[36:37], vcc, exec
; %bb.544:                              ;   in Loop: Header=BB186_539 Depth=1
	s_or_b64 exec, exec, s[2:3]
	v_cndmask_b32_e64 v4, 0, 1, s[36:37]
	v_cmp_ne_u32_e32 vcc, 0, v4
	s_cmp_lg_u64 vcc, 0
	s_cselect_b64 s[2:3], -1, 0
	s_and_b64 s[2:3], s[0:1], s[2:3]
	s_and_saveexec_b64 s[34:35], s[2:3]
	s_cbranch_execz .LBB186_548
; %bb.545:                              ;   in Loop: Header=BB186_539 Depth=1
	s_mov_b64 s[40:41], exec
	v_mbcnt_lo_u32_b32 v4, s40, 0
	v_mbcnt_hi_u32_b32 v14, s41, v4
	s_bcnt1_i32_b64 s42, vcc
	v_cmp_eq_u32_e64 s[2:3], 0, v14
                                        ; implicit-def: $vgpr6_vgpr7
	s_and_saveexec_b64 s[38:39], s[2:3]
	s_cbranch_execz .LBB186_547
; %bb.546:                              ;   in Loop: Header=BB186_539 Depth=1
	s_bcnt1_i32_b64 s2, s[40:41]
	s_mul_i32 s2, s42, s2
	v_mov_b32_e32 v4, s2
	ds_add_rtn_u64 v[6:7], v5, v[4:5] offset:5136
.LBB186_547:                            ;   in Loop: Header=BB186_539 Depth=1
	s_or_b64 exec, exec, s[38:39]
	s_waitcnt lgkmcnt(0)
	v_readfirstlane_b32 s2, v7
	v_readfirstlane_b32 s3, v6
	v_mov_b32_e32 v6, s3
	v_mov_b32_e32 v7, s2
	v_mad_u64_u32 v[6:7], s[2:3], s42, v14, v[6:7]
.LBB186_548:                            ;   in Loop: Header=BB186_539 Depth=1
	s_or_b64 exec, exec, s[34:35]
	ds_bpermute_b32 v6, v36, v6
	ds_bpermute_b32 v7, v36, v7
	s_cmp_eq_u64 vcc, 0
	s_cselect_b64 s[34:35], -1, 0
	s_mov_b64 s[38:39], -1
	s_mov_b64 s[40:41], -1
	s_waitcnt lgkmcnt(0)
	v_cmp_gt_u64_e64 s[2:3], s[62:63], v[6:7]
	s_or_b64 s[34:35], s[34:35], s[2:3]
	s_waitcnt vmcnt(0)
	v_cndmask_b32_e64 v15, v11, v13, s[34:35]
	s_and_b64 s[42:43], s[36:37], s[34:35]
	v_cndmask_b32_e64 v14, v10, v12, s[34:35]
	s_mov_b64 s[2:3], -1
	s_and_saveexec_b64 s[36:37], s[42:43]
	s_cbranch_execz .LBB186_554
; %bb.549:                              ;   in Loop: Header=BB186_539 Depth=1
	v_and_b32_e32 v14, vcc_lo, v16
	v_and_b32_e32 v4, vcc_hi, v17
	v_bcnt_u32_b32 v14, v14, 0
	v_bcnt_u32_b32 v4, v4, v14
	v_mov_b32_e32 v15, s63
	v_sub_co_u32_e32 v14, vcc, s62, v6
	v_subb_co_u32_e32 v15, vcc, v15, v7, vcc
	v_cmp_le_u64_e64 s[38:39], v[14:15], v[4:5]
	v_cmp_gt_u64_e32 vcc, v[14:15], v[4:5]
	s_mov_b64 s[42:43], -1
	s_and_saveexec_b64 s[40:41], vcc
	s_cbranch_execz .LBB186_553
; %bb.550:                              ;   in Loop: Header=BB186_539 Depth=1
	v_add_co_u32_e32 v14, vcc, v6, v4
	v_addc_co_u32_e32 v15, vcc, 0, v7, vcc
	v_cmp_gt_u64_e32 vcc, s[62:63], v[14:15]
	s_mov_b64 s[44:45], s[38:39]
	s_and_saveexec_b64 s[42:43], vcc
	s_cbranch_execz .LBB186_552
; %bb.551:                              ;   in Loop: Header=BB186_539 Depth=1
	v_mul_lo_u32 v4, v15, s16
	v_mul_lo_u32 v20, v14, s17
	v_mad_u64_u32 v[18:19], s[44:45], v14, s16, 0
	v_add3_u32 v19, v19, v20, v4
	v_mul_lo_u32 v4, v15, s18
	v_mul_lo_u32 v20, v14, s19
	v_mad_u64_u32 v[14:15], s[44:45], v14, s18, 0
	v_lshlrev_b64 v[18:19], 3, v[18:19]
	v_add3_u32 v15, v15, v20, v4
	v_mov_b32_e32 v4, s47
	v_add_co_u32_e32 v18, vcc, s46, v18
	v_addc_co_u32_e32 v19, vcc, v4, v19, vcc
	global_store_dwordx2 v[18:19], v[10:11], off
	v_lshlrev_b64 v[10:11], 3, v[14:15]
	v_mov_b32_e32 v4, s49
	v_add_co_u32_e32 v10, vcc, s48, v10
	v_addc_co_u32_e32 v11, vcc, v4, v11, vcc
	s_or_b64 s[44:45], s[38:39], exec
	global_store_dwordx2 v[10:11], v[0:1], off
.LBB186_552:                            ;   in Loop: Header=BB186_539 Depth=1
	s_or_b64 exec, exec, s[42:43]
	s_andn2_b64 s[38:39], s[38:39], exec
	s_and_b64 s[44:45], s[44:45], exec
	s_xor_b64 s[42:43], exec, -1
	s_or_b64 s[38:39], s[38:39], s[44:45]
.LBB186_553:                            ;   in Loop: Header=BB186_539 Depth=1
	s_or_b64 exec, exec, s[40:41]
	s_orn2_b64 s[40:41], s[42:43], exec
	s_or_b64 s[34:35], s[34:35], exec
	s_orn2_b64 s[38:39], s[38:39], exec
	v_pk_mov_b32 v[14:15], v[12:13], v[12:13] op_sel:[0,1]
.LBB186_554:                            ;   in Loop: Header=BB186_539 Depth=1
	s_or_b64 exec, exec, s[36:37]
	s_and_saveexec_b64 s[36:37], s[38:39]
	s_cbranch_execz .LBB186_537
; %bb.555:                              ;   in Loop: Header=BB186_539 Depth=1
	s_xor_b64 s[2:3], s[34:35], -1
	s_or_b64 s[40:41], s[40:41], exec
	s_orn2_b64 s[2:3], s[2:3], exec
	s_branch .LBB186_537
.LBB186_556:
	s_or_b64 exec, exec, s[22:23]
	s_mov_b64 s[0:1], 0
	s_and_saveexec_b64 s[2:3], s[24:25]
	s_xor_b64 s[2:3], exec, s[2:3]
	s_cbranch_execnz .LBB186_562
.LBB186_557:
	s_or_b64 exec, exec, s[2:3]
	s_and_b64 s[2:3], s[0:1], exec
	s_andn2_b64 s[4:5], s[4:5], exec
	s_or_b64 exec, exec, s[20:21]
	s_and_saveexec_b64 s[0:1], s[4:5]
	s_xor_b64 s[0:1], exec, s[0:1]
	s_cbranch_execz .LBB186_509
.LBB186_558:
	s_or_b64 s[2:3], s[2:3], exec
	s_trap 2
	s_branch .LBB186_509
.LBB186_559:
	s_or_b64 s[10:11], s[10:11], exec
	s_trap 2
	s_branch .LBB186_515
.LBB186_560:
	s_or_b64 s[12:13], s[12:13], exec
	s_trap 2
	s_branch .LBB186_513
.LBB186_561:
	s_trap 2
	s_or_b64 s[14:15], s[14:15], exec
	s_branch .LBB186_511
.LBB186_562:
	s_mov_b64 s[0:1], exec
	s_trap 2
	s_branch .LBB186_557
	.section	.rodata,"a",@progbits
	.p2align	6, 0x0
	.amdhsa_kernel _ZN2at6native6sbtopk10gatherTopKIdmLi3ELb0EEEvNS_4cuda6detail10TensorInfoIKT_T0_EES8_S8_bS8_S8_NS5_IS6_S8_EES8_NS5_IlS8_EES8_PS6_
		.amdhsa_group_segment_fixed_size 5152
		.amdhsa_private_segment_fixed_size 0
		.amdhsa_kernarg_size 1568
		.amdhsa_user_sgpr_count 6
		.amdhsa_user_sgpr_private_segment_buffer 1
		.amdhsa_user_sgpr_dispatch_ptr 0
		.amdhsa_user_sgpr_queue_ptr 0
		.amdhsa_user_sgpr_kernarg_segment_ptr 1
		.amdhsa_user_sgpr_dispatch_id 0
		.amdhsa_user_sgpr_flat_scratch_init 0
		.amdhsa_user_sgpr_kernarg_preload_length 0
		.amdhsa_user_sgpr_kernarg_preload_offset 0
		.amdhsa_user_sgpr_private_segment_size 0
		.amdhsa_uses_dynamic_stack 0
		.amdhsa_system_sgpr_private_segment_wavefront_offset 0
		.amdhsa_system_sgpr_workgroup_id_x 1
		.amdhsa_system_sgpr_workgroup_id_y 1
		.amdhsa_system_sgpr_workgroup_id_z 1
		.amdhsa_system_sgpr_workgroup_info 0
		.amdhsa_system_vgpr_workitem_id 0
		.amdhsa_next_free_vgpr 56
		.amdhsa_next_free_sgpr 96
		.amdhsa_accum_offset 56
		.amdhsa_reserve_vcc 1
		.amdhsa_reserve_flat_scratch 0
		.amdhsa_float_round_mode_32 0
		.amdhsa_float_round_mode_16_64 0
		.amdhsa_float_denorm_mode_32 3
		.amdhsa_float_denorm_mode_16_64 3
		.amdhsa_dx10_clamp 1
		.amdhsa_ieee_mode 1
		.amdhsa_fp16_overflow 0
		.amdhsa_tg_split 0
		.amdhsa_exception_fp_ieee_invalid_op 0
		.amdhsa_exception_fp_denorm_src 0
		.amdhsa_exception_fp_ieee_div_zero 0
		.amdhsa_exception_fp_ieee_overflow 0
		.amdhsa_exception_fp_ieee_underflow 0
		.amdhsa_exception_fp_ieee_inexact 0
		.amdhsa_exception_int_div_zero 0
	.end_amdhsa_kernel
	.section	.text._ZN2at6native6sbtopk10gatherTopKIdmLi3ELb0EEEvNS_4cuda6detail10TensorInfoIKT_T0_EES8_S8_bS8_S8_NS5_IS6_S8_EES8_NS5_IlS8_EES8_PS6_,"axG",@progbits,_ZN2at6native6sbtopk10gatherTopKIdmLi3ELb0EEEvNS_4cuda6detail10TensorInfoIKT_T0_EES8_S8_bS8_S8_NS5_IS6_S8_EES8_NS5_IlS8_EES8_PS6_,comdat
.Lfunc_end186:
	.size	_ZN2at6native6sbtopk10gatherTopKIdmLi3ELb0EEEvNS_4cuda6detail10TensorInfoIKT_T0_EES8_S8_bS8_S8_NS5_IS6_S8_EES8_NS5_IlS8_EES8_PS6_, .Lfunc_end186-_ZN2at6native6sbtopk10gatherTopKIdmLi3ELb0EEEvNS_4cuda6detail10TensorInfoIKT_T0_EES8_S8_bS8_S8_NS5_IS6_S8_EES8_NS5_IlS8_EES8_PS6_
                                        ; -- End function
	.section	.AMDGPU.csdata,"",@progbits
; Kernel info:
; codeLenInByte = 29276
; NumSgprs: 100
; NumVgprs: 56
; NumAgprs: 0
; TotalNumVgprs: 56
; ScratchSize: 0
; MemoryBound: 0
; FloatMode: 240
; IeeeMode: 1
; LDSByteSize: 5152 bytes/workgroup (compile time only)
; SGPRBlocks: 12
; VGPRBlocks: 6
; NumSGPRsForWavesPerEU: 100
; NumVGPRsForWavesPerEU: 56
; AccumOffset: 56
; Occupancy: 8
; WaveLimiterHint : 1
; COMPUTE_PGM_RSRC2:SCRATCH_EN: 0
; COMPUTE_PGM_RSRC2:USER_SGPR: 6
; COMPUTE_PGM_RSRC2:TRAP_HANDLER: 0
; COMPUTE_PGM_RSRC2:TGID_X_EN: 1
; COMPUTE_PGM_RSRC2:TGID_Y_EN: 1
; COMPUTE_PGM_RSRC2:TGID_Z_EN: 1
; COMPUTE_PGM_RSRC2:TIDIG_COMP_CNT: 0
; COMPUTE_PGM_RSRC3_GFX90A:ACCUM_OFFSET: 13
; COMPUTE_PGM_RSRC3_GFX90A:TG_SPLIT: 0
	.section	.text._ZN2at6native6mbtopk23computeBlockDigitCountsIdmmLin1EEEvNS_4cuda6detail10TensorInfoIKT_T0_EEjPjjS8_iijT1_PSB_Ps,"axG",@progbits,_ZN2at6native6mbtopk23computeBlockDigitCountsIdmmLin1EEEvNS_4cuda6detail10TensorInfoIKT_T0_EEjPjjS8_iijT1_PSB_Ps,comdat
	.protected	_ZN2at6native6mbtopk23computeBlockDigitCountsIdmmLin1EEEvNS_4cuda6detail10TensorInfoIKT_T0_EEjPjjS8_iijT1_PSB_Ps ; -- Begin function _ZN2at6native6mbtopk23computeBlockDigitCountsIdmmLin1EEEvNS_4cuda6detail10TensorInfoIKT_T0_EEjPjjS8_iijT1_PSB_Ps
	.globl	_ZN2at6native6mbtopk23computeBlockDigitCountsIdmmLin1EEEvNS_4cuda6detail10TensorInfoIKT_T0_EEjPjjS8_iijT1_PSB_Ps
	.p2align	8
	.type	_ZN2at6native6mbtopk23computeBlockDigitCountsIdmmLin1EEEvNS_4cuda6detail10TensorInfoIKT_T0_EEjPjjS8_iijT1_PSB_Ps,@function
_ZN2at6native6mbtopk23computeBlockDigitCountsIdmmLin1EEEvNS_4cuda6detail10TensorInfoIKT_T0_EEjPjjS8_iijT1_PSB_Ps: ; @_ZN2at6native6mbtopk23computeBlockDigitCountsIdmmLin1EEEvNS_4cuda6detail10TensorInfoIKT_T0_EEjPjjS8_iijT1_PSB_Ps
; %bb.0:
	s_load_dwordx4 s[12:15], s[4:5], 0x1c0
	s_load_dword s2, s[4:5], 0x1b0
	s_load_dwordx2 s[0:1], s[4:5], 0x1e8
	s_mov_b32 s17, 0
	s_waitcnt lgkmcnt(0)
	v_cvt_f32_u32_e32 v1, s14
	s_sub_i32 s3, 0, s14
	s_mul_i32 s1, s1, s8
	s_add_i32 s1, s1, s7
	v_rcp_iflag_f32_e32 v1, v1
	s_mul_i32 s28, s1, s0
	s_add_i32 s28, s28, s6
	v_mul_f32_e32 v1, 0x4f7ffffe, v1
	v_cvt_u32_f32_e32 v1, v1
	v_readfirstlane_b32 s0, v1
	s_mul_i32 s3, s3, s0
	s_mul_hi_u32 s1, s0, s3
	s_add_i32 s0, s0, s1
	s_mul_hi_u32 s0, s28, s0
	s_mul_i32 s1, s0, s14
	s_sub_i32 s1, s28, s1
	s_add_i32 s3, s0, 1
	s_sub_i32 s6, s1, s14
	s_cmp_ge_u32 s1, s14
	s_cselect_b32 s0, s3, s0
	s_cselect_b32 s1, s6, s1
	s_add_i32 s3, s0, 1
	s_cmp_ge_u32 s1, s14
	s_cselect_b32 s16, s3, s0
	s_cmp_ge_u32 s16, s2
	s_cbranch_scc1 .LBB187_32
; %bb.1:
	s_load_dwordx4 s[8:11], s[4:5], 0x1d0
	s_load_dword s0, s[4:5], 0x198
	s_load_dwordx2 s[2:3], s[4:5], 0x1e0
	s_lshl_b64 s[6:7], s[16:17], 3
	s_mov_b64 s[22:23], s[16:17]
	s_waitcnt lgkmcnt(0)
	s_add_u32 s6, s10, s6
	s_addc_u32 s7, s11, s7
	s_load_dwordx2 s[6:7], s[6:7], 0x0
	s_cmp_lt_i32 s0, 2
	s_mov_b64 s[10:11], 0
	s_cbranch_scc1 .LBB187_9
; %bb.2:
	s_mov_b32 s18, 0
	s_add_i32 s15, s0, 1
	s_add_i32 s0, s0, -1
	s_mov_b32 s1, s18
	s_lshl_b64 s[0:1], s[0:1], 3
	s_add_u32 s0, s0, s4
	s_addc_u32 s1, s1, s5
	s_add_u32 s20, s0, 8
	s_addc_u32 s21, s1, 0
.LBB187_3:                              ; =>This Inner Loop Header: Depth=1
	s_load_dwordx2 s[24:25], s[20:21], 0x0
	s_waitcnt lgkmcnt(0)
	s_or_b64 s[0:1], s[22:23], s[24:25]
	s_mov_b32 s19, s1
	s_cmp_lg_u64 s[18:19], 0
	s_cbranch_scc0 .LBB187_8
; %bb.4:                                ;   in Loop: Header=BB187_3 Depth=1
	v_cvt_f32_u32_e32 v1, s24
	v_cvt_f32_u32_e32 v2, s25
	s_sub_u32 s0, 0, s24
	s_subb_u32 s1, 0, s25
	v_mac_f32_e32 v1, 0x4f800000, v2
	v_rcp_f32_e32 v1, v1
	v_mul_f32_e32 v1, 0x5f7ffffc, v1
	v_mul_f32_e32 v2, 0x2f800000, v1
	v_trunc_f32_e32 v2, v2
	v_mac_f32_e32 v1, 0xcf800000, v2
	v_cvt_u32_f32_e32 v2, v2
	v_cvt_u32_f32_e32 v1, v1
	v_readfirstlane_b32 s17, v2
	v_readfirstlane_b32 s19, v1
	s_mul_i32 s26, s0, s17
	s_mul_hi_u32 s29, s0, s19
	s_mul_i32 s27, s1, s19
	s_add_i32 s26, s29, s26
	s_mul_i32 s30, s0, s19
	s_add_i32 s26, s26, s27
	s_mul_hi_u32 s27, s19, s26
	s_mul_i32 s29, s19, s26
	s_mul_hi_u32 s19, s19, s30
	s_add_u32 s19, s19, s29
	s_addc_u32 s27, 0, s27
	s_mul_hi_u32 s31, s17, s30
	s_mul_i32 s30, s17, s30
	s_add_u32 s19, s19, s30
	s_mul_hi_u32 s29, s17, s26
	s_addc_u32 s19, s27, s31
	s_addc_u32 s27, s29, 0
	s_mul_i32 s26, s17, s26
	s_add_u32 s19, s19, s26
	s_addc_u32 s26, 0, s27
	v_add_co_u32_e32 v1, vcc, s19, v1
	s_cmp_lg_u64 vcc, 0
	s_addc_u32 s17, s17, s26
	v_readfirstlane_b32 s26, v1
	s_mul_i32 s19, s0, s17
	s_mul_hi_u32 s27, s0, s26
	s_add_i32 s19, s27, s19
	s_mul_i32 s1, s1, s26
	s_add_i32 s19, s19, s1
	s_mul_i32 s0, s0, s26
	s_mul_hi_u32 s27, s17, s0
	s_mul_i32 s29, s17, s0
	s_mul_i32 s31, s26, s19
	s_mul_hi_u32 s0, s26, s0
	s_mul_hi_u32 s30, s26, s19
	s_add_u32 s0, s0, s31
	s_addc_u32 s26, 0, s30
	s_add_u32 s0, s0, s29
	s_mul_hi_u32 s1, s17, s19
	s_addc_u32 s0, s26, s27
	s_addc_u32 s1, s1, 0
	s_mul_i32 s19, s17, s19
	s_add_u32 s0, s0, s19
	s_addc_u32 s1, 0, s1
	v_add_co_u32_e32 v1, vcc, s0, v1
	s_cmp_lg_u64 vcc, 0
	s_addc_u32 s0, s17, s1
	v_readfirstlane_b32 s19, v1
	s_mul_i32 s17, s22, s0
	s_mul_hi_u32 s26, s22, s19
	s_mul_hi_u32 s1, s22, s0
	s_add_u32 s17, s26, s17
	s_addc_u32 s1, 0, s1
	s_mul_hi_u32 s27, s23, s19
	s_mul_i32 s19, s23, s19
	s_add_u32 s17, s17, s19
	s_mul_hi_u32 s26, s23, s0
	s_addc_u32 s1, s1, s27
	s_addc_u32 s17, s26, 0
	s_mul_i32 s0, s23, s0
	s_add_u32 s19, s1, s0
	s_addc_u32 s17, 0, s17
	s_mul_i32 s0, s24, s17
	s_mul_hi_u32 s1, s24, s19
	s_add_i32 s0, s1, s0
	s_mul_i32 s1, s25, s19
	s_add_i32 s26, s0, s1
	s_mul_i32 s1, s24, s19
	v_mov_b32_e32 v1, s1
	s_sub_i32 s0, s23, s26
	v_sub_co_u32_e32 v1, vcc, s22, v1
	s_cmp_lg_u64 vcc, 0
	s_subb_u32 s27, s0, s25
	v_subrev_co_u32_e64 v2, s[0:1], s24, v1
	s_cmp_lg_u64 s[0:1], 0
	s_subb_u32 s0, s27, 0
	s_cmp_ge_u32 s0, s25
	v_readfirstlane_b32 s27, v2
	s_cselect_b32 s1, -1, 0
	s_cmp_ge_u32 s27, s24
	s_cselect_b32 s27, -1, 0
	s_cmp_eq_u32 s0, s25
	s_cselect_b32 s0, s27, s1
	s_add_u32 s1, s19, 1
	s_addc_u32 s27, s17, 0
	s_add_u32 s29, s19, 2
	s_addc_u32 s30, s17, 0
	s_cmp_lg_u32 s0, 0
	s_cselect_b32 s0, s29, s1
	s_cselect_b32 s1, s30, s27
	s_cmp_lg_u64 vcc, 0
	s_subb_u32 s26, s23, s26
	s_cmp_ge_u32 s26, s25
	v_readfirstlane_b32 s29, v1
	s_cselect_b32 s27, -1, 0
	s_cmp_ge_u32 s29, s24
	s_cselect_b32 s29, -1, 0
	s_cmp_eq_u32 s26, s25
	s_cselect_b32 s26, s29, s27
	s_cmp_lg_u32 s26, 0
	s_cselect_b32 s1, s1, s17
	s_cselect_b32 s0, s0, s19
	s_cbranch_execnz .LBB187_6
.LBB187_5:                              ;   in Loop: Header=BB187_3 Depth=1
	v_cvt_f32_u32_e32 v1, s24
	s_sub_i32 s0, 0, s24
	v_rcp_iflag_f32_e32 v1, v1
	v_mul_f32_e32 v1, 0x4f7ffffe, v1
	v_cvt_u32_f32_e32 v1, v1
	v_readfirstlane_b32 s1, v1
	s_mul_i32 s0, s0, s1
	s_mul_hi_u32 s0, s1, s0
	s_add_i32 s1, s1, s0
	s_mul_hi_u32 s0, s22, s1
	s_mul_i32 s17, s0, s24
	s_sub_i32 s17, s22, s17
	s_add_i32 s1, s0, 1
	s_sub_i32 s19, s17, s24
	s_cmp_ge_u32 s17, s24
	s_cselect_b32 s0, s1, s0
	s_cselect_b32 s17, s19, s17
	s_add_i32 s1, s0, 1
	s_cmp_ge_u32 s17, s24
	s_cselect_b32 s0, s1, s0
	s_mov_b32 s1, s18
.LBB187_6:                              ;   in Loop: Header=BB187_3 Depth=1
	s_mul_i32 s17, s0, s25
	s_mul_hi_u32 s19, s0, s24
	s_load_dwordx2 s[26:27], s[20:21], 0xc8
	s_add_i32 s17, s19, s17
	s_mul_i32 s19, s1, s24
	s_add_i32 s17, s17, s19
	s_mul_i32 s19, s0, s24
	s_sub_u32 s19, s22, s19
	s_subb_u32 s17, s23, s17
	s_waitcnt lgkmcnt(0)
	s_mul_i32 s17, s26, s17
	s_mul_hi_u32 s22, s26, s19
	s_add_i32 s17, s22, s17
	s_mul_i32 s22, s27, s19
	s_add_i32 s17, s17, s22
	s_mul_i32 s19, s26, s19
	s_add_u32 s10, s19, s10
	s_addc_u32 s11, s17, s11
	s_add_i32 s15, s15, -1
	s_add_u32 s20, s20, -8
	s_addc_u32 s21, s21, -1
	s_cmp_gt_u32 s15, 2
	s_cbranch_scc0 .LBB187_10
; %bb.7:                                ;   in Loop: Header=BB187_3 Depth=1
	s_mov_b64 s[22:23], s[0:1]
	s_branch .LBB187_3
.LBB187_8:                              ;   in Loop: Header=BB187_3 Depth=1
                                        ; implicit-def: $sgpr0_sgpr1
	s_branch .LBB187_5
.LBB187_9:
	s_mov_b64 s[0:1], s[22:23]
.LBB187_10:
	s_movk_i32 s15, 0x100
	v_cmp_gt_u32_e32 vcc, s15, v0
	v_lshlrev_b32_e32 v1, 2, v0
	s_and_saveexec_b64 s[18:19], vcc
	s_cbranch_execz .LBB187_12
; %bb.11:
	v_mov_b32_e32 v2, 0
	ds_write_b32 v1, v2
.LBB187_12:
	s_or_b64 exec, exec, s[18:19]
	s_load_dword s17, s[4:5], 0x1a0
	s_mul_i32 s15, s16, s14
	s_sub_i32 s15, s28, s15
	s_add_i32 s16, s15, 1
	s_mul_i32 s15, s13, s15
	s_lshl_b32 s19, s15, 8
	s_waitcnt lgkmcnt(0)
	s_sub_i32 s15, s17, s19
	s_add_u32 s15, s15, 0xff
	s_addc_u32 s18, 0, 0
	v_mov_b32_e32 v2, s15
	v_alignbit_b32 v2, s18, v2, 8
	s_cmp_lt_u32 s16, s14
	v_readfirstlane_b32 s14, v2
	s_cselect_b32 s13, s13, s14
	s_cmp_lt_i32 s13, 1
	s_mov_b32 s18, 0
	s_barrier
	s_cbranch_scc1 .LBB187_28
; %bb.13:
	s_load_dwordx2 s[20:21], s[4:5], 0xd0
	s_load_dwordx2 s[14:15], s[4:5], 0x1b8
	;; [unrolled: 1-line block ×3, first 2 shown]
	v_add_u32_e32 v4, s19, v0
	s_waitcnt lgkmcnt(0)
	s_mul_i32 s1, s20, s1
	s_mul_hi_u32 s4, s20, s0
	s_mul_i32 s5, s21, s0
	s_add_i32 s1, s4, s1
	s_add_i32 s1, s1, s5
	s_mul_i32 s0, s20, s0
	s_lshl_b64 s[0:1], s[0:1], 3
	s_add_u32 s4, s22, s0
	s_addc_u32 s5, s23, s1
	s_lshl_b64 s[0:1], s[10:11], 3
	s_add_u32 s11, s4, s0
	s_addc_u32 s16, s5, s1
	s_and_b32 s10, s12, 0xff
	s_cmp_eq_u32 s13, 1
	s_cbranch_scc1 .LBB187_23
; %bb.14:
	s_and_b32 s12, s13, 0x7ffffffe
	v_mov_b32_e32 v5, 1
	v_mov_b32_e32 v6, 2
	;; [unrolled: 1-line block ×3, first 2 shown]
	s_branch .LBB187_16
.LBB187_15:                             ;   in Loop: Header=BB187_16 Depth=1
	s_or_b64 exec, exec, s[4:5]
	s_add_i32 s18, s18, 2
	s_cmp_eq_u32 s12, s18
	v_add_u32_e32 v7, 0x200, v7
	s_cbranch_scc1 .LBB187_22
.LBB187_16:                             ; =>This Inner Loop Header: Depth=1
	v_cmp_gt_u32_e64 s[0:1], s17, v7
	s_and_saveexec_b64 s[4:5], s[0:1]
	s_cbranch_execz .LBB187_19
; %bb.17:                               ;   in Loop: Header=BB187_16 Depth=1
	v_mad_u64_u32 v[2:3], s[0:1], v7, s14, 0
	v_mov_b32_e32 v8, v3
	v_mad_u64_u32 v[8:9], s[0:1], v7, s15, v[8:9]
	v_mov_b32_e32 v3, v8
	v_lshlrev_b64 v[2:3], 3, v[2:3]
	v_mov_b32_e32 v8, s16
	v_add_co_u32_e64 v2, s[0:1], s11, v2
	v_addc_co_u32_e64 v3, s[0:1], v8, v3, s[0:1]
	global_load_dwordx2 v[2:3], v[2:3], off
	s_waitcnt vmcnt(0)
	v_ashrrev_i32_e32 v8, 31, v3
	v_or_b32_e32 v9, 0x80000000, v8
	v_xor_b32_e32 v8, v8, v2
	v_xor_b32_e32 v9, v9, v3
	v_cmp_o_f64_e64 s[0:1], v[2:3], v[2:3]
	v_cndmask_b32_e64 v3, -1, v9, s[0:1]
	v_cndmask_b32_e64 v2, -1, v8, s[0:1]
	v_xor_b32_e32 v8, s7, v3
	v_xor_b32_e32 v10, s6, v2
	v_and_b32_e32 v9, s9, v8
	v_and_b32_e32 v8, s8, v10
	v_cmp_eq_u64_e64 s[0:1], 0, v[8:9]
	s_and_b64 exec, exec, s[0:1]
	s_cbranch_execz .LBB187_19
; %bb.18:                               ;   in Loop: Header=BB187_16 Depth=1
	v_lshrrev_b64 v[2:3], s10, v[2:3]
	v_lshlrev_b32_sdwa v2, v6, v2 dst_sel:DWORD dst_unused:UNUSED_PAD src0_sel:DWORD src1_sel:BYTE_0
	ds_add_u32 v2, v5
.LBB187_19:                             ;   in Loop: Header=BB187_16 Depth=1
	s_or_b64 exec, exec, s[4:5]
	v_add_u32_e32 v2, 0x100, v7
	v_cmp_gt_u32_e64 s[0:1], s17, v2
	s_and_saveexec_b64 s[4:5], s[0:1]
	s_cbranch_execz .LBB187_15
; %bb.20:                               ;   in Loop: Header=BB187_16 Depth=1
	v_mad_u64_u32 v[8:9], s[0:1], v2, s14, 0
	v_mov_b32_e32 v10, v9
	v_mad_u64_u32 v[2:3], s[0:1], v2, s15, v[10:11]
	v_mov_b32_e32 v9, v2
	v_lshlrev_b64 v[2:3], 3, v[8:9]
	v_mov_b32_e32 v8, s16
	v_add_co_u32_e64 v2, s[0:1], s11, v2
	v_addc_co_u32_e64 v3, s[0:1], v8, v3, s[0:1]
	global_load_dwordx2 v[2:3], v[2:3], off
	s_waitcnt vmcnt(0)
	v_ashrrev_i32_e32 v8, 31, v3
	v_or_b32_e32 v9, 0x80000000, v8
	v_xor_b32_e32 v8, v8, v2
	v_xor_b32_e32 v9, v9, v3
	v_cmp_o_f64_e64 s[0:1], v[2:3], v[2:3]
	v_cndmask_b32_e64 v3, -1, v9, s[0:1]
	v_cndmask_b32_e64 v2, -1, v8, s[0:1]
	v_xor_b32_e32 v8, s7, v3
	v_xor_b32_e32 v10, s6, v2
	v_and_b32_e32 v9, s9, v8
	v_and_b32_e32 v8, s8, v10
	v_cmp_eq_u64_e64 s[0:1], 0, v[8:9]
	s_and_b64 exec, exec, s[0:1]
	s_cbranch_execz .LBB187_15
; %bb.21:                               ;   in Loop: Header=BB187_16 Depth=1
	v_lshrrev_b64 v[2:3], s10, v[2:3]
	v_lshlrev_b32_sdwa v2, v6, v2 dst_sel:DWORD dst_unused:UNUSED_PAD src0_sel:DWORD src1_sel:BYTE_0
	ds_add_u32 v2, v5
	s_branch .LBB187_15
.LBB187_22:
	s_lshl_b32 s18, s12, 8
.LBB187_23:
	s_bitcmp0_b32 s13, 0
	s_cbranch_scc1 .LBB187_28
; %bb.24:
	v_add_u32_e32 v2, s18, v4
	v_cmp_gt_u32_e64 s[0:1], s17, v2
	s_and_saveexec_b64 s[4:5], s[0:1]
	s_cbranch_execz .LBB187_27
; %bb.25:
	v_mad_u64_u32 v[4:5], s[0:1], v2, s14, 0
	v_mov_b32_e32 v6, v5
	v_mad_u64_u32 v[2:3], s[0:1], v2, s15, v[6:7]
	v_mov_b32_e32 v5, v2
	v_lshlrev_b64 v[2:3], 3, v[4:5]
	v_mov_b32_e32 v4, s16
	v_add_co_u32_e64 v2, s[0:1], s11, v2
	v_addc_co_u32_e64 v3, s[0:1], v4, v3, s[0:1]
	global_load_dwordx2 v[2:3], v[2:3], off
	s_waitcnt vmcnt(0)
	v_ashrrev_i32_e32 v4, 31, v3
	v_or_b32_e32 v5, 0x80000000, v4
	v_xor_b32_e32 v4, v4, v2
	v_xor_b32_e32 v5, v5, v3
	v_cmp_o_f64_e64 s[0:1], v[2:3], v[2:3]
	v_cndmask_b32_e64 v3, -1, v5, s[0:1]
	v_cndmask_b32_e64 v2, -1, v4, s[0:1]
	v_xor_b32_e32 v4, s7, v3
	v_xor_b32_e32 v6, s6, v2
	v_and_b32_e32 v5, s9, v4
	v_and_b32_e32 v4, s8, v6
	v_cmp_eq_u64_e64 s[0:1], 0, v[4:5]
	s_and_b64 exec, exec, s[0:1]
	s_cbranch_execz .LBB187_27
; %bb.26:
	v_lshrrev_b64 v[2:3], s10, v[2:3]
	v_mov_b32_e32 v3, 2
	v_lshlrev_b32_sdwa v2, v3, v2 dst_sel:DWORD dst_unused:UNUSED_PAD src0_sel:DWORD src1_sel:BYTE_0
	v_mov_b32_e32 v3, 1
	ds_add_u32 v2, v3
.LBB187_27:
	s_or_b64 exec, exec, s[4:5]
.LBB187_28:
	v_mov_b32_e32 v2, 0
	s_waitcnt lgkmcnt(0)
	s_barrier
	s_and_saveexec_b64 s[0:1], vcc
	s_cbranch_execz .LBB187_30
; %bb.29:
	ds_read_b32 v2, v1
.LBB187_30:
	s_or_b64 exec, exec, s[0:1]
	s_and_saveexec_b64 s[0:1], vcc
	s_cbranch_execz .LBB187_32
; %bb.31:
	v_lshl_or_b32 v0, s28, 8, v0
	v_mov_b32_e32 v1, 0
	v_lshlrev_b64 v[0:1], 1, v[0:1]
	v_mov_b32_e32 v3, s3
	v_add_co_u32_e32 v0, vcc, s2, v0
	v_addc_co_u32_e32 v1, vcc, v3, v1, vcc
	s_waitcnt lgkmcnt(0)
	global_store_short v[0:1], v2, off
.LBB187_32:
	s_endpgm
	.section	.rodata,"a",@progbits
	.p2align	6, 0x0
	.amdhsa_kernel _ZN2at6native6mbtopk23computeBlockDigitCountsIdmmLin1EEEvNS_4cuda6detail10TensorInfoIKT_T0_EEjPjjS8_iijT1_PSB_Ps
		.amdhsa_group_segment_fixed_size 1024
		.amdhsa_private_segment_fixed_size 0
		.amdhsa_kernarg_size 744
		.amdhsa_user_sgpr_count 6
		.amdhsa_user_sgpr_private_segment_buffer 1
		.amdhsa_user_sgpr_dispatch_ptr 0
		.amdhsa_user_sgpr_queue_ptr 0
		.amdhsa_user_sgpr_kernarg_segment_ptr 1
		.amdhsa_user_sgpr_dispatch_id 0
		.amdhsa_user_sgpr_flat_scratch_init 0
		.amdhsa_user_sgpr_kernarg_preload_length 0
		.amdhsa_user_sgpr_kernarg_preload_offset 0
		.amdhsa_user_sgpr_private_segment_size 0
		.amdhsa_uses_dynamic_stack 0
		.amdhsa_system_sgpr_private_segment_wavefront_offset 0
		.amdhsa_system_sgpr_workgroup_id_x 1
		.amdhsa_system_sgpr_workgroup_id_y 1
		.amdhsa_system_sgpr_workgroup_id_z 1
		.amdhsa_system_sgpr_workgroup_info 0
		.amdhsa_system_vgpr_workitem_id 0
		.amdhsa_next_free_vgpr 12
		.amdhsa_next_free_sgpr 32
		.amdhsa_accum_offset 12
		.amdhsa_reserve_vcc 1
		.amdhsa_reserve_flat_scratch 0
		.amdhsa_float_round_mode_32 0
		.amdhsa_float_round_mode_16_64 0
		.amdhsa_float_denorm_mode_32 3
		.amdhsa_float_denorm_mode_16_64 3
		.amdhsa_dx10_clamp 1
		.amdhsa_ieee_mode 1
		.amdhsa_fp16_overflow 0
		.amdhsa_tg_split 0
		.amdhsa_exception_fp_ieee_invalid_op 0
		.amdhsa_exception_fp_denorm_src 0
		.amdhsa_exception_fp_ieee_div_zero 0
		.amdhsa_exception_fp_ieee_overflow 0
		.amdhsa_exception_fp_ieee_underflow 0
		.amdhsa_exception_fp_ieee_inexact 0
		.amdhsa_exception_int_div_zero 0
	.end_amdhsa_kernel
	.section	.text._ZN2at6native6mbtopk23computeBlockDigitCountsIdmmLin1EEEvNS_4cuda6detail10TensorInfoIKT_T0_EEjPjjS8_iijT1_PSB_Ps,"axG",@progbits,_ZN2at6native6mbtopk23computeBlockDigitCountsIdmmLin1EEEvNS_4cuda6detail10TensorInfoIKT_T0_EEjPjjS8_iijT1_PSB_Ps,comdat
.Lfunc_end187:
	.size	_ZN2at6native6mbtopk23computeBlockDigitCountsIdmmLin1EEEvNS_4cuda6detail10TensorInfoIKT_T0_EEjPjjS8_iijT1_PSB_Ps, .Lfunc_end187-_ZN2at6native6mbtopk23computeBlockDigitCountsIdmmLin1EEEvNS_4cuda6detail10TensorInfoIKT_T0_EEjPjjS8_iijT1_PSB_Ps
                                        ; -- End function
	.section	.AMDGPU.csdata,"",@progbits
; Kernel info:
; codeLenInByte = 1896
; NumSgprs: 36
; NumVgprs: 12
; NumAgprs: 0
; TotalNumVgprs: 12
; ScratchSize: 0
; MemoryBound: 0
; FloatMode: 240
; IeeeMode: 1
; LDSByteSize: 1024 bytes/workgroup (compile time only)
; SGPRBlocks: 4
; VGPRBlocks: 1
; NumSGPRsForWavesPerEU: 36
; NumVGPRsForWavesPerEU: 12
; AccumOffset: 12
; Occupancy: 8
; WaveLimiterHint : 0
; COMPUTE_PGM_RSRC2:SCRATCH_EN: 0
; COMPUTE_PGM_RSRC2:USER_SGPR: 6
; COMPUTE_PGM_RSRC2:TRAP_HANDLER: 0
; COMPUTE_PGM_RSRC2:TGID_X_EN: 1
; COMPUTE_PGM_RSRC2:TGID_Y_EN: 1
; COMPUTE_PGM_RSRC2:TGID_Z_EN: 1
; COMPUTE_PGM_RSRC2:TIDIG_COMP_CNT: 0
; COMPUTE_PGM_RSRC3_GFX90A:ACCUM_OFFSET: 2
; COMPUTE_PGM_RSRC3_GFX90A:TG_SPLIT: 0
	.section	.text._ZN2at6native6mbtopk10gatherTopKIdmLin1EEEvNS_4cuda6detail10TensorInfoIKT_T0_EES8_S8_bjS8_NS5_IS6_S8_EES8_NS5_IlS8_EES8_jjPS6_PjSD_j,"axG",@progbits,_ZN2at6native6mbtopk10gatherTopKIdmLin1EEEvNS_4cuda6detail10TensorInfoIKT_T0_EES8_S8_bjS8_NS5_IS6_S8_EES8_NS5_IlS8_EES8_jjPS6_PjSD_j,comdat
	.protected	_ZN2at6native6mbtopk10gatherTopKIdmLin1EEEvNS_4cuda6detail10TensorInfoIKT_T0_EES8_S8_bjS8_NS5_IS6_S8_EES8_NS5_IlS8_EES8_jjPS6_PjSD_j ; -- Begin function _ZN2at6native6mbtopk10gatherTopKIdmLin1EEEvNS_4cuda6detail10TensorInfoIKT_T0_EES8_S8_bjS8_NS5_IS6_S8_EES8_NS5_IlS8_EES8_jjPS6_PjSD_j
	.globl	_ZN2at6native6mbtopk10gatherTopKIdmLin1EEEvNS_4cuda6detail10TensorInfoIKT_T0_EES8_S8_bjS8_NS5_IS6_S8_EES8_NS5_IlS8_EES8_jjPS6_PjSD_j
	.p2align	8
	.type	_ZN2at6native6mbtopk10gatherTopKIdmLin1EEEvNS_4cuda6detail10TensorInfoIKT_T0_EES8_S8_bjS8_NS5_IS6_S8_EES8_NS5_IlS8_EES8_jjPS6_PjSD_j,@function
_ZN2at6native6mbtopk10gatherTopKIdmLin1EEEvNS_4cuda6detail10TensorInfoIKT_T0_EES8_S8_bjS8_NS5_IS6_S8_EES8_NS5_IlS8_EES8_jjPS6_PjSD_j: ; @_ZN2at6native6mbtopk10gatherTopKIdmLin1EEEvNS_4cuda6detail10TensorInfoIKT_T0_EES8_S8_bjS8_NS5_IS6_S8_EES8_NS5_IlS8_EES8_jjPS6_PjSD_j
; %bb.0:
	s_load_dwordx2 s[0:1], s[4:5], 0x538
	s_load_dword s2, s[4:5], 0x530
	s_waitcnt lgkmcnt(0)
	s_mul_i32 s1, s1, s8
	s_add_i32 s1, s1, s7
	s_mul_i32 s0, s1, s0
	s_add_i32 s0, s0, s6
	s_cmp_ge_u32 s0, s2
	s_cbranch_scc1 .LBB188_67
; %bb.1:
	s_load_dwordx2 s[20:21], s[4:5], 0x510
	s_load_dwordx4 s[8:11], s[4:5], 0x1a0
	s_mov_b32 s3, 0
	s_waitcnt lgkmcnt(0)
	v_cvt_f32_u32_e32 v1, s21
	s_sub_i32 s2, 0, s21
	s_lshl_b32 s1, s20, 8
	v_rcp_iflag_f32_e32 v1, v1
	v_mul_f32_e32 v1, 0x4f7ffffe, v1
	v_cvt_u32_f32_e32 v1, v1
	v_readfirstlane_b32 s6, v1
	s_mul_i32 s2, s2, s6
	s_mul_hi_u32 s2, s6, s2
	s_add_i32 s6, s6, s2
	s_mul_hi_u32 s2, s0, s6
	s_mul_i32 s6, s2, s21
	s_sub_i32 s6, s0, s6
	s_add_i32 s7, s2, 1
	s_sub_i32 s12, s6, s21
	s_cmp_ge_u32 s6, s21
	s_cselect_b32 s2, s7, s2
	s_cselect_b32 s6, s12, s6
	s_add_i32 s7, s2, 1
	s_cmp_ge_u32 s6, s21
	s_cselect_b32 s2, s7, s2
	s_mul_i32 s22, s2, s21
	s_sub_i32 s56, s0, s22
	s_add_i32 s0, s56, 1
	s_cmp_lt_u32 s0, s21
	s_mul_i32 s33, s56, s1
	s_cbranch_scc1 .LBB188_3
; %bb.2:
	s_sub_u32 s0, s8, s33
	s_subb_u32 s1, s9, 0
	s_add_u32 s0, s0, 0xff
	s_addc_u32 s1, s1, 0
	s_ashr_i32 s6, s1, 31
	s_lshr_b32 s6, s6, 24
	s_add_u32 s0, s0, s6
	s_addc_u32 s1, s1, 0
	v_mov_b32_e32 v1, s0
	v_alignbit_b32 v1, s1, v1, 8
	v_readfirstlane_b32 s20, v1
.LBB188_3:
	s_load_dword s0, s[4:5], 0x198
	s_mov_b64 s[6:7], 0
	s_mov_b64 s[24:25], s[2:3]
	s_waitcnt lgkmcnt(0)
	s_cmp_lt_i32 s0, 2
	s_cbranch_scc1 .LBB188_11
; %bb.4:
	s_mov_b32 s12, 0
	s_add_i32 s23, s0, 1
	s_add_i32 s0, s0, -1
	s_mov_b32 s1, s12
	s_lshl_b64 s[0:1], s[0:1], 3
	s_add_u32 s0, s0, s4
	s_addc_u32 s1, s1, s5
	s_add_u32 s14, s0, 8
	s_addc_u32 s15, s1, 0
	s_mov_b64 s[16:17], s[2:3]
.LBB188_5:                              ; =>This Inner Loop Header: Depth=1
	s_load_dwordx2 s[18:19], s[14:15], 0x0
	s_waitcnt lgkmcnt(0)
	s_or_b64 s[0:1], s[16:17], s[18:19]
	s_mov_b32 s13, s1
	s_cmp_lg_u64 s[12:13], 0
	s_cbranch_scc0 .LBB188_10
; %bb.6:                                ;   in Loop: Header=BB188_5 Depth=1
	v_cvt_f32_u32_e32 v1, s18
	v_cvt_f32_u32_e32 v2, s19
	s_sub_u32 s0, 0, s18
	s_subb_u32 s1, 0, s19
	v_mac_f32_e32 v1, 0x4f800000, v2
	v_rcp_f32_e32 v1, v1
	v_mul_f32_e32 v1, 0x5f7ffffc, v1
	v_mul_f32_e32 v2, 0x2f800000, v1
	v_trunc_f32_e32 v2, v2
	v_mac_f32_e32 v1, 0xcf800000, v2
	v_cvt_u32_f32_e32 v2, v2
	v_cvt_u32_f32_e32 v1, v1
	v_readfirstlane_b32 s13, v2
	v_readfirstlane_b32 s24, v1
	s_mul_i32 s25, s0, s13
	s_mul_hi_u32 s27, s0, s24
	s_mul_i32 s26, s1, s24
	s_add_i32 s25, s27, s25
	s_mul_i32 s28, s0, s24
	s_add_i32 s25, s25, s26
	s_mul_hi_u32 s26, s24, s25
	s_mul_i32 s27, s24, s25
	s_mul_hi_u32 s24, s24, s28
	s_add_u32 s24, s24, s27
	s_addc_u32 s26, 0, s26
	s_mul_hi_u32 s29, s13, s28
	s_mul_i32 s28, s13, s28
	s_add_u32 s24, s24, s28
	s_mul_hi_u32 s27, s13, s25
	s_addc_u32 s24, s26, s29
	s_addc_u32 s26, s27, 0
	s_mul_i32 s25, s13, s25
	s_add_u32 s24, s24, s25
	s_addc_u32 s25, 0, s26
	v_add_co_u32_e32 v1, vcc, s24, v1
	s_cmp_lg_u64 vcc, 0
	s_addc_u32 s13, s13, s25
	v_readfirstlane_b32 s25, v1
	s_mul_i32 s24, s0, s13
	s_mul_hi_u32 s26, s0, s25
	s_add_i32 s24, s26, s24
	s_mul_i32 s1, s1, s25
	s_add_i32 s24, s24, s1
	s_mul_i32 s0, s0, s25
	s_mul_hi_u32 s26, s13, s0
	s_mul_i32 s27, s13, s0
	s_mul_i32 s29, s25, s24
	s_mul_hi_u32 s0, s25, s0
	s_mul_hi_u32 s28, s25, s24
	s_add_u32 s0, s0, s29
	s_addc_u32 s25, 0, s28
	s_add_u32 s0, s0, s27
	s_mul_hi_u32 s1, s13, s24
	s_addc_u32 s0, s25, s26
	s_addc_u32 s1, s1, 0
	s_mul_i32 s24, s13, s24
	s_add_u32 s0, s0, s24
	s_addc_u32 s1, 0, s1
	v_add_co_u32_e32 v1, vcc, s0, v1
	s_cmp_lg_u64 vcc, 0
	s_addc_u32 s0, s13, s1
	v_readfirstlane_b32 s24, v1
	s_mul_i32 s13, s16, s0
	s_mul_hi_u32 s25, s16, s24
	s_mul_hi_u32 s1, s16, s0
	s_add_u32 s13, s25, s13
	s_addc_u32 s1, 0, s1
	s_mul_hi_u32 s26, s17, s24
	s_mul_i32 s24, s17, s24
	s_add_u32 s13, s13, s24
	s_mul_hi_u32 s25, s17, s0
	s_addc_u32 s1, s1, s26
	s_addc_u32 s13, s25, 0
	s_mul_i32 s0, s17, s0
	s_add_u32 s24, s1, s0
	s_addc_u32 s13, 0, s13
	s_mul_i32 s0, s18, s13
	s_mul_hi_u32 s1, s18, s24
	s_add_i32 s0, s1, s0
	s_mul_i32 s1, s19, s24
	s_add_i32 s25, s0, s1
	s_mul_i32 s1, s18, s24
	v_mov_b32_e32 v1, s1
	s_sub_i32 s0, s17, s25
	v_sub_co_u32_e32 v1, vcc, s16, v1
	s_cmp_lg_u64 vcc, 0
	s_subb_u32 s26, s0, s19
	v_subrev_co_u32_e64 v2, s[0:1], s18, v1
	s_cmp_lg_u64 s[0:1], 0
	s_subb_u32 s0, s26, 0
	s_cmp_ge_u32 s0, s19
	v_readfirstlane_b32 s26, v2
	s_cselect_b32 s1, -1, 0
	s_cmp_ge_u32 s26, s18
	s_cselect_b32 s26, -1, 0
	s_cmp_eq_u32 s0, s19
	s_cselect_b32 s0, s26, s1
	s_add_u32 s1, s24, 1
	s_addc_u32 s26, s13, 0
	s_add_u32 s27, s24, 2
	s_addc_u32 s28, s13, 0
	s_cmp_lg_u32 s0, 0
	s_cselect_b32 s0, s27, s1
	s_cselect_b32 s1, s28, s26
	s_cmp_lg_u64 vcc, 0
	s_subb_u32 s25, s17, s25
	s_cmp_ge_u32 s25, s19
	v_readfirstlane_b32 s27, v1
	s_cselect_b32 s26, -1, 0
	s_cmp_ge_u32 s27, s18
	s_cselect_b32 s27, -1, 0
	s_cmp_eq_u32 s25, s19
	s_cselect_b32 s25, s27, s26
	s_cmp_lg_u32 s25, 0
	s_cselect_b32 s25, s1, s13
	s_cselect_b32 s24, s0, s24
	s_cbranch_execnz .LBB188_8
.LBB188_7:                              ;   in Loop: Header=BB188_5 Depth=1
	v_cvt_f32_u32_e32 v1, s18
	s_sub_i32 s0, 0, s18
	s_mov_b32 s25, s12
	v_rcp_iflag_f32_e32 v1, v1
	v_mul_f32_e32 v1, 0x4f7ffffe, v1
	v_cvt_u32_f32_e32 v1, v1
	v_readfirstlane_b32 s1, v1
	s_mul_i32 s0, s0, s1
	s_mul_hi_u32 s0, s1, s0
	s_add_i32 s1, s1, s0
	s_mul_hi_u32 s0, s16, s1
	s_mul_i32 s13, s0, s18
	s_sub_i32 s13, s16, s13
	s_add_i32 s1, s0, 1
	s_sub_i32 s24, s13, s18
	s_cmp_ge_u32 s13, s18
	s_cselect_b32 s0, s1, s0
	s_cselect_b32 s13, s24, s13
	s_add_i32 s1, s0, 1
	s_cmp_ge_u32 s13, s18
	s_cselect_b32 s24, s1, s0
.LBB188_8:                              ;   in Loop: Header=BB188_5 Depth=1
	s_mul_i32 s0, s24, s19
	s_mul_hi_u32 s1, s24, s18
	s_add_i32 s13, s1, s0
	s_load_dwordx2 s[0:1], s[14:15], 0xc8
	s_mul_i32 s19, s25, s18
	s_add_i32 s13, s13, s19
	s_mul_i32 s18, s24, s18
	s_sub_u32 s16, s16, s18
	s_subb_u32 s13, s17, s13
	s_waitcnt lgkmcnt(0)
	s_mul_i32 s13, s0, s13
	s_mul_hi_u32 s17, s0, s16
	s_add_i32 s13, s17, s13
	s_mul_i32 s1, s1, s16
	s_add_i32 s13, s13, s1
	s_mul_i32 s0, s0, s16
	s_add_u32 s6, s0, s6
	s_addc_u32 s7, s13, s7
	s_add_i32 s23, s23, -1
	s_add_u32 s14, s14, -8
	s_addc_u32 s15, s15, -1
	s_cmp_gt_u32 s23, 2
	s_cbranch_scc0 .LBB188_11
; %bb.9:                                ;   in Loop: Header=BB188_5 Depth=1
	s_mov_b64 s[16:17], s[24:25]
	s_branch .LBB188_5
.LBB188_10:                             ;   in Loop: Header=BB188_5 Depth=1
                                        ; implicit-def: $sgpr24_sgpr25
	s_branch .LBB188_7
.LBB188_11:
	s_load_dword s0, s[4:5], 0x358
	s_load_dwordx2 s[28:29], s[4:5], 0xd0
	s_add_u32 s12, s4, 0x1c0
	s_addc_u32 s13, s5, 0
	s_mov_b64 s[26:27], 0
	s_waitcnt lgkmcnt(0)
	s_cmp_lt_i32 s0, 2
	s_mov_b64 s[30:31], s[2:3]
	s_cbranch_scc1 .LBB188_19
; %bb.12:
	s_mov_b32 s14, 0
	s_add_i32 s23, s0, 1
	s_add_i32 s0, s0, -1
	s_mov_b32 s1, s14
	s_lshl_b64 s[0:1], s[0:1], 3
	s_add_u32 s0, s0, s12
	s_addc_u32 s1, s1, s13
	s_add_u32 s16, s0, 8
	s_addc_u32 s17, s1, 0
	s_mov_b64 s[18:19], s[2:3]
.LBB188_13:                             ; =>This Inner Loop Header: Depth=1
	s_load_dwordx2 s[34:35], s[16:17], 0x0
	s_waitcnt lgkmcnt(0)
	s_or_b64 s[0:1], s[18:19], s[34:35]
	s_mov_b32 s15, s1
	s_cmp_lg_u64 s[14:15], 0
	s_cbranch_scc0 .LBB188_18
; %bb.14:                               ;   in Loop: Header=BB188_13 Depth=1
	v_cvt_f32_u32_e32 v1, s34
	v_cvt_f32_u32_e32 v2, s35
	s_sub_u32 s0, 0, s34
	s_subb_u32 s1, 0, s35
	v_mac_f32_e32 v1, 0x4f800000, v2
	v_rcp_f32_e32 v1, v1
	v_mul_f32_e32 v1, 0x5f7ffffc, v1
	v_mul_f32_e32 v2, 0x2f800000, v1
	v_trunc_f32_e32 v2, v2
	v_mac_f32_e32 v1, 0xcf800000, v2
	v_cvt_u32_f32_e32 v2, v2
	v_cvt_u32_f32_e32 v1, v1
	v_readfirstlane_b32 s15, v2
	v_readfirstlane_b32 s30, v1
	s_mul_i32 s31, s0, s15
	s_mul_hi_u32 s37, s0, s30
	s_mul_i32 s36, s1, s30
	s_add_i32 s31, s37, s31
	s_mul_i32 s38, s0, s30
	s_add_i32 s31, s31, s36
	s_mul_hi_u32 s36, s30, s31
	s_mul_i32 s37, s30, s31
	s_mul_hi_u32 s30, s30, s38
	s_add_u32 s30, s30, s37
	s_addc_u32 s36, 0, s36
	s_mul_hi_u32 s39, s15, s38
	s_mul_i32 s38, s15, s38
	s_add_u32 s30, s30, s38
	s_mul_hi_u32 s37, s15, s31
	s_addc_u32 s30, s36, s39
	s_addc_u32 s36, s37, 0
	s_mul_i32 s31, s15, s31
	s_add_u32 s30, s30, s31
	s_addc_u32 s31, 0, s36
	v_add_co_u32_e32 v1, vcc, s30, v1
	s_cmp_lg_u64 vcc, 0
	s_addc_u32 s15, s15, s31
	v_readfirstlane_b32 s31, v1
	s_mul_i32 s30, s0, s15
	s_mul_hi_u32 s36, s0, s31
	s_add_i32 s30, s36, s30
	s_mul_i32 s1, s1, s31
	s_add_i32 s30, s30, s1
	s_mul_i32 s0, s0, s31
	s_mul_hi_u32 s36, s15, s0
	s_mul_i32 s37, s15, s0
	s_mul_i32 s39, s31, s30
	s_mul_hi_u32 s0, s31, s0
	s_mul_hi_u32 s38, s31, s30
	s_add_u32 s0, s0, s39
	s_addc_u32 s31, 0, s38
	s_add_u32 s0, s0, s37
	s_mul_hi_u32 s1, s15, s30
	s_addc_u32 s0, s31, s36
	s_addc_u32 s1, s1, 0
	s_mul_i32 s30, s15, s30
	s_add_u32 s0, s0, s30
	s_addc_u32 s1, 0, s1
	v_add_co_u32_e32 v1, vcc, s0, v1
	s_cmp_lg_u64 vcc, 0
	s_addc_u32 s0, s15, s1
	v_readfirstlane_b32 s30, v1
	s_mul_i32 s15, s18, s0
	s_mul_hi_u32 s31, s18, s30
	s_mul_hi_u32 s1, s18, s0
	s_add_u32 s15, s31, s15
	s_addc_u32 s1, 0, s1
	s_mul_hi_u32 s36, s19, s30
	s_mul_i32 s30, s19, s30
	s_add_u32 s15, s15, s30
	s_mul_hi_u32 s31, s19, s0
	s_addc_u32 s1, s1, s36
	s_addc_u32 s15, s31, 0
	s_mul_i32 s0, s19, s0
	s_add_u32 s30, s1, s0
	s_addc_u32 s15, 0, s15
	s_mul_i32 s0, s34, s15
	s_mul_hi_u32 s1, s34, s30
	s_add_i32 s0, s1, s0
	s_mul_i32 s1, s35, s30
	s_add_i32 s31, s0, s1
	s_mul_i32 s1, s34, s30
	v_mov_b32_e32 v1, s1
	s_sub_i32 s0, s19, s31
	v_sub_co_u32_e32 v1, vcc, s18, v1
	s_cmp_lg_u64 vcc, 0
	s_subb_u32 s36, s0, s35
	v_subrev_co_u32_e64 v2, s[0:1], s34, v1
	s_cmp_lg_u64 s[0:1], 0
	s_subb_u32 s0, s36, 0
	s_cmp_ge_u32 s0, s35
	v_readfirstlane_b32 s36, v2
	s_cselect_b32 s1, -1, 0
	s_cmp_ge_u32 s36, s34
	s_cselect_b32 s36, -1, 0
	s_cmp_eq_u32 s0, s35
	s_cselect_b32 s0, s36, s1
	s_add_u32 s1, s30, 1
	s_addc_u32 s36, s15, 0
	s_add_u32 s37, s30, 2
	s_addc_u32 s38, s15, 0
	s_cmp_lg_u32 s0, 0
	s_cselect_b32 s0, s37, s1
	s_cselect_b32 s1, s38, s36
	s_cmp_lg_u64 vcc, 0
	s_subb_u32 s31, s19, s31
	s_cmp_ge_u32 s31, s35
	v_readfirstlane_b32 s37, v1
	s_cselect_b32 s36, -1, 0
	s_cmp_ge_u32 s37, s34
	s_cselect_b32 s37, -1, 0
	s_cmp_eq_u32 s31, s35
	s_cselect_b32 s31, s37, s36
	s_cmp_lg_u32 s31, 0
	s_cselect_b32 s31, s1, s15
	s_cselect_b32 s30, s0, s30
	s_cbranch_execnz .LBB188_16
.LBB188_15:                             ;   in Loop: Header=BB188_13 Depth=1
	v_cvt_f32_u32_e32 v1, s34
	s_sub_i32 s0, 0, s34
	s_mov_b32 s31, s14
	v_rcp_iflag_f32_e32 v1, v1
	v_mul_f32_e32 v1, 0x4f7ffffe, v1
	v_cvt_u32_f32_e32 v1, v1
	v_readfirstlane_b32 s1, v1
	s_mul_i32 s0, s0, s1
	s_mul_hi_u32 s0, s1, s0
	s_add_i32 s1, s1, s0
	s_mul_hi_u32 s0, s18, s1
	s_mul_i32 s15, s0, s34
	s_sub_i32 s15, s18, s15
	s_add_i32 s1, s0, 1
	s_sub_i32 s30, s15, s34
	s_cmp_ge_u32 s15, s34
	s_cselect_b32 s0, s1, s0
	s_cselect_b32 s15, s30, s15
	s_add_i32 s1, s0, 1
	s_cmp_ge_u32 s15, s34
	s_cselect_b32 s30, s1, s0
.LBB188_16:                             ;   in Loop: Header=BB188_13 Depth=1
	s_mul_i32 s0, s30, s35
	s_mul_hi_u32 s1, s30, s34
	s_add_i32 s15, s1, s0
	s_load_dwordx2 s[0:1], s[16:17], 0xc8
	s_mul_i32 s35, s31, s34
	s_add_i32 s15, s15, s35
	s_mul_i32 s34, s30, s34
	s_sub_u32 s18, s18, s34
	s_subb_u32 s15, s19, s15
	s_waitcnt lgkmcnt(0)
	s_mul_i32 s15, s0, s15
	s_mul_hi_u32 s19, s0, s18
	s_add_i32 s15, s19, s15
	s_mul_i32 s1, s1, s18
	s_add_i32 s15, s15, s1
	s_mul_i32 s0, s0, s18
	s_add_u32 s26, s0, s26
	s_addc_u32 s27, s15, s27
	s_add_i32 s23, s23, -1
	s_add_u32 s16, s16, -8
	s_addc_u32 s17, s17, -1
	s_cmp_gt_u32 s23, 2
	s_cbranch_scc0 .LBB188_19
; %bb.17:                               ;   in Loop: Header=BB188_13 Depth=1
	s_mov_b64 s[18:19], s[30:31]
	s_branch .LBB188_13
.LBB188_18:                             ;   in Loop: Header=BB188_13 Depth=1
                                        ; implicit-def: $sgpr30_sgpr31
	s_branch .LBB188_15
.LBB188_19:
	s_load_dword s14, s[4:5], 0x500
	s_load_dwordx2 s[36:37], s[12:13], 0xd0
	s_add_u32 s0, s4, 0x368
	s_addc_u32 s1, s5, 0
	s_mov_b64 s[34:35], 0
	s_waitcnt lgkmcnt(0)
	s_cmp_lt_i32 s14, 2
	s_cbranch_scc1 .LBB188_27
; %bb.20:
	s_mov_b32 s12, 0
	s_add_i32 s23, s14, 1
	s_add_i32 s14, s14, -1
	s_mov_b32 s15, s12
	s_lshl_b64 s[14:15], s[14:15], 3
	s_add_u32 s0, s14, s0
	s_addc_u32 s1, s15, s1
	s_add_u32 s14, s0, 8
	s_addc_u32 s15, s1, 0
	s_mov_b64 s[16:17], s[2:3]
.LBB188_21:                             ; =>This Inner Loop Header: Depth=1
	s_load_dwordx2 s[18:19], s[14:15], 0x0
	s_waitcnt lgkmcnt(0)
	s_or_b64 s[0:1], s[16:17], s[18:19]
	s_mov_b32 s13, s1
	s_cmp_lg_u64 s[12:13], 0
	s_cbranch_scc0 .LBB188_26
; %bb.22:                               ;   in Loop: Header=BB188_21 Depth=1
	v_cvt_f32_u32_e32 v1, s18
	v_cvt_f32_u32_e32 v2, s19
	s_sub_u32 s0, 0, s18
	s_subb_u32 s1, 0, s19
	v_mac_f32_e32 v1, 0x4f800000, v2
	v_rcp_f32_e32 v1, v1
	v_mul_f32_e32 v1, 0x5f7ffffc, v1
	v_mul_f32_e32 v2, 0x2f800000, v1
	v_trunc_f32_e32 v2, v2
	v_mac_f32_e32 v1, 0xcf800000, v2
	v_cvt_u32_f32_e32 v2, v2
	v_cvt_u32_f32_e32 v1, v1
	v_readfirstlane_b32 s13, v2
	v_readfirstlane_b32 s38, v1
	s_mul_i32 s39, s0, s13
	s_mul_hi_u32 s41, s0, s38
	s_mul_i32 s40, s1, s38
	s_add_i32 s39, s41, s39
	s_mul_i32 s42, s0, s38
	s_add_i32 s39, s39, s40
	s_mul_hi_u32 s40, s38, s39
	s_mul_i32 s41, s38, s39
	s_mul_hi_u32 s38, s38, s42
	s_add_u32 s38, s38, s41
	s_addc_u32 s40, 0, s40
	s_mul_hi_u32 s43, s13, s42
	s_mul_i32 s42, s13, s42
	s_add_u32 s38, s38, s42
	s_mul_hi_u32 s41, s13, s39
	s_addc_u32 s38, s40, s43
	s_addc_u32 s40, s41, 0
	s_mul_i32 s39, s13, s39
	s_add_u32 s38, s38, s39
	s_addc_u32 s39, 0, s40
	v_add_co_u32_e32 v1, vcc, s38, v1
	s_cmp_lg_u64 vcc, 0
	s_addc_u32 s13, s13, s39
	v_readfirstlane_b32 s39, v1
	s_mul_i32 s38, s0, s13
	s_mul_hi_u32 s40, s0, s39
	s_add_i32 s38, s40, s38
	s_mul_i32 s1, s1, s39
	s_add_i32 s38, s38, s1
	s_mul_i32 s0, s0, s39
	s_mul_hi_u32 s40, s13, s0
	s_mul_i32 s41, s13, s0
	s_mul_i32 s43, s39, s38
	s_mul_hi_u32 s0, s39, s0
	s_mul_hi_u32 s42, s39, s38
	s_add_u32 s0, s0, s43
	s_addc_u32 s39, 0, s42
	s_add_u32 s0, s0, s41
	s_mul_hi_u32 s1, s13, s38
	s_addc_u32 s0, s39, s40
	s_addc_u32 s1, s1, 0
	s_mul_i32 s38, s13, s38
	s_add_u32 s0, s0, s38
	s_addc_u32 s1, 0, s1
	v_add_co_u32_e32 v1, vcc, s0, v1
	s_cmp_lg_u64 vcc, 0
	s_addc_u32 s0, s13, s1
	v_readfirstlane_b32 s38, v1
	s_mul_i32 s13, s16, s0
	s_mul_hi_u32 s39, s16, s38
	s_mul_hi_u32 s1, s16, s0
	s_add_u32 s13, s39, s13
	s_addc_u32 s1, 0, s1
	s_mul_hi_u32 s40, s17, s38
	s_mul_i32 s38, s17, s38
	s_add_u32 s13, s13, s38
	s_mul_hi_u32 s39, s17, s0
	s_addc_u32 s1, s1, s40
	s_addc_u32 s13, s39, 0
	s_mul_i32 s0, s17, s0
	s_add_u32 s38, s1, s0
	s_addc_u32 s13, 0, s13
	s_mul_i32 s0, s18, s13
	s_mul_hi_u32 s1, s18, s38
	s_add_i32 s0, s1, s0
	s_mul_i32 s1, s19, s38
	s_add_i32 s39, s0, s1
	s_mul_i32 s1, s18, s38
	v_mov_b32_e32 v1, s1
	s_sub_i32 s0, s17, s39
	v_sub_co_u32_e32 v1, vcc, s16, v1
	s_cmp_lg_u64 vcc, 0
	s_subb_u32 s40, s0, s19
	v_subrev_co_u32_e64 v2, s[0:1], s18, v1
	s_cmp_lg_u64 s[0:1], 0
	s_subb_u32 s0, s40, 0
	s_cmp_ge_u32 s0, s19
	v_readfirstlane_b32 s40, v2
	s_cselect_b32 s1, -1, 0
	s_cmp_ge_u32 s40, s18
	s_cselect_b32 s40, -1, 0
	s_cmp_eq_u32 s0, s19
	s_cselect_b32 s0, s40, s1
	s_add_u32 s1, s38, 1
	s_addc_u32 s40, s13, 0
	s_add_u32 s41, s38, 2
	s_addc_u32 s42, s13, 0
	s_cmp_lg_u32 s0, 0
	s_cselect_b32 s0, s41, s1
	s_cselect_b32 s1, s42, s40
	s_cmp_lg_u64 vcc, 0
	s_subb_u32 s39, s17, s39
	s_cmp_ge_u32 s39, s19
	v_readfirstlane_b32 s41, v1
	s_cselect_b32 s40, -1, 0
	s_cmp_ge_u32 s41, s18
	s_cselect_b32 s41, -1, 0
	s_cmp_eq_u32 s39, s19
	s_cselect_b32 s39, s41, s40
	s_cmp_lg_u32 s39, 0
	s_cselect_b32 s39, s1, s13
	s_cselect_b32 s38, s0, s38
	s_cbranch_execnz .LBB188_24
.LBB188_23:                             ;   in Loop: Header=BB188_21 Depth=1
	v_cvt_f32_u32_e32 v1, s18
	s_sub_i32 s0, 0, s18
	s_mov_b32 s39, s12
	v_rcp_iflag_f32_e32 v1, v1
	v_mul_f32_e32 v1, 0x4f7ffffe, v1
	v_cvt_u32_f32_e32 v1, v1
	v_readfirstlane_b32 s1, v1
	s_mul_i32 s0, s0, s1
	s_mul_hi_u32 s0, s1, s0
	s_add_i32 s1, s1, s0
	s_mul_hi_u32 s0, s16, s1
	s_mul_i32 s13, s0, s18
	s_sub_i32 s13, s16, s13
	s_add_i32 s1, s0, 1
	s_sub_i32 s38, s13, s18
	s_cmp_ge_u32 s13, s18
	s_cselect_b32 s0, s1, s0
	s_cselect_b32 s13, s38, s13
	s_add_i32 s1, s0, 1
	s_cmp_ge_u32 s13, s18
	s_cselect_b32 s38, s1, s0
.LBB188_24:                             ;   in Loop: Header=BB188_21 Depth=1
	s_mul_i32 s0, s38, s19
	s_mul_hi_u32 s1, s38, s18
	s_add_i32 s13, s1, s0
	s_load_dwordx2 s[0:1], s[14:15], 0xc8
	s_mul_i32 s19, s39, s18
	s_add_i32 s13, s13, s19
	s_mul_i32 s18, s38, s18
	s_sub_u32 s16, s16, s18
	s_subb_u32 s13, s17, s13
	s_waitcnt lgkmcnt(0)
	s_mul_i32 s13, s0, s13
	s_mul_hi_u32 s17, s0, s16
	s_add_i32 s13, s17, s13
	s_mul_i32 s1, s1, s16
	s_add_i32 s13, s13, s1
	s_mul_i32 s0, s0, s16
	s_add_u32 s34, s0, s34
	s_addc_u32 s35, s13, s35
	s_add_i32 s23, s23, -1
	s_add_u32 s14, s14, -8
	s_addc_u32 s15, s15, -1
	s_cmp_gt_u32 s23, 2
	s_cbranch_scc0 .LBB188_28
; %bb.25:                               ;   in Loop: Header=BB188_21 Depth=1
	s_mov_b64 s[16:17], s[38:39]
	s_branch .LBB188_21
.LBB188_26:                             ;   in Loop: Header=BB188_21 Depth=1
                                        ; implicit-def: $sgpr38_sgpr39
	s_branch .LBB188_23
.LBB188_27:
	s_mov_b64 s[38:39], s[2:3]
.LBB188_28:
	s_load_dwordx4 s[12:15], s[4:5], 0x518
	s_load_dwordx2 s[44:45], s[4:5], 0x0
	s_load_dwordx2 s[42:43], s[4:5], 0x1c0
	s_load_dwordx2 s[46:47], s[4:5], 0x438
	s_load_dwordx2 s[40:41], s[4:5], 0x368
	s_lshl_b64 s[0:1], s[2:3], 3
	s_waitcnt lgkmcnt(0)
	s_add_u32 s0, s12, s0
	s_addc_u32 s1, s13, s1
	s_load_dwordx2 s[12:13], s[0:1], 0x0
	s_mov_b32 s23, 0
	v_cmp_ne_u32_e64 s[0:1], 0, v0
	v_cmp_eq_u32_e64 s[2:3], 0, v0
	s_and_saveexec_b64 s[48:49], s[2:3]
	s_cbranch_execz .LBB188_44
; %bb.29:
	s_load_dwordx2 s[50:51], s[4:5], 0x528
	s_lshl_b64 s[52:53], s[22:23], 2
	s_add_u32 s16, s14, s52
	s_addc_u32 s17, s15, s53
	s_mov_b32 s22, 0
	s_waitcnt lgkmcnt(0)
	s_add_u32 s18, s50, s52
	s_addc_u32 s19, s51, s53
	s_mov_b32 s57, 0
	s_cmp_lt_u32 s21, 4
	s_cbranch_scc1 .LBB188_41
; %bb.30:
	s_mov_b32 s58, 0
.LBB188_31:                             ; =>This Inner Loop Header: Depth=1
	s_add_u32 s16, s14, s52
	s_addc_u32 s17, s15, s53
	s_load_dwordx4 s[16:19], s[16:17], 0x0
	s_add_u32 s54, s50, s52
	s_addc_u32 s55, s51, s53
	s_cmp_ge_u32 s58, s56
	s_cbranch_scc0 .LBB188_38
; %bb.32:                               ;   in Loop: Header=BB188_31 Depth=1
	s_add_i32 s59, s58, 1
	s_cmp_ge_u32 s59, s56
	s_cbranch_scc0 .LBB188_39
.LBB188_33:                             ;   in Loop: Header=BB188_31 Depth=1
	s_add_i32 s59, s59, 1
	s_cmp_ge_u32 s59, s56
	s_cbranch_scc0 .LBB188_40
.LBB188_34:                             ;   in Loop: Header=BB188_31 Depth=1
	s_add_i32 s59, s59, 1
	s_cmp_ge_u32 s59, s56
	s_cbranch_scc1 .LBB188_36
.LBB188_35:                             ;   in Loop: Header=BB188_31 Depth=1
	s_load_dword s54, s[54:55], 0xc
	s_waitcnt lgkmcnt(0)
	s_add_i32 s23, s23, s19
	s_add_i32 s22, s54, s22
.LBB188_36:                             ;   in Loop: Header=BB188_31 Depth=1
	s_waitcnt lgkmcnt(0)
	s_add_i32 s16, s16, s57
	s_add_i32 s16, s16, s17
	;; [unrolled: 1-line block ×4, first 2 shown]
	s_add_u32 s14, s14, 16
	s_addc_u32 s15, s15, 0
	s_add_u32 s50, s50, 16
	s_addc_u32 s51, s51, 0
	s_add_i32 s55, s59, 4
	s_add_u32 s18, s50, s52
	s_addc_u32 s19, s51, s53
	s_add_u32 s16, s14, s52
	s_addc_u32 s17, s15, s53
	s_add_i32 s54, s59, 1
	s_cmp_ge_u32 s55, s21
	s_cbranch_scc1 .LBB188_42
; %bb.37:                               ;   in Loop: Header=BB188_31 Depth=1
	s_mov_b32 s58, s54
	s_branch .LBB188_31
.LBB188_38:                             ;   in Loop: Header=BB188_31 Depth=1
	s_load_dword s59, s[54:55], 0x0
	s_waitcnt lgkmcnt(0)
	s_add_i32 s23, s16, s23
	s_add_i32 s22, s59, s22
	;; [unrolled: 1-line block ×3, first 2 shown]
	s_cmp_ge_u32 s59, s56
	s_cbranch_scc1 .LBB188_33
.LBB188_39:                             ;   in Loop: Header=BB188_31 Depth=1
	s_load_dword s60, s[54:55], 0x4
	s_waitcnt lgkmcnt(0)
	s_add_i32 s23, s23, s17
	s_add_i32 s22, s60, s22
	s_add_i32 s59, s59, 1
	s_cmp_ge_u32 s59, s56
	s_cbranch_scc1 .LBB188_34
.LBB188_40:                             ;   in Loop: Header=BB188_31 Depth=1
	s_load_dword s60, s[54:55], 0x8
	s_waitcnt lgkmcnt(0)
	s_add_i32 s23, s23, s18
	s_add_i32 s22, s60, s22
	s_add_i32 s59, s59, 1
	s_cmp_ge_u32 s59, s56
	s_cbranch_scc0 .LBB188_35
	s_branch .LBB188_36
.LBB188_41:
	s_mov_b32 s14, 0
	s_cmp_ge_u32 s14, s21
	s_cbranch_scc0 .LBB188_65
	s_branch .LBB188_43
.LBB188_42:
	s_add_i32 s14, s58, 4
	s_cmp_ge_u32 s14, s21
	s_cbranch_scc0 .LBB188_65
.LBB188_43:
	v_mov_b32_e32 v2, s22
	v_mov_b32_e32 v3, s57
	;; [unrolled: 1-line block ×4, first 2 shown]
	ds_write_b96 v1, v[2:4] offset:1056
.LBB188_44:
	s_or_b64 exec, exec, s[48:49]
	s_cmp_eq_u32 s20, 0
	s_waitcnt lgkmcnt(0)
	s_barrier
	s_cbranch_scc1 .LBB188_67
; %bb.45:
	s_mul_i32 s16, s28, s25
	s_mul_hi_u32 s17, s28, s24
	s_mul_i32 s14, s36, s31
	s_mul_hi_u32 s15, s36, s30
	s_add_i32 s16, s17, s16
	s_mul_i32 s17, s29, s24
	s_mul_i32 s18, s46, s39
	s_mul_hi_u32 s19, s46, s38
	s_add_i32 s14, s15, s14
	s_mul_i32 s15, s37, s30
	s_add_i32 s17, s16, s17
	s_mul_i32 s16, s28, s24
	;; [unrolled: 2-line block ×3, first 2 shown]
	s_add_i32 s15, s14, s15
	s_add_i32 s19, s18, s19
	s_lshl_b64 s[16:17], s[16:17], 3
	s_add_u32 s16, s44, s16
	s_addc_u32 s17, s45, s17
	s_lshl_b64 s[6:7], s[6:7], 3
	s_mul_i32 s14, s36, s30
	s_add_u32 s21, s16, s6
	s_addc_u32 s24, s17, s7
	s_lshl_b64 s[6:7], s[14:15], 3
	s_add_u32 s14, s42, s6
	s_addc_u32 s15, s43, s7
	s_lshl_b64 s[6:7], s[26:27], 3
	s_mul_i32 s18, s46, s38
	s_add_u32 s25, s14, s6
	s_addc_u32 s26, s15, s7
	s_lshl_b64 s[6:7], s[18:19], 3
	s_add_u32 s14, s40, s6
	s_addc_u32 s15, s41, s7
	s_lshl_b64 s[6:7], s[34:35], 3
	v_mov_b32_e32 v1, 0
	s_add_u32 s27, s14, s6
	ds_read_b96 v[2:4], v1 offset:1056
	s_addc_u32 s28, s15, s7
	s_ashr_i32 s6, s13, 31
	s_or_b32 s7, s6, 0x80000000
	v_cmp_o_f64_e64 s[14:15], s[12:13], s[12:13]
	s_xor_b64 s[6:7], s[6:7], s[12:13]
	s_and_b64 s[12:13], s[14:15], exec
	s_cselect_b32 s12, s6, -1
	s_load_dword s6, s[4:5], 0x1b0
	s_waitcnt lgkmcnt(0)
	v_add_u32_e32 v2, v2, v3
	v_lshrrev_b32_e32 v3, 5, v0
	s_load_dwordx2 s[14:15], s[4:5], 0x1b8
	s_load_dwordx2 s[16:17], s[4:5], 0x360
	;; [unrolled: 1-line block ×3, first 2 shown]
	v_add_lshl_u32 v5, v3, v0, 2
	v_lshlrev_b32_e32 v3, 2, v0
	v_lshrrev_b32_e32 v6, 3, v0
	v_add_lshl_u32 v10, v6, v3, 2
	v_add_u32_e32 v3, -1, v0
	v_lshrrev_b32_e32 v6, 5, v3
	v_add_lshl_u32 v11, v6, v3, 2
	v_mbcnt_lo_u32_b32 v3, -1, 0
	s_cselect_b32 s13, s7, -1
	s_bitcmp1_b32 s6, 0
	v_mbcnt_hi_u32_b32 v12, -1, v3
	s_cselect_b64 s[4:5], -1, 0
	v_cmp_gt_u32_e64 s[6:7], 64, v0
	v_add_u32_e32 v0, s33, v0
	v_and_b32_e32 v13, 15, v12
	v_bfe_i32 v14, v12, 4, 1
	v_add_u32_e32 v15, -1, v12
	v_and_b32_e32 v16, 64, v12
                                        ; implicit-def: $vgpr6_vgpr7
	s_branch .LBB188_48
.LBB188_46:                             ;   in Loop: Header=BB188_48 Depth=1
	s_or_b64 exec, exec, s[22:23]
	v_add_u32_e32 v2, v3, v2
.LBB188_47:                             ;   in Loop: Header=BB188_48 Depth=1
	s_add_i32 s20, s20, -1
	v_add_u32_e32 v4, v17, v4
	s_cmp_lg_u32 s20, 0
	v_add_u32_e32 v0, 0x100, v0
	s_cbranch_scc0 .LBB188_67
.LBB188_48:                             ; =>This Inner Loop Header: Depth=1
	v_cmp_gt_u64_e32 vcc, s[8:9], v[0:1]
	v_mov_b32_e32 v3, v1
	v_mov_b32_e32 v8, v1
	s_and_saveexec_b64 s[22:23], vcc
	s_cbranch_execz .LBB188_50
; %bb.49:                               ;   in Loop: Header=BB188_48 Depth=1
	s_waitcnt lgkmcnt(0)
	v_mad_u64_u32 v[6:7], s[30:31], v0, s14, 0
	v_mov_b32_e32 v8, v7
	v_mad_u64_u32 v[8:9], s[30:31], v0, s15, v[8:9]
	v_mov_b32_e32 v7, v8
	v_lshlrev_b64 v[6:7], 3, v[6:7]
	v_mov_b32_e32 v3, s24
	v_add_co_u32_e32 v6, vcc, s21, v6
	v_addc_co_u32_e32 v7, vcc, v3, v7, vcc
	global_load_dwordx2 v[6:7], v[6:7], off
	s_waitcnt vmcnt(0)
	v_ashrrev_i32_e32 v3, 31, v7
	v_or_b32_e32 v8, 0x80000000, v3
	v_xor_b32_e32 v3, v3, v6
	v_xor_b32_e32 v8, v8, v7
	v_cmp_o_f64_e32 vcc, v[6:7], v[6:7]
	v_cndmask_b32_e32 v9, -1, v8, vcc
	v_cndmask_b32_e32 v8, -1, v3, vcc
	v_cmp_lt_u64_e32 vcc, s[12:13], v[8:9]
	v_cndmask_b32_e64 v3, 0, 1, vcc
	v_cmp_gt_u64_e32 vcc, s[12:13], v[8:9]
	v_cndmask_b32_e64 v17, 0, 1, vcc
	v_cndmask_b32_e64 v3, v17, v3, s[4:5]
	v_cmp_eq_u64_e32 vcc, s[12:13], v[8:9]
	v_and_b32_e32 v3, 1, v3
	v_cndmask_b32_e64 v8, 0, 1, vcc
.LBB188_50:                             ;   in Loop: Header=BB188_48 Depth=1
	s_or_b64 exec, exec, s[22:23]
	ds_write_b32 v5, v3
	s_waitcnt lgkmcnt(0)
	s_barrier
	s_and_saveexec_b64 s[22:23], s[6:7]
	s_cbranch_execz .LBB188_52
; %bb.51:                               ;   in Loop: Header=BB188_48 Depth=1
	ds_read2_b32 v[18:19], v10 offset1:1
	ds_read2_b32 v[20:21], v10 offset0:2 offset1:3
	v_cmp_ne_u32_e32 vcc, 0, v13
	; wave barrier
	s_waitcnt lgkmcnt(1)
	v_add_u32_e32 v9, v19, v18
	s_waitcnt lgkmcnt(0)
	v_add3_u32 v9, v9, v20, v21
	s_nop 1
	v_mov_b32_dpp v17, v9 row_shr:1 row_mask:0xf bank_mask:0xf
	v_cndmask_b32_e32 v17, 0, v17, vcc
	v_add_u32_e32 v9, v17, v9
	v_cmp_lt_u32_e32 vcc, 1, v13
	s_nop 0
	v_mov_b32_dpp v17, v9 row_shr:2 row_mask:0xf bank_mask:0xf
	v_cndmask_b32_e32 v17, 0, v17, vcc
	v_add_u32_e32 v9, v9, v17
	v_cmp_lt_u32_e32 vcc, 3, v13
	;; [unrolled: 5-line block ×4, first 2 shown]
	s_nop 0
	v_mov_b32_dpp v17, v9 row_bcast:15 row_mask:0xf bank_mask:0xf
	v_and_b32_e32 v17, v14, v17
	v_add_u32_e32 v9, v9, v17
	s_nop 1
	v_mov_b32_dpp v17, v9 row_bcast:31 row_mask:0xf bank_mask:0xf
	v_cndmask_b32_e32 v17, 0, v17, vcc
	v_cmp_lt_i32_e32 vcc, v15, v16
	v_add_u32_e32 v9, v9, v17
	v_cndmask_b32_e32 v17, v15, v12, vcc
	v_lshlrev_b32_e32 v17, 2, v17
	ds_bpermute_b32 v9, v17, v9
	s_waitcnt lgkmcnt(0)
	v_add_u32_e32 v9, v9, v18
	v_cndmask_b32_e64 v9, v9, v3, s[2:3]
	ds_write_b32 v10, v9
	; wave barrier
	ds_read2_b32 v[18:19], v10 offset0:1 offset1:2
	ds_read_b32 v17, v10 offset:12
	s_waitcnt lgkmcnt(1)
	v_add_u32_e32 v9, v18, v9
	v_add_u32_e32 v18, v19, v9
	ds_write2_b32 v10, v9, v18 offset0:1 offset1:2
	s_waitcnt lgkmcnt(1)
	v_add_u32_e32 v9, v17, v18
	ds_write_b32 v10, v9 offset:12
.LBB188_52:                             ;   in Loop: Header=BB188_48 Depth=1
	s_or_b64 exec, exec, s[22:23]
	v_mov_b32_e32 v9, 0
	s_waitcnt lgkmcnt(0)
	s_barrier
	s_and_saveexec_b64 s[22:23], s[0:1]
	s_cbranch_execz .LBB188_54
; %bb.53:                               ;   in Loop: Header=BB188_48 Depth=1
	ds_read_b32 v9, v11
.LBB188_54:                             ;   in Loop: Header=BB188_48 Depth=1
	s_or_b64 exec, exec, s[22:23]
	ds_read_b32 v17, v1 offset:1048
	v_cmp_ne_u32_e32 vcc, 0, v3
	s_waitcnt lgkmcnt(0)
	s_barrier
	s_and_saveexec_b64 s[22:23], vcc
	s_cbranch_execz .LBB188_56
; %bb.55:                               ;   in Loop: Header=BB188_48 Depth=1
	v_add_u32_e32 v3, v9, v4
	v_mad_u64_u32 v[18:19], s[30:31], v3, s16, 0
	v_mov_b32_e32 v20, v19
	v_mad_u64_u32 v[20:21], s[30:31], v3, s17, v[20:21]
	v_mov_b32_e32 v19, v20
	v_lshlrev_b64 v[18:19], 3, v[18:19]
	v_mov_b32_e32 v9, s26
	v_add_co_u32_e32 v18, vcc, s25, v18
	v_addc_co_u32_e32 v19, vcc, v9, v19, vcc
	global_store_dwordx2 v[18:19], v[6:7], off
	v_mad_u64_u32 v[18:19], s[30:31], v3, s18, 0
	v_mov_b32_e32 v20, v19
	v_mad_u64_u32 v[20:21], s[30:31], v3, s19, v[20:21]
	v_mov_b32_e32 v19, v20
	v_lshlrev_b64 v[18:19], 3, v[18:19]
	v_mov_b32_e32 v3, s28
	v_add_co_u32_e32 v18, vcc, s27, v18
	v_addc_co_u32_e32 v19, vcc, v3, v19, vcc
	global_store_dwordx2 v[18:19], v[0:1], off
.LBB188_56:                             ;   in Loop: Header=BB188_48 Depth=1
	s_or_b64 exec, exec, s[22:23]
	v_mov_b32_e32 v3, v1
	v_cmp_le_u64_e32 vcc, s[10:11], v[2:3]
	s_cbranch_vccnz .LBB188_47
; %bb.57:                               ;   in Loop: Header=BB188_48 Depth=1
	ds_write_b32 v5, v8
	s_waitcnt lgkmcnt(0)
	s_barrier
	s_and_saveexec_b64 s[22:23], s[6:7]
	s_cbranch_execz .LBB188_59
; %bb.58:                               ;   in Loop: Header=BB188_48 Depth=1
	ds_read2_b32 v[18:19], v10 offset1:1
	ds_read2_b32 v[20:21], v10 offset0:2 offset1:3
	v_cmp_ne_u32_e32 vcc, 0, v13
	; wave barrier
	s_waitcnt lgkmcnt(1)
	v_add_u32_e32 v3, v19, v18
	s_waitcnt lgkmcnt(0)
	v_add3_u32 v3, v3, v20, v21
	s_nop 1
	v_mov_b32_dpp v9, v3 row_shr:1 row_mask:0xf bank_mask:0xf
	v_cndmask_b32_e32 v9, 0, v9, vcc
	v_add_u32_e32 v3, v9, v3
	v_cmp_lt_u32_e32 vcc, 1, v13
	s_nop 0
	v_mov_b32_dpp v9, v3 row_shr:2 row_mask:0xf bank_mask:0xf
	v_cndmask_b32_e32 v9, 0, v9, vcc
	v_add_u32_e32 v3, v3, v9
	v_cmp_lt_u32_e32 vcc, 3, v13
	;; [unrolled: 5-line block ×4, first 2 shown]
	s_nop 0
	v_mov_b32_dpp v9, v3 row_bcast:15 row_mask:0xf bank_mask:0xf
	v_and_b32_e32 v9, v14, v9
	v_add_u32_e32 v3, v3, v9
	s_nop 1
	v_mov_b32_dpp v9, v3 row_bcast:31 row_mask:0xf bank_mask:0xf
	v_cndmask_b32_e32 v9, 0, v9, vcc
	v_cmp_lt_i32_e32 vcc, v15, v16
	v_add_u32_e32 v3, v3, v9
	v_cndmask_b32_e32 v9, v15, v12, vcc
	v_lshlrev_b32_e32 v9, 2, v9
	ds_bpermute_b32 v3, v9, v3
	s_waitcnt lgkmcnt(0)
	v_add_u32_e32 v3, v3, v18
	v_cndmask_b32_e64 v3, v3, v8, s[2:3]
	ds_write_b32 v10, v3
	; wave barrier
	ds_read2_b32 v[18:19], v10 offset0:1 offset1:2
	ds_read_b32 v9, v10 offset:12
	s_waitcnt lgkmcnt(1)
	v_add_u32_e32 v3, v18, v3
	v_add_u32_e32 v18, v19, v3
	ds_write2_b32 v10, v3, v18 offset0:1 offset1:2
	s_waitcnt lgkmcnt(1)
	v_add_u32_e32 v3, v9, v18
	ds_write_b32 v10, v3 offset:12
.LBB188_59:                             ;   in Loop: Header=BB188_48 Depth=1
	s_or_b64 exec, exec, s[22:23]
	v_mov_b32_e32 v9, 0
	s_waitcnt lgkmcnt(0)
	s_barrier
	s_and_saveexec_b64 s[22:23], s[0:1]
	s_cbranch_execz .LBB188_61
; %bb.60:                               ;   in Loop: Header=BB188_48 Depth=1
	ds_read_b32 v9, v11
.LBB188_61:                             ;   in Loop: Header=BB188_48 Depth=1
	s_or_b64 exec, exec, s[22:23]
	ds_read_b32 v3, v1 offset:1048
	v_cmp_ne_u32_e32 vcc, 0, v8
	s_waitcnt lgkmcnt(0)
	s_barrier
	s_and_saveexec_b64 s[22:23], vcc
	s_cbranch_execz .LBB188_46
; %bb.62:                               ;   in Loop: Header=BB188_48 Depth=1
	v_add_u32_e32 v8, v9, v2
	v_mov_b32_e32 v9, v1
	v_cmp_gt_u64_e32 vcc, s[10:11], v[8:9]
	s_and_b64 exec, exec, vcc
	s_cbranch_execz .LBB188_46
; %bb.63:                               ;   in Loop: Header=BB188_48 Depth=1
	v_mad_u64_u32 v[18:19], s[30:31], v8, s16, 0
	v_mov_b32_e32 v20, v19
	v_mad_u64_u32 v[20:21], s[30:31], v8, s17, v[20:21]
	v_mov_b32_e32 v19, v20
	v_lshlrev_b64 v[18:19], 3, v[18:19]
	v_mov_b32_e32 v9, s26
	v_add_co_u32_e32 v18, vcc, s25, v18
	v_addc_co_u32_e32 v19, vcc, v9, v19, vcc
	global_store_dwordx2 v[18:19], v[6:7], off
	v_mad_u64_u32 v[18:19], s[30:31], v8, s18, 0
	v_mov_b32_e32 v20, v19
	v_mad_u64_u32 v[8:9], s[30:31], v8, s19, v[20:21]
	v_mov_b32_e32 v19, v8
	v_lshlrev_b64 v[8:9], 3, v[18:19]
	v_mov_b32_e32 v18, s28
	v_add_co_u32_e32 v8, vcc, s27, v8
	v_addc_co_u32_e32 v9, vcc, v18, v9, vcc
	global_store_dwordx2 v[8:9], v[0:1], off
	s_branch .LBB188_46
.LBB188_64:                             ;   in Loop: Header=BB188_65 Depth=1
	s_add_u32 s16, s16, 4
	s_addc_u32 s17, s17, 0
	s_waitcnt lgkmcnt(0)
	s_add_i32 s57, s15, s57
	s_add_u32 s18, s18, 4
	s_addc_u32 s19, s19, 0
	s_add_i32 s14, s14, 1
	s_cmp_lt_u32 s14, s21
	s_cbranch_scc0 .LBB188_43
.LBB188_65:                             ; =>This Inner Loop Header: Depth=1
	s_load_dword s15, s[16:17], 0x0
	s_cmp_ge_u32 s14, s56
	s_cbranch_scc1 .LBB188_64
; %bb.66:                               ;   in Loop: Header=BB188_65 Depth=1
	s_load_dword s50, s[18:19], 0x0
	s_waitcnt lgkmcnt(0)
	s_add_i32 s23, s15, s23
	s_add_i32 s22, s50, s22
	s_branch .LBB188_64
.LBB188_67:
	s_endpgm
	.section	.rodata,"a",@progbits
	.p2align	6, 0x0
	.amdhsa_kernel _ZN2at6native6mbtopk10gatherTopKIdmLin1EEEvNS_4cuda6detail10TensorInfoIKT_T0_EES8_S8_bjS8_NS5_IS6_S8_EES8_NS5_IlS8_EES8_jjPS6_PjSD_j
		.amdhsa_group_segment_fixed_size 1068
		.amdhsa_private_segment_fixed_size 0
		.amdhsa_kernarg_size 1592
		.amdhsa_user_sgpr_count 6
		.amdhsa_user_sgpr_private_segment_buffer 1
		.amdhsa_user_sgpr_dispatch_ptr 0
		.amdhsa_user_sgpr_queue_ptr 0
		.amdhsa_user_sgpr_kernarg_segment_ptr 1
		.amdhsa_user_sgpr_dispatch_id 0
		.amdhsa_user_sgpr_flat_scratch_init 0
		.amdhsa_user_sgpr_kernarg_preload_length 0
		.amdhsa_user_sgpr_kernarg_preload_offset 0
		.amdhsa_user_sgpr_private_segment_size 0
		.amdhsa_uses_dynamic_stack 0
		.amdhsa_system_sgpr_private_segment_wavefront_offset 0
		.amdhsa_system_sgpr_workgroup_id_x 1
		.amdhsa_system_sgpr_workgroup_id_y 1
		.amdhsa_system_sgpr_workgroup_id_z 1
		.amdhsa_system_sgpr_workgroup_info 0
		.amdhsa_system_vgpr_workitem_id 0
		.amdhsa_next_free_vgpr 22
		.amdhsa_next_free_sgpr 61
		.amdhsa_accum_offset 24
		.amdhsa_reserve_vcc 1
		.amdhsa_reserve_flat_scratch 0
		.amdhsa_float_round_mode_32 0
		.amdhsa_float_round_mode_16_64 0
		.amdhsa_float_denorm_mode_32 3
		.amdhsa_float_denorm_mode_16_64 3
		.amdhsa_dx10_clamp 1
		.amdhsa_ieee_mode 1
		.amdhsa_fp16_overflow 0
		.amdhsa_tg_split 0
		.amdhsa_exception_fp_ieee_invalid_op 0
		.amdhsa_exception_fp_denorm_src 0
		.amdhsa_exception_fp_ieee_div_zero 0
		.amdhsa_exception_fp_ieee_overflow 0
		.amdhsa_exception_fp_ieee_underflow 0
		.amdhsa_exception_fp_ieee_inexact 0
		.amdhsa_exception_int_div_zero 0
	.end_amdhsa_kernel
	.section	.text._ZN2at6native6mbtopk10gatherTopKIdmLin1EEEvNS_4cuda6detail10TensorInfoIKT_T0_EES8_S8_bjS8_NS5_IS6_S8_EES8_NS5_IlS8_EES8_jjPS6_PjSD_j,"axG",@progbits,_ZN2at6native6mbtopk10gatherTopKIdmLin1EEEvNS_4cuda6detail10TensorInfoIKT_T0_EES8_S8_bjS8_NS5_IS6_S8_EES8_NS5_IlS8_EES8_jjPS6_PjSD_j,comdat
.Lfunc_end188:
	.size	_ZN2at6native6mbtopk10gatherTopKIdmLin1EEEvNS_4cuda6detail10TensorInfoIKT_T0_EES8_S8_bjS8_NS5_IS6_S8_EES8_NS5_IlS8_EES8_jjPS6_PjSD_j, .Lfunc_end188-_ZN2at6native6mbtopk10gatherTopKIdmLin1EEEvNS_4cuda6detail10TensorInfoIKT_T0_EES8_S8_bjS8_NS5_IS6_S8_EES8_NS5_IlS8_EES8_jjPS6_PjSD_j
                                        ; -- End function
	.section	.AMDGPU.csdata,"",@progbits
; Kernel info:
; codeLenInByte = 4676
; NumSgprs: 65
; NumVgprs: 22
; NumAgprs: 0
; TotalNumVgprs: 22
; ScratchSize: 0
; MemoryBound: 0
; FloatMode: 240
; IeeeMode: 1
; LDSByteSize: 1068 bytes/workgroup (compile time only)
; SGPRBlocks: 8
; VGPRBlocks: 2
; NumSGPRsForWavesPerEU: 65
; NumVGPRsForWavesPerEU: 22
; AccumOffset: 24
; Occupancy: 8
; WaveLimiterHint : 1
; COMPUTE_PGM_RSRC2:SCRATCH_EN: 0
; COMPUTE_PGM_RSRC2:USER_SGPR: 6
; COMPUTE_PGM_RSRC2:TRAP_HANDLER: 0
; COMPUTE_PGM_RSRC2:TGID_X_EN: 1
; COMPUTE_PGM_RSRC2:TGID_Y_EN: 1
; COMPUTE_PGM_RSRC2:TGID_Z_EN: 1
; COMPUTE_PGM_RSRC2:TIDIG_COMP_CNT: 0
; COMPUTE_PGM_RSRC3_GFX90A:ACCUM_OFFSET: 5
; COMPUTE_PGM_RSRC3_GFX90A:TG_SPLIT: 0
	.section	.text._ZN2at6native6sbtopk10gatherTopKIdmLin1ELb0EEEvNS_4cuda6detail10TensorInfoIKT_T0_EES8_S8_bS8_S8_NS5_IS6_S8_EES8_NS5_IlS8_EES8_PS6_,"axG",@progbits,_ZN2at6native6sbtopk10gatherTopKIdmLin1ELb0EEEvNS_4cuda6detail10TensorInfoIKT_T0_EES8_S8_bS8_S8_NS5_IS6_S8_EES8_NS5_IlS8_EES8_PS6_,comdat
	.protected	_ZN2at6native6sbtopk10gatherTopKIdmLin1ELb0EEEvNS_4cuda6detail10TensorInfoIKT_T0_EES8_S8_bS8_S8_NS5_IS6_S8_EES8_NS5_IlS8_EES8_PS6_ ; -- Begin function _ZN2at6native6sbtopk10gatherTopKIdmLin1ELb0EEEvNS_4cuda6detail10TensorInfoIKT_T0_EES8_S8_bS8_S8_NS5_IS6_S8_EES8_NS5_IlS8_EES8_PS6_
	.globl	_ZN2at6native6sbtopk10gatherTopKIdmLin1ELb0EEEvNS_4cuda6detail10TensorInfoIKT_T0_EES8_S8_bS8_S8_NS5_IS6_S8_EES8_NS5_IlS8_EES8_PS6_
	.p2align	8
	.type	_ZN2at6native6sbtopk10gatherTopKIdmLin1ELb0EEEvNS_4cuda6detail10TensorInfoIKT_T0_EES8_S8_bS8_S8_NS5_IS6_S8_EES8_NS5_IlS8_EES8_PS6_,@function
_ZN2at6native6sbtopk10gatherTopKIdmLin1ELb0EEEvNS_4cuda6detail10TensorInfoIKT_T0_EES8_S8_bS8_S8_NS5_IS6_S8_EES8_NS5_IlS8_EES8_PS6_: ; @_ZN2at6native6sbtopk10gatherTopKIdmLin1ELb0EEEvNS_4cuda6detail10TensorInfoIKT_T0_EES8_S8_bS8_S8_NS5_IS6_S8_EES8_NS5_IlS8_EES8_PS6_
; %bb.0:
	s_load_dwordx4 s[56:59], s[4:5], 0x1b8
	s_load_dwordx2 s[10:11], s[4:5], 0x520
	s_add_u32 s34, s4, 0x520
	s_addc_u32 s35, s5, 0
	s_mov_b32 s9, 0
	s_waitcnt lgkmcnt(0)
	v_mov_b32_e32 v2, s56
	s_mul_i32 s0, s11, s8
	s_add_i32 s0, s0, s7
	s_mul_i32 s0, s0, s10
	v_mov_b32_e32 v3, s57
	s_add_i32 s8, s0, s6
	v_cmp_ge_u64_e32 vcc, s[8:9], v[2:3]
	s_cbranch_vccnz .LBB189_508
; %bb.1:
	s_load_dword s0, s[4:5], 0x198
	s_mov_b64 s[2:3], 0
	s_mov_b64 s[12:13], s[8:9]
	s_waitcnt lgkmcnt(0)
	s_cmp_lt_i32 s0, 2
	s_cbranch_scc1 .LBB189_9
; %bb.2:
	s_mov_b32 s14, 0
	s_add_i32 s7, s0, 1
	s_add_i32 s0, s0, -1
	s_mov_b32 s1, s14
	s_lshl_b64 s[0:1], s[0:1], 3
	s_add_u32 s0, s0, s4
	s_addc_u32 s1, s1, s5
	s_add_u32 s16, s0, 8
	s_addc_u32 s17, s1, 0
	s_mov_b64 s[18:19], s[8:9]
.LBB189_3:                              ; =>This Inner Loop Header: Depth=1
	s_load_dwordx2 s[20:21], s[16:17], 0x0
	s_waitcnt lgkmcnt(0)
	s_or_b64 s[0:1], s[18:19], s[20:21]
	s_mov_b32 s15, s1
	s_cmp_lg_u64 s[14:15], 0
	s_cbranch_scc0 .LBB189_8
; %bb.4:                                ;   in Loop: Header=BB189_3 Depth=1
	v_cvt_f32_u32_e32 v1, s20
	v_cvt_f32_u32_e32 v2, s21
	s_sub_u32 s0, 0, s20
	s_subb_u32 s1, 0, s21
	v_mac_f32_e32 v1, 0x4f800000, v2
	v_rcp_f32_e32 v1, v1
	v_mul_f32_e32 v1, 0x5f7ffffc, v1
	v_mul_f32_e32 v2, 0x2f800000, v1
	v_trunc_f32_e32 v2, v2
	v_mac_f32_e32 v1, 0xcf800000, v2
	v_cvt_u32_f32_e32 v2, v2
	v_cvt_u32_f32_e32 v1, v1
	v_readfirstlane_b32 s11, v2
	v_readfirstlane_b32 s12, v1
	s_mul_i32 s13, s0, s11
	s_mul_hi_u32 s22, s0, s12
	s_mul_i32 s15, s1, s12
	s_add_i32 s13, s22, s13
	s_mul_i32 s23, s0, s12
	s_add_i32 s13, s13, s15
	s_mul_hi_u32 s15, s12, s13
	s_mul_i32 s22, s12, s13
	s_mul_hi_u32 s12, s12, s23
	s_add_u32 s12, s12, s22
	s_addc_u32 s15, 0, s15
	s_mul_hi_u32 s24, s11, s23
	s_mul_i32 s23, s11, s23
	s_add_u32 s12, s12, s23
	s_mul_hi_u32 s22, s11, s13
	s_addc_u32 s12, s15, s24
	s_addc_u32 s15, s22, 0
	s_mul_i32 s13, s11, s13
	s_add_u32 s12, s12, s13
	s_addc_u32 s13, 0, s15
	v_add_co_u32_e32 v1, vcc, s12, v1
	s_cmp_lg_u64 vcc, 0
	s_addc_u32 s11, s11, s13
	v_readfirstlane_b32 s13, v1
	s_mul_i32 s12, s0, s11
	s_mul_hi_u32 s15, s0, s13
	s_add_i32 s12, s15, s12
	s_mul_i32 s1, s1, s13
	s_add_i32 s12, s12, s1
	s_mul_i32 s0, s0, s13
	s_mul_hi_u32 s15, s11, s0
	s_mul_i32 s22, s11, s0
	s_mul_i32 s24, s13, s12
	s_mul_hi_u32 s0, s13, s0
	s_mul_hi_u32 s23, s13, s12
	s_add_u32 s0, s0, s24
	s_addc_u32 s13, 0, s23
	s_add_u32 s0, s0, s22
	s_mul_hi_u32 s1, s11, s12
	s_addc_u32 s0, s13, s15
	s_addc_u32 s1, s1, 0
	s_mul_i32 s12, s11, s12
	s_add_u32 s0, s0, s12
	s_addc_u32 s1, 0, s1
	v_add_co_u32_e32 v1, vcc, s0, v1
	s_cmp_lg_u64 vcc, 0
	s_addc_u32 s0, s11, s1
	v_readfirstlane_b32 s12, v1
	s_mul_i32 s11, s18, s0
	s_mul_hi_u32 s13, s18, s12
	s_mul_hi_u32 s1, s18, s0
	s_add_u32 s11, s13, s11
	s_addc_u32 s1, 0, s1
	s_mul_hi_u32 s15, s19, s12
	s_mul_i32 s12, s19, s12
	s_add_u32 s11, s11, s12
	s_mul_hi_u32 s13, s19, s0
	s_addc_u32 s1, s1, s15
	s_addc_u32 s11, s13, 0
	s_mul_i32 s0, s19, s0
	s_add_u32 s12, s1, s0
	s_addc_u32 s11, 0, s11
	s_mul_i32 s0, s20, s11
	s_mul_hi_u32 s1, s20, s12
	s_add_i32 s0, s1, s0
	s_mul_i32 s1, s21, s12
	s_add_i32 s13, s0, s1
	s_mul_i32 s1, s20, s12
	v_mov_b32_e32 v1, s1
	s_sub_i32 s0, s19, s13
	v_sub_co_u32_e32 v1, vcc, s18, v1
	s_cmp_lg_u64 vcc, 0
	s_subb_u32 s15, s0, s21
	v_subrev_co_u32_e64 v2, s[0:1], s20, v1
	s_cmp_lg_u64 s[0:1], 0
	s_subb_u32 s0, s15, 0
	s_cmp_ge_u32 s0, s21
	v_readfirstlane_b32 s15, v2
	s_cselect_b32 s1, -1, 0
	s_cmp_ge_u32 s15, s20
	s_cselect_b32 s15, -1, 0
	s_cmp_eq_u32 s0, s21
	s_cselect_b32 s0, s15, s1
	s_add_u32 s1, s12, 1
	s_addc_u32 s15, s11, 0
	s_add_u32 s22, s12, 2
	s_addc_u32 s23, s11, 0
	s_cmp_lg_u32 s0, 0
	s_cselect_b32 s0, s22, s1
	s_cselect_b32 s1, s23, s15
	s_cmp_lg_u64 vcc, 0
	s_subb_u32 s13, s19, s13
	s_cmp_ge_u32 s13, s21
	v_readfirstlane_b32 s22, v1
	s_cselect_b32 s15, -1, 0
	s_cmp_ge_u32 s22, s20
	s_cselect_b32 s22, -1, 0
	s_cmp_eq_u32 s13, s21
	s_cselect_b32 s13, s22, s15
	s_cmp_lg_u32 s13, 0
	s_cselect_b32 s13, s1, s11
	s_cselect_b32 s12, s0, s12
	s_cbranch_execnz .LBB189_6
.LBB189_5:                              ;   in Loop: Header=BB189_3 Depth=1
	v_cvt_f32_u32_e32 v1, s20
	s_sub_i32 s0, 0, s20
	s_mov_b32 s13, s14
	v_rcp_iflag_f32_e32 v1, v1
	v_mul_f32_e32 v1, 0x4f7ffffe, v1
	v_cvt_u32_f32_e32 v1, v1
	v_readfirstlane_b32 s1, v1
	s_mul_i32 s0, s0, s1
	s_mul_hi_u32 s0, s1, s0
	s_add_i32 s1, s1, s0
	s_mul_hi_u32 s0, s18, s1
	s_mul_i32 s11, s0, s20
	s_sub_i32 s11, s18, s11
	s_add_i32 s1, s0, 1
	s_sub_i32 s12, s11, s20
	s_cmp_ge_u32 s11, s20
	s_cselect_b32 s0, s1, s0
	s_cselect_b32 s11, s12, s11
	s_add_i32 s1, s0, 1
	s_cmp_ge_u32 s11, s20
	s_cselect_b32 s12, s1, s0
.LBB189_6:                              ;   in Loop: Header=BB189_3 Depth=1
	s_mul_i32 s0, s12, s21
	s_mul_hi_u32 s1, s12, s20
	s_add_i32 s11, s1, s0
	s_load_dwordx2 s[0:1], s[16:17], 0xc8
	s_mul_i32 s15, s13, s20
	s_add_i32 s11, s11, s15
	s_mul_i32 s15, s12, s20
	s_sub_u32 s15, s18, s15
	s_subb_u32 s11, s19, s11
	s_waitcnt lgkmcnt(0)
	s_mul_i32 s11, s0, s11
	s_mul_hi_u32 s18, s0, s15
	s_add_i32 s11, s18, s11
	s_mul_i32 s1, s1, s15
	s_add_i32 s11, s11, s1
	s_mul_i32 s0, s0, s15
	s_add_u32 s2, s0, s2
	s_addc_u32 s3, s11, s3
	s_add_i32 s7, s7, -1
	s_add_u32 s16, s16, -8
	s_addc_u32 s17, s17, -1
	s_cmp_gt_u32 s7, 2
	s_cbranch_scc0 .LBB189_9
; %bb.7:                                ;   in Loop: Header=BB189_3 Depth=1
	s_mov_b64 s[18:19], s[12:13]
	s_branch .LBB189_3
.LBB189_8:                              ;   in Loop: Header=BB189_3 Depth=1
                                        ; implicit-def: $sgpr12_sgpr13
	s_branch .LBB189_5
.LBB189_9:
	s_load_dword s0, s[4:5], 0x360
	s_load_dwordx2 s[14:15], s[4:5], 0xd0
	s_add_u32 s16, s4, 0x1c8
	s_addc_u32 s17, s5, 0
	s_mov_b64 s[56:57], 0
	s_waitcnt lgkmcnt(0)
	s_cmp_lt_i32 s0, 2
	s_mov_b64 s[28:29], s[8:9]
	s_cbranch_scc1 .LBB189_17
; %bb.10:
	s_mov_b32 s18, 0
	s_add_i32 s7, s0, 1
	s_add_i32 s0, s0, -1
	s_mov_b32 s1, s18
	s_lshl_b64 s[0:1], s[0:1], 3
	s_add_u32 s0, s0, s16
	s_addc_u32 s1, s1, s17
	s_add_u32 s20, s0, 8
	s_addc_u32 s21, s1, 0
	s_mov_b64 s[22:23], s[8:9]
.LBB189_11:                             ; =>This Inner Loop Header: Depth=1
	s_load_dwordx2 s[24:25], s[20:21], 0x0
	s_waitcnt lgkmcnt(0)
	s_or_b64 s[0:1], s[22:23], s[24:25]
	s_mov_b32 s19, s1
	s_cmp_lg_u64 s[18:19], 0
	s_cbranch_scc0 .LBB189_16
; %bb.12:                               ;   in Loop: Header=BB189_11 Depth=1
	v_cvt_f32_u32_e32 v1, s24
	v_cvt_f32_u32_e32 v2, s25
	s_sub_u32 s0, 0, s24
	s_subb_u32 s1, 0, s25
	v_mac_f32_e32 v1, 0x4f800000, v2
	v_rcp_f32_e32 v1, v1
	v_mul_f32_e32 v1, 0x5f7ffffc, v1
	v_mul_f32_e32 v2, 0x2f800000, v1
	v_trunc_f32_e32 v2, v2
	v_mac_f32_e32 v1, 0xcf800000, v2
	v_cvt_u32_f32_e32 v2, v2
	v_cvt_u32_f32_e32 v1, v1
	v_readfirstlane_b32 s11, v2
	v_readfirstlane_b32 s19, v1
	s_mul_i32 s26, s0, s11
	s_mul_hi_u32 s28, s0, s19
	s_mul_i32 s27, s1, s19
	s_add_i32 s26, s28, s26
	s_mul_i32 s29, s0, s19
	s_add_i32 s26, s26, s27
	s_mul_hi_u32 s27, s19, s26
	s_mul_i32 s28, s19, s26
	s_mul_hi_u32 s19, s19, s29
	s_add_u32 s19, s19, s28
	s_addc_u32 s27, 0, s27
	s_mul_hi_u32 s30, s11, s29
	s_mul_i32 s29, s11, s29
	s_add_u32 s19, s19, s29
	s_mul_hi_u32 s28, s11, s26
	s_addc_u32 s19, s27, s30
	s_addc_u32 s27, s28, 0
	s_mul_i32 s26, s11, s26
	s_add_u32 s19, s19, s26
	s_addc_u32 s26, 0, s27
	v_add_co_u32_e32 v1, vcc, s19, v1
	s_cmp_lg_u64 vcc, 0
	s_addc_u32 s11, s11, s26
	v_readfirstlane_b32 s26, v1
	s_mul_i32 s19, s0, s11
	s_mul_hi_u32 s27, s0, s26
	s_add_i32 s19, s27, s19
	s_mul_i32 s1, s1, s26
	s_add_i32 s19, s19, s1
	s_mul_i32 s0, s0, s26
	s_mul_hi_u32 s27, s11, s0
	s_mul_i32 s28, s11, s0
	s_mul_i32 s30, s26, s19
	s_mul_hi_u32 s0, s26, s0
	s_mul_hi_u32 s29, s26, s19
	s_add_u32 s0, s0, s30
	s_addc_u32 s26, 0, s29
	s_add_u32 s0, s0, s28
	s_mul_hi_u32 s1, s11, s19
	s_addc_u32 s0, s26, s27
	s_addc_u32 s1, s1, 0
	s_mul_i32 s19, s11, s19
	s_add_u32 s0, s0, s19
	s_addc_u32 s1, 0, s1
	v_add_co_u32_e32 v1, vcc, s0, v1
	s_cmp_lg_u64 vcc, 0
	s_addc_u32 s0, s11, s1
	v_readfirstlane_b32 s19, v1
	s_mul_i32 s11, s22, s0
	s_mul_hi_u32 s26, s22, s19
	s_mul_hi_u32 s1, s22, s0
	s_add_u32 s11, s26, s11
	s_addc_u32 s1, 0, s1
	s_mul_hi_u32 s27, s23, s19
	s_mul_i32 s19, s23, s19
	s_add_u32 s11, s11, s19
	s_mul_hi_u32 s26, s23, s0
	s_addc_u32 s1, s1, s27
	s_addc_u32 s11, s26, 0
	s_mul_i32 s0, s23, s0
	s_add_u32 s19, s1, s0
	s_addc_u32 s11, 0, s11
	s_mul_i32 s0, s24, s11
	s_mul_hi_u32 s1, s24, s19
	s_add_i32 s0, s1, s0
	s_mul_i32 s1, s25, s19
	s_add_i32 s26, s0, s1
	s_mul_i32 s1, s24, s19
	v_mov_b32_e32 v1, s1
	s_sub_i32 s0, s23, s26
	v_sub_co_u32_e32 v1, vcc, s22, v1
	s_cmp_lg_u64 vcc, 0
	s_subb_u32 s27, s0, s25
	v_subrev_co_u32_e64 v2, s[0:1], s24, v1
	s_cmp_lg_u64 s[0:1], 0
	s_subb_u32 s0, s27, 0
	s_cmp_ge_u32 s0, s25
	v_readfirstlane_b32 s27, v2
	s_cselect_b32 s1, -1, 0
	s_cmp_ge_u32 s27, s24
	s_cselect_b32 s27, -1, 0
	s_cmp_eq_u32 s0, s25
	s_cselect_b32 s0, s27, s1
	s_add_u32 s1, s19, 1
	s_addc_u32 s27, s11, 0
	s_add_u32 s28, s19, 2
	s_addc_u32 s29, s11, 0
	s_cmp_lg_u32 s0, 0
	s_cselect_b32 s0, s28, s1
	s_cselect_b32 s1, s29, s27
	s_cmp_lg_u64 vcc, 0
	s_subb_u32 s26, s23, s26
	s_cmp_ge_u32 s26, s25
	v_readfirstlane_b32 s28, v1
	s_cselect_b32 s27, -1, 0
	s_cmp_ge_u32 s28, s24
	s_cselect_b32 s28, -1, 0
	s_cmp_eq_u32 s26, s25
	s_cselect_b32 s26, s28, s27
	s_cmp_lg_u32 s26, 0
	s_cselect_b32 s29, s1, s11
	s_cselect_b32 s28, s0, s19
	s_cbranch_execnz .LBB189_14
.LBB189_13:                             ;   in Loop: Header=BB189_11 Depth=1
	v_cvt_f32_u32_e32 v1, s24
	s_sub_i32 s0, 0, s24
	s_mov_b32 s29, s18
	v_rcp_iflag_f32_e32 v1, v1
	v_mul_f32_e32 v1, 0x4f7ffffe, v1
	v_cvt_u32_f32_e32 v1, v1
	v_readfirstlane_b32 s1, v1
	s_mul_i32 s0, s0, s1
	s_mul_hi_u32 s0, s1, s0
	s_add_i32 s1, s1, s0
	s_mul_hi_u32 s0, s22, s1
	s_mul_i32 s11, s0, s24
	s_sub_i32 s11, s22, s11
	s_add_i32 s1, s0, 1
	s_sub_i32 s19, s11, s24
	s_cmp_ge_u32 s11, s24
	s_cselect_b32 s0, s1, s0
	s_cselect_b32 s11, s19, s11
	s_add_i32 s1, s0, 1
	s_cmp_ge_u32 s11, s24
	s_cselect_b32 s28, s1, s0
.LBB189_14:                             ;   in Loop: Header=BB189_11 Depth=1
	s_mul_i32 s0, s28, s25
	s_mul_hi_u32 s1, s28, s24
	s_add_i32 s11, s1, s0
	s_load_dwordx2 s[0:1], s[20:21], 0xc8
	s_mul_i32 s19, s29, s24
	s_add_i32 s11, s11, s19
	s_mul_i32 s19, s28, s24
	s_sub_u32 s19, s22, s19
	s_subb_u32 s11, s23, s11
	s_waitcnt lgkmcnt(0)
	s_mul_i32 s11, s0, s11
	s_mul_hi_u32 s22, s0, s19
	s_add_i32 s11, s22, s11
	s_mul_i32 s1, s1, s19
	s_add_i32 s11, s11, s1
	s_mul_i32 s0, s0, s19
	s_add_u32 s56, s0, s56
	s_addc_u32 s57, s11, s57
	s_add_i32 s7, s7, -1
	s_add_u32 s20, s20, -8
	s_addc_u32 s21, s21, -1
	s_cmp_gt_u32 s7, 2
	s_cbranch_scc0 .LBB189_17
; %bb.15:                               ;   in Loop: Header=BB189_11 Depth=1
	s_mov_b64 s[22:23], s[28:29]
	s_branch .LBB189_11
.LBB189_16:                             ;   in Loop: Header=BB189_11 Depth=1
                                        ; implicit-def: $sgpr28_sgpr29
	s_branch .LBB189_13
.LBB189_17:
	s_load_dword s11, s[4:5], 0x508
	s_load_dwordx2 s[0:1], s[16:17], 0xd0
                                        ; implicit-def: $vgpr73 : SGPR spill to VGPR lane
	s_mov_b64 s[74:75], 0
                                        ; kill: killed $sgpr16 killed $sgpr17
	s_waitcnt lgkmcnt(0)
	v_writelane_b32 v73, s0, 0
	v_writelane_b32 v73, s1, 1
	s_add_u32 s0, s4, 0x370
	s_addc_u32 s1, s5, 0
	s_cmp_lt_i32 s11, 2
	s_cbranch_scc1 .LBB189_25
; %bb.18:
	s_mov_b32 s16, 0
	s_add_i32 s18, s11, -1
	s_mov_b32 s19, s16
	s_add_i32 s7, s11, 1
	s_lshl_b64 s[18:19], s[18:19], 3
	s_add_u32 s0, s18, s0
	s_addc_u32 s1, s19, s1
	s_add_u32 s18, s0, 8
	s_addc_u32 s19, s1, 0
.LBB189_19:                             ; =>This Inner Loop Header: Depth=1
	s_load_dwordx2 s[20:21], s[18:19], 0x0
	s_waitcnt lgkmcnt(0)
	s_or_b64 s[0:1], s[8:9], s[20:21]
	s_mov_b32 s17, s1
	s_cmp_lg_u64 s[16:17], 0
	s_cbranch_scc0 .LBB189_24
; %bb.20:                               ;   in Loop: Header=BB189_19 Depth=1
	v_cvt_f32_u32_e32 v1, s20
	v_cvt_f32_u32_e32 v2, s21
	s_sub_u32 s0, 0, s20
	s_subb_u32 s1, 0, s21
	v_mac_f32_e32 v1, 0x4f800000, v2
	v_rcp_f32_e32 v1, v1
	v_mul_f32_e32 v1, 0x5f7ffffc, v1
	v_mul_f32_e32 v2, 0x2f800000, v1
	v_trunc_f32_e32 v2, v2
	v_mac_f32_e32 v1, 0xcf800000, v2
	v_cvt_u32_f32_e32 v2, v2
	v_cvt_u32_f32_e32 v1, v1
	v_readfirstlane_b32 s11, v2
	v_readfirstlane_b32 s17, v1
	s_mul_i32 s22, s0, s11
	s_mul_hi_u32 s24, s0, s17
	s_mul_i32 s23, s1, s17
	s_add_i32 s22, s24, s22
	s_mul_i32 s25, s0, s17
	s_add_i32 s22, s22, s23
	s_mul_hi_u32 s23, s17, s22
	s_mul_i32 s24, s17, s22
	s_mul_hi_u32 s17, s17, s25
	s_add_u32 s17, s17, s24
	s_addc_u32 s23, 0, s23
	s_mul_hi_u32 s26, s11, s25
	s_mul_i32 s25, s11, s25
	s_add_u32 s17, s17, s25
	s_mul_hi_u32 s24, s11, s22
	s_addc_u32 s17, s23, s26
	s_addc_u32 s23, s24, 0
	s_mul_i32 s22, s11, s22
	s_add_u32 s17, s17, s22
	s_addc_u32 s22, 0, s23
	v_add_co_u32_e32 v1, vcc, s17, v1
	s_cmp_lg_u64 vcc, 0
	s_addc_u32 s11, s11, s22
	v_readfirstlane_b32 s22, v1
	s_mul_i32 s17, s0, s11
	s_mul_hi_u32 s23, s0, s22
	s_add_i32 s17, s23, s17
	s_mul_i32 s1, s1, s22
	s_add_i32 s17, s17, s1
	s_mul_i32 s0, s0, s22
	s_mul_hi_u32 s23, s11, s0
	s_mul_i32 s24, s11, s0
	s_mul_i32 s26, s22, s17
	s_mul_hi_u32 s0, s22, s0
	s_mul_hi_u32 s25, s22, s17
	s_add_u32 s0, s0, s26
	s_addc_u32 s22, 0, s25
	s_add_u32 s0, s0, s24
	s_mul_hi_u32 s1, s11, s17
	s_addc_u32 s0, s22, s23
	s_addc_u32 s1, s1, 0
	s_mul_i32 s17, s11, s17
	s_add_u32 s0, s0, s17
	s_addc_u32 s1, 0, s1
	v_add_co_u32_e32 v1, vcc, s0, v1
	s_cmp_lg_u64 vcc, 0
	s_addc_u32 s0, s11, s1
	v_readfirstlane_b32 s17, v1
	s_mul_i32 s11, s8, s0
	s_mul_hi_u32 s22, s8, s17
	s_mul_hi_u32 s1, s8, s0
	s_add_u32 s11, s22, s11
	s_addc_u32 s1, 0, s1
	s_mul_hi_u32 s23, s9, s17
	s_mul_i32 s17, s9, s17
	s_add_u32 s11, s11, s17
	s_mul_hi_u32 s22, s9, s0
	s_addc_u32 s1, s1, s23
	s_addc_u32 s11, s22, 0
	s_mul_i32 s0, s9, s0
	s_add_u32 s17, s1, s0
	s_addc_u32 s11, 0, s11
	s_mul_i32 s0, s20, s11
	s_mul_hi_u32 s1, s20, s17
	s_add_i32 s0, s1, s0
	s_mul_i32 s1, s21, s17
	s_add_i32 s22, s0, s1
	s_mul_i32 s1, s20, s17
	v_mov_b32_e32 v1, s1
	s_sub_i32 s0, s9, s22
	v_sub_co_u32_e32 v1, vcc, s8, v1
	s_cmp_lg_u64 vcc, 0
	s_subb_u32 s23, s0, s21
	v_subrev_co_u32_e64 v2, s[0:1], s20, v1
	s_cmp_lg_u64 s[0:1], 0
	s_subb_u32 s0, s23, 0
	s_cmp_ge_u32 s0, s21
	v_readfirstlane_b32 s23, v2
	s_cselect_b32 s1, -1, 0
	s_cmp_ge_u32 s23, s20
	s_cselect_b32 s23, -1, 0
	s_cmp_eq_u32 s0, s21
	s_cselect_b32 s0, s23, s1
	s_add_u32 s1, s17, 1
	s_addc_u32 s23, s11, 0
	s_add_u32 s24, s17, 2
	s_addc_u32 s25, s11, 0
	s_cmp_lg_u32 s0, 0
	s_cselect_b32 s0, s24, s1
	s_cselect_b32 s1, s25, s23
	s_cmp_lg_u64 vcc, 0
	s_subb_u32 s22, s9, s22
	s_cmp_ge_u32 s22, s21
	v_readfirstlane_b32 s24, v1
	s_cselect_b32 s23, -1, 0
	s_cmp_ge_u32 s24, s20
	s_cselect_b32 s24, -1, 0
	s_cmp_eq_u32 s22, s21
	s_cselect_b32 s22, s24, s23
	s_cmp_lg_u32 s22, 0
	s_cselect_b32 s79, s1, s11
	s_cselect_b32 s78, s0, s17
	s_cbranch_execnz .LBB189_22
.LBB189_21:                             ;   in Loop: Header=BB189_19 Depth=1
	v_cvt_f32_u32_e32 v1, s20
	s_sub_i32 s0, 0, s20
	s_mov_b32 s79, s16
	v_rcp_iflag_f32_e32 v1, v1
	v_mul_f32_e32 v1, 0x4f7ffffe, v1
	v_cvt_u32_f32_e32 v1, v1
	v_readfirstlane_b32 s1, v1
	s_mul_i32 s0, s0, s1
	s_mul_hi_u32 s0, s1, s0
	s_add_i32 s1, s1, s0
	s_mul_hi_u32 s0, s8, s1
	s_mul_i32 s11, s0, s20
	s_sub_i32 s11, s8, s11
	s_add_i32 s1, s0, 1
	s_sub_i32 s17, s11, s20
	s_cmp_ge_u32 s11, s20
	s_cselect_b32 s0, s1, s0
	s_cselect_b32 s11, s17, s11
	s_add_i32 s1, s0, 1
	s_cmp_ge_u32 s11, s20
	s_cselect_b32 s78, s1, s0
.LBB189_22:                             ;   in Loop: Header=BB189_19 Depth=1
	s_mul_i32 s0, s78, s21
	s_mul_hi_u32 s1, s78, s20
	s_add_i32 s11, s1, s0
	s_load_dwordx2 s[0:1], s[18:19], 0xc8
	s_mul_i32 s17, s79, s20
	s_add_i32 s11, s11, s17
	s_mul_i32 s17, s78, s20
	s_sub_u32 s8, s8, s17
	s_subb_u32 s9, s9, s11
	s_waitcnt lgkmcnt(0)
	s_mul_i32 s9, s0, s9
	s_mul_hi_u32 s11, s0, s8
	s_add_i32 s9, s11, s9
	s_mul_i32 s1, s1, s8
	s_add_i32 s9, s9, s1
	s_mul_i32 s0, s0, s8
	s_add_u32 s74, s0, s74
	s_addc_u32 s75, s9, s75
	s_add_i32 s7, s7, -1
	s_add_u32 s18, s18, -8
	s_addc_u32 s19, s19, -1
	s_cmp_gt_u32 s7, 2
	s_cbranch_scc0 .LBB189_26
; %bb.23:                               ;   in Loop: Header=BB189_19 Depth=1
	s_mov_b64 s[8:9], s[78:79]
	s_branch .LBB189_19
.LBB189_24:                             ;   in Loop: Header=BB189_19 Depth=1
                                        ; implicit-def: $sgpr78_sgpr79
	s_branch .LBB189_21
.LBB189_25:
	s_mov_b64 s[78:79], s[8:9]
.LBB189_26:
	s_load_dwordx4 s[60:63], s[4:5], 0x1a0
	s_load_dwordx2 s[16:17], s[4:5], 0x0
	s_load_dwordx2 s[0:1], s[4:5], 0x1c8
	v_writelane_b32 v73, s28, 2
	v_writelane_b32 v73, s29, 3
	s_mov_b32 s87, 0
	v_cmp_eq_u32_e64 s[8:9], 0, v0
	s_waitcnt lgkmcnt(0)
	v_writelane_b32 v73, s0, 4
	v_writelane_b32 v73, s1, 5
	s_load_dwordx2 s[0:1], s[4:5], 0x440
	s_waitcnt lgkmcnt(0)
	v_writelane_b32 v73, s0, 6
	v_writelane_b32 v73, s1, 7
	s_load_dwordx2 s[0:1], s[4:5], 0x370
	s_waitcnt lgkmcnt(0)
	v_writelane_b32 v73, s0, 8
	v_writelane_b32 v73, s1, 9
	s_mov_b64 s[0:1], exec
	v_writelane_b32 v73, s8, 10
	v_writelane_b32 v73, s9, 11
	s_and_b64 s[8:9], s[0:1], s[8:9]
	s_mov_b64 exec, s[8:9]
	s_cbranch_execz .LBB189_28
; %bb.27:
	v_mov_b32_e32 v2, 0
	v_mov_b32_e32 v4, s60
	v_mov_b32_e32 v5, s61
	v_mov_b32_e32 v3, v2
	ds_write_b32 v2, v2 offset:5144
	ds_write_b128 v2, v[2:5] offset:5120
.LBB189_28:
	s_or_b64 exec, exec, s[0:1]
	s_mul_i32 s0, s14, s13
	s_mul_hi_u32 s1, s14, s12
	s_add_i32 s0, s1, s0
	s_mul_i32 s1, s15, s12
	s_add_i32 s1, s0, s1
	s_mul_i32 s0, s14, s12
	s_lshl_b64 s[8:9], s[0:1], 3
	s_lshl_b64 s[72:73], s[2:3], 3
	v_writelane_b32 v73, s4, 12
	s_load_dword s2, s[4:5], 0x1b0
	s_add_u32 s0, s16, s8
	s_addc_u32 s1, s17, s9
	s_add_u32 s93, s0, s72
	s_addc_u32 s12, s1, s73
	s_waitcnt lgkmcnt(0)
	s_bitcmp1_b32 s2, 0
	v_writelane_b32 v73, s5, 13
	s_cselect_b64 s[2:3], -1, 0
	v_writelane_b32 v73, s2, 14
	v_writelane_b32 v73, s3, 15
	s_xor_b64 s[2:3], s[2:3], -1
	v_mbcnt_lo_u32_b32 v1, -1, 0
	v_writelane_b32 v73, s2, 16
	v_mbcnt_hi_u32_b32 v55, -1, v1
	v_writelane_b32 v73, s3, 17
	v_cmp_gt_u32_e32 vcc, 64, v0
	v_cmp_gt_i32_e64 s[2:3], 4, v55
	s_and_b64 s[2:3], vcc, s[2:3]
	v_mov_b32_e32 v2, 0x180
	v_writelane_b32 v73, s2, 18
	v_mov_b32_e32 v3, 0
	v_mov_b32_e32 v21, 0
	v_writelane_b32 v73, s3, 19
	v_cmp_gt_u64_e64 s[2:3], s[60:61], v[2:3]
	v_writelane_b32 v73, s2, 20
	v_mov_b32_e32 v1, v21
	v_writelane_b32 v73, s3, 21
	v_cmp_gt_u64_e64 s[2:3], s[60:61], v[0:1]
	v_writelane_b32 v73, s2, 22
	v_writelane_b32 v73, s3, 23
	v_mad_u64_u32 v[4:5], s[2:3], v0, s58, 0
	v_mov_b32_e32 v2, v5
	v_mad_u64_u32 v[2:3], s[2:3], v0, s59, v[2:3]
	v_cmp_gt_u32_e64 s[2:3], 2, v0
	v_writelane_b32 v73, s2, 24
	s_barrier
	v_writelane_b32 v73, s3, 25
	s_load_dword s2, s[34:35], 0xc
	v_mov_b32_e32 v5, v2
	v_lshlrev_b64 v[2:3], 3, v[4:5]
	v_mov_b32_e32 v6, s12
	v_add_co_u32_e32 v18, vcc, s93, v2
	s_waitcnt lgkmcnt(0)
	s_and_b32 s33, s2, 0xffff
	s_bfe_u32 s3, s2, 0xa0006
	v_cmp_gt_u16_e64 s[4:5], s2, 63
	v_writelane_b32 v73, s4, 26
	s_add_u32 s2, s33, -1
	v_writelane_b32 v73, s5, 27
	s_addc_u32 s4, 0, -1
	v_writelane_b32 v73, s2, 28
	s_add_u32 s2, s2, s60
	v_writelane_b32 v73, s2, 29
	s_addc_u32 s5, s4, s61
	v_writelane_b32 v73, s4, 30
	s_cmp_lt_u32 s6, s10
	v_writelane_b32 v73, s4, 31
	s_cselect_b32 s2, 12, 18
	v_writelane_b32 v73, s5, 32
	s_add_u32 s4, s34, s2
	s_addc_u32 s5, s35, 0
	v_writelane_b32 v73, s4, 33
	v_writelane_b32 v73, s5, 34
	s_add_i32 s2, s3, -1
	s_bfe_u32 s4, s33, 0x30006
	s_cmp_gt_u32 s2, 6
	s_cselect_b64 s[6:7], -1, 0
	v_writelane_b32 v73, s6, 35
	s_and_b32 s13, s3, 0x3f8
	v_writelane_b32 v73, s7, 36
	s_cmp_lg_u32 s4, 0
	v_writelane_b32 v73, s4, 37
	s_cselect_b64 s[2:3], -1, 0
	v_writelane_b32 v73, s2, 38
	v_writelane_b32 v73, s3, 39
	s_add_u32 s2, s8, s72
	s_addc_u32 s3, s9, s73
	s_add_u32 s2, s16, s2
	v_addc_co_u32_e32 v19, vcc, v6, v3, vcc
	v_lshrrev_b32_e32 v6, 4, v0
	s_addc_u32 s3, s17, s3
	v_and_b32_e32 v56, 60, v6
	v_lshlrev_b32_e32 v6, 2, v55
	v_writelane_b32 v73, s2, 40
	v_and_b32_e32 v54, 0x100, v6
	v_lshlrev_b64 v[6:7], v55, -1
	v_writelane_b32 v73, s3, 41
	s_lshl_b64 s[2:3], s[58:59], 3
	v_lshlrev_b32_e32 v59, 5, v0
	v_not_b32_e32 v17, v7
	v_not_b32_e32 v16, v6
	v_writelane_b32 v73, s2, 42
	v_or_b32_e32 v9, 24, v59
	v_pk_mov_b32 v[6:7], s[0:1], s[0:1] op_sel:[0,1]
	v_writelane_b32 v73, s3, 43
	v_mad_u64_u32 v[24:25], s[2:3], s58, v9, v[6:7]
	v_mov_b32_e32 v8, v25
	v_mad_u64_u32 v[8:9], s[2:3], s59, v9, v[8:9]
	s_lshl_b64 s[2:3], s[58:59], 5
	v_writelane_b32 v73, s2, 44
	v_or_b32_e32 v9, 16, v59
	v_writelane_b32 v73, s3, 45
	v_mad_u64_u32 v[26:27], s[2:3], s58, v9, v[6:7]
	v_mov_b32_e32 v25, v8
	v_mov_b32_e32 v8, v27
	v_mad_u64_u32 v[8:9], s[2:3], s59, v9, v[8:9]
	v_mov_b32_e32 v27, v8
	v_or_b32_e32 v8, 8, v59
	v_mad_u64_u32 v[28:29], s[2:3], s58, v8, v[6:7]
	v_mov_b32_e32 v6, v29
	v_mad_u64_u32 v[6:7], s[2:3], s59, v8, v[6:7]
	v_lshlrev_b64 v[4:5], 5, v[4:5]
	s_lshl_b32 s2, s33, 3
	v_add_co_u32_e32 v30, vcc, s0, v4
	s_add_u32 s0, s16, s72
	v_mov_b32_e32 v29, v6
	v_mov_b32_e32 v6, s1
	v_writelane_b32 v73, s16, 46
	s_addc_u32 s1, s17, s73
	v_writelane_b32 v73, s17, 47
	s_add_u32 s0, s0, s8
	v_addc_co_u32_e32 v31, vcc, v6, v5, vcc
	v_mov_b32_e32 v4, 0xc00
	v_writelane_b32 v73, s8, 48
	s_addc_u32 s1, s1, s9
	v_lshl_or_b32 v60, v55, 3, v4
	v_mov_b32_e32 v4, s1
	v_add_co_u32_e32 v32, vcc, s0, v2
	s_mul_i32 s0, s59, s33
	s_mul_hi_u32 s1, s58, s33
	v_cmp_eq_u32_e64 s[94:95], 0, v55
	v_lshlrev_b32_e32 v57, 3, v0
	v_writelane_b32 v73, s9, 49
	s_add_i32 s1, s1, s0
	s_mul_i32 s0, s58, s33
	v_pk_mov_b32 v[34:35], 0, 0
	v_lshlrev_b32_e32 v22, 2, v0
	v_mov_b32_e32 v23, v21
	v_add_u32_e32 v58, 0xc00, v57
	s_mov_b32 s92, s87
	v_addc_co_u32_e32 v33, vcc, v4, v3, vcc
	s_lshl_b64 s[64:65], s[0:1], 3
	s_mov_b32 s90, 62
	s_mov_b64 s[70:71], 0
	v_pk_mov_b32 v[6:7], 0, 0
	v_pk_mov_b32 v[38:39], s[62:63], s[62:63] op_sel:[0,1]
	v_mov_b32_e32 v3, 0x3ff00000
	v_mov_b32_e32 v61, 0x4f800000
	s_mov_b32 s91, 0
	v_pk_mov_b32 v[36:37], v[34:35], v[34:35] op_sel:[0,1]
	v_writelane_b32 v73, s94, 50
                                        ; implicit-def: $sgpr84_sgpr85
                                        ; implicit-def: $sgpr82_sgpr83
                                        ; implicit-def: $sgpr8_sgpr9
                                        ; implicit-def: $sgpr10_sgpr11
                                        ; implicit-def: $sgpr76_sgpr77
                                        ; implicit-def: $sgpr26_sgpr27
                                        ; implicit-def: $sgpr28_sgpr29
                                        ; implicit-def: $sgpr30_sgpr31
                                        ; implicit-def: $sgpr34_sgpr35
                                        ; implicit-def: $sgpr36_sgpr37
	v_writelane_b32 v73, s95, 51
	s_branch .LBB189_31
.LBB189_29:                             ;   in Loop: Header=BB189_31 Depth=1
	s_or_b64 exec, exec, s[16:17]
	s_andn2_b64 s[4:5], s[36:37], exec
	s_and_b64 s[14:15], s[14:15], exec
	s_or_b64 s[36:37], s[4:5], s[14:15]
	s_andn2_b64 s[34:35], s[34:35], exec
	s_andn2_b64 s[30:31], s[30:31], exec
	;; [unrolled: 1-line block ×4, first 2 shown]
	s_orn2_b64 s[6:7], s[6:7], exec
	v_pk_mov_b32 v[36:37], v[14:15], v[14:15] op_sel:[0,1]
	v_pk_mov_b32 v[34:35], v[12:13], v[12:13] op_sel:[0,1]
	s_waitcnt vmcnt(0)
	v_pk_mov_b32 v[38:39], v[40:41], v[40:41] op_sel:[0,1]
	v_pk_mov_b32 v[6:7], v[10:11], v[10:11] op_sel:[0,1]
.LBB189_30:                             ;   in Loop: Header=BB189_31 Depth=1
	s_or_b64 exec, exec, s[0:1]
	s_and_b64 s[0:1], exec, s[6:7]
	s_or_b64 s[70:71], s[0:1], s[70:71]
	s_andn2_b64 s[0:1], s[76:77], exec
	s_and_b64 s[6:7], s[36:37], exec
	s_or_b64 s[76:77], s[0:1], s[6:7]
	s_andn2_b64 s[0:1], s[10:11], exec
	s_and_b64 s[6:7], s[34:35], exec
	;; [unrolled: 3-line block ×5, first 2 shown]
	s_or_b64 s[84:85], s[0:1], s[6:7]
	s_andn2_b64 exec, exec, s[70:71]
	s_cbranch_execz .LBB189_504
.LBB189_31:                             ; =>This Loop Header: Depth=1
                                        ;     Child Loop BB189_39 Depth 2
                                        ;     Child Loop BB189_54 Depth 2
                                        ;     Child Loop BB189_81 Depth 2
                                        ;     Child Loop BB189_85 Depth 2
                                        ;     Child Loop BB189_67 Depth 2
                                        ;     Child Loop BB189_74 Depth 2
                                        ;     Child Loop BB189_94 Depth 2
                                        ;     Child Loop BB189_100 Depth 2
                                        ;     Child Loop BB189_132 Depth 2
                                        ;     Child Loop BB189_113 Depth 2
                                        ;     Child Loop BB189_178 Depth 2
                                        ;     Child Loop BB189_162 Depth 2
                                        ;     Child Loop BB189_224 Depth 2
                                        ;     Child Loop BB189_208 Depth 2
                                        ;     Child Loop BB189_259 Depth 2
                                        ;     Child Loop BB189_275 Depth 2
                                        ;     Child Loop BB189_328 Depth 2
                                        ;     Child Loop BB189_314 Depth 2
                                        ;     Child Loop BB189_374 Depth 2
                                        ;     Child Loop BB189_358 Depth 2
                                        ;     Child Loop BB189_420 Depth 2
                                        ;     Child Loop BB189_404 Depth 2
                                        ;     Child Loop BB189_455 Depth 2
                                        ;     Child Loop BB189_471 Depth 2
	ds_read_b128 v[8:11], v21 offset:5120
	s_waitcnt lgkmcnt(0)
	v_readfirstlane_b32 s69, v9
	v_readfirstlane_b32 s68, v8
	s_cmp_lg_u64 s[68:69], 0
	s_cbranch_scc1 .LBB189_61
; %bb.32:                               ;   in Loop: Header=BB189_31 Depth=1
	v_readlane_b32 s0, v73, 20
	v_readlane_b32 s1, v73, 21
	s_and_b64 vcc, exec, s[0:1]
	s_cbranch_vccz .LBB189_47
; %bb.33:                               ;   in Loop: Header=BB189_31 Depth=1
	s_mov_b64 s[0:1], 0x181
	v_cmp_gt_u64_e32 vcc, s[0:1], v[10:11]
	s_mov_b64 s[68:69], 0
	s_mov_b64 s[0:1], 0
	s_cbranch_vccz .LBB189_48
; %bb.34:                               ;   in Loop: Header=BB189_31 Depth=1
	s_waitcnt vmcnt(0)
	v_pk_mov_b32 v[4:5], 0, 0
	s_mov_b64 s[0:1], exec
	v_readlane_b32 s6, v73, 22
	v_readlane_b32 s7, v73, 23
	s_and_b64 s[6:7], s[0:1], s[6:7]
	s_mov_b64 exec, s[6:7]
	s_cbranch_execz .LBB189_36
; %bb.35:                               ;   in Loop: Header=BB189_31 Depth=1
	global_load_dwordx2 v[4:5], v[18:19], off
.LBB189_36:                             ;   in Loop: Header=BB189_31 Depth=1
	s_or_b64 exec, exec, s[0:1]
	s_mov_b64 s[0:1], exec
	v_readlane_b32 s6, v73, 22
	v_readlane_b32 s7, v73, 23
	s_and_b64 s[6:7], s[0:1], s[6:7]
	s_mov_b64 exec, s[6:7]
	s_cbranch_execz .LBB189_120
; %bb.37:                               ;   in Loop: Header=BB189_31 Depth=1
	v_readlane_b32 s6, v73, 33
	v_readlane_b32 s7, v73, 34
	;; [unrolled: 1-line block ×4, first 2 shown]
	s_mov_b64 s[16:17], 0
	s_nop 1
	global_load_ushort v2, v21, s[6:7]
	v_readlane_b32 s6, v73, 40
	v_readlane_b32 s7, v73, 41
	v_pk_mov_b32 v[8:9], s[6:7], s[6:7] op_sel:[0,1]
	s_waitcnt vmcnt(0)
	v_readfirstlane_b32 s3, v2
	s_and_b32 s3, 0xffff, s3
	v_add_u32_e32 v11, s3, v0
	v_mad_u64_u32 v[8:9], s[6:7], s18, v11, v[8:9]
	v_mov_b32_e32 v10, v9
	s_mul_i32 s14, s19, s3
	s_mul_hi_u32 s15, s18, s3
	v_mad_u64_u32 v[10:11], s[6:7], s19, v11, v[10:11]
	s_mul_i32 s3, s18, s3
	s_add_i32 s24, s15, s14
	v_mov_b32_e32 v9, v10
	v_pk_mov_b32 v[10:11], v[0:1], v[0:1] op_sel:[0,1]
	s_branch .LBB189_39
.LBB189_38:                             ;   in Loop: Header=BB189_39 Depth=2
	s_or_b64 exec, exec, s[6:7]
	v_mov_b32_e32 v4, s24
	v_add_co_u32_e32 v8, vcc, s3, v8
	v_addc_co_u32_e32 v9, vcc, v9, v4, vcc
	s_waitcnt vmcnt(0)
	v_pk_mov_b32 v[4:5], v[12:13], v[12:13] op_sel:[0,1]
	s_andn2_b64 exec, exec, s[16:17]
	s_cbranch_execz .LBB189_120
.LBB189_39:                             ;   Parent Loop BB189_31 Depth=1
                                        ; =>  This Inner Loop Header: Depth=2
	v_add_co_u32_sdwa v10, vcc, v10, v2 dst_sel:DWORD dst_unused:UNUSED_PAD src0_sel:DWORD src1_sel:WORD_0
	v_addc_co_u32_e32 v11, vcc, 0, v11, vcc
	v_cmp_gt_u64_e64 s[6:7], s[60:61], v[10:11]
	v_cmp_le_u64_e32 vcc, s[60:61], v[10:11]
	v_pk_mov_b32 v[12:13], 0, 0
	s_and_saveexec_b64 s[14:15], s[6:7]
	s_cbranch_execz .LBB189_41
; %bb.40:                               ;   in Loop: Header=BB189_39 Depth=2
	global_load_dwordx2 v[12:13], v[8:9], off
.LBB189_41:                             ;   in Loop: Header=BB189_39 Depth=2
	s_or_b64 exec, exec, s[14:15]
	s_waitcnt lgkmcnt(0)
	v_ashrrev_i32_e32 v14, 31, v5
	v_or_b32_e32 v15, 0x80000000, v14
	v_xor_b32_e32 v15, v15, v5
	v_xor_b32_e32 v14, v14, v4
	v_cmp_o_f64_e64 s[6:7], v[4:5], v[4:5]
	v_cndmask_b32_e64 v15, -1, v15, s[6:7]
	v_cndmask_b32_e64 v14, -1, v14, s[6:7]
	v_and_b32_e32 v15, v15, v37
	v_and_b32_e32 v14, v14, v36
	v_cmp_eq_u64_e64 s[14:15], v[14:15], v[34:35]
	s_cmp_lg_u64 s[14:15], 0
	s_cselect_b64 s[6:7], -1, 0
	s_and_b64 s[6:7], s[94:95], s[6:7]
	v_mov_b32_e32 v14, 0
	s_and_saveexec_b64 s[18:19], s[6:7]
	s_cbranch_execz .LBB189_45
; %bb.42:                               ;   in Loop: Header=BB189_39 Depth=2
	s_mov_b64 s[22:23], exec
	v_mbcnt_lo_u32_b32 v14, s22, 0
	v_mbcnt_hi_u32_b32 v14, s23, v14
	s_bcnt1_i32_b64 s25, s[14:15]
	v_cmp_eq_u32_e64 s[6:7], 0, v14
                                        ; implicit-def: $vgpr15
	s_and_saveexec_b64 s[20:21], s[6:7]
	s_cbranch_execz .LBB189_44
; %bb.43:                               ;   in Loop: Header=BB189_39 Depth=2
	s_bcnt1_i32_b64 s6, s[22:23]
	s_mul_i32 s6, s25, s6
	v_mov_b32_e32 v15, s6
	ds_add_rtn_u32 v15, v21, v15 offset:5144
.LBB189_44:                             ;   in Loop: Header=BB189_39 Depth=2
	s_or_b64 exec, exec, s[20:21]
	s_waitcnt lgkmcnt(0)
	v_readfirstlane_b32 s6, v15
	v_mov_b32_e32 v15, s6
	v_mad_u32_u24 v14, s25, v14, v15
.LBB189_45:                             ;   in Loop: Header=BB189_39 Depth=2
	s_or_b64 exec, exec, s[18:19]
	ds_bpermute_b32 v14, v54, v14
	s_and_b64 s[6:7], exec, vcc
	s_or_b64 s[16:17], s[6:7], s[16:17]
	s_and_saveexec_b64 s[6:7], s[14:15]
	s_cbranch_execz .LBB189_38
; %bb.46:                               ;   in Loop: Header=BB189_39 Depth=2
	v_and_b32_e32 v20, s14, v16
	v_and_b32_e32 v15, s15, v17
	v_bcnt_u32_b32 v20, v20, 0
	v_bcnt_u32_b32 v15, v15, v20
	v_lshlrev_b32_e32 v15, 3, v15
	s_waitcnt lgkmcnt(0)
	v_lshl_add_u32 v14, v14, 3, v15
	ds_write_b64 v14, v[4:5]
	s_branch .LBB189_38
.LBB189_47:                             ;   in Loop: Header=BB189_31 Depth=1
	s_mov_b64 s[68:69], -1
	s_mov_b64 s[0:1], 0
.LBB189_48:                             ;   in Loop: Header=BB189_31 Depth=1
	s_and_b64 vcc, exec, s[68:69]
	s_cbranch_vccz .LBB189_59
.LBB189_49:                             ;   in Loop: Header=BB189_31 Depth=1
	s_waitcnt vmcnt(0)
	v_pk_mov_b32 v[4:5], 0, 0
	s_mov_b64 s[0:1], exec
	v_readlane_b32 s6, v73, 22
	v_readlane_b32 s7, v73, 23
	s_and_b64 s[6:7], s[0:1], s[6:7]
	s_mov_b64 exec, s[6:7]
	s_cbranch_execz .LBB189_51
; %bb.50:                               ;   in Loop: Header=BB189_31 Depth=1
	global_load_dwordx2 v[4:5], v[18:19], off
.LBB189_51:                             ;   in Loop: Header=BB189_31 Depth=1
	s_or_b64 exec, exec, s[0:1]
	s_mov_b64 s[0:1], exec
	v_readlane_b32 s6, v73, 22
	v_readlane_b32 s7, v73, 23
	s_and_b64 s[6:7], s[0:1], s[6:7]
	s_mov_b64 exec, s[6:7]
	s_cbranch_execz .LBB189_56
; %bb.52:                               ;   in Loop: Header=BB189_31 Depth=1
	v_readlane_b32 s6, v73, 33
	v_readlane_b32 s7, v73, 34
	;; [unrolled: 1-line block ×4, first 2 shown]
	s_mov_b64 s[14:15], 0
	v_mov_b32_e32 v14, v57
	s_nop 0
	global_load_ushort v2, v21, s[6:7]
	v_readlane_b32 s6, v73, 40
	v_readlane_b32 s7, v73, 41
	v_pk_mov_b32 v[8:9], s[6:7], s[6:7] op_sel:[0,1]
	s_waitcnt vmcnt(0)
	v_readfirstlane_b32 s3, v2
	s_and_b32 s6, 0xffff, s3
	v_add_u32_e32 v11, s6, v0
	s_lshl_b32 s3, s6, 3
	s_mul_i32 s16, s21, s6
	s_mul_hi_u32 s17, s20, s6
	s_mul_i32 s18, s20, s6
	v_mad_u64_u32 v[8:9], s[6:7], s20, v11, v[8:9]
	v_mov_b32_e32 v10, v9
	v_mad_u64_u32 v[10:11], s[6:7], s21, v11, v[10:11]
	s_add_i32 s19, s17, s16
	v_mov_b32_e32 v9, v10
	v_pk_mov_b32 v[10:11], v[0:1], v[0:1] op_sel:[0,1]
	s_branch .LBB189_54
.LBB189_53:                             ;   in Loop: Header=BB189_54 Depth=2
	s_or_b64 exec, exec, s[16:17]
	s_and_b64 s[6:7], exec, vcc
	ds_write_b64 v14, v[4:5]
	v_mov_b32_e32 v4, s19
	v_add_co_u32_e32 v8, vcc, s18, v8
	s_or_b64 s[14:15], s[6:7], s[14:15]
	v_add_u32_e32 v14, s3, v14
	v_addc_co_u32_e32 v9, vcc, v9, v4, vcc
	s_waitcnt vmcnt(0)
	v_pk_mov_b32 v[4:5], v[12:13], v[12:13] op_sel:[0,1]
	s_andn2_b64 exec, exec, s[14:15]
	s_cbranch_execz .LBB189_56
.LBB189_54:                             ;   Parent Loop BB189_31 Depth=1
                                        ; =>  This Inner Loop Header: Depth=2
	v_add_co_u32_sdwa v10, vcc, v10, v2 dst_sel:DWORD dst_unused:UNUSED_PAD src0_sel:DWORD src1_sel:WORD_0
	v_addc_co_u32_e32 v11, vcc, 0, v11, vcc
	v_cmp_gt_u64_e64 s[6:7], s[60:61], v[10:11]
	v_cmp_le_u64_e32 vcc, s[60:61], v[10:11]
	v_pk_mov_b32 v[12:13], 0, 0
	s_and_saveexec_b64 s[16:17], s[6:7]
	s_cbranch_execz .LBB189_53
; %bb.55:                               ;   in Loop: Header=BB189_54 Depth=2
	global_load_dwordx2 v[12:13], v[8:9], off
	s_branch .LBB189_53
.LBB189_56:                             ;   in Loop: Header=BB189_31 Depth=1
	s_or_b64 exec, exec, s[0:1]
	s_waitcnt lgkmcnt(0)
	s_barrier
	s_mov_b64 s[0:1], exec
	v_readlane_b32 s6, v73, 10
	v_readlane_b32 s7, v73, 11
	s_and_b64 s[6:7], s[0:1], s[6:7]
	s_mov_b64 exec, s[6:7]
	s_cbranch_execz .LBB189_58
; %bb.57:                               ;   in Loop: Header=BB189_31 Depth=1
	s_waitcnt vmcnt(0)
	v_pk_mov_b32 v[4:5], s[60:61], s[60:61] op_sel:[0,1]
	ds_write_b64 v21, v[4:5] offset:5120
.LBB189_58:                             ;   in Loop: Header=BB189_31 Depth=1
	s_or_b64 exec, exec, s[0:1]
	s_mov_b64 s[0:1], -1
	s_waitcnt lgkmcnt(0)
	s_barrier
                                        ; implicit-def: $sgpr68_sgpr69
.LBB189_59:                             ;   in Loop: Header=BB189_31 Depth=1
	s_and_b64 vcc, exec, s[0:1]
	s_cbranch_vccz .LBB189_61
; %bb.60:                               ;   in Loop: Header=BB189_31 Depth=1
	s_waitcnt vmcnt(0)
	ds_read_b64 v[4:5], v21 offset:5120
	s_waitcnt lgkmcnt(0)
	v_readfirstlane_b32 s68, v4
.LBB189_61:                             ;   in Loop: Header=BB189_31 Depth=1
	v_writelane_b32 v73, s26, 52
	v_writelane_b32 v73, s27, 53
	;; [unrolled: 1-line block ×8, first 2 shown]
	s_cmp_lt_i32 s68, 1
	v_writelane_b32 v73, s36, 60
	v_writelane_b32 v73, s37, 61
	s_cbranch_scc0 .LBB189_76
; %bb.62:                               ;   in Loop: Header=BB189_31 Depth=1
	v_readlane_b32 s0, v73, 33
	v_readlane_b32 s1, v73, 34
	s_nop 4
	global_load_ushort v2, v21, s[0:1]
	s_mov_b32 s0, s87
	s_waitcnt vmcnt(0)
	v_readfirstlane_b32 s1, v2
	s_and_b32 s69, s1, 0xffff
	s_lshl_b32 s86, s69, 2
	s_mov_b32 s1, s61
	s_cmp_lg_u64 s[0:1], 0
	s_cbranch_scc0 .LBB189_96
; %bb.63:                               ;   in Loop: Header=BB189_31 Depth=1
	v_cvt_f32_u32_e32 v2, s86
	s_sub_u32 s0, 0, s86
	s_subb_u32 s1, 0, 0
	v_mac_f32_e32 v2, 0, v61
	v_rcp_f32_e32 v2, v2
	v_mul_f32_e32 v2, 0x5f7ffffc, v2
	v_mul_f32_e32 v4, 0x2f800000, v2
	v_trunc_f32_e32 v4, v4
	v_mac_f32_e32 v2, 0xcf800000, v4
	v_cvt_u32_f32_e32 v4, v4
	v_cvt_u32_f32_e32 v2, v2
	v_readfirstlane_b32 s3, v4
	v_readfirstlane_b32 s6, v2
	s_mul_i32 s7, s0, s3
	s_mul_hi_u32 s15, s0, s6
	s_mul_i32 s14, s1, s6
	s_add_i32 s7, s15, s7
	s_mul_i32 s16, s0, s6
	s_add_i32 s7, s7, s14
	s_mul_hi_u32 s15, s6, s16
	s_mul_hi_u32 s14, s6, s7
	s_mul_i32 s6, s6, s7
	s_add_u32 s6, s15, s6
	s_addc_u32 s14, 0, s14
	s_mul_hi_u32 s17, s3, s16
	s_mul_i32 s16, s3, s16
	s_add_u32 s6, s6, s16
	s_mul_hi_u32 s15, s3, s7
	s_addc_u32 s6, s14, s17
	s_addc_u32 s14, s15, 0
	s_mul_i32 s7, s3, s7
	s_add_u32 s6, s6, s7
	s_addc_u32 s7, 0, s14
	v_add_co_u32_e32 v2, vcc, s6, v2
	s_cmp_lg_u64 vcc, 0
	s_addc_u32 s3, s3, s7
	v_readfirstlane_b32 s7, v2
	s_mul_i32 s6, s0, s3
	s_mul_hi_u32 s14, s0, s7
	s_add_i32 s6, s14, s6
	s_mul_i32 s1, s1, s7
	s_add_i32 s6, s6, s1
	s_mul_i32 s0, s0, s7
	s_mul_hi_u32 s14, s3, s0
	s_mul_i32 s15, s3, s0
	s_mul_i32 s17, s7, s6
	s_mul_hi_u32 s0, s7, s0
	s_mul_hi_u32 s16, s7, s6
	s_add_u32 s0, s0, s17
	s_addc_u32 s7, 0, s16
	s_add_u32 s0, s0, s15
	s_mul_hi_u32 s1, s3, s6
	s_addc_u32 s0, s7, s14
	s_addc_u32 s1, s1, 0
	s_mul_i32 s6, s3, s6
	s_add_u32 s0, s0, s6
	s_addc_u32 s1, 0, s1
	v_add_co_u32_e32 v2, vcc, s0, v2
	s_cmp_lg_u64 vcc, 0
	s_addc_u32 s0, s3, s1
	v_readfirstlane_b32 s6, v2
	s_mul_i32 s3, s60, s0
	s_mul_hi_u32 s7, s60, s6
	s_mul_hi_u32 s1, s60, s0
	s_add_u32 s3, s7, s3
	s_addc_u32 s1, 0, s1
	s_mul_hi_u32 s14, s61, s6
	s_mul_i32 s6, s61, s6
	s_add_u32 s3, s3, s6
	s_mul_hi_u32 s7, s61, s0
	s_addc_u32 s1, s1, s14
	s_addc_u32 s3, s7, 0
	s_mul_i32 s0, s61, s0
	s_add_u32 s0, s1, s0
	s_addc_u32 s1, 0, s3
	s_mul_hi_u32 s3, s86, s0
	s_mul_i32 s0, s86, s0
	s_mul_i32 s1, s86, s1
	v_mov_b32_e32 v2, s0
	s_add_i32 s3, s3, s1
	v_sub_co_u32_e32 v2, vcc, s60, v2
	s_cmp_lg_u64 vcc, 0
	s_subb_u32 s0, s61, s3
	v_subrev_co_u32_e32 v4, vcc, s86, v2
	s_cmp_lg_u64 vcc, 0
	s_subb_u32 s1, s0, 0
	v_subrev_co_u32_e32 v5, vcc, s86, v4
	s_cmp_lg_u64 vcc, 0
	s_subb_u32 s3, s1, 0
	v_cmp_le_u32_e32 vcc, s86, v4
	s_cmp_eq_u32 s1, 0
	v_cndmask_b32_e64 v8, 0, -1, vcc
	s_cselect_b64 vcc, -1, 0
	v_cndmask_b32_e32 v8, -1, v8, vcc
	v_mov_b32_e32 v9, s1
	v_mov_b32_e32 v10, s3
	v_cmp_ne_u32_e32 vcc, 0, v8
	v_cndmask_b32_e32 v8, v9, v10, vcc
	v_cndmask_b32_e32 v4, v4, v5, vcc
	v_cmp_le_u32_e32 vcc, s86, v2
	s_cmp_eq_u32 s0, 0
	v_cndmask_b32_e64 v5, 0, -1, vcc
	s_cselect_b64 vcc, -1, 0
	v_cndmask_b32_e32 v5, -1, v5, vcc
	v_mov_b32_e32 v9, s0
	v_cmp_ne_u32_e32 vcc, 0, v5
	v_cndmask_b32_e32 v5, v9, v8, vcc
	v_cndmask_b32_e32 v4, v2, v4, vcc
	s_mov_b32 s5, s91
	s_mov_b32 s4, s90
	s_cbranch_execnz .LBB189_65
.LBB189_64:                             ;   in Loop: Header=BB189_31 Depth=1
	v_cvt_f32_u32_e32 v2, s86
	s_sub_i32 s0, 0, s86
	v_rcp_iflag_f32_e32 v2, v2
	v_mul_f32_e32 v2, 0x4f7ffffe, v2
	v_cvt_u32_f32_e32 v2, v2
	v_mul_lo_u32 v4, s0, v2
	v_mul_hi_u32 v4, v2, v4
	v_add_u32_e32 v2, v2, v4
	v_mul_hi_u32 v2, s60, v2
	v_mul_lo_u32 v2, v2, s86
	v_sub_u32_e32 v2, s60, v2
	v_subrev_u32_e32 v4, s86, v2
	v_cmp_le_u32_e32 vcc, s86, v2
	v_cndmask_b32_e32 v2, v2, v4, vcc
	v_subrev_u32_e32 v4, s86, v2
	v_cmp_le_u32_e32 vcc, s86, v2
	v_cndmask_b32_e32 v20, v2, v4, vcc
	v_pk_mov_b32 v[4:5], v[20:21], v[20:21] op_sel:[0,1]
.LBB189_65:                             ;   in Loop: Header=BB189_31 Depth=1
	v_mov_b32_e32 v2, s61
	v_sub_co_u32_e32 v4, vcc, s60, v4
	v_subb_co_u32_e32 v5, vcc, v2, v5, vcc
	v_pk_mov_b32 v[8:9], 0, 0
	v_cmp_gt_u64_e32 vcc, v[4:5], v[22:23]
	s_mov_b64 s[90:91], 0
	v_pk_mov_b32 v[10:11], v[8:9], v[8:9] op_sel:[0,1]
	v_pk_mov_b32 v[12:13], v[8:9], v[8:9] op_sel:[0,1]
	;; [unrolled: 1-line block ×3, first 2 shown]
	s_and_saveexec_b64 s[88:89], vcc
	s_cbranch_execz .LBB189_69
; %bb.66:                               ;   in Loop: Header=BB189_31 Depth=1
	v_readlane_b32 s6, v73, 44
	v_readlane_b32 s7, v73, 45
	s_mul_i32 s0, s7, s69
	s_mul_hi_u32 s1, s6, s69
	s_and_b32 s3, s4, 0xfe
	s_add_i32 s30, s1, s0
	s_mul_i32 s31, s6, s69
	v_pk_mov_b32 v[40:41], v[30:31], v[30:31] op_sel:[0,1]
	v_pk_mov_b32 v[42:43], v[28:29], v[28:29] op_sel:[0,1]
	;; [unrolled: 1-line block ×4, first 2 shown]
	s_mov_b64 s[80:81], 0
	s_mov_b64 s[0:1], 0
	;; [unrolled: 1-line block ×4, first 2 shown]
	v_pk_mov_b32 v[48:49], v[22:23], v[22:23] op_sel:[0,1]
.LBB189_67:                             ;   Parent Loop BB189_31 Depth=1
                                        ; =>  This Inner Loop Header: Depth=2
	v_mov_b32_e32 v2, s73
	v_add_co_u32_e32 v14, vcc, s72, v42
	v_add_co_u32_e64 v50, s[14:15], s72, v44
	v_add_co_u32_e64 v52, s[16:17], s72, v46
	;; [unrolled: 1-line block ×3, first 2 shown]
	v_addc_co_u32_e64 v63, s[22:23], v41, v2, s[22:23]
	v_addc_co_u32_e32 v15, vcc, v43, v2, vcc
	v_addc_co_u32_e64 v51, vcc, v45, v2, s[14:15]
	v_addc_co_u32_e64 v53, vcc, v47, v2, s[16:17]
	global_load_dwordx2 v[62:63], v[62:63], off
	s_nop 0
	global_load_dwordx2 v[14:15], v[14:15], off
	s_nop 0
	;; [unrolled: 2-line block ×3, first 2 shown]
	global_load_dwordx2 v[52:53], v[52:53], off
	v_mov_b32_e32 v8, s30
	v_add_co_u32_e64 v46, s[6:7], s31, v46
	v_add_co_u32_e64 v44, s[18:19], s31, v44
	;; [unrolled: 1-line block ×4, first 2 shown]
	v_addc_co_u32_e64 v47, vcc, v47, v8, s[6:7]
	v_addc_co_u32_e64 v45, vcc, v45, v8, s[18:19]
	;; [unrolled: 1-line block ×4, first 2 shown]
	v_mov_b32_e32 v9, v21
	v_mov_b32_e32 v11, v21
	v_add_co_u32_e64 v48, s[26:27], s86, v48
	v_mov_b32_e32 v13, v21
	v_addc_co_u32_e64 v49, s[26:27], 0, v49, s[26:27]
	v_cmp_ge_u64_e32 vcc, v[48:49], v[4:5]
	s_waitcnt vmcnt(3)
	v_ashrrev_i32_e32 v2, 31, v63
	s_waitcnt vmcnt(2)
	v_ashrrev_i32_e32 v8, 31, v15
	v_xor_b32_e32 v20, v8, v14
	v_cmp_o_f64_e64 s[6:7], v[14:15], v[14:15]
	v_or_b32_e32 v14, 0x80000000, v2
	s_waitcnt vmcnt(1)
	v_ashrrev_i32_e32 v10, 31, v51
	s_waitcnt vmcnt(0)
	v_ashrrev_i32_e32 v12, 31, v53
	v_xor_b32_e32 v2, v2, v62
	v_or_b32_e32 v8, 0x80000000, v8
	v_cmp_o_f64_e64 s[18:19], v[62:63], v[62:63]
	v_xor_b32_e32 v63, v14, v63
	v_xor_b32_e32 v64, v10, v50
	v_cmp_o_f64_e64 s[14:15], v[50:51], v[50:51]
	v_xor_b32_e32 v65, v12, v52
	v_cmp_o_f64_e64 s[16:17], v[52:53], v[52:53]
	v_or_b32_e32 v10, 0x80000000, v10
	v_xor_b32_e32 v8, v8, v15
	v_cndmask_b32_e64 v14, -1, v2, s[18:19]
	v_cndmask_b32_e64 v15, -1, v63, s[18:19]
	v_or_b32_e32 v12, 0x80000000, v12
	v_xor_b32_e32 v10, v10, v51
	v_cndmask_b32_e64 v50, -1, v20, s[6:7]
	v_cndmask_b32_e64 v52, -1, v64, s[14:15]
	;; [unrolled: 1-line block ×4, first 2 shown]
	v_and_b32_e32 v64, v14, v36
	v_and_b32_e32 v65, v15, v37
	v_lshrrev_b64 v[14:15], s3, v[14:15]
	v_xor_b32_e32 v12, v12, v53
	v_cndmask_b32_e64 v53, -1, v10, s[14:15]
	v_and_b32_e32 v66, v50, v36
	v_and_b32_e32 v67, v51, v37
	v_lshrrev_b64 v[50:51], s3, v[50:51]
	v_and_b32_e32 v20, 3, v14
	v_cndmask_b32_e64 v63, -1, v12, s[16:17]
	v_and_b32_e32 v68, v52, v36
	v_and_b32_e32 v69, v53, v37
	v_lshrrev_b64 v[52:53], s3, v[52:53]
	v_cmp_eq_u64_e64 s[20:21], v[64:65], v[34:35]
	v_and_b32_e32 v8, 3, v50
	v_cmp_eq_u64_e64 s[6:7], 0, v[20:21]
	v_and_b32_e32 v70, v62, v36
	v_and_b32_e32 v71, v63, v37
	v_lshrrev_b64 v[62:63], s3, v[62:63]
	v_cmp_eq_u64_e64 s[18:19], v[66:67], v[34:35]
	v_and_b32_e32 v10, 3, v52
	v_cmp_eq_u64_e64 s[34:35], 0, v[8:9]
	s_and_b64 s[6:7], s[20:21], s[6:7]
	v_cmp_eq_u64_e64 s[16:17], v[68:69], v[34:35]
	v_and_b32_e32 v12, 3, v62
	v_cmp_eq_u64_e64 s[36:37], 0, v[10:11]
	v_cndmask_b32_e64 v2, 0, 1, s[6:7]
	s_and_b64 s[6:7], s[18:19], s[34:35]
	v_cmp_eq_u64_e64 s[14:15], v[70:71], v[34:35]
	v_cmp_eq_u64_e64 s[38:39], 0, v[12:13]
	;; [unrolled: 1-line block ×5, first 2 shown]
	v_cndmask_b32_e64 v8, 0, 1, s[6:7]
	s_and_b64 s[6:7], s[16:17], s[36:37]
	v_cndmask_b32_e64 v9, 0, 1, s[6:7]
	s_and_b64 s[6:7], s[14:15], s[38:39]
	v_cmp_eq_u64_e64 s[44:45], 1, v[10:11]
	v_cmp_eq_u64_e64 s[52:53], 2, v[10:11]
	;; [unrolled: 1-line block ×3, first 2 shown]
	v_cndmask_b32_e64 v10, 0, 1, s[6:7]
	v_cmp_ne_u32_e64 s[6:7], 0, v2
	v_cmp_ne_u32_e64 s[34:35], 0, v8
	;; [unrolled: 1-line block ×4, first 2 shown]
	s_bcnt1_i32_b64 s6, s[6:7]
	s_bcnt1_i32_b64 s7, s[34:35]
	;; [unrolled: 1-line block ×4, first 2 shown]
	s_add_u32 s6, s6, s66
	s_addc_u32 s36, 0, s67
	s_add_u32 s6, s6, s7
	s_addc_u32 s7, s36, 0
	;; [unrolled: 2-line block ×3, first 2 shown]
	v_cmp_eq_u64_e64 s[40:41], 1, v[20:21]
	s_add_u32 s66, s6, s35
	s_addc_u32 s67, s7, 0
	s_and_b64 s[6:7], s[20:21], s[40:41]
	v_cndmask_b32_e64 v2, 0, 1, s[6:7]
	s_and_b64 s[6:7], s[18:19], s[42:43]
	v_cmp_eq_u64_e64 s[46:47], 1, v[12:13]
	v_cndmask_b32_e64 v10, 0, 1, s[6:7]
	s_and_b64 s[6:7], s[16:17], s[44:45]
	v_cndmask_b32_e64 v11, 0, 1, s[6:7]
	s_and_b64 s[6:7], s[14:15], s[46:47]
	v_cmp_eq_u64_e64 s[54:55], 2, v[12:13]
	v_cmp_eq_u64_e64 s[22:23], 3, v[12:13]
	v_cndmask_b32_e64 v12, 0, 1, s[6:7]
	v_cmp_ne_u32_e64 s[6:7], 0, v2
	v_cmp_ne_u32_e64 s[34:35], 0, v10
	;; [unrolled: 1-line block ×4, first 2 shown]
	s_bcnt1_i32_b64 s6, s[6:7]
	s_bcnt1_i32_b64 s7, s[34:35]
	s_bcnt1_i32_b64 s34, s[36:37]
	s_bcnt1_i32_b64 s35, s[38:39]
	s_add_u32 s6, s6, s94
	s_addc_u32 s36, 0, s95
	s_add_u32 s6, s6, s7
	s_addc_u32 s7, s36, 0
	;; [unrolled: 2-line block ×3, first 2 shown]
	v_cmp_eq_u64_e64 s[48:49], 2, v[20:21]
	s_add_u32 s94, s6, s35
	s_addc_u32 s95, s7, 0
	s_and_b64 s[6:7], s[20:21], s[48:49]
	v_cndmask_b32_e64 v2, 0, 1, s[6:7]
	s_and_b64 s[6:7], s[18:19], s[50:51]
	v_cndmask_b32_e64 v12, 0, 1, s[6:7]
	;; [unrolled: 2-line block ×4, first 2 shown]
	v_cmp_ne_u32_e64 s[6:7], 0, v2
	v_cmp_ne_u32_e64 s[34:35], 0, v12
	v_cmp_ne_u32_e64 s[36:37], 0, v13
	v_cmp_ne_u32_e64 s[38:39], 0, v14
	s_bcnt1_i32_b64 s6, s[6:7]
	s_bcnt1_i32_b64 s7, s[34:35]
	;; [unrolled: 1-line block ×4, first 2 shown]
	s_add_u32 s0, s6, s0
	s_addc_u32 s1, 0, s1
	s_add_u32 s0, s0, s7
	s_addc_u32 s1, s1, 0
	;; [unrolled: 2-line block ×3, first 2 shown]
	v_cmp_eq_u64_e64 s[28:29], 3, v[20:21]
	s_add_u32 s0, s0, s35
	s_addc_u32 s1, s1, 0
	s_and_b64 s[6:7], s[20:21], s[28:29]
	v_cndmask_b32_e64 v2, 0, 1, s[6:7]
	s_and_b64 s[6:7], s[18:19], s[26:27]
	v_cndmask_b32_e64 v14, 0, 1, s[6:7]
	;; [unrolled: 2-line block ×4, first 2 shown]
	v_cmp_ne_u32_e64 s[6:7], 0, v2
	v_cmp_ne_u32_e64 s[14:15], 0, v14
	v_cmp_ne_u32_e64 s[16:17], 0, v15
	v_cmp_ne_u32_e64 s[18:19], 0, v20
	s_bcnt1_i32_b64 s6, s[6:7]
	s_bcnt1_i32_b64 s7, s[14:15]
	;; [unrolled: 1-line block ×4, first 2 shown]
	s_add_u32 s6, s6, s80
	s_addc_u32 s16, 0, s81
	s_add_u32 s6, s6, s7
	s_addc_u32 s7, s16, 0
	;; [unrolled: 2-line block ×4, first 2 shown]
	v_pk_mov_b32 v[8:9], s[66:67], s[66:67] op_sel:[0,1]
	v_pk_mov_b32 v[10:11], s[94:95], s[94:95] op_sel:[0,1]
	;; [unrolled: 1-line block ×3, first 2 shown]
	s_or_b64 s[90:91], vcc, s[90:91]
	v_pk_mov_b32 v[14:15], s[80:81], s[80:81] op_sel:[0,1]
	s_andn2_b64 exec, exec, s[90:91]
	s_cbranch_execnz .LBB189_67
; %bb.68:                               ;   in Loop: Header=BB189_31 Depth=1
	s_or_b64 exec, exec, s[90:91]
	v_readlane_b32 s94, v73, 50
	v_readlane_b32 s95, v73, 51
.LBB189_69:                             ;   in Loop: Header=BB189_31 Depth=1
	s_or_b64 exec, exec, s[88:89]
	v_add_co_u32_e32 v4, vcc, v4, v0
	v_addc_co_u32_e32 v5, vcc, 0, v5, vcc
	s_mov_b32 s91, s5
	v_cmp_gt_u64_e32 vcc, s[60:61], v[4:5]
	v_pk_mov_b32 v[40:41], 0, 0
	s_and_saveexec_b64 s[0:1], vcc
	s_mov_b32 s90, s4
	s_cbranch_execz .LBB189_71
; %bb.70:                               ;   in Loop: Header=BB189_31 Depth=1
	v_mul_lo_u32 v2, v5, s58
	v_mul_lo_u32 v20, v4, s59
	v_mad_u64_u32 v[40:41], s[6:7], v4, s58, 0
	v_add3_u32 v41, v41, v20, v2
	v_lshlrev_b64 v[40:41], 3, v[40:41]
	v_mov_b32_e32 v2, s12
	v_add_co_u32_e64 v40, s[6:7], s93, v40
	v_addc_co_u32_e64 v41, s[6:7], v2, v41, s[6:7]
	global_load_dwordx2 v[40:41], v[40:41], off
.LBB189_71:                             ;   in Loop: Header=BB189_31 Depth=1
	s_or_b64 exec, exec, s[0:1]
	s_and_saveexec_b64 s[0:1], vcc
	s_cbranch_execz .LBB189_78
; %bb.72:                               ;   in Loop: Header=BB189_31 Depth=1
	s_and_b32 s3, s90, 0xfe
	s_mov_b64 s[14:15], 0
	s_branch .LBB189_74
.LBB189_73:                             ;   in Loop: Header=BB189_74 Depth=2
	s_or_b64 exec, exec, s[16:17]
	s_waitcnt vmcnt(0)
	v_ashrrev_i32_e32 v2, 31, v41
	v_or_b32_e32 v20, 0x80000000, v2
	s_and_b64 s[6:7], exec, vcc
	v_xor_b32_e32 v20, v20, v41
	v_xor_b32_e32 v2, v2, v40
	v_cmp_o_f64_e32 vcc, v[40:41], v[40:41]
	v_cndmask_b32_e32 v41, -1, v20, vcc
	v_cndmask_b32_e32 v40, -1, v2, vcc
	v_and_b32_e32 v45, v41, v37
	v_and_b32_e32 v44, v40, v36
	v_lshrrev_b64 v[40:41], s3, v[40:41]
	v_and_b32_e32 v20, 3, v40
	s_or_b64 s[14:15], s[6:7], s[14:15]
	v_cmp_eq_u64_e32 vcc, v[44:45], v[34:35]
	v_cmp_eq_u64_e64 s[6:7], 0, v[20:21]
	s_and_b64 s[6:7], vcc, s[6:7]
	v_cndmask_b32_e64 v2, 0, 1, s[6:7]
	v_cmp_ne_u32_e64 s[6:7], 0, v2
	s_bcnt1_i32_b64 s6, s[6:7]
	v_add_co_u32_e64 v8, s[6:7], s6, v8
	v_addc_co_u32_e64 v9, s[6:7], 0, v9, s[6:7]
	v_cmp_eq_u64_e64 s[6:7], 1, v[20:21]
	s_and_b64 s[6:7], vcc, s[6:7]
	v_cndmask_b32_e64 v2, 0, 1, s[6:7]
	v_cmp_ne_u32_e64 s[6:7], 0, v2
	s_bcnt1_i32_b64 s6, s[6:7]
	v_add_co_u32_e64 v10, s[6:7], s6, v10
	v_addc_co_u32_e64 v11, s[6:7], 0, v11, s[6:7]
	;; [unrolled: 7-line block ×3, first 2 shown]
	v_cmp_eq_u64_e64 s[6:7], 3, v[20:21]
	s_and_b64 s[6:7], vcc, s[6:7]
	v_cndmask_b32_e64 v2, 0, 1, s[6:7]
	v_cmp_ne_u32_e32 vcc, 0, v2
	s_bcnt1_i32_b64 s6, vcc
	v_add_co_u32_e32 v14, vcc, s6, v14
	v_addc_co_u32_e32 v15, vcc, 0, v15, vcc
	v_pk_mov_b32 v[40:41], v[42:43], v[42:43] op_sel:[0,1]
	s_andn2_b64 exec, exec, s[14:15]
	s_cbranch_execz .LBB189_77
.LBB189_74:                             ;   Parent Loop BB189_31 Depth=1
                                        ; =>  This Inner Loop Header: Depth=2
	v_mov_b32_e32 v2, s87
	v_add_co_u32_e32 v4, vcc, s69, v4
	v_addc_co_u32_e32 v5, vcc, v5, v2, vcc
	v_cmp_gt_u64_e64 s[6:7], s[60:61], v[4:5]
	v_cmp_le_u64_e32 vcc, s[60:61], v[4:5]
	v_pk_mov_b32 v[42:43], 0, 0
	s_and_saveexec_b64 s[16:17], s[6:7]
	s_cbranch_execz .LBB189_73
; %bb.75:                               ;   in Loop: Header=BB189_74 Depth=2
	v_mul_lo_u32 v2, v5, s58
	v_mul_lo_u32 v20, v4, s59
	v_mad_u64_u32 v[42:43], s[6:7], v4, s58, 0
	v_add3_u32 v43, v43, v20, v2
	v_lshlrev_b64 v[42:43], 3, v[42:43]
	v_mov_b32_e32 v2, s12
	v_add_co_u32_e64 v42, s[6:7], s93, v42
	v_addc_co_u32_e64 v43, s[6:7], v2, v43, s[6:7]
	global_load_dwordx2 v[42:43], v[42:43], off
	s_branch .LBB189_73
.LBB189_76:                             ;   in Loop: Header=BB189_31 Depth=1
                                        ; implicit-def: $vgpr14_vgpr15
                                        ; implicit-def: $vgpr10_vgpr11
	s_cbranch_execnz .LBB189_79
	s_branch .LBB189_88
.LBB189_77:                             ;   in Loop: Header=BB189_31 Depth=1
	s_or_b64 exec, exec, s[14:15]
.LBB189_78:                             ;   in Loop: Header=BB189_31 Depth=1
	s_or_b64 exec, exec, s[0:1]
	s_branch .LBB189_88
.LBB189_79:                             ;   in Loop: Header=BB189_31 Depth=1
	v_readlane_b32 s0, v73, 33
	v_readlane_b32 s1, v73, 34
	v_pk_mov_b32 v[8:9], 0, 0
	s_mov_b64 s[80:81], 0
	v_pk_mov_b32 v[10:11], v[8:9], v[8:9] op_sel:[0,1]
	v_pk_mov_b32 v[12:13], v[8:9], v[8:9] op_sel:[0,1]
	;; [unrolled: 1-line block ×3, first 2 shown]
	global_load_ushort v2, v21, s[0:1]
	s_waitcnt vmcnt(0)
	v_readfirstlane_b32 s0, v2
	s_and_b32 s0, 0xffff, s0
	s_lshl_b32 s69, s0, 2
	v_cvt_f32_u32_e32 v4, s69
	s_sub_i32 s0, 0, s69
	v_and_b32_e32 v2, 0xffff, v2
	v_rcp_iflag_f32_e32 v4, v4
	v_mul_f32_e32 v4, 0x4f7ffffe, v4
	v_cvt_u32_f32_e32 v4, v4
	v_readfirstlane_b32 s1, v4
	s_mul_i32 s0, s0, s1
	s_mul_hi_u32 s0, s1, s0
	s_add_i32 s1, s1, s0
	s_mul_hi_u32 s0, s68, s1
	s_mul_i32 s0, s0, s69
	s_sub_i32 s0, s68, s0
	s_sub_i32 s1, s0, s69
	s_cmp_ge_u32 s0, s69
	s_cselect_b32 s0, s1, s0
	s_sub_i32 s1, s0, s69
	s_cmp_ge_u32 s0, s69
	s_cselect_b32 s0, s1, s0
	s_sub_i32 s86, s68, s0
	v_cmp_gt_u32_e32 vcc, s86, v22
	s_and_saveexec_b64 s[0:1], vcc
	s_cbranch_execz .LBB189_83
; %bb.80:                               ;   in Loop: Header=BB189_31 Depth=1
	s_mov_b32 s5, s91
	s_mov_b32 s4, s90
	s_and_b32 s3, s90, 0xfe
	v_lshlrev_b32_e32 v46, 5, v2
	v_mov_b32_e32 v47, v59
	s_mov_b64 s[66:67], 0
	s_mov_b64 s[88:89], 0
	;; [unrolled: 1-line block ×4, first 2 shown]
	v_pk_mov_b32 v[4:5], v[22:23], v[22:23] op_sel:[0,1]
.LBB189_81:                             ;   Parent Loop BB189_31 Depth=1
                                        ; =>  This Inner Loop Header: Depth=2
	ds_read_b128 v[12:15], v47
	ds_read_b128 v[8:11], v47 offset:16
	v_mov_b32_e32 v41, v21
	v_mov_b32_e32 v43, v21
	;; [unrolled: 1-line block ×3, first 2 shown]
	s_waitcnt lgkmcnt(1)
	v_ashrrev_i32_e32 v20, 31, v13
	v_ashrrev_i32_e32 v40, 31, v15
	s_waitcnt lgkmcnt(0)
	v_ashrrev_i32_e32 v42, 31, v9
	v_ashrrev_i32_e32 v44, 31, v11
	v_xor_b32_e32 v48, v40, v14
	v_cmp_o_f64_e64 s[6:7], v[14:15], v[14:15]
	v_xor_b32_e32 v14, v42, v8
	v_cmp_o_f64_e64 s[14:15], v[8:9], v[8:9]
	v_or_b32_e32 v8, 0x80000000, v20
	v_xor_b32_e32 v49, v44, v10
	v_cmp_o_f64_e64 s[16:17], v[10:11], v[10:11]
	v_xor_b32_e32 v10, v20, v12
	v_or_b32_e32 v20, 0x80000000, v40
	v_or_b32_e32 v40, 0x80000000, v42
	v_cmp_o_f64_e64 s[18:19], v[12:13], v[12:13]
	v_xor_b32_e32 v13, v8, v13
	v_or_b32_e32 v42, 0x80000000, v44
	v_xor_b32_e32 v15, v20, v15
	v_xor_b32_e32 v20, v40, v9
	v_cndmask_b32_e64 v8, -1, v10, s[18:19]
	v_cndmask_b32_e64 v9, -1, v13, s[18:19]
	v_xor_b32_e32 v40, v42, v11
	v_cndmask_b32_e64 v10, -1, v48, s[6:7]
	v_cndmask_b32_e64 v12, -1, v14, s[14:15]
	;; [unrolled: 1-line block ×4, first 2 shown]
	v_and_b32_e32 v48, v8, v36
	v_and_b32_e32 v49, v9, v37
	v_lshrrev_b64 v[8:9], s3, v[8:9]
	v_cndmask_b32_e64 v13, -1, v20, s[14:15]
	v_and_b32_e32 v50, v10, v36
	v_and_b32_e32 v51, v11, v37
	v_lshrrev_b64 v[10:11], s3, v[10:11]
	v_and_b32_e32 v20, 3, v8
	v_cndmask_b32_e64 v15, -1, v40, s[16:17]
	v_and_b32_e32 v52, v12, v36
	v_and_b32_e32 v53, v13, v37
	v_lshrrev_b64 v[12:13], s3, v[12:13]
	v_cmp_eq_u64_e64 s[20:21], v[48:49], v[34:35]
	v_and_b32_e32 v40, 3, v10
	v_cmp_eq_u64_e64 s[6:7], 0, v[20:21]
	v_and_b32_e32 v62, v14, v36
	v_and_b32_e32 v63, v15, v37
	v_lshrrev_b64 v[14:15], s3, v[14:15]
	v_cmp_eq_u64_e64 s[18:19], v[50:51], v[34:35]
	v_and_b32_e32 v42, 3, v12
	v_cmp_eq_u64_e64 s[34:35], 0, v[40:41]
	s_and_b64 s[6:7], s[20:21], s[6:7]
	v_cmp_eq_u64_e64 s[16:17], v[52:53], v[34:35]
	v_and_b32_e32 v44, 3, v14
	v_cmp_eq_u64_e64 s[36:37], 0, v[42:43]
	v_cndmask_b32_e64 v8, 0, 1, s[6:7]
	s_and_b64 s[6:7], s[18:19], s[34:35]
	v_cmp_eq_u64_e64 s[14:15], v[62:63], v[34:35]
	v_cmp_eq_u64_e64 s[38:39], 0, v[44:45]
	v_cndmask_b32_e64 v9, 0, 1, s[6:7]
	s_and_b64 s[6:7], s[16:17], s[36:37]
	v_cndmask_b32_e64 v10, 0, 1, s[6:7]
	s_and_b64 s[6:7], s[14:15], s[38:39]
	v_cndmask_b32_e64 v11, 0, 1, s[6:7]
	v_cmp_ne_u32_e64 s[6:7], 0, v8
	v_cmp_ne_u32_e64 s[34:35], 0, v9
	v_cmp_ne_u32_e64 s[36:37], 0, v10
	v_cmp_ne_u32_e64 s[38:39], 0, v11
	s_bcnt1_i32_b64 s6, s[6:7]
	s_bcnt1_i32_b64 s7, s[34:35]
	s_bcnt1_i32_b64 s30, s[36:37]
	s_bcnt1_i32_b64 s31, s[38:39]
	s_add_u32 s6, s6, s94
	s_addc_u32 s34, 0, s95
	s_add_u32 s6, s6, s7
	s_addc_u32 s7, s34, 0
	s_add_u32 s6, s6, s30
	s_addc_u32 s7, s7, 0
	v_cmp_eq_u64_e64 s[40:41], 1, v[20:21]
	s_add_u32 s94, s6, s31
	v_cmp_eq_u64_e64 s[42:43], 1, v[40:41]
	s_addc_u32 s95, s7, 0
	s_and_b64 s[6:7], s[20:21], s[40:41]
	v_cmp_eq_u64_e64 s[44:45], 1, v[42:43]
	v_cndmask_b32_e64 v10, 0, 1, s[6:7]
	s_and_b64 s[6:7], s[18:19], s[42:43]
	v_cmp_eq_u64_e64 s[46:47], 1, v[44:45]
	v_cndmask_b32_e64 v11, 0, 1, s[6:7]
	s_and_b64 s[6:7], s[16:17], s[44:45]
	v_cndmask_b32_e64 v12, 0, 1, s[6:7]
	s_and_b64 s[6:7], s[14:15], s[46:47]
	v_cndmask_b32_e64 v13, 0, 1, s[6:7]
	v_cmp_ne_u32_e64 s[6:7], 0, v10
	v_cmp_ne_u32_e64 s[34:35], 0, v11
	v_cmp_ne_u32_e64 s[36:37], 0, v12
	v_cmp_ne_u32_e64 s[38:39], 0, v13
	s_bcnt1_i32_b64 s6, s[6:7]
	s_bcnt1_i32_b64 s7, s[34:35]
	s_bcnt1_i32_b64 s30, s[36:37]
	s_bcnt1_i32_b64 s31, s[38:39]
	s_add_u32 s6, s6, s90
	s_addc_u32 s34, 0, s91
	s_add_u32 s6, s6, s7
	s_addc_u32 s7, s34, 0
	s_add_u32 s6, s6, s30
	s_addc_u32 s7, s7, 0
	v_cmp_eq_u64_e64 s[48:49], 2, v[20:21]
	s_add_u32 s90, s6, s31
	v_cmp_eq_u64_e64 s[50:51], 2, v[40:41]
	s_addc_u32 s91, s7, 0
	s_and_b64 s[6:7], s[20:21], s[48:49]
	v_cmp_eq_u64_e64 s[52:53], 2, v[42:43]
	v_cndmask_b32_e64 v12, 0, 1, s[6:7]
	s_and_b64 s[6:7], s[18:19], s[50:51]
	;; [unrolled: 28-line block ×3, first 2 shown]
	v_cmp_eq_u64_e64 s[22:23], 3, v[44:45]
	v_cndmask_b32_e64 v15, 0, 1, s[6:7]
	s_and_b64 s[6:7], s[16:17], s[24:25]
	v_cndmask_b32_e64 v20, 0, 1, s[6:7]
	s_and_b64 s[6:7], s[14:15], s[22:23]
	v_cndmask_b32_e64 v40, 0, 1, s[6:7]
	v_cmp_ne_u32_e64 s[6:7], 0, v14
	v_cmp_ne_u32_e64 s[14:15], 0, v15
	;; [unrolled: 1-line block ×4, first 2 shown]
	s_bcnt1_i32_b64 s6, s[6:7]
	s_bcnt1_i32_b64 s7, s[14:15]
	;; [unrolled: 1-line block ×4, first 2 shown]
	s_add_u32 s6, s6, s66
	s_addc_u32 s16, 0, s67
	s_add_u32 s6, s6, s7
	s_addc_u32 s7, s16, 0
	s_add_u32 s6, s6, s14
	v_add_co_u32_e32 v4, vcc, s69, v4
	s_addc_u32 s7, s7, 0
	v_addc_co_u32_e32 v5, vcc, 0, v5, vcc
	s_add_u32 s66, s6, s15
	v_cmp_le_u64_e32 vcc, s[86:87], v[4:5]
	s_addc_u32 s67, s7, 0
	v_add_u32_e32 v47, v47, v46
	v_pk_mov_b32 v[8:9], s[94:95], s[94:95] op_sel:[0,1]
	v_pk_mov_b32 v[10:11], s[90:91], s[90:91] op_sel:[0,1]
	;; [unrolled: 1-line block ×3, first 2 shown]
	s_or_b64 s[80:81], vcc, s[80:81]
	v_pk_mov_b32 v[14:15], s[66:67], s[66:67] op_sel:[0,1]
	s_andn2_b64 exec, exec, s[80:81]
	s_cbranch_execnz .LBB189_81
; %bb.82:                               ;   in Loop: Header=BB189_31 Depth=1
	s_or_b64 exec, exec, s[80:81]
	v_readlane_b32 s94, v73, 50
	v_readlane_b32 s95, v73, 51
	s_mov_b32 s90, s4
	s_mov_b32 s91, s5
.LBB189_83:                             ;   in Loop: Header=BB189_31 Depth=1
	s_or_b64 exec, exec, s[0:1]
	v_add_u32_e32 v20, s86, v0
	v_cmp_gt_u32_e32 vcc, s68, v20
	s_and_saveexec_b64 s[0:1], vcc
	s_cbranch_execz .LBB189_87
; %bb.84:                               ;   in Loop: Header=BB189_31 Depth=1
	s_and_b32 s86, s68, 0x7fffffff
	s_and_b32 s3, s90, 0xfe
	v_lshlrev_b32_e32 v40, 3, v20
	v_lshlrev_b32_e32 v41, 3, v2
	s_mov_b64 s[22:23], 0
	v_pk_mov_b32 v[4:5], v[20:21], v[20:21] op_sel:[0,1]
.LBB189_85:                             ;   Parent Loop BB189_31 Depth=1
                                        ; =>  This Inner Loop Header: Depth=2
	ds_read_b64 v[42:43], v40
	v_add_co_u32_e32 v4, vcc, v4, v2
	v_addc_co_u32_e32 v5, vcc, 0, v5, vcc
	s_waitcnt lgkmcnt(0)
	v_ashrrev_i32_e32 v20, 31, v43
	v_or_b32_e32 v44, 0x80000000, v20
	v_xor_b32_e32 v20, v20, v42
	v_cmp_o_f64_e64 s[6:7], v[42:43], v[42:43]
	v_xor_b32_e32 v43, v44, v43
	v_cndmask_b32_e64 v42, -1, v20, s[6:7]
	v_cndmask_b32_e64 v43, -1, v43, s[6:7]
	v_and_b32_e32 v44, v42, v36
	v_and_b32_e32 v45, v43, v37
	v_lshrrev_b64 v[42:43], s3, v[42:43]
	v_and_b32_e32 v20, 3, v42
	v_cmp_eq_u64_e64 s[6:7], v[44:45], v[34:35]
	v_cmp_eq_u64_e64 s[14:15], 0, v[20:21]
	;; [unrolled: 1-line block ×3, first 2 shown]
	s_and_b64 s[14:15], s[6:7], s[14:15]
	v_cmp_eq_u64_e64 s[18:19], 2, v[20:21]
	v_cmp_eq_u64_e64 s[20:21], 3, v[20:21]
	v_cndmask_b32_e64 v20, 0, 1, s[14:15]
	s_and_b64 s[14:15], s[6:7], s[16:17]
	v_cndmask_b32_e64 v42, 0, 1, s[14:15]
	s_and_b64 s[14:15], s[6:7], s[18:19]
	s_and_b64 s[6:7], s[6:7], s[20:21]
	v_cndmask_b32_e64 v43, 0, 1, s[14:15]
	v_cndmask_b32_e64 v44, 0, 1, s[6:7]
	v_cmp_ne_u32_e64 s[6:7], 0, v20
	v_cmp_ne_u32_e64 s[14:15], 0, v42
	;; [unrolled: 1-line block ×4, first 2 shown]
	v_cmp_le_u64_e32 vcc, s[86:87], v[4:5]
	s_bcnt1_i32_b64 s6, s[6:7]
	s_bcnt1_i32_b64 s7, s[14:15]
	;; [unrolled: 1-line block ×4, first 2 shown]
	s_or_b64 s[22:23], vcc, s[22:23]
	v_add_co_u32_e32 v8, vcc, s6, v8
	v_addc_co_u32_e32 v9, vcc, 0, v9, vcc
	v_add_co_u32_e32 v10, vcc, s7, v10
	v_addc_co_u32_e32 v11, vcc, 0, v11, vcc
	;; [unrolled: 2-line block ×3, first 2 shown]
	v_add_co_u32_e32 v14, vcc, s15, v14
	v_add_u32_e32 v40, v40, v41
	v_addc_co_u32_e32 v15, vcc, 0, v15, vcc
	s_andn2_b64 exec, exec, s[22:23]
	s_cbranch_execnz .LBB189_85
; %bb.86:                               ;   in Loop: Header=BB189_31 Depth=1
	s_or_b64 exec, exec, s[22:23]
.LBB189_87:                             ;   in Loop: Header=BB189_31 Depth=1
	s_or_b64 exec, exec, s[0:1]
.LBB189_88:                             ;   in Loop: Header=BB189_31 Depth=1
	s_lshl_b32 s3, s91, 6
	s_and_saveexec_b64 s[0:1], s[94:95]
	s_cbranch_execz .LBB189_90
; %bb.89:                               ;   in Loop: Header=BB189_31 Depth=1
	v_or_b32_e32 v2, s3, v56
	v_lshlrev_b32_e32 v2, 3, v2
	ds_write_b128 v2, v[8:11] offset:3072
	ds_write_b128 v2, v[12:15] offset:3088
.LBB189_90:                             ;   in Loop: Header=BB189_31 Depth=1
	s_or_b64 exec, exec, s[0:1]
	s_waitcnt lgkmcnt(0)
	s_barrier
	s_mov_b64 s[0:1], exec
	v_readlane_b32 s6, v73, 18
	v_readlane_b32 s7, v73, 19
	s_and_b64 s[6:7], s[0:1], s[6:7]
	s_mov_b64 exec, s[6:7]
	s_cbranch_execz .LBB189_102
; %bb.91:                               ;   in Loop: Header=BB189_31 Depth=1
	v_readlane_b32 s6, v73, 26
	v_readlane_b32 s7, v73, 27
	s_andn2_b64 vcc, exec, s[6:7]
	s_waitcnt vmcnt(0)
	v_pk_mov_b32 v[4:5], 0, 0
	s_cbranch_vccnz .LBB189_101
; %bb.92:                               ;   in Loop: Header=BB189_31 Depth=1
	v_readlane_b32 s6, v73, 35
	v_readlane_b32 s7, v73, 36
	s_andn2_b64 vcc, exec, s[6:7]
	s_cbranch_vccnz .LBB189_97
; %bb.93:                               ;   in Loop: Header=BB189_31 Depth=1
	v_lshl_add_u32 v2, s91, 9, v60
	s_mov_b32 s6, 0
	v_pk_mov_b32 v[4:5], 0, 0
.LBB189_94:                             ;   Parent Loop BB189_31 Depth=1
                                        ; =>  This Inner Loop Header: Depth=2
	ds_read2_b64 v[8:11], v2 offset1:4
	ds_read2_b64 v[12:15], v2 offset0:8 offset1:12
	ds_read2_b64 v[40:43], v2 offset0:16 offset1:20
	;; [unrolled: 1-line block ×3, first 2 shown]
	s_add_i32 s6, s6, 8
	s_waitcnt lgkmcnt(3)
	v_add_co_u32_e32 v4, vcc, v8, v4
	v_addc_co_u32_e32 v5, vcc, v9, v5, vcc
	v_add_co_u32_e32 v4, vcc, v10, v4
	v_addc_co_u32_e32 v5, vcc, v11, v5, vcc
	s_waitcnt lgkmcnt(2)
	v_add_co_u32_e32 v4, vcc, v12, v4
	v_addc_co_u32_e32 v5, vcc, v13, v5, vcc
	v_add_co_u32_e32 v4, vcc, v14, v4
	v_addc_co_u32_e32 v5, vcc, v15, v5, vcc
	;; [unrolled: 5-line block ×3, first 2 shown]
	s_waitcnt lgkmcnt(0)
	v_add_co_u32_e32 v4, vcc, v44, v4
	v_addc_co_u32_e32 v5, vcc, v45, v5, vcc
	v_add_co_u32_e32 v4, vcc, v46, v4
	v_add_u32_e32 v2, 0x100, v2
	s_cmp_eq_u32 s13, s6
	v_addc_co_u32_e32 v5, vcc, v47, v5, vcc
	s_cbranch_scc0 .LBB189_94
; %bb.95:                               ;   in Loop: Header=BB189_31 Depth=1
	s_mov_b32 s6, s13
	s_branch .LBB189_98
.LBB189_96:                             ;   in Loop: Header=BB189_31 Depth=1
                                        ; implicit-def: $vgpr4_vgpr5
	s_mov_b32 s5, s91
	s_mov_b32 s4, s90
	s_branch .LBB189_64
.LBB189_97:                             ;   in Loop: Header=BB189_31 Depth=1
	s_mov_b32 s6, 0
	v_pk_mov_b32 v[4:5], 0, 0
.LBB189_98:                             ;   in Loop: Header=BB189_31 Depth=1
	v_readlane_b32 s14, v73, 38
	v_readlane_b32 s15, v73, 39
	s_andn2_b64 vcc, exec, s[14:15]
	s_cbranch_vccnz .LBB189_101
; %bb.99:                               ;   in Loop: Header=BB189_31 Depth=1
	s_lshl_b32 s7, s91, 9
	s_lshl_b32 s6, s6, 5
	s_add_i32 s7, s7, s6
	v_add_u32_e32 v2, s7, v60
	v_readlane_b32 s6, v73, 37
.LBB189_100:                            ;   Parent Loop BB189_31 Depth=1
                                        ; =>  This Inner Loop Header: Depth=2
	ds_read_b64 v[8:9], v2
	s_add_i32 s6, s6, -1
	v_add_u32_e32 v2, 32, v2
	s_cmp_lg_u32 s6, 0
	s_waitcnt lgkmcnt(0)
	v_add_co_u32_e32 v4, vcc, v8, v4
	v_addc_co_u32_e32 v5, vcc, v9, v5, vcc
	s_cbranch_scc1 .LBB189_100
.LBB189_101:                            ;   in Loop: Header=BB189_31 Depth=1
	v_add_lshl_u32 v2, s3, v55, 3
	ds_write_b64 v2, v[4:5] offset:3072
.LBB189_102:                            ;   in Loop: Header=BB189_31 Depth=1
	s_or_b64 exec, exec, s[0:1]
	s_lshl_b32 s0, s3, 3
	v_mov_b32_e32 v2, s0
	s_waitcnt lgkmcnt(0)
	s_barrier
	ds_read_b128 v[8:11], v2 offset:3072
	ds_read_b128 v[12:15], v2 offset:3088
	s_and_b32 s86, s90, 0xfe
	v_readlane_b32 s0, v73, 16
	s_lshl_b64 s[18:19], 3, s86
	v_readlane_b32 s1, v73, 17
	s_waitcnt lgkmcnt(1)
	v_readfirstlane_b32 s17, v9
	v_readfirstlane_b32 s16, v8
	;; [unrolled: 1-line block ×4, first 2 shown]
	s_waitcnt lgkmcnt(0)
	v_readfirstlane_b32 s27, v13
	v_readfirstlane_b32 s26, v12
	;; [unrolled: 1-line block ×4, first 2 shown]
	s_not_b64 s[20:21], s[18:19]
	s_andn2_b64 vcc, exec, s[0:1]
	v_cmp_eq_u64_e64 s[14:15], 1, v[38:39]
	s_cbranch_vccnz .LBB189_118
; %bb.103:                              ;   in Loop: Header=BB189_31 Depth=1
	s_cmp_eq_u64 s[16:17], 1
	s_cselect_b64 s[0:1], -1, 0
	s_and_b64 s[46:47], s[0:1], s[14:15]
	s_mov_b64 s[0:1], -1
	v_pk_mov_b32 v[12:13], v[34:35], v[34:35] op_sel:[0,1]
	v_pk_mov_b32 v[14:15], v[36:37], v[36:37] op_sel:[0,1]
	;; [unrolled: 1-line block ×3, first 2 shown]
                                        ; implicit-def: $sgpr24_sgpr25
                                        ; implicit-def: $sgpr40_sgpr41
                                        ; implicit-def: $sgpr38_sgpr39
	s_and_saveexec_b64 s[34:35], s[46:47]
	s_cbranch_execz .LBB189_140
; %bb.104:                              ;   in Loop: Header=BB189_31 Depth=1
	s_waitcnt vmcnt(0)
	ds_read_b64 v[4:5], v21 offset:5120
	s_waitcnt lgkmcnt(0)
	s_barrier
	v_readfirstlane_b32 s0, v4
	v_readfirstlane_b32 s1, v5
	s_mov_b64 s[6:7], exec
	v_readlane_b32 s24, v73, 24
	v_readlane_b32 s25, v73, 25
	s_and_b64 s[24:25], s[6:7], s[24:25]
	s_mov_b64 exec, s[24:25]
	s_cbranch_execz .LBB189_106
; %bb.105:                              ;   in Loop: Header=BB189_31 Depth=1
	v_mov_b32_e32 v20, v21
	ds_write_b64 v58, v[20:21]
.LBB189_106:                            ;   in Loop: Header=BB189_31 Depth=1
	s_or_b64 exec, exec, s[6:7]
	v_and_b32_e32 v13, s21, v35
	v_and_b32_e32 v12, s20, v34
	v_or_b32_e32 v15, s19, v37
	v_or_b32_e32 v14, s18, v36
	s_cmp_eq_u64 s[0:1], 0
	s_waitcnt lgkmcnt(0)
	s_barrier
	s_cbranch_scc1 .LBB189_123
; %bb.107:                              ;   in Loop: Header=BB189_31 Depth=1
	v_readlane_b32 s3, v73, 28
	s_add_u32 s3, s3, s0
	v_readlane_b32 s6, v73, 30
	s_addc_u32 s7, s6, s1
	s_mov_b32 s6, s87
	s_cmp_lg_u64 s[6:7], 0
	s_cbranch_scc0 .LBB189_167
; %bb.108:                              ;   in Loop: Header=BB189_31 Depth=1
	v_cvt_f32_u32_e32 v2, s33
	s_sub_u32 s6, 0, s33
	s_subb_u32 s24, 0, 0
	v_mac_f32_e32 v2, 0, v61
	v_rcp_f32_e32 v2, v2
	v_mul_f32_e32 v2, 0x5f7ffffc, v2
	v_mul_f32_e32 v4, 0x2f800000, v2
	v_trunc_f32_e32 v4, v4
	v_mac_f32_e32 v2, 0xcf800000, v4
	v_cvt_u32_f32_e32 v4, v4
	v_cvt_u32_f32_e32 v2, v2
	v_readfirstlane_b32 s25, v4
	v_readfirstlane_b32 s30, v2
	s_mul_i32 s31, s6, s25
	s_mul_hi_u32 s37, s6, s30
	s_mul_i32 s36, s24, s30
	s_add_i32 s31, s37, s31
	s_mul_i32 s38, s6, s30
	s_add_i32 s31, s31, s36
	s_mul_hi_u32 s37, s30, s38
	s_mul_hi_u32 s36, s30, s31
	s_mul_i32 s30, s30, s31
	s_add_u32 s30, s37, s30
	s_addc_u32 s36, 0, s36
	s_mul_hi_u32 s39, s25, s38
	s_mul_i32 s38, s25, s38
	s_add_u32 s30, s30, s38
	s_mul_hi_u32 s37, s25, s31
	s_addc_u32 s30, s36, s39
	s_addc_u32 s36, s37, 0
	s_mul_i32 s31, s25, s31
	s_add_u32 s30, s30, s31
	s_addc_u32 s31, 0, s36
	v_add_co_u32_e32 v2, vcc, s30, v2
	s_cmp_lg_u64 vcc, 0
	s_addc_u32 s25, s25, s31
	v_readfirstlane_b32 s31, v2
	s_mul_i32 s30, s6, s25
	s_mul_hi_u32 s36, s6, s31
	s_add_i32 s30, s36, s30
	s_mul_i32 s24, s24, s31
	s_add_i32 s30, s30, s24
	s_mul_i32 s6, s6, s31
	s_mul_hi_u32 s36, s25, s6
	s_mul_i32 s37, s25, s6
	s_mul_i32 s39, s31, s30
	s_mul_hi_u32 s6, s31, s6
	s_mul_hi_u32 s38, s31, s30
	s_add_u32 s6, s6, s39
	s_addc_u32 s31, 0, s38
	s_add_u32 s6, s6, s37
	s_mul_hi_u32 s24, s25, s30
	s_addc_u32 s6, s31, s36
	s_addc_u32 s24, s24, 0
	s_mul_i32 s30, s25, s30
	s_add_u32 s6, s6, s30
	s_addc_u32 s24, 0, s24
	v_add_co_u32_e32 v2, vcc, s6, v2
	s_cmp_lg_u64 vcc, 0
	s_addc_u32 s6, s25, s24
	v_readfirstlane_b32 s30, v2
	s_mul_i32 s25, s3, s6
	s_mul_hi_u32 s31, s3, s30
	s_mul_hi_u32 s24, s3, s6
	s_add_u32 s25, s31, s25
	s_addc_u32 s24, 0, s24
	s_mul_hi_u32 s36, s7, s30
	s_mul_i32 s30, s7, s30
	s_add_u32 s25, s25, s30
	s_mul_hi_u32 s31, s7, s6
	s_addc_u32 s24, s24, s36
	s_addc_u32 s25, s31, 0
	s_mul_i32 s6, s7, s6
	s_add_u32 s6, s24, s6
	s_addc_u32 s24, 0, s25
	s_mul_hi_u32 s25, s33, s6
	s_mul_i32 s6, s33, s6
	s_mul_i32 s24, s33, s24
	v_mov_b32_e32 v2, s6
	s_add_i32 s25, s25, s24
	v_sub_co_u32_e32 v2, vcc, s3, v2
	s_cmp_lg_u64 vcc, 0
	s_subb_u32 s6, s7, s25
	v_subrev_co_u32_e32 v4, vcc, s33, v2
	s_cmp_lg_u64 vcc, 0
	s_subb_u32 s24, s6, 0
	v_subrev_co_u32_e32 v5, vcc, s33, v4
	s_cmp_lg_u64 vcc, 0
	s_subb_u32 s25, s24, 0
	v_cmp_le_u32_e32 vcc, s33, v4
	s_cmp_eq_u32 s24, 0
	v_cndmask_b32_e64 v8, 0, -1, vcc
	s_cselect_b64 vcc, -1, 0
	v_cndmask_b32_e32 v8, -1, v8, vcc
	v_mov_b32_e32 v9, s24
	v_mov_b32_e32 v10, s25
	v_cmp_ne_u32_e32 vcc, 0, v8
	v_cndmask_b32_e32 v8, v9, v10, vcc
	v_cndmask_b32_e32 v4, v4, v5, vcc
	v_cmp_le_u32_e32 vcc, s33, v2
	s_cmp_eq_u32 s6, 0
	v_cndmask_b32_e64 v5, 0, -1, vcc
	s_cselect_b64 vcc, -1, 0
	v_cndmask_b32_e32 v5, -1, v5, vcc
	v_mov_b32_e32 v9, s6
	v_cmp_ne_u32_e32 vcc, 0, v5
	v_cndmask_b32_e32 v5, v9, v8, vcc
	v_cndmask_b32_e32 v4, v2, v4, vcc
	s_cbranch_execnz .LBB189_110
.LBB189_109:                            ;   in Loop: Header=BB189_31 Depth=1
	v_cvt_f32_u32_e32 v2, s33
	s_sub_i32 s6, 0, s33
	v_rcp_iflag_f32_e32 v2, v2
	v_mul_f32_e32 v2, 0x4f7ffffe, v2
	v_cvt_u32_f32_e32 v2, v2
	v_mul_lo_u32 v4, s6, v2
	v_mul_hi_u32 v4, v2, v4
	v_add_u32_e32 v2, v2, v4
	v_mul_hi_u32 v2, s3, v2
	v_mul_lo_u32 v2, v2, s33
	v_sub_u32_e32 v2, s3, v2
	v_subrev_u32_e32 v4, s33, v2
	v_cmp_le_u32_e32 vcc, s33, v2
	v_cndmask_b32_e32 v2, v2, v4, vcc
	v_subrev_u32_e32 v4, s33, v2
	v_cmp_le_u32_e32 vcc, s33, v2
	v_cndmask_b32_e32 v20, v2, v4, vcc
	v_pk_mov_b32 v[4:5], v[20:21], v[20:21] op_sel:[0,1]
.LBB189_110:                            ;   in Loop: Header=BB189_31 Depth=1
	v_mov_b32_e32 v2, s7
	v_sub_co_u32_e32 v40, vcc, s3, v4
	v_subb_co_u32_e32 v41, vcc, v2, v5, vcc
	v_cmp_gt_u64_e32 vcc, v[40:41], v[0:1]
	s_mov_b64 s[6:7], 0
                                        ; implicit-def: $vgpr10_vgpr11
	s_and_saveexec_b64 s[24:25], vcc
	s_cbranch_execz .LBB189_125
; %bb.111:                              ;   in Loop: Header=BB189_31 Depth=1
	s_mov_b64 s[38:39], 0
	v_mov_b32_e32 v20, v57
	v_pk_mov_b32 v[42:43], v[0:1], v[0:1] op_sel:[0,1]
                                        ; implicit-def: $sgpr36_sgpr37
	s_branch .LBB189_113
.LBB189_112:                            ;   in Loop: Header=BB189_113 Depth=2
	s_or_b64 exec, exec, s[6:7]
	s_waitcnt lgkmcnt(0)
	s_barrier
	ds_read_b128 v[8:11], v21 offset:3072
	v_mov_b32_e32 v2, s92
	v_add_co_u32_e64 v42, s[6:7], s33, v42
	v_addc_co_u32_e64 v43, s[6:7], v43, v2, s[6:7]
	s_waitcnt lgkmcnt(0)
	v_cmp_neq_f64_e32 vcc, 0, v[8:9]
	v_cmp_ge_u64_e64 s[6:7], v[42:43], v[40:41]
	s_or_b64 s[6:7], s[6:7], vcc
	s_and_b64 s[6:7], exec, s[6:7]
	s_or_b64 s[38:39], s[6:7], s[38:39]
	s_andn2_b64 s[6:7], s[36:37], exec
	s_and_b64 s[30:31], vcc, exec
	v_add_u32_e32 v20, s2, v20
	s_or_b64 s[36:37], s[6:7], s[30:31]
	s_barrier
	s_andn2_b64 exec, exec, s[38:39]
	s_cbranch_execz .LBB189_124
.LBB189_113:                            ;   Parent Loop BB189_31 Depth=1
                                        ; =>  This Inner Loop Header: Depth=2
	v_cmp_gt_u64_e32 vcc, s[0:1], v[42:43]
	v_pk_mov_b32 v[4:5], 0, 0
	s_and_saveexec_b64 s[6:7], vcc
	s_cbranch_execz .LBB189_115
; %bb.114:                              ;   in Loop: Header=BB189_113 Depth=2
	ds_read_b64 v[4:5], v20
.LBB189_115:                            ;   in Loop: Header=BB189_113 Depth=2
	s_or_b64 exec, exec, s[6:7]
	s_and_saveexec_b64 s[6:7], vcc
	s_cbranch_execz .LBB189_112
; %bb.116:                              ;   in Loop: Header=BB189_113 Depth=2
	s_waitcnt lgkmcnt(0)
	v_ashrrev_i32_e32 v2, 31, v5
	v_or_b32_e32 v8, 0x80000000, v2
	v_xor_b32_e32 v8, v8, v5
	v_xor_b32_e32 v2, v2, v4
	v_cmp_o_f64_e32 vcc, v[4:5], v[4:5]
	v_cndmask_b32_e32 v8, -1, v8, vcc
	v_cndmask_b32_e32 v2, -1, v2, vcc
	v_and_b32_e32 v9, v8, v15
	v_and_b32_e32 v8, v2, v14
	v_cmp_eq_u64_e32 vcc, v[8:9], v[12:13]
	s_and_b64 exec, exec, vcc
	s_cbranch_execz .LBB189_112
; %bb.117:                              ;   in Loop: Header=BB189_113 Depth=2
	v_mov_b32_e32 v2, v21
	ds_write_b128 v21, v[2:5] offset:3072
	s_branch .LBB189_112
.LBB189_118:                            ;   in Loop: Header=BB189_31 Depth=1
	s_mov_b64 s[36:37], 0
	s_mov_b64 s[34:35], 0
                                        ; implicit-def: $sgpr38_sgpr39
                                        ; implicit-def: $sgpr40_sgpr41
                                        ; implicit-def: $sgpr24_sgpr25
                                        ; implicit-def: $vgpr2
                                        ; implicit-def: $vgpr40_vgpr41
                                        ; implicit-def: $vgpr12_vgpr13
                                        ; implicit-def: $vgpr14_vgpr15
                                        ; implicit-def: $vgpr10_vgpr11
	s_cbranch_execnz .LBB189_304
.LBB189_119:                            ;   in Loop: Header=BB189_31 Depth=1
	s_mov_b64 s[14:15], s[24:25]
	s_mov_b64 s[42:43], s[24:25]
	s_and_saveexec_b64 s[0:1], s[36:37]
	s_cbranch_execnz .LBB189_500
	s_branch .LBB189_501
.LBB189_120:                            ;   in Loop: Header=BB189_31 Depth=1
	s_or_b64 exec, exec, s[0:1]
	s_waitcnt lgkmcnt(0)
	s_barrier
	s_mov_b64 s[0:1], exec
	v_readlane_b32 s6, v73, 10
	v_readlane_b32 s7, v73, 11
	s_and_b64 s[6:7], s[0:1], s[6:7]
	s_mov_b64 exec, s[6:7]
	s_cbranch_execz .LBB189_122
; %bb.121:                              ;   in Loop: Header=BB189_31 Depth=1
	s_waitcnt vmcnt(0)
	ds_read_b32 v4, v21 offset:5144
	s_waitcnt lgkmcnt(0)
	v_ashrrev_i32_e32 v5, 31, v4
	ds_write_b64 v21, v[4:5] offset:5120
.LBB189_122:                            ;   in Loop: Header=BB189_31 Depth=1
	s_or_b64 exec, exec, s[0:1]
	s_waitcnt lgkmcnt(0)
	s_barrier
	s_mov_b64 s[0:1], -1
	s_and_b64 vcc, exec, s[68:69]
	s_cbranch_vccnz .LBB189_49
	s_branch .LBB189_59
.LBB189_123:                            ;   in Loop: Header=BB189_31 Depth=1
	s_mov_b64 s[24:25], -1
	s_mov_b64 s[6:7], 0
                                        ; implicit-def: $sgpr38_sgpr39
                                        ; implicit-def: $vgpr10_vgpr11
	s_mov_b64 s[40:41], s[24:25]
	s_cbranch_execnz .LBB189_126
	s_branch .LBB189_139
.LBB189_124:                            ;   in Loop: Header=BB189_31 Depth=1
	s_or_b64 exec, exec, s[38:39]
	s_and_b64 s[6:7], s[36:37], exec
.LBB189_125:                            ;   in Loop: Header=BB189_31 Depth=1
	s_or_b64 exec, exec, s[24:25]
	s_mov_b64 s[38:39], -1
	s_mov_b64 s[24:25], 0
	s_mov_b64 s[40:41], s[24:25]
	s_branch .LBB189_139
.LBB189_126:                            ;   in Loop: Header=BB189_31 Depth=1
	v_readlane_b32 s6, v73, 31
	v_readlane_b32 s7, v73, 32
	s_mov_b32 s6, s87
	s_mov_b32 s1, s7
	s_cmp_lg_u64 s[6:7], 0
	v_writelane_b32 v73, s0, 31
	v_writelane_b32 v73, s1, 32
	s_cbranch_scc0 .LBB189_168
; %bb.127:                              ;   in Loop: Header=BB189_31 Depth=1
	v_cvt_f32_u32_e32 v2, s33
	s_sub_u32 s0, 0, s33
	s_subb_u32 s1, 0, 0
	v_mac_f32_e32 v2, 0, v61
	v_rcp_f32_e32 v2, v2
	v_mul_f32_e32 v2, 0x5f7ffffc, v2
	v_mul_f32_e32 v4, 0x2f800000, v2
	v_trunc_f32_e32 v4, v4
	v_mac_f32_e32 v2, 0xcf800000, v4
	v_cvt_u32_f32_e32 v4, v4
	v_cvt_u32_f32_e32 v2, v2
	v_readfirstlane_b32 s3, v4
	v_readfirstlane_b32 s6, v2
	s_mul_i32 s7, s0, s3
	s_mul_hi_u32 s25, s0, s6
	s_mul_i32 s24, s1, s6
	s_add_i32 s7, s25, s7
	s_mul_i32 s30, s0, s6
	s_add_i32 s7, s7, s24
	s_mul_hi_u32 s25, s6, s30
	s_mul_hi_u32 s24, s6, s7
	s_mul_i32 s6, s6, s7
	s_add_u32 s6, s25, s6
	s_addc_u32 s24, 0, s24
	s_mul_hi_u32 s31, s3, s30
	s_mul_i32 s30, s3, s30
	s_add_u32 s6, s6, s30
	s_mul_hi_u32 s25, s3, s7
	s_addc_u32 s6, s24, s31
	s_addc_u32 s24, s25, 0
	s_mul_i32 s7, s3, s7
	s_add_u32 s6, s6, s7
	s_addc_u32 s7, 0, s24
	v_add_co_u32_e32 v2, vcc, s6, v2
	s_cmp_lg_u64 vcc, 0
	s_addc_u32 s3, s3, s7
	v_readfirstlane_b32 s7, v2
	s_mul_i32 s6, s0, s3
	s_mul_hi_u32 s24, s0, s7
	s_add_i32 s6, s24, s6
	s_mul_i32 s1, s1, s7
	s_add_i32 s6, s6, s1
	s_mul_i32 s0, s0, s7
	s_mul_hi_u32 s24, s3, s0
	s_mul_i32 s25, s3, s0
	s_mul_i32 s31, s7, s6
	s_mul_hi_u32 s0, s7, s0
	s_mul_hi_u32 s30, s7, s6
	s_add_u32 s0, s0, s31
	s_addc_u32 s7, 0, s30
	s_add_u32 s0, s0, s25
	s_mul_hi_u32 s1, s3, s6
	s_addc_u32 s0, s7, s24
	s_addc_u32 s1, s1, 0
	s_mul_i32 s6, s3, s6
	s_add_u32 s0, s0, s6
	s_addc_u32 s1, 0, s1
	v_add_co_u32_e32 v2, vcc, s0, v2
	s_cmp_lg_u64 vcc, 0
	s_addc_u32 s0, s3, s1
	v_readlane_b32 s25, v73, 29
	v_readfirstlane_b32 s6, v2
	v_readlane_b32 s30, v73, 31
	s_mul_i32 s3, s25, s0
	s_mul_hi_u32 s7, s25, s6
	v_readlane_b32 s31, v73, 32
	s_add_u32 s3, s7, s3
	s_mul_hi_u32 s7, s31, s0
	v_readlane_b32 s30, v73, 31
	v_readlane_b32 s31, v73, 32
	s_mul_hi_u32 s24, s31, s6
	v_readlane_b32 s30, v73, 31
	s_mul_hi_u32 s1, s25, s0
	v_readlane_b32 s31, v73, 32
	s_addc_u32 s1, 0, s1
	s_mul_i32 s6, s31, s6
	s_add_u32 s3, s3, s6
	s_addc_u32 s1, s1, s24
	s_addc_u32 s3, s7, 0
	v_readlane_b32 s6, v73, 31
	v_readlane_b32 s7, v73, 32
	s_mul_i32 s0, s7, s0
	s_add_u32 s0, s1, s0
	s_addc_u32 s1, 0, s3
	s_mul_hi_u32 s3, s33, s0
	s_mul_i32 s0, s33, s0
	s_mul_i32 s1, s33, s1
	v_mov_b32_e32 v2, s0
	s_add_i32 s3, s3, s1
	v_sub_co_u32_e32 v2, vcc, s25, v2
	s_cmp_lg_u64 vcc, 0
	s_subb_u32 s0, s7, s3
	v_subrev_co_u32_e32 v4, vcc, s33, v2
	s_cmp_lg_u64 vcc, 0
	s_subb_u32 s1, s0, 0
	v_subrev_co_u32_e32 v5, vcc, s33, v4
	s_cmp_lg_u64 vcc, 0
	s_subb_u32 s3, s1, 0
	v_cmp_le_u32_e32 vcc, s33, v4
	s_cmp_eq_u32 s1, 0
	v_cndmask_b32_e64 v8, 0, -1, vcc
	s_cselect_b64 vcc, -1, 0
	v_cndmask_b32_e32 v8, -1, v8, vcc
	v_mov_b32_e32 v9, s1
	v_mov_b32_e32 v10, s3
	v_cmp_ne_u32_e32 vcc, 0, v8
	v_cndmask_b32_e32 v8, v9, v10, vcc
	v_cndmask_b32_e32 v4, v4, v5, vcc
	v_cmp_le_u32_e32 vcc, s33, v2
	s_cmp_eq_u32 s0, 0
	v_cndmask_b32_e64 v5, 0, -1, vcc
	s_cselect_b64 vcc, -1, 0
	v_cndmask_b32_e32 v5, -1, v5, vcc
	v_mov_b32_e32 v9, s0
	v_cmp_ne_u32_e32 vcc, 0, v5
	v_cndmask_b32_e32 v5, v9, v8, vcc
	v_cndmask_b32_e32 v4, v2, v4, vcc
	s_cbranch_execnz .LBB189_129
.LBB189_128:                            ;   in Loop: Header=BB189_31 Depth=1
	v_cvt_f32_u32_e32 v2, s33
	s_sub_i32 s0, 0, s33
	v_rcp_iflag_f32_e32 v2, v2
	v_mul_f32_e32 v2, 0x4f7ffffe, v2
	v_cvt_u32_f32_e32 v2, v2
	v_mul_lo_u32 v4, s0, v2
	v_mul_hi_u32 v4, v2, v4
	v_add_u32_e32 v2, v2, v4
	v_readlane_b32 s0, v73, 29
	v_mul_hi_u32 v2, s0, v2
	v_mul_lo_u32 v2, v2, s33
	v_sub_u32_e32 v2, s0, v2
	v_subrev_u32_e32 v4, s33, v2
	v_cmp_le_u32_e32 vcc, s33, v2
	v_cndmask_b32_e32 v2, v2, v4, vcc
	v_subrev_u32_e32 v4, s33, v2
	v_cmp_le_u32_e32 vcc, s33, v2
	v_cndmask_b32_e32 v20, v2, v4, vcc
	v_pk_mov_b32 v[4:5], v[20:21], v[20:21] op_sel:[0,1]
.LBB189_129:                            ;   in Loop: Header=BB189_31 Depth=1
	v_readlane_b32 s0, v73, 29
	v_mov_b32_e32 v2, s7
	v_sub_co_u32_e32 v40, vcc, s0, v4
	v_subb_co_u32_e32 v41, vcc, v2, v5, vcc
	v_cmp_gt_u64_e32 vcc, v[40:41], v[0:1]
	s_mov_b64 s[6:7], 0
                                        ; implicit-def: $vgpr10_vgpr11
	s_and_saveexec_b64 s[0:1], vcc
	s_cbranch_execz .LBB189_138
; %bb.130:                              ;   in Loop: Header=BB189_31 Depth=1
	s_mov_b64 s[36:37], 0
	v_pk_mov_b32 v[42:43], v[32:33], v[32:33] op_sel:[0,1]
	v_pk_mov_b32 v[44:45], v[0:1], v[0:1] op_sel:[0,1]
                                        ; implicit-def: $sgpr24_sgpr25
	s_branch .LBB189_132
.LBB189_131:                            ;   in Loop: Header=BB189_132 Depth=2
	s_or_b64 exec, exec, s[6:7]
	s_waitcnt lgkmcnt(0)
	s_barrier
	ds_read_b128 v[8:11], v21 offset:3072
	v_mov_b32_e32 v2, s92
	v_add_co_u32_e64 v44, s[6:7], s33, v44
	v_addc_co_u32_e64 v45, s[6:7], v45, v2, s[6:7]
	s_waitcnt lgkmcnt(0)
	v_cmp_neq_f64_e32 vcc, 0, v[8:9]
	v_cmp_ge_u64_e64 s[6:7], v[44:45], v[40:41]
	s_or_b64 s[30:31], s[6:7], vcc
	v_mov_b32_e32 v2, s65
	v_add_co_u32_e64 v42, s[6:7], s64, v42
	v_addc_co_u32_e64 v43, s[6:7], v43, v2, s[6:7]
	s_and_b64 s[6:7], exec, s[30:31]
	s_or_b64 s[36:37], s[6:7], s[36:37]
	s_andn2_b64 s[6:7], s[24:25], exec
	s_and_b64 s[24:25], vcc, exec
	s_or_b64 s[24:25], s[6:7], s[24:25]
	s_barrier
	s_andn2_b64 exec, exec, s[36:37]
	s_cbranch_execz .LBB189_137
.LBB189_132:                            ;   Parent Loop BB189_31 Depth=1
                                        ; =>  This Inner Loop Header: Depth=2
	v_cmp_gt_u64_e32 vcc, s[60:61], v[44:45]
	s_waitcnt vmcnt(0)
	v_pk_mov_b32 v[4:5], 0, 0
	s_and_saveexec_b64 s[6:7], vcc
	s_cbranch_execz .LBB189_134
; %bb.133:                              ;   in Loop: Header=BB189_132 Depth=2
	global_load_dwordx2 v[4:5], v[42:43], off
.LBB189_134:                            ;   in Loop: Header=BB189_132 Depth=2
	s_or_b64 exec, exec, s[6:7]
	s_and_saveexec_b64 s[6:7], vcc
	s_cbranch_execz .LBB189_131
; %bb.135:                              ;   in Loop: Header=BB189_132 Depth=2
	s_waitcnt vmcnt(0)
	v_ashrrev_i32_e32 v2, 31, v5
	v_or_b32_e32 v8, 0x80000000, v2
	v_xor_b32_e32 v8, v8, v5
	v_xor_b32_e32 v2, v2, v4
	v_cmp_o_f64_e32 vcc, v[4:5], v[4:5]
	v_cndmask_b32_e32 v8, -1, v8, vcc
	v_cndmask_b32_e32 v2, -1, v2, vcc
	v_and_b32_e32 v9, v8, v15
	v_and_b32_e32 v8, v2, v14
	v_cmp_eq_u64_e32 vcc, v[8:9], v[12:13]
	s_and_b64 exec, exec, vcc
	s_cbranch_execz .LBB189_131
; %bb.136:                              ;   in Loop: Header=BB189_132 Depth=2
	v_mov_b32_e32 v2, v21
	ds_write_b128 v21, v[2:5] offset:3072
	s_branch .LBB189_131
.LBB189_137:                            ;   in Loop: Header=BB189_31 Depth=1
	s_or_b64 exec, exec, s[36:37]
	s_and_b64 s[6:7], s[24:25], exec
.LBB189_138:                            ;   in Loop: Header=BB189_31 Depth=1
	s_or_b64 exec, exec, s[0:1]
	s_mov_b64 s[40:41], -1
	s_mov_b64 s[24:25], 0
	s_mov_b64 s[38:39], 0
.LBB189_139:                            ;   in Loop: Header=BB189_31 Depth=1
	s_orn2_b64 s[0:1], s[6:7], exec
.LBB189_140:                            ;   in Loop: Header=BB189_31 Depth=1
	s_or_b64 exec, exec, s[34:35]
	s_mov_b64 s[42:43], 0
	s_mov_b64 s[36:37], 0
	;; [unrolled: 1-line block ×3, first 2 shown]
                                        ; implicit-def: $vgpr2
                                        ; implicit-def: $vgpr40_vgpr41
	s_and_saveexec_b64 s[44:45], s[0:1]
	s_cbranch_execz .LBB189_303
; %bb.141:                              ;   in Loop: Header=BB189_31 Depth=1
	s_waitcnt vmcnt(0)
	v_mov_b32_e32 v40, 1
	s_xor_b64 s[30:31], s[46:47], -1
	s_mov_b64 s[6:7], 0
	v_mov_b32_e32 v41, 0
	v_mov_b32_e32 v2, 1
	s_and_saveexec_b64 s[0:1], s[30:31]
	s_cbranch_execz .LBB189_151
; %bb.142:                              ;   in Loop: Header=BB189_31 Depth=1
	v_cmp_ge_u64_e32 vcc, s[16:17], v[38:39]
                                        ; implicit-def: $sgpr3
                                        ; implicit-def: $sgpr6_sgpr7
	s_and_saveexec_b64 s[30:31], vcc
	s_xor_b64 s[34:35], exec, s[30:31]
	s_cbranch_execz .LBB189_148
; %bb.143:                              ;   in Loop: Header=BB189_31 Depth=1
	ds_read_b64 v[4:5], v21 offset:5120
	s_waitcnt lgkmcnt(0)
	v_cmp_ne_u64_e32 vcc, 0, v[4:5]
	s_cbranch_vccnz .LBB189_147
; %bb.144:                              ;   in Loop: Header=BB189_31 Depth=1
	s_mov_b64 s[6:7], exec
	v_readlane_b32 s30, v73, 10
	v_readlane_b32 s31, v73, 11
	s_and_b64 s[30:31], s[6:7], s[30:31]
	s_mov_b64 exec, s[30:31]
	s_cbranch_execz .LBB189_146
; %bb.145:                              ;   in Loop: Header=BB189_31 Depth=1
	v_pk_mov_b32 v[4:5], s[16:17], s[16:17] op_sel:[0,1]
	ds_write_b64 v21, v[4:5] offset:5128
.LBB189_146:                            ;   in Loop: Header=BB189_31 Depth=1
	s_or_b64 exec, exec, s[6:7]
	s_waitcnt lgkmcnt(0)
	s_barrier
.LBB189_147:                            ;   in Loop: Header=BB189_31 Depth=1
	v_and_b32_e32 v13, s21, v13
	v_and_b32_e32 v12, s20, v12
	v_or_b32_e32 v15, s19, v15
	v_or_b32_e32 v14, s18, v14
	s_mov_b64 s[6:7], 0
	s_mov_b32 s3, 8
.LBB189_148:                            ;   in Loop: Header=BB189_31 Depth=1
	s_or_saveexec_b64 s[34:35], s[34:35]
	v_mov_b32_e32 v2, s3
	v_pk_mov_b32 v[40:41], v[38:39], v[38:39] op_sel:[0,1]
	s_xor_b64 exec, exec, s[34:35]
; %bb.149:                              ;   in Loop: Header=BB189_31 Depth=1
	v_mov_b32_e32 v2, s17
	v_subrev_co_u32_e32 v40, vcc, s16, v38
	v_subb_co_u32_e32 v41, vcc, v39, v2, vcc
	v_mov_b32_e32 v2, 0
	s_or_b64 s[6:7], s[6:7], exec
; %bb.150:                              ;   in Loop: Header=BB189_31 Depth=1
	s_or_b64 exec, exec, s[34:35]
	s_and_b64 s[6:7], s[6:7], exec
.LBB189_151:                            ;   in Loop: Header=BB189_31 Depth=1
	s_or_b64 exec, exec, s[0:1]
	s_mov_b64 s[46:47], -1
                                        ; implicit-def: $sgpr0_sgpr1
                                        ; implicit-def: $sgpr36_sgpr37
                                        ; implicit-def: $sgpr50_sgpr51
	s_and_saveexec_b64 s[30:31], s[6:7]
	s_xor_b64 s[34:35], exec, s[30:31]
	s_cbranch_execz .LBB189_300
; %bb.152:                              ;   in Loop: Header=BB189_31 Depth=1
	s_cmp_eq_u64 s[22:23], 1
	s_cselect_b64 s[0:1], -1, 0
	v_cmp_eq_u64_e32 vcc, 1, v[40:41]
	s_and_b64 s[52:53], s[0:1], vcc
	s_mov_b64 s[0:1], -1
                                        ; implicit-def: $sgpr36_sgpr37
                                        ; implicit-def: $sgpr48_sgpr49
                                        ; implicit-def: $sgpr46_sgpr47
	s_and_saveexec_b64 s[50:51], s[52:53]
	s_cbranch_execz .LBB189_186
; %bb.153:                              ;   in Loop: Header=BB189_31 Depth=1
	ds_read_b64 v[4:5], v21 offset:5120
	s_waitcnt lgkmcnt(0)
	s_barrier
	v_readfirstlane_b32 s0, v4
	v_readfirstlane_b32 s1, v5
	s_mov_b64 s[6:7], exec
	v_readlane_b32 s30, v73, 24
	v_readlane_b32 s31, v73, 25
	s_and_b64 s[30:31], s[6:7], s[30:31]
	s_mov_b64 exec, s[30:31]
	s_cbranch_execz .LBB189_155
; %bb.154:                              ;   in Loop: Header=BB189_31 Depth=1
	v_mov_b32_e32 v20, v21
	ds_write_b64 v58, v[20:21]
.LBB189_155:                            ;   in Loop: Header=BB189_31 Depth=1
	s_or_b64 exec, exec, s[6:7]
	s_lshl_b64 s[6:7], 1, s86
	v_and_b32_e32 v2, s21, v13
	v_and_b32_e32 v4, s20, v12
	v_or_b32_e32 v13, s7, v2
	v_or_b32_e32 v12, s6, v4
	;; [unrolled: 1-line block ×4, first 2 shown]
	s_cmp_eq_u64 s[0:1], 0
	s_waitcnt lgkmcnt(0)
	s_barrier
	s_cbranch_scc1 .LBB189_169
; %bb.156:                              ;   in Loop: Header=BB189_31 Depth=1
	v_readlane_b32 s3, v73, 28
	s_add_u32 s3, s3, s0
	v_readlane_b32 s6, v73, 30
	s_addc_u32 s7, s6, s1
	s_mov_b32 s6, s87
	s_cmp_lg_u64 s[6:7], 0
	s_cbranch_scc0 .LBB189_213
; %bb.157:                              ;   in Loop: Header=BB189_31 Depth=1
	v_cvt_f32_u32_e32 v2, s33
	s_sub_u32 s6, 0, s33
	s_subb_u32 s30, 0, 0
	v_mac_f32_e32 v2, 0, v61
	v_rcp_f32_e32 v2, v2
	v_mul_f32_e32 v2, 0x5f7ffffc, v2
	v_mul_f32_e32 v4, 0x2f800000, v2
	v_trunc_f32_e32 v4, v4
	v_mac_f32_e32 v2, 0xcf800000, v4
	v_cvt_u32_f32_e32 v4, v4
	v_cvt_u32_f32_e32 v2, v2
	v_readfirstlane_b32 s31, v4
	v_readfirstlane_b32 s36, v2
	s_mul_i32 s37, s6, s31
	s_mul_hi_u32 s47, s6, s36
	s_mul_i32 s46, s30, s36
	s_add_i32 s37, s47, s37
	s_mul_i32 s48, s6, s36
	s_add_i32 s37, s37, s46
	s_mul_hi_u32 s47, s36, s48
	s_mul_hi_u32 s46, s36, s37
	s_mul_i32 s36, s36, s37
	s_add_u32 s36, s47, s36
	s_addc_u32 s46, 0, s46
	s_mul_hi_u32 s49, s31, s48
	s_mul_i32 s48, s31, s48
	s_add_u32 s36, s36, s48
	s_mul_hi_u32 s47, s31, s37
	s_addc_u32 s36, s46, s49
	s_addc_u32 s46, s47, 0
	s_mul_i32 s37, s31, s37
	s_add_u32 s36, s36, s37
	s_addc_u32 s37, 0, s46
	v_add_co_u32_e32 v2, vcc, s36, v2
	s_cmp_lg_u64 vcc, 0
	s_addc_u32 s31, s31, s37
	v_readfirstlane_b32 s37, v2
	s_mul_i32 s36, s6, s31
	s_mul_hi_u32 s46, s6, s37
	s_add_i32 s36, s46, s36
	s_mul_i32 s30, s30, s37
	s_add_i32 s36, s36, s30
	s_mul_i32 s6, s6, s37
	s_mul_hi_u32 s46, s31, s6
	s_mul_i32 s47, s31, s6
	s_mul_i32 s49, s37, s36
	s_mul_hi_u32 s6, s37, s6
	s_mul_hi_u32 s48, s37, s36
	s_add_u32 s6, s6, s49
	s_addc_u32 s37, 0, s48
	s_add_u32 s6, s6, s47
	s_mul_hi_u32 s30, s31, s36
	s_addc_u32 s6, s37, s46
	s_addc_u32 s30, s30, 0
	s_mul_i32 s36, s31, s36
	s_add_u32 s6, s6, s36
	s_addc_u32 s30, 0, s30
	v_add_co_u32_e32 v2, vcc, s6, v2
	s_cmp_lg_u64 vcc, 0
	s_addc_u32 s6, s31, s30
	v_readfirstlane_b32 s36, v2
	s_mul_i32 s31, s3, s6
	s_mul_hi_u32 s37, s3, s36
	s_mul_hi_u32 s30, s3, s6
	s_add_u32 s31, s37, s31
	s_addc_u32 s30, 0, s30
	s_mul_hi_u32 s46, s7, s36
	s_mul_i32 s36, s7, s36
	s_add_u32 s31, s31, s36
	s_mul_hi_u32 s37, s7, s6
	s_addc_u32 s30, s30, s46
	s_addc_u32 s31, s37, 0
	s_mul_i32 s6, s7, s6
	s_add_u32 s6, s30, s6
	s_addc_u32 s30, 0, s31
	s_mul_hi_u32 s31, s33, s6
	s_mul_i32 s6, s33, s6
	s_mul_i32 s30, s33, s30
	v_mov_b32_e32 v2, s6
	s_add_i32 s31, s31, s30
	v_sub_co_u32_e32 v2, vcc, s3, v2
	s_cmp_lg_u64 vcc, 0
	s_subb_u32 s6, s7, s31
	v_subrev_co_u32_e32 v4, vcc, s33, v2
	s_cmp_lg_u64 vcc, 0
	s_subb_u32 s30, s6, 0
	v_subrev_co_u32_e32 v5, vcc, s33, v4
	s_cmp_lg_u64 vcc, 0
	s_subb_u32 s31, s30, 0
	v_cmp_le_u32_e32 vcc, s33, v4
	s_cmp_eq_u32 s30, 0
	v_cndmask_b32_e64 v8, 0, -1, vcc
	s_cselect_b64 vcc, -1, 0
	v_cndmask_b32_e32 v8, -1, v8, vcc
	v_mov_b32_e32 v9, s30
	v_mov_b32_e32 v10, s31
	v_cmp_ne_u32_e32 vcc, 0, v8
	v_cndmask_b32_e32 v8, v9, v10, vcc
	v_cndmask_b32_e32 v4, v4, v5, vcc
	v_cmp_le_u32_e32 vcc, s33, v2
	s_cmp_eq_u32 s6, 0
	v_cndmask_b32_e64 v5, 0, -1, vcc
	s_cselect_b64 vcc, -1, 0
	v_cndmask_b32_e32 v5, -1, v5, vcc
	v_mov_b32_e32 v9, s6
	v_cmp_ne_u32_e32 vcc, 0, v5
	v_cndmask_b32_e32 v5, v9, v8, vcc
	v_cndmask_b32_e32 v4, v2, v4, vcc
	s_cbranch_execnz .LBB189_159
.LBB189_158:                            ;   in Loop: Header=BB189_31 Depth=1
	v_cvt_f32_u32_e32 v2, s33
	s_sub_i32 s6, 0, s33
	v_rcp_iflag_f32_e32 v2, v2
	v_mul_f32_e32 v2, 0x4f7ffffe, v2
	v_cvt_u32_f32_e32 v2, v2
	v_mul_lo_u32 v4, s6, v2
	v_mul_hi_u32 v4, v2, v4
	v_add_u32_e32 v2, v2, v4
	v_mul_hi_u32 v2, s3, v2
	v_mul_lo_u32 v2, v2, s33
	v_sub_u32_e32 v2, s3, v2
	v_subrev_u32_e32 v4, s33, v2
	v_cmp_le_u32_e32 vcc, s33, v2
	v_cndmask_b32_e32 v2, v2, v4, vcc
	v_subrev_u32_e32 v4, s33, v2
	v_cmp_le_u32_e32 vcc, s33, v2
	v_cndmask_b32_e32 v20, v2, v4, vcc
	v_pk_mov_b32 v[4:5], v[20:21], v[20:21] op_sel:[0,1]
.LBB189_159:                            ;   in Loop: Header=BB189_31 Depth=1
	v_mov_b32_e32 v2, s7
	v_sub_co_u32_e32 v42, vcc, s3, v4
	v_subb_co_u32_e32 v43, vcc, v2, v5, vcc
	v_cmp_gt_u64_e32 vcc, v[42:43], v[0:1]
	s_mov_b64 s[6:7], 0
                                        ; implicit-def: $vgpr10_vgpr11
	s_and_saveexec_b64 s[36:37], vcc
	s_cbranch_execz .LBB189_171
; %bb.160:                              ;   in Loop: Header=BB189_31 Depth=1
	s_mov_b64 s[48:49], 0
	v_mov_b32_e32 v20, v57
	v_pk_mov_b32 v[44:45], v[0:1], v[0:1] op_sel:[0,1]
                                        ; implicit-def: $sgpr46_sgpr47
	s_branch .LBB189_162
.LBB189_161:                            ;   in Loop: Header=BB189_162 Depth=2
	s_or_b64 exec, exec, s[6:7]
	s_waitcnt lgkmcnt(0)
	s_barrier
	ds_read_b128 v[8:11], v21 offset:3072
	v_mov_b32_e32 v2, s92
	v_add_co_u32_e64 v44, s[6:7], s33, v44
	v_addc_co_u32_e64 v45, s[6:7], v45, v2, s[6:7]
	s_waitcnt lgkmcnt(0)
	v_cmp_neq_f64_e32 vcc, 0, v[8:9]
	v_cmp_ge_u64_e64 s[6:7], v[44:45], v[42:43]
	s_or_b64 s[6:7], s[6:7], vcc
	s_and_b64 s[6:7], exec, s[6:7]
	s_or_b64 s[48:49], s[6:7], s[48:49]
	s_andn2_b64 s[6:7], s[46:47], exec
	s_and_b64 s[30:31], vcc, exec
	v_add_u32_e32 v20, s2, v20
	s_or_b64 s[46:47], s[6:7], s[30:31]
	s_barrier
	s_andn2_b64 exec, exec, s[48:49]
	s_cbranch_execz .LBB189_170
.LBB189_162:                            ;   Parent Loop BB189_31 Depth=1
                                        ; =>  This Inner Loop Header: Depth=2
	v_cmp_gt_u64_e32 vcc, s[0:1], v[44:45]
	v_pk_mov_b32 v[4:5], 0, 0
	s_and_saveexec_b64 s[6:7], vcc
	s_cbranch_execz .LBB189_164
; %bb.163:                              ;   in Loop: Header=BB189_162 Depth=2
	ds_read_b64 v[4:5], v20
.LBB189_164:                            ;   in Loop: Header=BB189_162 Depth=2
	s_or_b64 exec, exec, s[6:7]
	s_and_saveexec_b64 s[6:7], vcc
	s_cbranch_execz .LBB189_161
; %bb.165:                              ;   in Loop: Header=BB189_162 Depth=2
	s_waitcnt lgkmcnt(0)
	v_ashrrev_i32_e32 v2, 31, v5
	v_or_b32_e32 v8, 0x80000000, v2
	v_xor_b32_e32 v8, v8, v5
	v_xor_b32_e32 v2, v2, v4
	v_cmp_o_f64_e32 vcc, v[4:5], v[4:5]
	v_cndmask_b32_e32 v8, -1, v8, vcc
	v_cndmask_b32_e32 v2, -1, v2, vcc
	v_and_b32_e32 v9, v8, v15
	v_and_b32_e32 v8, v2, v14
	v_cmp_eq_u64_e32 vcc, v[8:9], v[12:13]
	s_and_b64 exec, exec, vcc
	s_cbranch_execz .LBB189_161
; %bb.166:                              ;   in Loop: Header=BB189_162 Depth=2
	v_mov_b32_e32 v2, v21
	ds_write_b128 v21, v[2:5] offset:3072
	s_branch .LBB189_161
.LBB189_167:                            ;   in Loop: Header=BB189_31 Depth=1
                                        ; implicit-def: $vgpr4_vgpr5
	s_branch .LBB189_109
.LBB189_168:                            ;   in Loop: Header=BB189_31 Depth=1
                                        ; implicit-def: $vgpr4_vgpr5
	s_branch .LBB189_128
.LBB189_169:                            ;   in Loop: Header=BB189_31 Depth=1
	s_mov_b64 s[36:37], -1
	s_mov_b64 s[6:7], 0
                                        ; implicit-def: $sgpr46_sgpr47
                                        ; implicit-def: $vgpr10_vgpr11
	s_mov_b64 s[48:49], s[36:37]
	s_cbranch_execnz .LBB189_172
	s_branch .LBB189_185
.LBB189_170:                            ;   in Loop: Header=BB189_31 Depth=1
	s_or_b64 exec, exec, s[48:49]
	s_and_b64 s[6:7], s[46:47], exec
.LBB189_171:                            ;   in Loop: Header=BB189_31 Depth=1
	s_or_b64 exec, exec, s[36:37]
	s_mov_b64 s[46:47], -1
	s_mov_b64 s[36:37], 0
	s_mov_b64 s[48:49], s[36:37]
	s_branch .LBB189_185
.LBB189_172:                            ;   in Loop: Header=BB189_31 Depth=1
	v_readlane_b32 s6, v73, 31
	v_readlane_b32 s7, v73, 32
	s_mov_b32 s6, s87
	s_mov_b32 s1, s7
	s_cmp_lg_u64 s[6:7], 0
	v_writelane_b32 v73, s0, 31
	v_writelane_b32 v73, s1, 32
	s_cbranch_scc0 .LBB189_214
; %bb.173:                              ;   in Loop: Header=BB189_31 Depth=1
	v_cvt_f32_u32_e32 v2, s33
	s_sub_u32 s0, 0, s33
	s_subb_u32 s1, 0, 0
	v_mac_f32_e32 v2, 0, v61
	v_rcp_f32_e32 v2, v2
	v_mul_f32_e32 v2, 0x5f7ffffc, v2
	v_mul_f32_e32 v4, 0x2f800000, v2
	v_trunc_f32_e32 v4, v4
	v_mac_f32_e32 v2, 0xcf800000, v4
	v_cvt_u32_f32_e32 v4, v4
	v_cvt_u32_f32_e32 v2, v2
	v_readfirstlane_b32 s3, v4
	v_readfirstlane_b32 s6, v2
	s_mul_i32 s7, s0, s3
	s_mul_hi_u32 s31, s0, s6
	s_mul_i32 s30, s1, s6
	s_add_i32 s7, s31, s7
	s_mul_i32 s36, s0, s6
	s_add_i32 s7, s7, s30
	s_mul_hi_u32 s31, s6, s36
	s_mul_hi_u32 s30, s6, s7
	s_mul_i32 s6, s6, s7
	s_add_u32 s6, s31, s6
	s_addc_u32 s30, 0, s30
	s_mul_hi_u32 s37, s3, s36
	s_mul_i32 s36, s3, s36
	s_add_u32 s6, s6, s36
	s_mul_hi_u32 s31, s3, s7
	s_addc_u32 s6, s30, s37
	s_addc_u32 s30, s31, 0
	s_mul_i32 s7, s3, s7
	s_add_u32 s6, s6, s7
	s_addc_u32 s7, 0, s30
	v_add_co_u32_e32 v2, vcc, s6, v2
	s_cmp_lg_u64 vcc, 0
	s_addc_u32 s3, s3, s7
	v_readfirstlane_b32 s7, v2
	s_mul_i32 s6, s0, s3
	s_mul_hi_u32 s30, s0, s7
	s_add_i32 s6, s30, s6
	s_mul_i32 s1, s1, s7
	s_add_i32 s6, s6, s1
	s_mul_i32 s0, s0, s7
	s_mul_hi_u32 s30, s3, s0
	s_mul_i32 s31, s3, s0
	s_mul_i32 s37, s7, s6
	s_mul_hi_u32 s0, s7, s0
	s_mul_hi_u32 s36, s7, s6
	s_add_u32 s0, s0, s37
	s_addc_u32 s7, 0, s36
	s_add_u32 s0, s0, s31
	s_mul_hi_u32 s1, s3, s6
	s_addc_u32 s0, s7, s30
	s_addc_u32 s1, s1, 0
	s_mul_i32 s6, s3, s6
	s_add_u32 s0, s0, s6
	s_addc_u32 s1, 0, s1
	v_add_co_u32_e32 v2, vcc, s0, v2
	s_cmp_lg_u64 vcc, 0
	s_addc_u32 s0, s3, s1
	v_readlane_b32 s31, v73, 29
	v_readfirstlane_b32 s6, v2
	v_readlane_b32 s36, v73, 31
	s_mul_i32 s3, s31, s0
	s_mul_hi_u32 s7, s31, s6
	v_readlane_b32 s37, v73, 32
	s_add_u32 s3, s7, s3
	s_mul_hi_u32 s7, s37, s0
	v_readlane_b32 s36, v73, 31
	v_readlane_b32 s37, v73, 32
	s_mul_hi_u32 s30, s37, s6
	v_readlane_b32 s36, v73, 31
	s_mul_hi_u32 s1, s31, s0
	v_readlane_b32 s37, v73, 32
	s_addc_u32 s1, 0, s1
	s_mul_i32 s6, s37, s6
	s_add_u32 s3, s3, s6
	s_addc_u32 s1, s1, s30
	s_addc_u32 s3, s7, 0
	v_readlane_b32 s6, v73, 31
	v_readlane_b32 s7, v73, 32
	s_mul_i32 s0, s7, s0
	s_add_u32 s0, s1, s0
	s_addc_u32 s1, 0, s3
	s_mul_hi_u32 s3, s33, s0
	s_mul_i32 s0, s33, s0
	s_mul_i32 s1, s33, s1
	v_mov_b32_e32 v2, s0
	s_add_i32 s3, s3, s1
	v_sub_co_u32_e32 v2, vcc, s31, v2
	s_cmp_lg_u64 vcc, 0
	s_subb_u32 s0, s7, s3
	v_subrev_co_u32_e32 v4, vcc, s33, v2
	s_cmp_lg_u64 vcc, 0
	s_subb_u32 s1, s0, 0
	v_subrev_co_u32_e32 v5, vcc, s33, v4
	s_cmp_lg_u64 vcc, 0
	s_subb_u32 s3, s1, 0
	v_cmp_le_u32_e32 vcc, s33, v4
	s_cmp_eq_u32 s1, 0
	v_cndmask_b32_e64 v8, 0, -1, vcc
	s_cselect_b64 vcc, -1, 0
	v_cndmask_b32_e32 v8, -1, v8, vcc
	v_mov_b32_e32 v9, s1
	v_mov_b32_e32 v10, s3
	v_cmp_ne_u32_e32 vcc, 0, v8
	v_cndmask_b32_e32 v8, v9, v10, vcc
	v_cndmask_b32_e32 v4, v4, v5, vcc
	v_cmp_le_u32_e32 vcc, s33, v2
	s_cmp_eq_u32 s0, 0
	v_cndmask_b32_e64 v5, 0, -1, vcc
	s_cselect_b64 vcc, -1, 0
	v_cndmask_b32_e32 v5, -1, v5, vcc
	v_mov_b32_e32 v9, s0
	v_cmp_ne_u32_e32 vcc, 0, v5
	v_cndmask_b32_e32 v5, v9, v8, vcc
	v_cndmask_b32_e32 v4, v2, v4, vcc
	s_cbranch_execnz .LBB189_175
.LBB189_174:                            ;   in Loop: Header=BB189_31 Depth=1
	v_cvt_f32_u32_e32 v2, s33
	s_sub_i32 s0, 0, s33
	v_rcp_iflag_f32_e32 v2, v2
	v_mul_f32_e32 v2, 0x4f7ffffe, v2
	v_cvt_u32_f32_e32 v2, v2
	v_mul_lo_u32 v4, s0, v2
	v_mul_hi_u32 v4, v2, v4
	v_add_u32_e32 v2, v2, v4
	v_readlane_b32 s0, v73, 29
	v_mul_hi_u32 v2, s0, v2
	v_mul_lo_u32 v2, v2, s33
	v_sub_u32_e32 v2, s0, v2
	v_subrev_u32_e32 v4, s33, v2
	v_cmp_le_u32_e32 vcc, s33, v2
	v_cndmask_b32_e32 v2, v2, v4, vcc
	v_subrev_u32_e32 v4, s33, v2
	v_cmp_le_u32_e32 vcc, s33, v2
	v_cndmask_b32_e32 v20, v2, v4, vcc
	v_pk_mov_b32 v[4:5], v[20:21], v[20:21] op_sel:[0,1]
.LBB189_175:                            ;   in Loop: Header=BB189_31 Depth=1
	v_readlane_b32 s0, v73, 29
	v_mov_b32_e32 v2, s7
	v_sub_co_u32_e32 v42, vcc, s0, v4
	v_subb_co_u32_e32 v43, vcc, v2, v5, vcc
	v_cmp_gt_u64_e32 vcc, v[42:43], v[0:1]
	s_mov_b64 s[6:7], 0
                                        ; implicit-def: $vgpr10_vgpr11
	s_and_saveexec_b64 s[0:1], vcc
	s_cbranch_execz .LBB189_184
; %bb.176:                              ;   in Loop: Header=BB189_31 Depth=1
	s_mov_b64 s[46:47], 0
	v_pk_mov_b32 v[44:45], v[32:33], v[32:33] op_sel:[0,1]
	v_pk_mov_b32 v[46:47], v[0:1], v[0:1] op_sel:[0,1]
                                        ; implicit-def: $sgpr36_sgpr37
	s_branch .LBB189_178
.LBB189_177:                            ;   in Loop: Header=BB189_178 Depth=2
	s_or_b64 exec, exec, s[6:7]
	s_waitcnt lgkmcnt(0)
	s_barrier
	ds_read_b128 v[8:11], v21 offset:3072
	v_mov_b32_e32 v2, s92
	v_add_co_u32_e64 v46, s[6:7], s33, v46
	v_addc_co_u32_e64 v47, s[6:7], v47, v2, s[6:7]
	s_waitcnt lgkmcnt(0)
	v_cmp_neq_f64_e32 vcc, 0, v[8:9]
	v_cmp_ge_u64_e64 s[6:7], v[46:47], v[42:43]
	s_or_b64 s[30:31], s[6:7], vcc
	v_mov_b32_e32 v2, s65
	v_add_co_u32_e64 v44, s[6:7], s64, v44
	v_addc_co_u32_e64 v45, s[6:7], v45, v2, s[6:7]
	s_and_b64 s[6:7], exec, s[30:31]
	s_or_b64 s[46:47], s[6:7], s[46:47]
	s_andn2_b64 s[6:7], s[36:37], exec
	s_and_b64 s[30:31], vcc, exec
	s_or_b64 s[36:37], s[6:7], s[30:31]
	s_barrier
	s_andn2_b64 exec, exec, s[46:47]
	s_cbranch_execz .LBB189_183
.LBB189_178:                            ;   Parent Loop BB189_31 Depth=1
                                        ; =>  This Inner Loop Header: Depth=2
	v_cmp_gt_u64_e32 vcc, s[60:61], v[46:47]
	s_waitcnt vmcnt(0)
	v_pk_mov_b32 v[4:5], 0, 0
	s_and_saveexec_b64 s[6:7], vcc
	s_cbranch_execz .LBB189_180
; %bb.179:                              ;   in Loop: Header=BB189_178 Depth=2
	global_load_dwordx2 v[4:5], v[44:45], off
.LBB189_180:                            ;   in Loop: Header=BB189_178 Depth=2
	s_or_b64 exec, exec, s[6:7]
	s_and_saveexec_b64 s[6:7], vcc
	s_cbranch_execz .LBB189_177
; %bb.181:                              ;   in Loop: Header=BB189_178 Depth=2
	s_waitcnt vmcnt(0)
	v_ashrrev_i32_e32 v2, 31, v5
	v_or_b32_e32 v8, 0x80000000, v2
	v_xor_b32_e32 v8, v8, v5
	v_xor_b32_e32 v2, v2, v4
	v_cmp_o_f64_e32 vcc, v[4:5], v[4:5]
	v_cndmask_b32_e32 v8, -1, v8, vcc
	v_cndmask_b32_e32 v2, -1, v2, vcc
	v_and_b32_e32 v9, v8, v15
	v_and_b32_e32 v8, v2, v14
	v_cmp_eq_u64_e32 vcc, v[8:9], v[12:13]
	s_and_b64 exec, exec, vcc
	s_cbranch_execz .LBB189_177
; %bb.182:                              ;   in Loop: Header=BB189_178 Depth=2
	v_mov_b32_e32 v2, v21
	ds_write_b128 v21, v[2:5] offset:3072
	s_branch .LBB189_177
.LBB189_183:                            ;   in Loop: Header=BB189_31 Depth=1
	s_or_b64 exec, exec, s[46:47]
	s_and_b64 s[6:7], s[36:37], exec
.LBB189_184:                            ;   in Loop: Header=BB189_31 Depth=1
	s_or_b64 exec, exec, s[0:1]
	s_mov_b64 s[48:49], -1
	s_mov_b64 s[36:37], 0
	s_mov_b64 s[46:47], 0
.LBB189_185:                            ;   in Loop: Header=BB189_31 Depth=1
	s_orn2_b64 s[0:1], s[6:7], exec
.LBB189_186:                            ;   in Loop: Header=BB189_31 Depth=1
	s_or_b64 exec, exec, s[50:51]
	s_mov_b64 s[6:7], 0
                                        ; implicit-def: $vgpr2
	s_and_saveexec_b64 s[50:51], s[0:1]
	s_cbranch_execz .LBB189_299
; %bb.187:                              ;   in Loop: Header=BB189_31 Depth=1
	v_mov_b32_e32 v42, 1
	s_xor_b64 s[6:7], s[52:53], -1
	s_mov_b64 s[68:69], 0
	v_mov_b32_e32 v43, 0
	v_mov_b32_e32 v2, 1
	s_and_saveexec_b64 s[0:1], s[6:7]
	s_cbranch_execz .LBB189_197
; %bb.188:                              ;   in Loop: Header=BB189_31 Depth=1
	v_cmp_ge_u64_e32 vcc, s[22:23], v[40:41]
                                        ; implicit-def: $sgpr3
                                        ; implicit-def: $sgpr6_sgpr7
	s_and_saveexec_b64 s[30:31], vcc
	s_xor_b64 s[52:53], exec, s[30:31]
	s_cbranch_execz .LBB189_194
; %bb.189:                              ;   in Loop: Header=BB189_31 Depth=1
	s_waitcnt vmcnt(0)
	ds_read_b64 v[4:5], v21 offset:5120
	s_waitcnt lgkmcnt(0)
	v_cmp_ne_u64_e32 vcc, 0, v[4:5]
	s_cbranch_vccnz .LBB189_193
; %bb.190:                              ;   in Loop: Header=BB189_31 Depth=1
	s_mov_b64 s[6:7], exec
	v_readlane_b32 s30, v73, 10
	v_readlane_b32 s31, v73, 11
	s_and_b64 s[30:31], s[6:7], s[30:31]
	s_mov_b64 exec, s[30:31]
	s_cbranch_execz .LBB189_192
; %bb.191:                              ;   in Loop: Header=BB189_31 Depth=1
	v_pk_mov_b32 v[4:5], s[22:23], s[22:23] op_sel:[0,1]
	ds_write_b64 v21, v[4:5] offset:5128
.LBB189_192:                            ;   in Loop: Header=BB189_31 Depth=1
	s_or_b64 exec, exec, s[6:7]
	s_waitcnt lgkmcnt(0)
	s_barrier
.LBB189_193:                            ;   in Loop: Header=BB189_31 Depth=1
	s_lshl_b64 s[6:7], 1, s86
	v_and_b32_e32 v2, s21, v13
	v_and_b32_e32 v4, s20, v12
	v_or_b32_e32 v13, s7, v2
	v_or_b32_e32 v12, s6, v4
	;; [unrolled: 1-line block ×4, first 2 shown]
	s_mov_b64 s[6:7], 0
	s_mov_b32 s3, 8
.LBB189_194:                            ;   in Loop: Header=BB189_31 Depth=1
	s_or_saveexec_b64 s[52:53], s[52:53]
	v_mov_b32_e32 v2, s3
	s_xor_b64 exec, exec, s[52:53]
; %bb.195:                              ;   in Loop: Header=BB189_31 Depth=1
	v_mov_b32_e32 v2, s23
	v_subrev_co_u32_e32 v40, vcc, s22, v40
	v_subb_co_u32_e32 v41, vcc, v41, v2, vcc
	v_mov_b32_e32 v2, 0
	s_or_b64 s[6:7], s[6:7], exec
; %bb.196:                              ;   in Loop: Header=BB189_31 Depth=1
	s_or_b64 exec, exec, s[52:53]
	s_and_b64 s[68:69], s[6:7], exec
	v_pk_mov_b32 v[42:43], v[40:41], v[40:41] op_sel:[0,1]
.LBB189_197:                            ;   in Loop: Header=BB189_31 Depth=1
	s_or_b64 exec, exec, s[0:1]
	s_mov_b64 s[0:1], -1
                                        ; implicit-def: $sgpr6_sgpr7
                                        ; implicit-def: $sgpr54_sgpr55
                                        ; implicit-def: $sgpr66_sgpr67
	s_and_saveexec_b64 s[52:53], s[68:69]
	s_cbranch_execz .LBB189_298
; %bb.198:                              ;   in Loop: Header=BB189_31 Depth=1
	s_cmp_eq_u64 s[26:27], 1
	s_cselect_b64 s[0:1], -1, 0
	v_cmp_eq_u64_e32 vcc, 1, v[42:43]
	s_and_b64 s[68:69], s[0:1], vcc
	s_mov_b64 s[6:7], -1
                                        ; implicit-def: $sgpr4_sgpr5
                                        ; implicit-def: $sgpr0_sgpr1
                                        ; kill: killed $sgpr0_sgpr1
                                        ; implicit-def: $sgpr80_sgpr81
	s_and_saveexec_b64 s[54:55], s[68:69]
                                        ; implicit-def: $vgpr72 : SGPR spill to VGPR lane
	s_cbranch_execz .LBB189_232
; %bb.199:                              ;   in Loop: Header=BB189_31 Depth=1
	s_waitcnt vmcnt(0)
	ds_read_b64 v[4:5], v21 offset:5120
	s_waitcnt lgkmcnt(0)
	s_barrier
	v_readfirstlane_b32 s0, v4
	v_readfirstlane_b32 s1, v5
	s_mov_b64 s[6:7], exec
	v_readlane_b32 s30, v73, 24
	v_readlane_b32 s31, v73, 25
	s_and_b64 s[30:31], s[6:7], s[30:31]
	s_mov_b64 exec, s[30:31]
	s_cbranch_execz .LBB189_201
; %bb.200:                              ;   in Loop: Header=BB189_31 Depth=1
	v_mov_b32_e32 v20, v21
	ds_write_b64 v58, v[20:21]
.LBB189_201:                            ;   in Loop: Header=BB189_31 Depth=1
	s_or_b64 exec, exec, s[6:7]
	s_lshl_b64 s[6:7], 2, s86
	v_and_b32_e32 v2, s21, v13
	v_and_b32_e32 v4, s20, v12
	v_or_b32_e32 v13, s7, v2
	v_or_b32_e32 v12, s6, v4
	;; [unrolled: 1-line block ×4, first 2 shown]
	s_cmp_eq_u64 s[0:1], 0
	s_waitcnt lgkmcnt(0)
	s_barrier
	s_cbranch_scc1 .LBB189_215
; %bb.202:                              ;   in Loop: Header=BB189_31 Depth=1
	v_readlane_b32 s3, v73, 28
	s_add_u32 s3, s3, s0
	v_readlane_b32 s6, v73, 30
	s_addc_u32 s7, s6, s1
	s_mov_b32 s6, s87
	s_cmp_lg_u64 s[6:7], 0
	s_cbranch_scc0 .LBB189_250
; %bb.203:                              ;   in Loop: Header=BB189_31 Depth=1
	v_cvt_f32_u32_e32 v2, s33
	s_sub_u32 s6, 0, s33
	s_subb_u32 s30, 0, 0
	v_mac_f32_e32 v2, 0, v61
	v_rcp_f32_e32 v2, v2
	v_mul_f32_e32 v2, 0x5f7ffffc, v2
	v_mul_f32_e32 v4, 0x2f800000, v2
	v_trunc_f32_e32 v4, v4
	v_mac_f32_e32 v2, 0xcf800000, v4
	v_cvt_u32_f32_e32 v4, v4
	v_cvt_u32_f32_e32 v2, v2
	v_readfirstlane_b32 s31, v4
	v_readfirstlane_b32 s66, v2
	s_mul_i32 s67, s6, s31
	s_mul_hi_u32 s81, s6, s66
	s_mul_i32 s80, s30, s66
	s_add_i32 s67, s81, s67
	s_mul_i32 s88, s6, s66
	s_add_i32 s67, s67, s80
	s_mul_hi_u32 s81, s66, s88
	s_mul_hi_u32 s80, s66, s67
	s_mul_i32 s66, s66, s67
	s_add_u32 s66, s81, s66
	s_addc_u32 s80, 0, s80
	s_mul_hi_u32 s89, s31, s88
	s_mul_i32 s88, s31, s88
	s_add_u32 s66, s66, s88
	s_mul_hi_u32 s81, s31, s67
	s_addc_u32 s66, s80, s89
	s_addc_u32 s80, s81, 0
	s_mul_i32 s67, s31, s67
	s_add_u32 s66, s66, s67
	s_addc_u32 s67, 0, s80
	v_add_co_u32_e32 v2, vcc, s66, v2
	s_cmp_lg_u64 vcc, 0
	s_addc_u32 s31, s31, s67
	v_readfirstlane_b32 s67, v2
	s_mul_i32 s66, s6, s31
	s_mul_hi_u32 s80, s6, s67
	s_add_i32 s66, s80, s66
	s_mul_i32 s30, s30, s67
	s_add_i32 s66, s66, s30
	s_mul_i32 s6, s6, s67
	s_mul_hi_u32 s80, s31, s6
	s_mul_i32 s81, s31, s6
	s_mul_i32 s89, s67, s66
	s_mul_hi_u32 s6, s67, s6
	s_mul_hi_u32 s88, s67, s66
	s_add_u32 s6, s6, s89
	s_addc_u32 s67, 0, s88
	s_add_u32 s6, s6, s81
	s_mul_hi_u32 s30, s31, s66
	s_addc_u32 s6, s67, s80
	s_addc_u32 s30, s30, 0
	s_mul_i32 s66, s31, s66
	s_add_u32 s6, s6, s66
	s_addc_u32 s30, 0, s30
	v_add_co_u32_e32 v2, vcc, s6, v2
	s_cmp_lg_u64 vcc, 0
	s_addc_u32 s6, s31, s30
	v_readfirstlane_b32 s66, v2
	s_mul_i32 s31, s3, s6
	s_mul_hi_u32 s67, s3, s66
	s_mul_hi_u32 s30, s3, s6
	s_add_u32 s31, s67, s31
	s_addc_u32 s30, 0, s30
	s_mul_hi_u32 s80, s7, s66
	s_mul_i32 s66, s7, s66
	s_add_u32 s31, s31, s66
	s_mul_hi_u32 s67, s7, s6
	s_addc_u32 s30, s30, s80
	s_addc_u32 s31, s67, 0
	s_mul_i32 s6, s7, s6
	s_add_u32 s6, s30, s6
	s_addc_u32 s30, 0, s31
	s_mul_hi_u32 s31, s33, s6
	s_mul_i32 s6, s33, s6
	s_mul_i32 s30, s33, s30
	v_mov_b32_e32 v2, s6
	s_add_i32 s31, s31, s30
	v_sub_co_u32_e32 v2, vcc, s3, v2
	s_cmp_lg_u64 vcc, 0
	s_subb_u32 s6, s7, s31
	v_subrev_co_u32_e32 v4, vcc, s33, v2
	s_cmp_lg_u64 vcc, 0
	s_subb_u32 s30, s6, 0
	v_subrev_co_u32_e32 v5, vcc, s33, v4
	s_cmp_lg_u64 vcc, 0
	s_subb_u32 s31, s30, 0
	v_cmp_le_u32_e32 vcc, s33, v4
	s_cmp_eq_u32 s30, 0
	v_cndmask_b32_e64 v8, 0, -1, vcc
	s_cselect_b64 vcc, -1, 0
	v_cndmask_b32_e32 v8, -1, v8, vcc
	v_mov_b32_e32 v9, s30
	v_mov_b32_e32 v10, s31
	v_cmp_ne_u32_e32 vcc, 0, v8
	v_cndmask_b32_e32 v8, v9, v10, vcc
	v_cndmask_b32_e32 v4, v4, v5, vcc
	v_cmp_le_u32_e32 vcc, s33, v2
	s_cmp_eq_u32 s6, 0
	v_cndmask_b32_e64 v5, 0, -1, vcc
	s_cselect_b64 vcc, -1, 0
	v_cndmask_b32_e32 v5, -1, v5, vcc
	v_mov_b32_e32 v9, s6
	v_cmp_ne_u32_e32 vcc, 0, v5
	v_cndmask_b32_e32 v5, v9, v8, vcc
	v_cndmask_b32_e32 v4, v2, v4, vcc
	s_cbranch_execnz .LBB189_205
.LBB189_204:                            ;   in Loop: Header=BB189_31 Depth=1
	v_cvt_f32_u32_e32 v2, s33
	s_sub_i32 s6, 0, s33
	v_rcp_iflag_f32_e32 v2, v2
	v_mul_f32_e32 v2, 0x4f7ffffe, v2
	v_cvt_u32_f32_e32 v2, v2
	v_mul_lo_u32 v4, s6, v2
	v_mul_hi_u32 v4, v2, v4
	v_add_u32_e32 v2, v2, v4
	v_mul_hi_u32 v2, s3, v2
	v_mul_lo_u32 v2, v2, s33
	v_sub_u32_e32 v2, s3, v2
	v_subrev_u32_e32 v4, s33, v2
	v_cmp_le_u32_e32 vcc, s33, v2
	v_cndmask_b32_e32 v2, v2, v4, vcc
	v_subrev_u32_e32 v4, s33, v2
	v_cmp_le_u32_e32 vcc, s33, v2
	v_cndmask_b32_e32 v20, v2, v4, vcc
	v_pk_mov_b32 v[4:5], v[20:21], v[20:21] op_sel:[0,1]
.LBB189_205:                            ;   in Loop: Header=BB189_31 Depth=1
	v_mov_b32_e32 v2, s7
	v_sub_co_u32_e32 v40, vcc, s3, v4
	v_subb_co_u32_e32 v41, vcc, v2, v5, vcc
	v_cmp_gt_u64_e32 vcc, v[40:41], v[0:1]
	s_mov_b64 s[6:7], 0
                                        ; implicit-def: $vgpr10_vgpr11
	s_and_saveexec_b64 s[66:67], vcc
	s_cbranch_execz .LBB189_217
; %bb.206:                              ;   in Loop: Header=BB189_31 Depth=1
	s_mov_b64 s[88:89], 0
	v_mov_b32_e32 v20, v57
	v_pk_mov_b32 v[44:45], v[0:1], v[0:1] op_sel:[0,1]
                                        ; implicit-def: $sgpr80_sgpr81
	s_branch .LBB189_208
.LBB189_207:                            ;   in Loop: Header=BB189_208 Depth=2
	s_or_b64 exec, exec, s[6:7]
	s_waitcnt lgkmcnt(0)
	s_barrier
	ds_read_b128 v[8:11], v21 offset:3072
	v_mov_b32_e32 v2, s92
	v_add_co_u32_e64 v44, s[6:7], s33, v44
	v_addc_co_u32_e64 v45, s[6:7], v45, v2, s[6:7]
	s_waitcnt lgkmcnt(0)
	v_cmp_neq_f64_e32 vcc, 0, v[8:9]
	v_cmp_ge_u64_e64 s[6:7], v[44:45], v[40:41]
	s_or_b64 s[6:7], s[6:7], vcc
	s_and_b64 s[6:7], exec, s[6:7]
	s_or_b64 s[88:89], s[6:7], s[88:89]
	s_andn2_b64 s[6:7], s[80:81], exec
	s_and_b64 s[30:31], vcc, exec
	v_add_u32_e32 v20, s2, v20
	s_or_b64 s[80:81], s[6:7], s[30:31]
	s_barrier
	s_andn2_b64 exec, exec, s[88:89]
	s_cbranch_execz .LBB189_216
.LBB189_208:                            ;   Parent Loop BB189_31 Depth=1
                                        ; =>  This Inner Loop Header: Depth=2
	v_cmp_gt_u64_e32 vcc, s[0:1], v[44:45]
	v_pk_mov_b32 v[4:5], 0, 0
	s_and_saveexec_b64 s[6:7], vcc
	s_cbranch_execz .LBB189_210
; %bb.209:                              ;   in Loop: Header=BB189_208 Depth=2
	ds_read_b64 v[4:5], v20
.LBB189_210:                            ;   in Loop: Header=BB189_208 Depth=2
	s_or_b64 exec, exec, s[6:7]
	s_and_saveexec_b64 s[6:7], vcc
	s_cbranch_execz .LBB189_207
; %bb.211:                              ;   in Loop: Header=BB189_208 Depth=2
	s_waitcnt lgkmcnt(0)
	v_ashrrev_i32_e32 v2, 31, v5
	v_or_b32_e32 v8, 0x80000000, v2
	v_xor_b32_e32 v8, v8, v5
	v_xor_b32_e32 v2, v2, v4
	v_cmp_o_f64_e32 vcc, v[4:5], v[4:5]
	v_cndmask_b32_e32 v8, -1, v8, vcc
	v_cndmask_b32_e32 v2, -1, v2, vcc
	v_and_b32_e32 v9, v8, v15
	v_and_b32_e32 v8, v2, v14
	v_cmp_eq_u64_e32 vcc, v[8:9], v[12:13]
	s_and_b64 exec, exec, vcc
	s_cbranch_execz .LBB189_207
; %bb.212:                              ;   in Loop: Header=BB189_208 Depth=2
	v_mov_b32_e32 v2, v21
	ds_write_b128 v21, v[2:5] offset:3072
	s_branch .LBB189_207
.LBB189_213:                            ;   in Loop: Header=BB189_31 Depth=1
                                        ; implicit-def: $vgpr4_vgpr5
	s_branch .LBB189_158
.LBB189_214:                            ;   in Loop: Header=BB189_31 Depth=1
                                        ; implicit-def: $vgpr4_vgpr5
	s_branch .LBB189_174
.LBB189_215:                            ;   in Loop: Header=BB189_31 Depth=1
	s_mov_b64 s[4:5], -1
	s_mov_b64 s[6:7], 0
                                        ; implicit-def: $sgpr80_sgpr81
                                        ; implicit-def: $vgpr10_vgpr11
	s_mov_b64 s[0:1], s[4:5]
	s_cbranch_execnz .LBB189_218
	s_branch .LBB189_231
.LBB189_216:                            ;   in Loop: Header=BB189_31 Depth=1
	s_or_b64 exec, exec, s[88:89]
	s_and_b64 s[6:7], s[80:81], exec
.LBB189_217:                            ;   in Loop: Header=BB189_31 Depth=1
	s_or_b64 exec, exec, s[66:67]
	s_mov_b64 s[80:81], -1
	s_mov_b64 s[4:5], 0
	s_mov_b64 s[0:1], s[4:5]
	s_branch .LBB189_231
.LBB189_218:                            ;   in Loop: Header=BB189_31 Depth=1
	v_readlane_b32 s6, v73, 31
	v_readlane_b32 s7, v73, 32
	s_mov_b32 s6, s87
	s_mov_b32 s1, s7
	s_cmp_lg_u64 s[6:7], 0
	v_writelane_b32 v73, s0, 31
	v_writelane_b32 v73, s1, 32
	s_cbranch_scc0 .LBB189_251
; %bb.219:                              ;   in Loop: Header=BB189_31 Depth=1
	v_cvt_f32_u32_e32 v2, s33
	s_sub_u32 s0, 0, s33
	s_subb_u32 s1, 0, 0
	v_mac_f32_e32 v2, 0, v61
	v_rcp_f32_e32 v2, v2
	v_mul_f32_e32 v2, 0x5f7ffffc, v2
	v_mul_f32_e32 v4, 0x2f800000, v2
	v_trunc_f32_e32 v4, v4
	v_mac_f32_e32 v2, 0xcf800000, v4
	v_cvt_u32_f32_e32 v4, v4
	v_cvt_u32_f32_e32 v2, v2
	v_readfirstlane_b32 s3, v4
	v_readfirstlane_b32 s6, v2
	s_mul_i32 s7, s0, s3
	s_mul_hi_u32 s31, s0, s6
	s_mul_i32 s30, s1, s6
	s_add_i32 s7, s31, s7
	s_mul_i32 s66, s0, s6
	s_add_i32 s7, s7, s30
	s_mul_hi_u32 s31, s6, s66
	s_mul_hi_u32 s30, s6, s7
	s_mul_i32 s6, s6, s7
	s_add_u32 s6, s31, s6
	s_addc_u32 s30, 0, s30
	s_mul_hi_u32 s67, s3, s66
	s_mul_i32 s66, s3, s66
	s_add_u32 s6, s6, s66
	s_mul_hi_u32 s31, s3, s7
	s_addc_u32 s6, s30, s67
	s_addc_u32 s30, s31, 0
	s_mul_i32 s7, s3, s7
	s_add_u32 s6, s6, s7
	s_addc_u32 s7, 0, s30
	v_add_co_u32_e32 v2, vcc, s6, v2
	s_cmp_lg_u64 vcc, 0
	s_addc_u32 s3, s3, s7
	v_readfirstlane_b32 s7, v2
	s_mul_i32 s6, s0, s3
	s_mul_hi_u32 s30, s0, s7
	s_add_i32 s6, s30, s6
	s_mul_i32 s1, s1, s7
	s_add_i32 s6, s6, s1
	s_mul_i32 s0, s0, s7
	s_mul_hi_u32 s30, s3, s0
	s_mul_i32 s31, s3, s0
	s_mul_i32 s67, s7, s6
	s_mul_hi_u32 s0, s7, s0
	s_mul_hi_u32 s66, s7, s6
	s_add_u32 s0, s0, s67
	s_addc_u32 s7, 0, s66
	s_add_u32 s0, s0, s31
	s_mul_hi_u32 s1, s3, s6
	s_addc_u32 s0, s7, s30
	s_addc_u32 s1, s1, 0
	s_mul_i32 s6, s3, s6
	s_add_u32 s0, s0, s6
	s_addc_u32 s1, 0, s1
	v_add_co_u32_e32 v2, vcc, s0, v2
	s_cmp_lg_u64 vcc, 0
	s_addc_u32 s0, s3, s1
	v_readlane_b32 s31, v73, 29
	v_readfirstlane_b32 s6, v2
	v_readlane_b32 s66, v73, 31
	s_mul_i32 s3, s31, s0
	s_mul_hi_u32 s7, s31, s6
	v_readlane_b32 s67, v73, 32
	s_add_u32 s3, s7, s3
	s_mul_hi_u32 s7, s67, s0
	v_readlane_b32 s66, v73, 31
	v_readlane_b32 s67, v73, 32
	s_mul_hi_u32 s30, s67, s6
	v_readlane_b32 s66, v73, 31
	s_mul_hi_u32 s1, s31, s0
	v_readlane_b32 s67, v73, 32
	s_addc_u32 s1, 0, s1
	s_mul_i32 s6, s67, s6
	s_add_u32 s3, s3, s6
	s_addc_u32 s1, s1, s30
	s_addc_u32 s3, s7, 0
	v_readlane_b32 s6, v73, 31
	v_readlane_b32 s7, v73, 32
	s_mul_i32 s0, s7, s0
	s_add_u32 s0, s1, s0
	s_addc_u32 s1, 0, s3
	s_mul_hi_u32 s3, s33, s0
	s_mul_i32 s0, s33, s0
	s_mul_i32 s1, s33, s1
	v_mov_b32_e32 v2, s0
	s_add_i32 s3, s3, s1
	v_sub_co_u32_e32 v2, vcc, s31, v2
	s_cmp_lg_u64 vcc, 0
	s_subb_u32 s0, s7, s3
	v_subrev_co_u32_e32 v4, vcc, s33, v2
	s_cmp_lg_u64 vcc, 0
	s_subb_u32 s1, s0, 0
	v_subrev_co_u32_e32 v5, vcc, s33, v4
	s_cmp_lg_u64 vcc, 0
	s_subb_u32 s3, s1, 0
	v_cmp_le_u32_e32 vcc, s33, v4
	s_cmp_eq_u32 s1, 0
	v_cndmask_b32_e64 v8, 0, -1, vcc
	s_cselect_b64 vcc, -1, 0
	v_cndmask_b32_e32 v8, -1, v8, vcc
	v_mov_b32_e32 v9, s1
	v_mov_b32_e32 v10, s3
	v_cmp_ne_u32_e32 vcc, 0, v8
	v_cndmask_b32_e32 v8, v9, v10, vcc
	v_cndmask_b32_e32 v4, v4, v5, vcc
	v_cmp_le_u32_e32 vcc, s33, v2
	s_cmp_eq_u32 s0, 0
	v_cndmask_b32_e64 v5, 0, -1, vcc
	s_cselect_b64 vcc, -1, 0
	v_cndmask_b32_e32 v5, -1, v5, vcc
	v_mov_b32_e32 v9, s0
	v_cmp_ne_u32_e32 vcc, 0, v5
	v_cndmask_b32_e32 v5, v9, v8, vcc
	v_cndmask_b32_e32 v4, v2, v4, vcc
	s_cbranch_execnz .LBB189_221
.LBB189_220:                            ;   in Loop: Header=BB189_31 Depth=1
	v_cvt_f32_u32_e32 v2, s33
	s_sub_i32 s0, 0, s33
	v_rcp_iflag_f32_e32 v2, v2
	v_mul_f32_e32 v2, 0x4f7ffffe, v2
	v_cvt_u32_f32_e32 v2, v2
	v_mul_lo_u32 v4, s0, v2
	v_mul_hi_u32 v4, v2, v4
	v_add_u32_e32 v2, v2, v4
	v_readlane_b32 s0, v73, 29
	v_mul_hi_u32 v2, s0, v2
	v_mul_lo_u32 v2, v2, s33
	v_sub_u32_e32 v2, s0, v2
	v_subrev_u32_e32 v4, s33, v2
	v_cmp_le_u32_e32 vcc, s33, v2
	v_cndmask_b32_e32 v2, v2, v4, vcc
	v_subrev_u32_e32 v4, s33, v2
	v_cmp_le_u32_e32 vcc, s33, v2
	v_cndmask_b32_e32 v20, v2, v4, vcc
	v_pk_mov_b32 v[4:5], v[20:21], v[20:21] op_sel:[0,1]
.LBB189_221:                            ;   in Loop: Header=BB189_31 Depth=1
	v_readlane_b32 s0, v73, 29
	v_mov_b32_e32 v2, s7
	v_sub_co_u32_e32 v40, vcc, s0, v4
	v_subb_co_u32_e32 v41, vcc, v2, v5, vcc
	v_cmp_gt_u64_e32 vcc, v[40:41], v[0:1]
	s_mov_b64 s[6:7], 0
                                        ; implicit-def: $vgpr10_vgpr11
	s_and_saveexec_b64 s[0:1], vcc
	s_cbranch_execz .LBB189_230
; %bb.222:                              ;   in Loop: Header=BB189_31 Depth=1
	s_mov_b64 s[80:81], 0
	v_pk_mov_b32 v[44:45], v[32:33], v[32:33] op_sel:[0,1]
	v_pk_mov_b32 v[46:47], v[0:1], v[0:1] op_sel:[0,1]
                                        ; implicit-def: $sgpr66_sgpr67
	s_branch .LBB189_224
.LBB189_223:                            ;   in Loop: Header=BB189_224 Depth=2
	s_or_b64 exec, exec, s[6:7]
	s_waitcnt lgkmcnt(0)
	s_barrier
	ds_read_b128 v[8:11], v21 offset:3072
	v_mov_b32_e32 v2, s92
	v_add_co_u32_e64 v46, s[6:7], s33, v46
	v_addc_co_u32_e64 v47, s[6:7], v47, v2, s[6:7]
	s_waitcnt lgkmcnt(0)
	v_cmp_neq_f64_e32 vcc, 0, v[8:9]
	v_cmp_ge_u64_e64 s[6:7], v[46:47], v[40:41]
	s_or_b64 s[30:31], s[6:7], vcc
	v_mov_b32_e32 v2, s65
	v_add_co_u32_e64 v44, s[6:7], s64, v44
	v_addc_co_u32_e64 v45, s[6:7], v45, v2, s[6:7]
	s_and_b64 s[6:7], exec, s[30:31]
	s_or_b64 s[80:81], s[6:7], s[80:81]
	s_andn2_b64 s[6:7], s[66:67], exec
	s_and_b64 s[30:31], vcc, exec
	s_or_b64 s[66:67], s[6:7], s[30:31]
	s_barrier
	s_andn2_b64 exec, exec, s[80:81]
	s_cbranch_execz .LBB189_229
.LBB189_224:                            ;   Parent Loop BB189_31 Depth=1
                                        ; =>  This Inner Loop Header: Depth=2
	v_cmp_gt_u64_e32 vcc, s[60:61], v[46:47]
	s_waitcnt vmcnt(0)
	v_pk_mov_b32 v[4:5], 0, 0
	s_and_saveexec_b64 s[6:7], vcc
	s_cbranch_execz .LBB189_226
; %bb.225:                              ;   in Loop: Header=BB189_224 Depth=2
	global_load_dwordx2 v[4:5], v[44:45], off
.LBB189_226:                            ;   in Loop: Header=BB189_224 Depth=2
	s_or_b64 exec, exec, s[6:7]
	s_and_saveexec_b64 s[6:7], vcc
	s_cbranch_execz .LBB189_223
; %bb.227:                              ;   in Loop: Header=BB189_224 Depth=2
	s_waitcnt vmcnt(0)
	v_ashrrev_i32_e32 v2, 31, v5
	v_or_b32_e32 v8, 0x80000000, v2
	v_xor_b32_e32 v8, v8, v5
	v_xor_b32_e32 v2, v2, v4
	v_cmp_o_f64_e32 vcc, v[4:5], v[4:5]
	v_cndmask_b32_e32 v8, -1, v8, vcc
	v_cndmask_b32_e32 v2, -1, v2, vcc
	v_and_b32_e32 v9, v8, v15
	v_and_b32_e32 v8, v2, v14
	v_cmp_eq_u64_e32 vcc, v[8:9], v[12:13]
	s_and_b64 exec, exec, vcc
	s_cbranch_execz .LBB189_223
; %bb.228:                              ;   in Loop: Header=BB189_224 Depth=2
	v_mov_b32_e32 v2, v21
	ds_write_b128 v21, v[2:5] offset:3072
	s_branch .LBB189_223
.LBB189_229:                            ;   in Loop: Header=BB189_31 Depth=1
	s_or_b64 exec, exec, s[80:81]
	s_and_b64 s[6:7], s[66:67], exec
.LBB189_230:                            ;   in Loop: Header=BB189_31 Depth=1
	s_or_b64 exec, exec, s[0:1]
	s_mov_b64 s[0:1], -1
	s_mov_b64 s[4:5], 0
	s_mov_b64 s[80:81], 0
.LBB189_231:                            ;   in Loop: Header=BB189_31 Depth=1
	v_writelane_b32 v72, s0, 2
	s_orn2_b64 s[6:7], s[6:7], exec
	v_writelane_b32 v72, s1, 3
.LBB189_232:                            ;   in Loop: Header=BB189_31 Depth=1
	s_or_b64 exec, exec, s[54:55]
	s_mov_b64 s[0:1], 0
                                        ; implicit-def: $vgpr2
	s_mov_b64 s[30:31], exec
	v_writelane_b32 v72, s30, 0
	s_and_b64 s[6:7], s[30:31], s[6:7]
	v_writelane_b32 v72, s31, 1
	s_mov_b64 exec, s[6:7]
	s_cbranch_execz .LBB189_297
; %bb.233:                              ;   in Loop: Header=BB189_31 Depth=1
	v_mov_b32_e32 v40, 1
	s_xor_b64 s[6:7], s[68:69], -1
	s_mov_b64 s[68:69], 0
	v_mov_b32_e32 v41, 0
	v_mov_b32_e32 v2, 1
	s_and_saveexec_b64 s[0:1], s[6:7]
	s_cbranch_execz .LBB189_243
; %bb.234:                              ;   in Loop: Header=BB189_31 Depth=1
	v_cmp_ge_u64_e32 vcc, s[26:27], v[42:43]
                                        ; implicit-def: $sgpr3
                                        ; implicit-def: $sgpr6_sgpr7
	s_and_saveexec_b64 s[30:31], vcc
	s_xor_b64 s[54:55], exec, s[30:31]
	s_cbranch_execz .LBB189_240
; %bb.235:                              ;   in Loop: Header=BB189_31 Depth=1
	s_waitcnt vmcnt(0)
	ds_read_b64 v[4:5], v21 offset:5120
	s_waitcnt lgkmcnt(0)
	v_cmp_ne_u64_e32 vcc, 0, v[4:5]
	s_cbranch_vccnz .LBB189_239
; %bb.236:                              ;   in Loop: Header=BB189_31 Depth=1
	s_mov_b64 s[6:7], exec
	v_readlane_b32 s30, v73, 10
	v_readlane_b32 s31, v73, 11
	s_and_b64 s[30:31], s[6:7], s[30:31]
	s_mov_b64 exec, s[30:31]
	s_cbranch_execz .LBB189_238
; %bb.237:                              ;   in Loop: Header=BB189_31 Depth=1
	v_pk_mov_b32 v[4:5], s[26:27], s[26:27] op_sel:[0,1]
	ds_write_b64 v21, v[4:5] offset:5128
.LBB189_238:                            ;   in Loop: Header=BB189_31 Depth=1
	s_or_b64 exec, exec, s[6:7]
	s_waitcnt lgkmcnt(0)
	s_barrier
.LBB189_239:                            ;   in Loop: Header=BB189_31 Depth=1
	s_lshl_b64 s[6:7], 2, s86
	v_and_b32_e32 v2, s21, v13
	v_and_b32_e32 v4, s20, v12
	v_or_b32_e32 v13, s7, v2
	v_or_b32_e32 v12, s6, v4
	;; [unrolled: 1-line block ×4, first 2 shown]
	s_mov_b64 s[6:7], 0
	s_mov_b32 s3, 8
.LBB189_240:                            ;   in Loop: Header=BB189_31 Depth=1
	s_or_saveexec_b64 s[54:55], s[54:55]
	v_mov_b32_e32 v2, s3
	s_xor_b64 exec, exec, s[54:55]
; %bb.241:                              ;   in Loop: Header=BB189_31 Depth=1
	v_mov_b32_e32 v2, s27
	v_subrev_co_u32_e32 v42, vcc, s26, v42
	v_subb_co_u32_e32 v43, vcc, v43, v2, vcc
	v_mov_b32_e32 v2, 0
	s_or_b64 s[6:7], s[6:7], exec
; %bb.242:                              ;   in Loop: Header=BB189_31 Depth=1
	s_or_b64 exec, exec, s[54:55]
	s_and_b64 s[68:69], s[6:7], exec
	v_pk_mov_b32 v[40:41], v[42:43], v[42:43] op_sel:[0,1]
.LBB189_243:                            ;   in Loop: Header=BB189_31 Depth=1
	s_or_b64 exec, exec, s[0:1]
	s_mov_b64 s[54:55], -1
                                        ; implicit-def: $sgpr0_sgpr1
                                        ; implicit-def: $sgpr66_sgpr67
                                        ; implicit-def: $sgpr6_sgpr7
	s_mov_b64 s[30:31], exec
	v_writelane_b32 v72, s30, 4
	v_writelane_b32 v72, s31, 5
	s_and_b64 s[30:31], s[30:31], s[68:69]
	s_mov_b64 exec, s[30:31]
	s_cbranch_execz .LBB189_296
; %bb.244:                              ;   in Loop: Header=BB189_31 Depth=1
	s_cmp_eq_u64 s[28:29], 1
	v_writelane_b32 v72, s80, 6
	s_cselect_b64 s[0:1], -1, 0
	v_cmp_eq_u64_e32 vcc, 1, v[40:41]
	v_writelane_b32 v72, s81, 7
	s_and_b64 s[68:69], s[0:1], vcc
	s_mov_b64 s[80:81], -1
                                        ; implicit-def: $sgpr0_sgpr1
                                        ; implicit-def: $sgpr66_sgpr67
                                        ; implicit-def: $sgpr6_sgpr7
	s_and_saveexec_b64 s[54:55], s[68:69]
	s_cbranch_execz .LBB189_283
; %bb.245:                              ;   in Loop: Header=BB189_31 Depth=1
	s_waitcnt vmcnt(0)
	ds_read_b64 v[4:5], v21 offset:5120
	s_waitcnt lgkmcnt(0)
	s_barrier
	v_readfirstlane_b32 s0, v4
	v_readfirstlane_b32 s1, v5
	s_mov_b64 s[6:7], exec
	v_readlane_b32 s30, v73, 24
	v_readlane_b32 s31, v73, 25
	s_and_b64 s[30:31], s[6:7], s[30:31]
	s_mov_b64 exec, s[30:31]
	s_cbranch_execz .LBB189_247
; %bb.246:                              ;   in Loop: Header=BB189_31 Depth=1
	v_mov_b32_e32 v20, v21
	ds_write_b64 v58, v[20:21]
.LBB189_247:                            ;   in Loop: Header=BB189_31 Depth=1
	s_or_b64 exec, exec, s[6:7]
	v_or_b32_e32 v13, s19, v13
	v_or_b32_e32 v12, s18, v12
	;; [unrolled: 1-line block ×4, first 2 shown]
	s_cmp_eq_u64 s[0:1], 0
	s_waitcnt lgkmcnt(0)
	s_barrier
	s_cbranch_scc1 .LBB189_252
; %bb.248:                              ;   in Loop: Header=BB189_31 Depth=1
	v_readlane_b32 s3, v73, 28
	s_add_u32 s3, s3, s0
	v_readlane_b32 s6, v73, 30
	s_addc_u32 s7, s6, s1
	s_mov_b32 s6, s87
	s_cmp_lg_u64 s[6:7], 0
	s_cbranch_scc0 .LBB189_253
; %bb.249:                              ;   in Loop: Header=BB189_31 Depth=1
	v_cvt_f32_u32_e32 v2, s33
	s_sub_u32 s6, 0, s33
	s_subb_u32 s30, 0, 0
	v_mac_f32_e32 v2, 0, v61
	v_rcp_f32_e32 v2, v2
	v_mul_f32_e32 v2, 0x5f7ffffc, v2
	v_mul_f32_e32 v4, 0x2f800000, v2
	v_trunc_f32_e32 v4, v4
	v_mac_f32_e32 v2, 0xcf800000, v4
	v_cvt_u32_f32_e32 v4, v4
	v_cvt_u32_f32_e32 v2, v2
	v_readfirstlane_b32 s31, v4
	v_readfirstlane_b32 s66, v2
	s_mul_i32 s67, s6, s31
	s_mul_hi_u32 s81, s6, s66
	s_mul_i32 s80, s30, s66
	s_add_i32 s67, s81, s67
	s_mul_i32 s88, s6, s66
	s_add_i32 s67, s67, s80
	s_mul_hi_u32 s81, s66, s88
	s_mul_hi_u32 s80, s66, s67
	s_mul_i32 s66, s66, s67
	s_add_u32 s66, s81, s66
	s_addc_u32 s80, 0, s80
	s_mul_hi_u32 s89, s31, s88
	s_mul_i32 s88, s31, s88
	s_add_u32 s66, s66, s88
	s_mul_hi_u32 s81, s31, s67
	s_addc_u32 s66, s80, s89
	s_addc_u32 s80, s81, 0
	s_mul_i32 s67, s31, s67
	s_add_u32 s66, s66, s67
	s_addc_u32 s67, 0, s80
	v_add_co_u32_e32 v2, vcc, s66, v2
	s_cmp_lg_u64 vcc, 0
	s_addc_u32 s31, s31, s67
	v_readfirstlane_b32 s67, v2
	s_mul_i32 s66, s6, s31
	s_mul_hi_u32 s80, s6, s67
	s_add_i32 s66, s80, s66
	s_mul_i32 s30, s30, s67
	s_add_i32 s66, s66, s30
	s_mul_i32 s6, s6, s67
	s_mul_hi_u32 s80, s31, s6
	s_mul_i32 s81, s31, s6
	s_mul_i32 s89, s67, s66
	s_mul_hi_u32 s6, s67, s6
	s_mul_hi_u32 s88, s67, s66
	s_add_u32 s6, s6, s89
	s_addc_u32 s67, 0, s88
	s_add_u32 s6, s6, s81
	s_mul_hi_u32 s30, s31, s66
	s_addc_u32 s6, s67, s80
	s_addc_u32 s30, s30, 0
	s_mul_i32 s66, s31, s66
	s_add_u32 s6, s6, s66
	s_addc_u32 s30, 0, s30
	v_add_co_u32_e32 v2, vcc, s6, v2
	s_cmp_lg_u64 vcc, 0
	s_addc_u32 s6, s31, s30
	v_readfirstlane_b32 s66, v2
	s_mul_i32 s31, s3, s6
	s_mul_hi_u32 s67, s3, s66
	s_mul_hi_u32 s30, s3, s6
	s_add_u32 s31, s67, s31
	s_addc_u32 s30, 0, s30
	s_mul_hi_u32 s80, s7, s66
	s_mul_i32 s66, s7, s66
	s_add_u32 s31, s31, s66
	s_mul_hi_u32 s67, s7, s6
	s_addc_u32 s30, s30, s80
	s_addc_u32 s31, s67, 0
	s_mul_i32 s6, s7, s6
	s_add_u32 s6, s30, s6
	s_addc_u32 s30, 0, s31
	s_mul_hi_u32 s31, s33, s6
	s_mul_i32 s6, s33, s6
	s_mul_i32 s30, s33, s30
	v_mov_b32_e32 v2, s6
	s_add_i32 s31, s31, s30
	v_sub_co_u32_e32 v2, vcc, s3, v2
	s_cmp_lg_u64 vcc, 0
	s_subb_u32 s6, s7, s31
	v_subrev_co_u32_e32 v4, vcc, s33, v2
	s_cmp_lg_u64 vcc, 0
	s_subb_u32 s30, s6, 0
	v_subrev_co_u32_e32 v5, vcc, s33, v4
	s_cmp_lg_u64 vcc, 0
	s_subb_u32 s31, s30, 0
	v_cmp_le_u32_e32 vcc, s33, v4
	s_cmp_eq_u32 s30, 0
	v_cndmask_b32_e64 v8, 0, -1, vcc
	s_cselect_b64 vcc, -1, 0
	v_cndmask_b32_e32 v8, -1, v8, vcc
	v_mov_b32_e32 v9, s30
	v_mov_b32_e32 v10, s31
	v_cmp_ne_u32_e32 vcc, 0, v8
	v_cndmask_b32_e32 v8, v9, v10, vcc
	v_cndmask_b32_e32 v4, v4, v5, vcc
	v_cmp_le_u32_e32 vcc, s33, v2
	s_cmp_eq_u32 s6, 0
	v_cndmask_b32_e64 v5, 0, -1, vcc
	s_cselect_b64 vcc, -1, 0
	v_cndmask_b32_e32 v5, -1, v5, vcc
	v_mov_b32_e32 v9, s6
	v_cmp_ne_u32_e32 vcc, 0, v5
	v_cndmask_b32_e32 v5, v9, v8, vcc
	v_cndmask_b32_e32 v4, v2, v4, vcc
	s_mov_b64 s[66:67], 0
	s_branch .LBB189_254
.LBB189_250:                            ;   in Loop: Header=BB189_31 Depth=1
                                        ; implicit-def: $vgpr4_vgpr5
	s_branch .LBB189_204
.LBB189_251:                            ;   in Loop: Header=BB189_31 Depth=1
                                        ; implicit-def: $vgpr4_vgpr5
	s_branch .LBB189_220
.LBB189_252:                            ;   in Loop: Header=BB189_31 Depth=1
	s_mov_b64 s[0:1], -1
	s_mov_b64 s[80:81], 0
                                        ; implicit-def: $sgpr6_sgpr7
                                        ; implicit-def: $vgpr10_vgpr11
	s_branch .LBB189_266
.LBB189_253:                            ;   in Loop: Header=BB189_31 Depth=1
	s_mov_b64 s[66:67], -1
                                        ; implicit-def: $vgpr4_vgpr5
.LBB189_254:                            ;   in Loop: Header=BB189_31 Depth=1
	s_andn2_b64 vcc, exec, s[66:67]
	s_cbranch_vccnz .LBB189_256
; %bb.255:                              ;   in Loop: Header=BB189_31 Depth=1
	v_cvt_f32_u32_e32 v2, s33
	s_sub_i32 s6, 0, s33
	v_rcp_iflag_f32_e32 v2, v2
	v_mul_f32_e32 v2, 0x4f7ffffe, v2
	v_cvt_u32_f32_e32 v2, v2
	v_mul_lo_u32 v4, s6, v2
	v_mul_hi_u32 v4, v2, v4
	v_add_u32_e32 v2, v2, v4
	v_mul_hi_u32 v2, s3, v2
	v_mul_lo_u32 v2, v2, s33
	v_sub_u32_e32 v2, s3, v2
	v_subrev_u32_e32 v4, s33, v2
	v_cmp_le_u32_e32 vcc, s33, v2
	v_cndmask_b32_e32 v2, v2, v4, vcc
	v_subrev_u32_e32 v4, s33, v2
	v_cmp_le_u32_e32 vcc, s33, v2
	v_cndmask_b32_e32 v20, v2, v4, vcc
	v_pk_mov_b32 v[4:5], v[20:21], v[20:21] op_sel:[0,1]
.LBB189_256:                            ;   in Loop: Header=BB189_31 Depth=1
	v_mov_b32_e32 v2, s7
	v_sub_co_u32_e32 v42, vcc, s3, v4
	v_subb_co_u32_e32 v43, vcc, v2, v5, vcc
	v_cmp_gt_u64_e32 vcc, v[42:43], v[0:1]
	s_mov_b64 s[80:81], 0
                                        ; implicit-def: $vgpr10_vgpr11
	s_and_saveexec_b64 s[66:67], vcc
	s_cbranch_execz .LBB189_265
; %bb.257:                              ;   in Loop: Header=BB189_31 Depth=1
	s_mov_b64 s[88:89], 0
	v_mov_b32_e32 v20, v57
	v_pk_mov_b32 v[44:45], v[0:1], v[0:1] op_sel:[0,1]
                                        ; implicit-def: $sgpr80_sgpr81
	s_branch .LBB189_259
.LBB189_258:                            ;   in Loop: Header=BB189_259 Depth=2
	s_or_b64 exec, exec, s[6:7]
	s_waitcnt lgkmcnt(0)
	s_barrier
	ds_read_b128 v[8:11], v21 offset:3072
	v_mov_b32_e32 v2, s92
	v_add_co_u32_e64 v44, s[6:7], s33, v44
	v_addc_co_u32_e64 v45, s[6:7], v45, v2, s[6:7]
	s_waitcnt lgkmcnt(0)
	v_cmp_neq_f64_e32 vcc, 0, v[8:9]
	v_cmp_ge_u64_e64 s[6:7], v[44:45], v[42:43]
	s_or_b64 s[6:7], s[6:7], vcc
	s_and_b64 s[6:7], exec, s[6:7]
	s_or_b64 s[88:89], s[6:7], s[88:89]
	s_andn2_b64 s[6:7], s[80:81], exec
	s_and_b64 s[30:31], vcc, exec
	v_add_u32_e32 v20, s2, v20
	s_or_b64 s[80:81], s[6:7], s[30:31]
	s_barrier
	s_andn2_b64 exec, exec, s[88:89]
	s_cbranch_execz .LBB189_264
.LBB189_259:                            ;   Parent Loop BB189_31 Depth=1
                                        ; =>  This Inner Loop Header: Depth=2
	v_cmp_gt_u64_e32 vcc, s[0:1], v[44:45]
	v_pk_mov_b32 v[4:5], 0, 0
	s_and_saveexec_b64 s[6:7], vcc
	s_cbranch_execz .LBB189_261
; %bb.260:                              ;   in Loop: Header=BB189_259 Depth=2
	ds_read_b64 v[4:5], v20
.LBB189_261:                            ;   in Loop: Header=BB189_259 Depth=2
	s_or_b64 exec, exec, s[6:7]
	s_and_saveexec_b64 s[6:7], vcc
	s_cbranch_execz .LBB189_258
; %bb.262:                              ;   in Loop: Header=BB189_259 Depth=2
	s_waitcnt lgkmcnt(0)
	v_ashrrev_i32_e32 v2, 31, v5
	v_or_b32_e32 v8, 0x80000000, v2
	v_xor_b32_e32 v8, v8, v5
	v_xor_b32_e32 v2, v2, v4
	v_cmp_o_f64_e32 vcc, v[4:5], v[4:5]
	v_cndmask_b32_e32 v8, -1, v8, vcc
	v_cndmask_b32_e32 v2, -1, v2, vcc
	v_and_b32_e32 v9, v8, v15
	v_and_b32_e32 v8, v2, v14
	v_cmp_eq_u64_e32 vcc, v[8:9], v[12:13]
	s_and_b64 exec, exec, vcc
	s_cbranch_execz .LBB189_258
; %bb.263:                              ;   in Loop: Header=BB189_259 Depth=2
	v_mov_b32_e32 v2, v21
	ds_write_b128 v21, v[2:5] offset:3072
	s_branch .LBB189_258
.LBB189_264:                            ;   in Loop: Header=BB189_31 Depth=1
	s_or_b64 exec, exec, s[88:89]
	s_and_b64 s[80:81], s[80:81], exec
.LBB189_265:                            ;   in Loop: Header=BB189_31 Depth=1
	s_or_b64 exec, exec, s[66:67]
	s_mov_b64 s[6:7], -1
	s_mov_b64 s[0:1], 0
.LBB189_266:                            ;   in Loop: Header=BB189_31 Depth=1
	s_and_b64 vcc, exec, s[0:1]
	s_mov_b64 s[66:67], s[0:1]
	s_cbranch_vccz .LBB189_282
; %bb.267:                              ;   in Loop: Header=BB189_31 Depth=1
	v_readlane_b32 s6, v73, 31
	v_readlane_b32 s7, v73, 32
	s_mov_b32 s6, s87
	s_mov_b32 s1, s7
	s_cmp_lg_u64 s[6:7], 0
	v_writelane_b32 v73, s0, 31
	v_writelane_b32 v73, s1, 32
	s_cbranch_scc0 .LBB189_269
; %bb.268:                              ;   in Loop: Header=BB189_31 Depth=1
	v_cvt_f32_u32_e32 v2, s33
	s_sub_u32 s0, 0, s33
	s_subb_u32 s1, 0, 0
	v_mac_f32_e32 v2, 0, v61
	v_rcp_f32_e32 v2, v2
	v_mul_f32_e32 v2, 0x5f7ffffc, v2
	v_mul_f32_e32 v4, 0x2f800000, v2
	v_trunc_f32_e32 v4, v4
	v_mac_f32_e32 v2, 0xcf800000, v4
	v_cvt_u32_f32_e32 v4, v4
	v_cvt_u32_f32_e32 v2, v2
	v_readfirstlane_b32 s3, v4
	v_readfirstlane_b32 s6, v2
	s_mul_i32 s7, s0, s3
	s_mul_hi_u32 s31, s0, s6
	s_mul_i32 s30, s1, s6
	s_add_i32 s7, s31, s7
	s_mul_i32 s66, s0, s6
	s_add_i32 s7, s7, s30
	s_mul_hi_u32 s31, s6, s66
	s_mul_hi_u32 s30, s6, s7
	s_mul_i32 s6, s6, s7
	s_add_u32 s6, s31, s6
	s_addc_u32 s30, 0, s30
	s_mul_hi_u32 s67, s3, s66
	s_mul_i32 s66, s3, s66
	s_add_u32 s6, s6, s66
	s_mul_hi_u32 s31, s3, s7
	s_addc_u32 s6, s30, s67
	s_addc_u32 s30, s31, 0
	s_mul_i32 s7, s3, s7
	s_add_u32 s6, s6, s7
	s_addc_u32 s7, 0, s30
	v_add_co_u32_e32 v2, vcc, s6, v2
	s_cmp_lg_u64 vcc, 0
	s_addc_u32 s3, s3, s7
	v_readfirstlane_b32 s7, v2
	s_mul_i32 s6, s0, s3
	s_mul_hi_u32 s30, s0, s7
	s_add_i32 s6, s30, s6
	s_mul_i32 s1, s1, s7
	s_add_i32 s6, s6, s1
	s_mul_i32 s0, s0, s7
	s_mul_hi_u32 s30, s3, s0
	s_mul_i32 s31, s3, s0
	s_mul_i32 s67, s7, s6
	s_mul_hi_u32 s0, s7, s0
	s_mul_hi_u32 s66, s7, s6
	s_add_u32 s0, s0, s67
	s_addc_u32 s7, 0, s66
	s_add_u32 s0, s0, s31
	s_mul_hi_u32 s1, s3, s6
	s_addc_u32 s0, s7, s30
	s_addc_u32 s1, s1, 0
	s_mul_i32 s6, s3, s6
	s_add_u32 s0, s0, s6
	s_addc_u32 s1, 0, s1
	v_add_co_u32_e32 v2, vcc, s0, v2
	s_cmp_lg_u64 vcc, 0
	s_addc_u32 s0, s3, s1
	v_readlane_b32 s31, v73, 29
	v_readfirstlane_b32 s6, v2
	v_readlane_b32 s66, v73, 31
	s_mul_i32 s3, s31, s0
	s_mul_hi_u32 s7, s31, s6
	v_readlane_b32 s67, v73, 32
	s_add_u32 s3, s7, s3
	s_mul_hi_u32 s7, s67, s0
	v_readlane_b32 s66, v73, 31
	v_readlane_b32 s67, v73, 32
	s_mul_hi_u32 s30, s67, s6
	v_readlane_b32 s66, v73, 31
	s_mul_hi_u32 s1, s31, s0
	v_readlane_b32 s67, v73, 32
	s_addc_u32 s1, 0, s1
	s_mul_i32 s6, s67, s6
	s_add_u32 s3, s3, s6
	s_addc_u32 s1, s1, s30
	s_addc_u32 s3, s7, 0
	v_readlane_b32 s6, v73, 31
	v_readlane_b32 s7, v73, 32
	s_mul_i32 s0, s7, s0
	s_add_u32 s0, s1, s0
	s_addc_u32 s1, 0, s3
	s_mul_hi_u32 s3, s33, s0
	s_mul_i32 s0, s33, s0
	s_mul_i32 s1, s33, s1
	v_mov_b32_e32 v2, s0
	s_add_i32 s3, s3, s1
	v_sub_co_u32_e32 v2, vcc, s31, v2
	s_cmp_lg_u64 vcc, 0
	s_subb_u32 s0, s7, s3
	v_subrev_co_u32_e32 v4, vcc, s33, v2
	s_cmp_lg_u64 vcc, 0
	s_subb_u32 s1, s0, 0
	v_subrev_co_u32_e32 v5, vcc, s33, v4
	s_cmp_lg_u64 vcc, 0
	s_subb_u32 s3, s1, 0
	v_cmp_le_u32_e32 vcc, s33, v4
	s_cmp_eq_u32 s1, 0
	v_cndmask_b32_e64 v8, 0, -1, vcc
	s_cselect_b64 vcc, -1, 0
	v_cndmask_b32_e32 v8, -1, v8, vcc
	v_mov_b32_e32 v9, s1
	v_mov_b32_e32 v10, s3
	v_cmp_ne_u32_e32 vcc, 0, v8
	v_cndmask_b32_e32 v8, v9, v10, vcc
	v_cndmask_b32_e32 v4, v4, v5, vcc
	v_cmp_le_u32_e32 vcc, s33, v2
	s_cmp_eq_u32 s0, 0
	v_cndmask_b32_e64 v5, 0, -1, vcc
	s_cselect_b64 vcc, -1, 0
	v_cndmask_b32_e32 v5, -1, v5, vcc
	v_mov_b32_e32 v9, s0
	v_cmp_ne_u32_e32 vcc, 0, v5
	v_cndmask_b32_e32 v5, v9, v8, vcc
	v_cndmask_b32_e32 v4, v2, v4, vcc
	s_mov_b64 s[0:1], 0
	s_branch .LBB189_270
.LBB189_269:                            ;   in Loop: Header=BB189_31 Depth=1
	s_mov_b64 s[0:1], -1
                                        ; implicit-def: $vgpr4_vgpr5
.LBB189_270:                            ;   in Loop: Header=BB189_31 Depth=1
	s_andn2_b64 vcc, exec, s[0:1]
	s_cbranch_vccnz .LBB189_272
; %bb.271:                              ;   in Loop: Header=BB189_31 Depth=1
	v_cvt_f32_u32_e32 v2, s33
	s_sub_i32 s0, 0, s33
	v_rcp_iflag_f32_e32 v2, v2
	v_mul_f32_e32 v2, 0x4f7ffffe, v2
	v_cvt_u32_f32_e32 v2, v2
	v_mul_lo_u32 v4, s0, v2
	v_mul_hi_u32 v4, v2, v4
	v_add_u32_e32 v2, v2, v4
	v_readlane_b32 s0, v73, 29
	v_mul_hi_u32 v2, s0, v2
	v_mul_lo_u32 v2, v2, s33
	v_sub_u32_e32 v2, s0, v2
	v_subrev_u32_e32 v4, s33, v2
	v_cmp_le_u32_e32 vcc, s33, v2
	v_cndmask_b32_e32 v2, v2, v4, vcc
	v_subrev_u32_e32 v4, s33, v2
	v_cmp_le_u32_e32 vcc, s33, v2
	v_cndmask_b32_e32 v20, v2, v4, vcc
	v_pk_mov_b32 v[4:5], v[20:21], v[20:21] op_sel:[0,1]
.LBB189_272:                            ;   in Loop: Header=BB189_31 Depth=1
	v_readlane_b32 s0, v73, 29
	v_mov_b32_e32 v2, s7
	v_sub_co_u32_e32 v42, vcc, s0, v4
	v_subb_co_u32_e32 v43, vcc, v2, v5, vcc
	v_cmp_gt_u64_e32 vcc, v[42:43], v[0:1]
	s_mov_b64 s[80:81], 0
                                        ; implicit-def: $vgpr10_vgpr11
	s_and_saveexec_b64 s[0:1], vcc
	s_cbranch_execz .LBB189_281
; %bb.273:                              ;   in Loop: Header=BB189_31 Depth=1
	v_pk_mov_b32 v[44:45], v[32:33], v[32:33] op_sel:[0,1]
	v_pk_mov_b32 v[46:47], v[0:1], v[0:1] op_sel:[0,1]
                                        ; implicit-def: $sgpr66_sgpr67
	s_branch .LBB189_275
.LBB189_274:                            ;   in Loop: Header=BB189_275 Depth=2
	s_or_b64 exec, exec, s[6:7]
	s_waitcnt lgkmcnt(0)
	s_barrier
	ds_read_b128 v[8:11], v21 offset:3072
	v_mov_b32_e32 v2, s92
	v_add_co_u32_e64 v46, s[6:7], s33, v46
	v_addc_co_u32_e64 v47, s[6:7], v47, v2, s[6:7]
	s_waitcnt lgkmcnt(0)
	v_cmp_neq_f64_e32 vcc, 0, v[8:9]
	v_cmp_ge_u64_e64 s[6:7], v[46:47], v[42:43]
	s_or_b64 s[30:31], s[6:7], vcc
	v_mov_b32_e32 v2, s65
	v_add_co_u32_e64 v44, s[6:7], s64, v44
	v_addc_co_u32_e64 v45, s[6:7], v45, v2, s[6:7]
	s_and_b64 s[6:7], exec, s[30:31]
	s_or_b64 s[80:81], s[6:7], s[80:81]
	s_andn2_b64 s[6:7], s[66:67], exec
	s_and_b64 s[30:31], vcc, exec
	s_or_b64 s[66:67], s[6:7], s[30:31]
	s_barrier
	s_andn2_b64 exec, exec, s[80:81]
	s_cbranch_execz .LBB189_280
.LBB189_275:                            ;   Parent Loop BB189_31 Depth=1
                                        ; =>  This Inner Loop Header: Depth=2
	v_cmp_gt_u64_e32 vcc, s[60:61], v[46:47]
	s_waitcnt vmcnt(0)
	v_pk_mov_b32 v[4:5], 0, 0
	s_and_saveexec_b64 s[6:7], vcc
	s_cbranch_execz .LBB189_277
; %bb.276:                              ;   in Loop: Header=BB189_275 Depth=2
	global_load_dwordx2 v[4:5], v[44:45], off
.LBB189_277:                            ;   in Loop: Header=BB189_275 Depth=2
	s_or_b64 exec, exec, s[6:7]
	s_and_saveexec_b64 s[6:7], vcc
	s_cbranch_execz .LBB189_274
; %bb.278:                              ;   in Loop: Header=BB189_275 Depth=2
	s_waitcnt vmcnt(0)
	v_ashrrev_i32_e32 v2, 31, v5
	v_or_b32_e32 v8, 0x80000000, v2
	v_xor_b32_e32 v8, v8, v5
	v_xor_b32_e32 v2, v2, v4
	v_cmp_o_f64_e32 vcc, v[4:5], v[4:5]
	v_cndmask_b32_e32 v8, -1, v8, vcc
	v_cndmask_b32_e32 v2, -1, v2, vcc
	v_and_b32_e32 v9, v8, v15
	v_and_b32_e32 v8, v2, v14
	v_cmp_eq_u64_e32 vcc, v[8:9], v[12:13]
	s_and_b64 exec, exec, vcc
	s_cbranch_execz .LBB189_274
; %bb.279:                              ;   in Loop: Header=BB189_275 Depth=2
	v_mov_b32_e32 v2, v21
	ds_write_b128 v21, v[2:5] offset:3072
	s_branch .LBB189_274
.LBB189_280:                            ;   in Loop: Header=BB189_31 Depth=1
	s_or_b64 exec, exec, s[80:81]
	s_and_b64 s[80:81], s[66:67], exec
.LBB189_281:                            ;   in Loop: Header=BB189_31 Depth=1
	s_or_b64 exec, exec, s[0:1]
	s_mov_b64 s[66:67], -1
	s_mov_b64 s[0:1], 0
	s_mov_b64 s[6:7], 0
.LBB189_282:                            ;   in Loop: Header=BB189_31 Depth=1
	s_orn2_b64 s[80:81], s[80:81], exec
.LBB189_283:                            ;   in Loop: Header=BB189_31 Depth=1
	s_or_b64 exec, exec, s[54:55]
	s_mov_b64 s[88:89], 0
                                        ; implicit-def: $vgpr2
                                        ; implicit-def: $vgpr4_vgpr5
	s_and_saveexec_b64 s[54:55], s[80:81]
	v_readlane_b32 s80, v72, 6
	v_readlane_b32 s81, v72, 7
	s_cbranch_execz .LBB189_295
; %bb.284:                              ;   in Loop: Header=BB189_31 Depth=1
	s_waitcnt vmcnt(0)
	v_mov_b32_e32 v4, 1
	s_xor_b64 s[30:31], s[68:69], -1
	v_mov_b32_e32 v2, 1
	v_mov_b32_e32 v5, 0
	s_and_saveexec_b64 s[68:69], s[30:31]
	s_cbranch_execz .LBB189_294
; %bb.285:                              ;   in Loop: Header=BB189_31 Depth=1
	v_cmp_ge_u64_e32 vcc, s[28:29], v[40:41]
                                        ; implicit-def: $sgpr3
	s_and_saveexec_b64 s[30:31], vcc
	s_xor_b64 s[80:81], exec, s[30:31]
	s_cbranch_execz .LBB189_291
; %bb.286:                              ;   in Loop: Header=BB189_31 Depth=1
	ds_read_b64 v[4:5], v21 offset:5120
	s_waitcnt lgkmcnt(0)
	v_cmp_ne_u64_e32 vcc, 0, v[4:5]
	s_cbranch_vccnz .LBB189_290
; %bb.287:                              ;   in Loop: Header=BB189_31 Depth=1
	s_mov_b64 s[88:89], exec
	v_readlane_b32 s30, v73, 10
	v_readlane_b32 s31, v73, 11
	s_and_b64 s[30:31], s[88:89], s[30:31]
	s_mov_b64 exec, s[30:31]
	s_cbranch_execz .LBB189_289
; %bb.288:                              ;   in Loop: Header=BB189_31 Depth=1
	v_pk_mov_b32 v[4:5], s[28:29], s[28:29] op_sel:[0,1]
	ds_write_b64 v21, v[4:5] offset:5128
.LBB189_289:                            ;   in Loop: Header=BB189_31 Depth=1
	s_or_b64 exec, exec, s[88:89]
	s_waitcnt lgkmcnt(0)
	s_barrier
.LBB189_290:                            ;   in Loop: Header=BB189_31 Depth=1
	v_or_b32_e32 v13, s19, v13
	v_or_b32_e32 v12, s18, v12
	;; [unrolled: 1-line block ×4, first 2 shown]
	s_mov_b32 s3, 8
.LBB189_291:                            ;   in Loop: Header=BB189_31 Depth=1
	s_or_saveexec_b64 s[80:81], s[80:81]
	v_mov_b32_e32 v2, s3
	s_xor_b64 exec, exec, s[80:81]
; %bb.292:                              ;   in Loop: Header=BB189_31 Depth=1
	v_mov_b32_e32 v2, s29
	v_subrev_co_u32_e32 v40, vcc, s28, v40
	v_subb_co_u32_e32 v41, vcc, v41, v2, vcc
	v_mov_b32_e32 v2, 8
; %bb.293:                              ;   in Loop: Header=BB189_31 Depth=1
	s_or_b64 exec, exec, s[80:81]
	v_readlane_b32 s80, v72, 6
	v_pk_mov_b32 v[4:5], v[40:41], v[40:41] op_sel:[0,1]
	v_readlane_b32 s81, v72, 7
.LBB189_294:                            ;   in Loop: Header=BB189_31 Depth=1
	s_or_b64 exec, exec, s[68:69]
	s_mov_b64 s[88:89], exec
.LBB189_295:                            ;   in Loop: Header=BB189_31 Depth=1
	s_or_b64 exec, exec, s[54:55]
	s_orn2_b64 s[54:55], s[88:89], exec
	s_waitcnt vmcnt(0)
	v_pk_mov_b32 v[40:41], v[4:5], v[4:5] op_sel:[0,1]
.LBB189_296:                            ;   in Loop: Header=BB189_31 Depth=1
	v_readlane_b32 s30, v72, 4
	v_readlane_b32 s31, v72, 5
	s_or_b64 exec, exec, s[30:31]
	s_andn2_b64 s[30:31], s[4:5], exec
	s_and_b64 s[0:1], s[0:1], exec
	s_or_b64 s[4:5], s[30:31], s[0:1]
	v_readlane_b32 s0, v72, 2
	v_readlane_b32 s1, v72, 3
	s_andn2_b64 s[0:1], s[0:1], exec
	s_and_b64 s[30:31], s[66:67], exec
	s_or_b64 s[0:1], s[0:1], s[30:31]
	v_writelane_b32 v72, s0, 2
	v_writelane_b32 v72, s1, 3
	s_andn2_b64 s[0:1], s[80:81], exec
	s_and_b64 s[6:7], s[6:7], exec
	s_or_b64 s[80:81], s[0:1], s[6:7]
	s_and_b64 s[0:1], s[54:55], exec
	v_pk_mov_b32 v[42:43], v[40:41], v[40:41] op_sel:[0,1]
.LBB189_297:                            ;   in Loop: Header=BB189_31 Depth=1
	v_readlane_b32 s6, v72, 0
	v_readlane_b32 s7, v72, 1
	s_or_b64 exec, exec, s[6:7]
	s_and_b64 s[66:67], s[4:5], exec
	v_readlane_b32 s4, v72, 2
	v_readlane_b32 s5, v72, 3
	s_and_b64 s[54:55], s[4:5], exec
	s_and_b64 s[6:7], s[80:81], exec
	s_orn2_b64 s[0:1], s[0:1], exec
.LBB189_298:                            ;   in Loop: Header=BB189_31 Depth=1
	s_or_b64 exec, exec, s[52:53]
	s_andn2_b64 s[30:31], s[36:37], exec
	s_and_b64 s[36:37], s[66:67], exec
	s_or_b64 s[36:37], s[30:31], s[36:37]
	s_andn2_b64 s[30:31], s[48:49], exec
	s_and_b64 s[48:49], s[54:55], exec
	s_or_b64 s[48:49], s[30:31], s[48:49]
	;; [unrolled: 3-line block ×3, first 2 shown]
	s_and_b64 s[6:7], s[0:1], exec
	v_pk_mov_b32 v[40:41], v[42:43], v[42:43] op_sel:[0,1]
.LBB189_299:                            ;   in Loop: Header=BB189_31 Depth=1
	s_or_b64 exec, exec, s[50:51]
	s_and_b64 s[50:51], s[36:37], exec
	s_and_b64 s[36:37], s[48:49], exec
	;; [unrolled: 1-line block ×3, first 2 shown]
	s_orn2_b64 s[46:47], s[6:7], exec
.LBB189_300:                            ;   in Loop: Header=BB189_31 Depth=1
	s_or_b64 exec, exec, s[34:35]
	s_mov_b64 s[6:7], 0
	s_mov_b64 s[34:35], 0
	s_and_saveexec_b64 s[30:31], s[46:47]
	s_xor_b64 s[46:47], exec, s[30:31]
; %bb.301:                              ;   in Loop: Header=BB189_31 Depth=1
	v_cmp_eq_u32_e32 vcc, 8, v2
	v_cmp_ne_u32_e64 s[6:7], 8, v2
	s_andn2_b64 s[50:51], s[50:51], exec
	s_andn2_b64 s[36:37], s[36:37], exec
	;; [unrolled: 1-line block ×3, first 2 shown]
	s_and_b64 s[34:35], s[6:7], exec
	s_and_b64 s[6:7], vcc, exec
; %bb.302:                              ;   in Loop: Header=BB189_31 Depth=1
	s_or_b64 exec, exec, s[46:47]
	s_andn2_b64 s[24:25], s[24:25], exec
	s_and_b64 s[30:31], s[50:51], exec
	s_or_b64 s[24:25], s[24:25], s[30:31]
	s_andn2_b64 s[30:31], s[40:41], exec
	s_and_b64 s[36:37], s[36:37], exec
	s_or_b64 s[40:41], s[30:31], s[36:37]
	;; [unrolled: 3-line block ×3, first 2 shown]
	s_and_b64 s[34:35], s[34:35], exec
	s_and_b64 s[36:37], s[6:7], exec
.LBB189_303:                            ;   in Loop: Header=BB189_31 Depth=1
	s_or_b64 exec, exec, s[44:45]
	s_and_b64 vcc, exec, s[42:43]
	s_cbranch_vccz .LBB189_119
.LBB189_304:                            ;   in Loop: Header=BB189_31 Depth=1
	s_cmp_eq_u64 s[28:29], 1
	s_cselect_b64 s[0:1], -1, 0
	s_and_b64 s[40:41], s[0:1], s[14:15]
	s_mov_b64 s[0:1], -1
                                        ; implicit-def: $sgpr14_sgpr15
                                        ; implicit-def: $sgpr42_sgpr43
                                        ; implicit-def: $sgpr24_sgpr25
	s_and_saveexec_b64 s[38:39], s[40:41]
	s_cbranch_execz .LBB189_336
; %bb.305:                              ;   in Loop: Header=BB189_31 Depth=1
	s_waitcnt vmcnt(0)
	ds_read_b64 v[4:5], v21 offset:5120
	s_waitcnt lgkmcnt(0)
	s_barrier
	v_readfirstlane_b32 s0, v4
	v_readfirstlane_b32 s1, v5
	s_mov_b64 s[6:7], exec
	v_readlane_b32 s14, v73, 24
	v_readlane_b32 s15, v73, 25
	s_and_b64 s[14:15], s[6:7], s[14:15]
	s_mov_b64 exec, s[14:15]
	s_cbranch_execz .LBB189_307
; %bb.306:                              ;   in Loop: Header=BB189_31 Depth=1
	v_mov_b32_e32 v20, v21
	ds_write_b64 v58, v[20:21]
.LBB189_307:                            ;   in Loop: Header=BB189_31 Depth=1
	s_or_b64 exec, exec, s[6:7]
	v_or_b32_e32 v35, s19, v35
	v_or_b32_e32 v34, s18, v34
	;; [unrolled: 1-line block ×4, first 2 shown]
	s_cmp_eq_u64 s[0:1], 0
	s_waitcnt lgkmcnt(0)
	s_barrier
	s_cbranch_scc1 .LBB189_319
; %bb.308:                              ;   in Loop: Header=BB189_31 Depth=1
	v_readlane_b32 s3, v73, 28
	s_add_u32 s3, s3, s0
	v_readlane_b32 s6, v73, 30
	s_addc_u32 s7, s6, s1
	s_mov_b32 s6, s87
	s_cmp_lg_u64 s[6:7], 0
	s_cbranch_scc0 .LBB189_363
; %bb.309:                              ;   in Loop: Header=BB189_31 Depth=1
	v_cvt_f32_u32_e32 v2, s33
	s_sub_u32 s6, 0, s33
	s_subb_u32 s14, 0, 0
	v_mac_f32_e32 v2, 0, v61
	v_rcp_f32_e32 v2, v2
	v_mul_f32_e32 v2, 0x5f7ffffc, v2
	v_mul_f32_e32 v4, 0x2f800000, v2
	v_trunc_f32_e32 v4, v4
	v_mac_f32_e32 v2, 0xcf800000, v4
	v_cvt_u32_f32_e32 v4, v4
	v_cvt_u32_f32_e32 v2, v2
	v_readfirstlane_b32 s15, v4
	v_readfirstlane_b32 s24, v2
	s_mul_i32 s25, s6, s15
	s_mul_hi_u32 s31, s6, s24
	s_mul_i32 s30, s14, s24
	s_add_i32 s25, s31, s25
	s_mul_i32 s42, s6, s24
	s_add_i32 s25, s25, s30
	s_mul_hi_u32 s31, s24, s42
	s_mul_hi_u32 s30, s24, s25
	s_mul_i32 s24, s24, s25
	s_add_u32 s24, s31, s24
	s_addc_u32 s30, 0, s30
	s_mul_hi_u32 s43, s15, s42
	s_mul_i32 s42, s15, s42
	s_add_u32 s24, s24, s42
	s_mul_hi_u32 s31, s15, s25
	s_addc_u32 s24, s30, s43
	s_addc_u32 s30, s31, 0
	s_mul_i32 s25, s15, s25
	s_add_u32 s24, s24, s25
	s_addc_u32 s25, 0, s30
	v_add_co_u32_e32 v2, vcc, s24, v2
	s_cmp_lg_u64 vcc, 0
	s_addc_u32 s15, s15, s25
	v_readfirstlane_b32 s25, v2
	s_mul_i32 s24, s6, s15
	s_mul_hi_u32 s30, s6, s25
	s_add_i32 s24, s30, s24
	s_mul_i32 s14, s14, s25
	s_add_i32 s24, s24, s14
	s_mul_i32 s6, s6, s25
	s_mul_hi_u32 s30, s15, s6
	s_mul_i32 s31, s15, s6
	s_mul_i32 s43, s25, s24
	s_mul_hi_u32 s6, s25, s6
	s_mul_hi_u32 s42, s25, s24
	s_add_u32 s6, s6, s43
	s_addc_u32 s25, 0, s42
	s_add_u32 s6, s6, s31
	s_mul_hi_u32 s14, s15, s24
	s_addc_u32 s6, s25, s30
	s_addc_u32 s14, s14, 0
	s_mul_i32 s24, s15, s24
	s_add_u32 s6, s6, s24
	s_addc_u32 s14, 0, s14
	v_add_co_u32_e32 v2, vcc, s6, v2
	s_cmp_lg_u64 vcc, 0
	s_addc_u32 s6, s15, s14
	v_readfirstlane_b32 s24, v2
	s_mul_i32 s15, s3, s6
	s_mul_hi_u32 s25, s3, s24
	s_mul_hi_u32 s14, s3, s6
	s_add_u32 s15, s25, s15
	s_addc_u32 s14, 0, s14
	s_mul_hi_u32 s30, s7, s24
	s_mul_i32 s24, s7, s24
	s_add_u32 s15, s15, s24
	s_mul_hi_u32 s25, s7, s6
	s_addc_u32 s14, s14, s30
	s_addc_u32 s15, s25, 0
	s_mul_i32 s6, s7, s6
	s_add_u32 s6, s14, s6
	s_addc_u32 s14, 0, s15
	s_mul_hi_u32 s15, s33, s6
	s_mul_i32 s6, s33, s6
	s_mul_i32 s14, s33, s14
	v_mov_b32_e32 v2, s6
	s_add_i32 s15, s15, s14
	v_sub_co_u32_e32 v2, vcc, s3, v2
	s_cmp_lg_u64 vcc, 0
	s_subb_u32 s6, s7, s15
	v_subrev_co_u32_e32 v4, vcc, s33, v2
	s_cmp_lg_u64 vcc, 0
	s_subb_u32 s14, s6, 0
	v_subrev_co_u32_e32 v5, vcc, s33, v4
	s_cmp_lg_u64 vcc, 0
	s_subb_u32 s15, s14, 0
	v_cmp_le_u32_e32 vcc, s33, v4
	s_cmp_eq_u32 s14, 0
	v_cndmask_b32_e64 v6, 0, -1, vcc
	s_cselect_b64 vcc, -1, 0
	v_cndmask_b32_e32 v6, -1, v6, vcc
	v_mov_b32_e32 v7, s14
	v_mov_b32_e32 v8, s15
	v_cmp_ne_u32_e32 vcc, 0, v6
	v_cndmask_b32_e32 v6, v7, v8, vcc
	v_cndmask_b32_e32 v4, v4, v5, vcc
	v_cmp_le_u32_e32 vcc, s33, v2
	s_cmp_eq_u32 s6, 0
	v_cndmask_b32_e64 v5, 0, -1, vcc
	s_cselect_b64 vcc, -1, 0
	v_cndmask_b32_e32 v5, -1, v5, vcc
	v_mov_b32_e32 v7, s6
	v_cmp_ne_u32_e32 vcc, 0, v5
	v_cndmask_b32_e32 v5, v7, v6, vcc
	v_cndmask_b32_e32 v4, v2, v4, vcc
	s_cbranch_execnz .LBB189_311
.LBB189_310:                            ;   in Loop: Header=BB189_31 Depth=1
	v_cvt_f32_u32_e32 v2, s33
	s_sub_i32 s6, 0, s33
	v_rcp_iflag_f32_e32 v2, v2
	v_mul_f32_e32 v2, 0x4f7ffffe, v2
	v_cvt_u32_f32_e32 v2, v2
	v_mul_lo_u32 v4, s6, v2
	v_mul_hi_u32 v4, v2, v4
	v_add_u32_e32 v2, v2, v4
	v_mul_hi_u32 v2, s3, v2
	v_mul_lo_u32 v2, v2, s33
	v_sub_u32_e32 v2, s3, v2
	v_subrev_u32_e32 v4, s33, v2
	v_cmp_le_u32_e32 vcc, s33, v2
	v_cndmask_b32_e32 v2, v2, v4, vcc
	v_subrev_u32_e32 v4, s33, v2
	v_cmp_le_u32_e32 vcc, s33, v2
	v_cndmask_b32_e32 v20, v2, v4, vcc
	v_pk_mov_b32 v[4:5], v[20:21], v[20:21] op_sel:[0,1]
.LBB189_311:                            ;   in Loop: Header=BB189_31 Depth=1
	v_mov_b32_e32 v2, s7
	v_sub_co_u32_e32 v8, vcc, s3, v4
	v_subb_co_u32_e32 v9, vcc, v2, v5, vcc
	v_cmp_gt_u64_e32 vcc, v[8:9], v[0:1]
	s_mov_b64 s[6:7], 0
                                        ; implicit-def: $vgpr6_vgpr7
	s_and_saveexec_b64 s[14:15], vcc
	s_cbranch_execz .LBB189_321
; %bb.312:                              ;   in Loop: Header=BB189_31 Depth=1
	s_mov_b64 s[42:43], 0
	v_mov_b32_e32 v12, v57
	v_pk_mov_b32 v[10:11], v[0:1], v[0:1] op_sel:[0,1]
                                        ; implicit-def: $sgpr24_sgpr25
	s_branch .LBB189_314
.LBB189_313:                            ;   in Loop: Header=BB189_314 Depth=2
	s_or_b64 exec, exec, s[6:7]
	s_waitcnt lgkmcnt(0)
	s_barrier
	ds_read_b128 v[4:7], v21 offset:3072
	v_mov_b32_e32 v2, s92
	v_add_co_u32_e64 v10, s[6:7], s33, v10
	v_addc_co_u32_e64 v11, s[6:7], v11, v2, s[6:7]
	s_waitcnt lgkmcnt(0)
	v_cmp_neq_f64_e32 vcc, 0, v[4:5]
	v_cmp_ge_u64_e64 s[6:7], v[10:11], v[8:9]
	s_or_b64 s[6:7], s[6:7], vcc
	s_and_b64 s[6:7], exec, s[6:7]
	s_or_b64 s[42:43], s[6:7], s[42:43]
	s_andn2_b64 s[6:7], s[24:25], exec
	s_and_b64 s[24:25], vcc, exec
	v_add_u32_e32 v12, s2, v12
	s_or_b64 s[24:25], s[6:7], s[24:25]
	s_barrier
	s_andn2_b64 exec, exec, s[42:43]
	s_cbranch_execz .LBB189_320
.LBB189_314:                            ;   Parent Loop BB189_31 Depth=1
                                        ; =>  This Inner Loop Header: Depth=2
	v_cmp_gt_u64_e32 vcc, s[0:1], v[10:11]
	v_pk_mov_b32 v[4:5], 0, 0
	s_and_saveexec_b64 s[6:7], vcc
	s_cbranch_execz .LBB189_316
; %bb.315:                              ;   in Loop: Header=BB189_314 Depth=2
	ds_read_b64 v[4:5], v12
.LBB189_316:                            ;   in Loop: Header=BB189_314 Depth=2
	s_or_b64 exec, exec, s[6:7]
	s_and_saveexec_b64 s[6:7], vcc
	s_cbranch_execz .LBB189_313
; %bb.317:                              ;   in Loop: Header=BB189_314 Depth=2
	s_waitcnt lgkmcnt(0)
	v_ashrrev_i32_e32 v2, 31, v5
	v_or_b32_e32 v6, 0x80000000, v2
	v_xor_b32_e32 v6, v6, v5
	v_xor_b32_e32 v2, v2, v4
	v_cmp_o_f64_e32 vcc, v[4:5], v[4:5]
	v_cndmask_b32_e32 v6, -1, v6, vcc
	v_cndmask_b32_e32 v2, -1, v2, vcc
	v_and_b32_e32 v7, v6, v37
	v_and_b32_e32 v6, v2, v36
	v_cmp_eq_u64_e32 vcc, v[6:7], v[34:35]
	s_and_b64 exec, exec, vcc
	s_cbranch_execz .LBB189_313
; %bb.318:                              ;   in Loop: Header=BB189_314 Depth=2
	v_mov_b32_e32 v2, v21
	ds_write_b128 v21, v[2:5] offset:3072
	s_branch .LBB189_313
.LBB189_319:                            ;   in Loop: Header=BB189_31 Depth=1
	s_mov_b64 s[14:15], -1
	s_mov_b64 s[6:7], 0
                                        ; implicit-def: $sgpr42_sgpr43
                                        ; implicit-def: $vgpr6_vgpr7
	s_mov_b64 s[24:25], s[14:15]
	s_cbranch_execnz .LBB189_322
	s_branch .LBB189_335
.LBB189_320:                            ;   in Loop: Header=BB189_31 Depth=1
	s_or_b64 exec, exec, s[42:43]
	s_and_b64 s[6:7], s[24:25], exec
.LBB189_321:                            ;   in Loop: Header=BB189_31 Depth=1
	s_or_b64 exec, exec, s[14:15]
	s_mov_b64 s[14:15], 0
	s_mov_b64 s[42:43], -1
	s_mov_b64 s[24:25], s[14:15]
	s_branch .LBB189_335
.LBB189_322:                            ;   in Loop: Header=BB189_31 Depth=1
	v_readlane_b32 s6, v73, 31
	v_readlane_b32 s7, v73, 32
	s_mov_b32 s6, s87
	s_mov_b32 s1, s7
	s_cmp_lg_u64 s[6:7], 0
	v_writelane_b32 v73, s0, 31
	v_writelane_b32 v73, s1, 32
	s_cbranch_scc0 .LBB189_364
; %bb.323:                              ;   in Loop: Header=BB189_31 Depth=1
	v_cvt_f32_u32_e32 v2, s33
	s_sub_u32 s0, 0, s33
	s_subb_u32 s1, 0, 0
	v_mac_f32_e32 v2, 0, v61
	v_rcp_f32_e32 v2, v2
	v_mul_f32_e32 v2, 0x5f7ffffc, v2
	v_mul_f32_e32 v4, 0x2f800000, v2
	v_trunc_f32_e32 v4, v4
	v_mac_f32_e32 v2, 0xcf800000, v4
	v_cvt_u32_f32_e32 v4, v4
	v_cvt_u32_f32_e32 v2, v2
	v_readfirstlane_b32 s3, v4
	v_readfirstlane_b32 s6, v2
	s_mul_i32 s7, s0, s3
	s_mul_hi_u32 s15, s0, s6
	s_mul_i32 s14, s1, s6
	s_add_i32 s7, s15, s7
	s_mul_i32 s24, s0, s6
	s_add_i32 s7, s7, s14
	s_mul_hi_u32 s15, s6, s24
	s_mul_hi_u32 s14, s6, s7
	s_mul_i32 s6, s6, s7
	s_add_u32 s6, s15, s6
	s_addc_u32 s14, 0, s14
	s_mul_hi_u32 s25, s3, s24
	s_mul_i32 s24, s3, s24
	s_add_u32 s6, s6, s24
	s_mul_hi_u32 s15, s3, s7
	s_addc_u32 s6, s14, s25
	s_addc_u32 s14, s15, 0
	s_mul_i32 s7, s3, s7
	s_add_u32 s6, s6, s7
	s_addc_u32 s7, 0, s14
	v_add_co_u32_e32 v2, vcc, s6, v2
	s_cmp_lg_u64 vcc, 0
	s_addc_u32 s3, s3, s7
	v_readfirstlane_b32 s7, v2
	s_mul_i32 s6, s0, s3
	s_mul_hi_u32 s14, s0, s7
	s_add_i32 s6, s14, s6
	s_mul_i32 s1, s1, s7
	s_add_i32 s6, s6, s1
	s_mul_i32 s0, s0, s7
	s_mul_hi_u32 s14, s3, s0
	s_mul_i32 s15, s3, s0
	s_mul_i32 s25, s7, s6
	s_mul_hi_u32 s0, s7, s0
	s_mul_hi_u32 s24, s7, s6
	s_add_u32 s0, s0, s25
	s_addc_u32 s7, 0, s24
	s_add_u32 s0, s0, s15
	s_mul_hi_u32 s1, s3, s6
	s_addc_u32 s0, s7, s14
	s_addc_u32 s1, s1, 0
	s_mul_i32 s6, s3, s6
	s_add_u32 s0, s0, s6
	s_addc_u32 s1, 0, s1
	v_add_co_u32_e32 v2, vcc, s0, v2
	s_cmp_lg_u64 vcc, 0
	s_addc_u32 s0, s3, s1
	v_readlane_b32 s15, v73, 29
	v_readfirstlane_b32 s6, v2
	v_readlane_b32 s24, v73, 31
	s_mul_i32 s3, s15, s0
	s_mul_hi_u32 s7, s15, s6
	v_readlane_b32 s25, v73, 32
	s_add_u32 s3, s7, s3
	s_mul_hi_u32 s7, s25, s0
	v_readlane_b32 s24, v73, 31
	v_readlane_b32 s25, v73, 32
	s_mul_hi_u32 s14, s25, s6
	v_readlane_b32 s24, v73, 31
	s_mul_hi_u32 s1, s15, s0
	v_readlane_b32 s25, v73, 32
	s_addc_u32 s1, 0, s1
	s_mul_i32 s6, s25, s6
	s_add_u32 s3, s3, s6
	s_addc_u32 s1, s1, s14
	s_addc_u32 s3, s7, 0
	v_readlane_b32 s6, v73, 31
	v_readlane_b32 s7, v73, 32
	s_mul_i32 s0, s7, s0
	s_add_u32 s0, s1, s0
	s_addc_u32 s1, 0, s3
	s_mul_hi_u32 s3, s33, s0
	s_mul_i32 s0, s33, s0
	s_mul_i32 s1, s33, s1
	v_mov_b32_e32 v2, s0
	s_add_i32 s3, s3, s1
	v_sub_co_u32_e32 v2, vcc, s15, v2
	s_cmp_lg_u64 vcc, 0
	s_subb_u32 s0, s7, s3
	v_subrev_co_u32_e32 v4, vcc, s33, v2
	s_cmp_lg_u64 vcc, 0
	s_subb_u32 s1, s0, 0
	v_subrev_co_u32_e32 v5, vcc, s33, v4
	s_cmp_lg_u64 vcc, 0
	s_subb_u32 s3, s1, 0
	v_cmp_le_u32_e32 vcc, s33, v4
	s_cmp_eq_u32 s1, 0
	v_cndmask_b32_e64 v6, 0, -1, vcc
	s_cselect_b64 vcc, -1, 0
	v_cndmask_b32_e32 v6, -1, v6, vcc
	v_mov_b32_e32 v7, s1
	v_mov_b32_e32 v8, s3
	v_cmp_ne_u32_e32 vcc, 0, v6
	v_cndmask_b32_e32 v6, v7, v8, vcc
	v_cndmask_b32_e32 v4, v4, v5, vcc
	v_cmp_le_u32_e32 vcc, s33, v2
	s_cmp_eq_u32 s0, 0
	v_cndmask_b32_e64 v5, 0, -1, vcc
	s_cselect_b64 vcc, -1, 0
	v_cndmask_b32_e32 v5, -1, v5, vcc
	v_mov_b32_e32 v7, s0
	v_cmp_ne_u32_e32 vcc, 0, v5
	v_cndmask_b32_e32 v5, v7, v6, vcc
	v_cndmask_b32_e32 v4, v2, v4, vcc
	s_cbranch_execnz .LBB189_325
.LBB189_324:                            ;   in Loop: Header=BB189_31 Depth=1
	v_cvt_f32_u32_e32 v2, s33
	s_sub_i32 s0, 0, s33
	v_rcp_iflag_f32_e32 v2, v2
	v_mul_f32_e32 v2, 0x4f7ffffe, v2
	v_cvt_u32_f32_e32 v2, v2
	v_mul_lo_u32 v4, s0, v2
	v_mul_hi_u32 v4, v2, v4
	v_add_u32_e32 v2, v2, v4
	v_readlane_b32 s0, v73, 29
	v_mul_hi_u32 v2, s0, v2
	v_mul_lo_u32 v2, v2, s33
	v_sub_u32_e32 v2, s0, v2
	v_subrev_u32_e32 v4, s33, v2
	v_cmp_le_u32_e32 vcc, s33, v2
	v_cndmask_b32_e32 v2, v2, v4, vcc
	v_subrev_u32_e32 v4, s33, v2
	v_cmp_le_u32_e32 vcc, s33, v2
	v_cndmask_b32_e32 v20, v2, v4, vcc
	v_pk_mov_b32 v[4:5], v[20:21], v[20:21] op_sel:[0,1]
.LBB189_325:                            ;   in Loop: Header=BB189_31 Depth=1
	v_readlane_b32 s0, v73, 29
	v_mov_b32_e32 v2, s7
	v_sub_co_u32_e32 v8, vcc, s0, v4
	v_subb_co_u32_e32 v9, vcc, v2, v5, vcc
	v_cmp_gt_u64_e32 vcc, v[8:9], v[0:1]
	s_mov_b64 s[6:7], 0
                                        ; implicit-def: $vgpr6_vgpr7
	s_and_saveexec_b64 s[0:1], vcc
	s_cbranch_execz .LBB189_334
; %bb.326:                              ;   in Loop: Header=BB189_31 Depth=1
	s_mov_b64 s[24:25], 0
	v_pk_mov_b32 v[10:11], v[32:33], v[32:33] op_sel:[0,1]
	v_pk_mov_b32 v[12:13], v[0:1], v[0:1] op_sel:[0,1]
                                        ; implicit-def: $sgpr14_sgpr15
	s_branch .LBB189_328
.LBB189_327:                            ;   in Loop: Header=BB189_328 Depth=2
	s_or_b64 exec, exec, s[6:7]
	s_waitcnt lgkmcnt(0)
	s_barrier
	s_waitcnt vmcnt(0)
	ds_read_b128 v[4:7], v21 offset:3072
	v_mov_b32_e32 v2, s92
	v_add_co_u32_e64 v12, s[6:7], s33, v12
	v_addc_co_u32_e64 v13, s[6:7], v13, v2, s[6:7]
	s_waitcnt lgkmcnt(0)
	v_cmp_neq_f64_e32 vcc, 0, v[4:5]
	v_cmp_ge_u64_e64 s[6:7], v[12:13], v[8:9]
	s_or_b64 s[30:31], s[6:7], vcc
	v_mov_b32_e32 v2, s65
	v_add_co_u32_e64 v10, s[6:7], s64, v10
	v_addc_co_u32_e64 v11, s[6:7], v11, v2, s[6:7]
	s_and_b64 s[6:7], exec, s[30:31]
	s_or_b64 s[24:25], s[6:7], s[24:25]
	s_andn2_b64 s[6:7], s[14:15], exec
	s_and_b64 s[14:15], vcc, exec
	s_or_b64 s[14:15], s[6:7], s[14:15]
	s_barrier
	s_andn2_b64 exec, exec, s[24:25]
	s_cbranch_execz .LBB189_333
.LBB189_328:                            ;   Parent Loop BB189_31 Depth=1
                                        ; =>  This Inner Loop Header: Depth=2
	v_cmp_gt_u64_e32 vcc, s[60:61], v[12:13]
	v_pk_mov_b32 v[4:5], 0, 0
	s_and_saveexec_b64 s[6:7], vcc
	s_cbranch_execz .LBB189_330
; %bb.329:                              ;   in Loop: Header=BB189_328 Depth=2
	global_load_dwordx2 v[4:5], v[10:11], off
.LBB189_330:                            ;   in Loop: Header=BB189_328 Depth=2
	s_or_b64 exec, exec, s[6:7]
	s_and_saveexec_b64 s[6:7], vcc
	s_cbranch_execz .LBB189_327
; %bb.331:                              ;   in Loop: Header=BB189_328 Depth=2
	s_waitcnt vmcnt(0)
	v_ashrrev_i32_e32 v2, 31, v5
	v_or_b32_e32 v6, 0x80000000, v2
	v_xor_b32_e32 v6, v6, v5
	v_xor_b32_e32 v2, v2, v4
	v_cmp_o_f64_e32 vcc, v[4:5], v[4:5]
	v_cndmask_b32_e32 v6, -1, v6, vcc
	v_cndmask_b32_e32 v2, -1, v2, vcc
	v_and_b32_e32 v7, v6, v37
	v_and_b32_e32 v6, v2, v36
	v_cmp_eq_u64_e32 vcc, v[6:7], v[34:35]
	s_and_b64 exec, exec, vcc
	s_cbranch_execz .LBB189_327
; %bb.332:                              ;   in Loop: Header=BB189_328 Depth=2
	v_mov_b32_e32 v2, v21
	ds_write_b128 v21, v[2:5] offset:3072
	s_branch .LBB189_327
.LBB189_333:                            ;   in Loop: Header=BB189_31 Depth=1
	s_or_b64 exec, exec, s[24:25]
	s_and_b64 s[6:7], s[14:15], exec
.LBB189_334:                            ;   in Loop: Header=BB189_31 Depth=1
	s_or_b64 exec, exec, s[0:1]
	s_mov_b64 s[42:43], 0
	s_mov_b64 s[14:15], -1
	s_mov_b64 s[24:25], 0
.LBB189_335:                            ;   in Loop: Header=BB189_31 Depth=1
	s_orn2_b64 s[0:1], s[6:7], exec
.LBB189_336:                            ;   in Loop: Header=BB189_31 Depth=1
	s_or_b64 exec, exec, s[38:39]
                                        ; implicit-def: $vgpr2
                                        ; implicit-def: $vgpr40_vgpr41
                                        ; implicit-def: $vgpr12_vgpr13
                                        ; implicit-def: $vgpr14_vgpr15
                                        ; implicit-def: $vgpr10_vgpr11
	s_and_saveexec_b64 s[38:39], s[0:1]
	s_cbranch_execz .LBB189_499
; %bb.337:                              ;   in Loop: Header=BB189_31 Depth=1
	s_waitcnt vmcnt(0)
	v_mov_b32_e32 v40, 1
	s_xor_b64 s[30:31], s[40:41], -1
	s_mov_b64 s[6:7], 0
	v_mov_b32_e32 v41, 0
	v_mov_b32_e32 v2, 1
	s_and_saveexec_b64 s[0:1], s[30:31]
	s_cbranch_execz .LBB189_347
; %bb.338:                              ;   in Loop: Header=BB189_31 Depth=1
	v_cmp_ge_u64_e32 vcc, s[28:29], v[38:39]
                                        ; implicit-def: $sgpr3
                                        ; implicit-def: $sgpr6_sgpr7
	s_and_saveexec_b64 s[30:31], vcc
	s_xor_b64 s[40:41], exec, s[30:31]
	s_cbranch_execz .LBB189_344
; %bb.339:                              ;   in Loop: Header=BB189_31 Depth=1
	ds_read_b64 v[4:5], v21 offset:5120
	s_waitcnt lgkmcnt(0)
	v_cmp_ne_u64_e32 vcc, 0, v[4:5]
	s_cbranch_vccnz .LBB189_343
; %bb.340:                              ;   in Loop: Header=BB189_31 Depth=1
	s_mov_b64 s[6:7], exec
	v_readlane_b32 s30, v73, 10
	v_readlane_b32 s31, v73, 11
	s_and_b64 s[30:31], s[6:7], s[30:31]
	s_mov_b64 exec, s[30:31]
	s_cbranch_execz .LBB189_342
; %bb.341:                              ;   in Loop: Header=BB189_31 Depth=1
	v_pk_mov_b32 v[4:5], s[28:29], s[28:29] op_sel:[0,1]
	ds_write_b64 v21, v[4:5] offset:5128
.LBB189_342:                            ;   in Loop: Header=BB189_31 Depth=1
	s_or_b64 exec, exec, s[6:7]
	s_waitcnt lgkmcnt(0)
	s_barrier
.LBB189_343:                            ;   in Loop: Header=BB189_31 Depth=1
	v_or_b32_e32 v35, s19, v35
	v_or_b32_e32 v34, s18, v34
	;; [unrolled: 1-line block ×4, first 2 shown]
	s_mov_b64 s[6:7], 0
	s_mov_b32 s3, 5
.LBB189_344:                            ;   in Loop: Header=BB189_31 Depth=1
	s_or_saveexec_b64 s[40:41], s[40:41]
	v_mov_b32_e32 v2, s3
	s_xor_b64 exec, exec, s[40:41]
; %bb.345:                              ;   in Loop: Header=BB189_31 Depth=1
	v_mov_b32_e32 v2, s29
	v_subrev_co_u32_e32 v38, vcc, s28, v38
	v_subb_co_u32_e32 v39, vcc, v39, v2, vcc
	v_mov_b32_e32 v2, 0
	s_or_b64 s[6:7], s[6:7], exec
; %bb.346:                              ;   in Loop: Header=BB189_31 Depth=1
	s_or_b64 exec, exec, s[40:41]
	s_and_b64 s[6:7], s[6:7], exec
	v_pk_mov_b32 v[40:41], v[38:39], v[38:39] op_sel:[0,1]
.LBB189_347:                            ;   in Loop: Header=BB189_31 Depth=1
	s_or_b64 exec, exec, s[0:1]
	s_mov_b64 s[44:45], -1
                                        ; implicit-def: $sgpr0_sgpr1
                                        ; implicit-def: $sgpr40_sgpr41
                                        ; implicit-def: $sgpr48_sgpr49
	s_and_saveexec_b64 s[28:29], s[6:7]
	s_xor_b64 s[28:29], exec, s[28:29]
	s_cbranch_execz .LBB189_496
; %bb.348:                              ;   in Loop: Header=BB189_31 Depth=1
	s_cmp_eq_u64 s[26:27], 1
	s_cselect_b64 s[0:1], -1, 0
	v_cmp_eq_u64_e32 vcc, 1, v[40:41]
	s_and_b64 s[50:51], s[0:1], vcc
	s_mov_b64 s[0:1], -1
                                        ; implicit-def: $sgpr40_sgpr41
                                        ; implicit-def: $sgpr44_sgpr45
                                        ; implicit-def: $sgpr46_sgpr47
	s_and_saveexec_b64 s[48:49], s[50:51]
	s_cbranch_execz .LBB189_382
; %bb.349:                              ;   in Loop: Header=BB189_31 Depth=1
	ds_read_b64 v[4:5], v21 offset:5120
	s_waitcnt lgkmcnt(0)
	s_barrier
	v_readfirstlane_b32 s0, v4
	v_readfirstlane_b32 s1, v5
	s_mov_b64 s[6:7], exec
	v_readlane_b32 s30, v73, 24
	v_readlane_b32 s31, v73, 25
	s_and_b64 s[30:31], s[6:7], s[30:31]
	s_mov_b64 exec, s[30:31]
	s_cbranch_execz .LBB189_351
; %bb.350:                              ;   in Loop: Header=BB189_31 Depth=1
	v_mov_b32_e32 v20, v21
	ds_write_b64 v58, v[20:21]
.LBB189_351:                            ;   in Loop: Header=BB189_31 Depth=1
	s_or_b64 exec, exec, s[6:7]
	s_lshl_b64 s[6:7], 2, s86
	v_and_b32_e32 v2, s21, v35
	v_and_b32_e32 v4, s20, v34
	v_or_b32_e32 v35, s7, v2
	v_or_b32_e32 v34, s6, v4
	;; [unrolled: 1-line block ×4, first 2 shown]
	s_cmp_eq_u64 s[0:1], 0
	s_waitcnt lgkmcnt(0)
	s_barrier
	s_cbranch_scc1 .LBB189_365
; %bb.352:                              ;   in Loop: Header=BB189_31 Depth=1
	v_readlane_b32 s3, v73, 28
	s_add_u32 s3, s3, s0
	v_readlane_b32 s6, v73, 30
	s_addc_u32 s7, s6, s1
	s_mov_b32 s6, s87
	s_cmp_lg_u64 s[6:7], 0
	s_cbranch_scc0 .LBB189_409
; %bb.353:                              ;   in Loop: Header=BB189_31 Depth=1
	v_cvt_f32_u32_e32 v2, s33
	s_sub_u32 s6, 0, s33
	s_subb_u32 s30, 0, 0
	v_mac_f32_e32 v2, 0, v61
	v_rcp_f32_e32 v2, v2
	v_mul_f32_e32 v2, 0x5f7ffffc, v2
	v_mul_f32_e32 v4, 0x2f800000, v2
	v_trunc_f32_e32 v4, v4
	v_mac_f32_e32 v2, 0xcf800000, v4
	v_cvt_u32_f32_e32 v4, v4
	v_cvt_u32_f32_e32 v2, v2
	v_readfirstlane_b32 s31, v4
	v_readfirstlane_b32 s40, v2
	s_mul_i32 s41, s6, s31
	s_mul_hi_u32 s45, s6, s40
	s_mul_i32 s44, s30, s40
	s_add_i32 s41, s45, s41
	s_mul_i32 s46, s6, s40
	s_add_i32 s41, s41, s44
	s_mul_hi_u32 s45, s40, s46
	s_mul_hi_u32 s44, s40, s41
	s_mul_i32 s40, s40, s41
	s_add_u32 s40, s45, s40
	s_addc_u32 s44, 0, s44
	s_mul_hi_u32 s47, s31, s46
	s_mul_i32 s46, s31, s46
	s_add_u32 s40, s40, s46
	s_mul_hi_u32 s45, s31, s41
	s_addc_u32 s40, s44, s47
	s_addc_u32 s44, s45, 0
	s_mul_i32 s41, s31, s41
	s_add_u32 s40, s40, s41
	s_addc_u32 s41, 0, s44
	v_add_co_u32_e32 v2, vcc, s40, v2
	s_cmp_lg_u64 vcc, 0
	s_addc_u32 s31, s31, s41
	v_readfirstlane_b32 s41, v2
	s_mul_i32 s40, s6, s31
	s_mul_hi_u32 s44, s6, s41
	s_add_i32 s40, s44, s40
	s_mul_i32 s30, s30, s41
	s_add_i32 s40, s40, s30
	s_mul_i32 s6, s6, s41
	s_mul_hi_u32 s44, s31, s6
	s_mul_i32 s45, s31, s6
	s_mul_i32 s47, s41, s40
	s_mul_hi_u32 s6, s41, s6
	s_mul_hi_u32 s46, s41, s40
	s_add_u32 s6, s6, s47
	s_addc_u32 s41, 0, s46
	s_add_u32 s6, s6, s45
	s_mul_hi_u32 s30, s31, s40
	s_addc_u32 s6, s41, s44
	s_addc_u32 s30, s30, 0
	s_mul_i32 s40, s31, s40
	s_add_u32 s6, s6, s40
	s_addc_u32 s30, 0, s30
	v_add_co_u32_e32 v2, vcc, s6, v2
	s_cmp_lg_u64 vcc, 0
	s_addc_u32 s6, s31, s30
	v_readfirstlane_b32 s40, v2
	s_mul_i32 s31, s3, s6
	s_mul_hi_u32 s41, s3, s40
	s_mul_hi_u32 s30, s3, s6
	s_add_u32 s31, s41, s31
	s_addc_u32 s30, 0, s30
	s_mul_hi_u32 s44, s7, s40
	s_mul_i32 s40, s7, s40
	s_add_u32 s31, s31, s40
	s_mul_hi_u32 s41, s7, s6
	s_addc_u32 s30, s30, s44
	s_addc_u32 s31, s41, 0
	s_mul_i32 s6, s7, s6
	s_add_u32 s6, s30, s6
	s_addc_u32 s30, 0, s31
	s_mul_hi_u32 s31, s33, s6
	s_mul_i32 s6, s33, s6
	s_mul_i32 s30, s33, s30
	v_mov_b32_e32 v2, s6
	s_add_i32 s31, s31, s30
	v_sub_co_u32_e32 v2, vcc, s3, v2
	s_cmp_lg_u64 vcc, 0
	s_subb_u32 s6, s7, s31
	v_subrev_co_u32_e32 v4, vcc, s33, v2
	s_cmp_lg_u64 vcc, 0
	s_subb_u32 s30, s6, 0
	v_subrev_co_u32_e32 v5, vcc, s33, v4
	s_cmp_lg_u64 vcc, 0
	s_subb_u32 s31, s30, 0
	v_cmp_le_u32_e32 vcc, s33, v4
	s_cmp_eq_u32 s30, 0
	v_cndmask_b32_e64 v6, 0, -1, vcc
	s_cselect_b64 vcc, -1, 0
	v_cndmask_b32_e32 v6, -1, v6, vcc
	v_mov_b32_e32 v7, s30
	v_mov_b32_e32 v8, s31
	v_cmp_ne_u32_e32 vcc, 0, v6
	v_cndmask_b32_e32 v6, v7, v8, vcc
	v_cndmask_b32_e32 v4, v4, v5, vcc
	v_cmp_le_u32_e32 vcc, s33, v2
	s_cmp_eq_u32 s6, 0
	v_cndmask_b32_e64 v5, 0, -1, vcc
	s_cselect_b64 vcc, -1, 0
	v_cndmask_b32_e32 v5, -1, v5, vcc
	v_mov_b32_e32 v7, s6
	v_cmp_ne_u32_e32 vcc, 0, v5
	v_cndmask_b32_e32 v5, v7, v6, vcc
	v_cndmask_b32_e32 v4, v2, v4, vcc
	s_cbranch_execnz .LBB189_355
.LBB189_354:                            ;   in Loop: Header=BB189_31 Depth=1
	v_cvt_f32_u32_e32 v2, s33
	s_sub_i32 s6, 0, s33
	v_rcp_iflag_f32_e32 v2, v2
	v_mul_f32_e32 v2, 0x4f7ffffe, v2
	v_cvt_u32_f32_e32 v2, v2
	v_mul_lo_u32 v4, s6, v2
	v_mul_hi_u32 v4, v2, v4
	v_add_u32_e32 v2, v2, v4
	v_mul_hi_u32 v2, s3, v2
	v_mul_lo_u32 v2, v2, s33
	v_sub_u32_e32 v2, s3, v2
	v_subrev_u32_e32 v4, s33, v2
	v_cmp_le_u32_e32 vcc, s33, v2
	v_cndmask_b32_e32 v2, v2, v4, vcc
	v_subrev_u32_e32 v4, s33, v2
	v_cmp_le_u32_e32 vcc, s33, v2
	v_cndmask_b32_e32 v20, v2, v4, vcc
	v_pk_mov_b32 v[4:5], v[20:21], v[20:21] op_sel:[0,1]
.LBB189_355:                            ;   in Loop: Header=BB189_31 Depth=1
	v_mov_b32_e32 v2, s7
	v_sub_co_u32_e32 v8, vcc, s3, v4
	v_subb_co_u32_e32 v9, vcc, v2, v5, vcc
	v_cmp_gt_u64_e32 vcc, v[8:9], v[0:1]
	s_mov_b64 s[6:7], 0
                                        ; implicit-def: $vgpr6_vgpr7
	s_and_saveexec_b64 s[40:41], vcc
	s_cbranch_execz .LBB189_367
; %bb.356:                              ;   in Loop: Header=BB189_31 Depth=1
	s_mov_b64 s[46:47], 0
	v_mov_b32_e32 v12, v57
	v_pk_mov_b32 v[10:11], v[0:1], v[0:1] op_sel:[0,1]
                                        ; implicit-def: $sgpr44_sgpr45
	s_branch .LBB189_358
.LBB189_357:                            ;   in Loop: Header=BB189_358 Depth=2
	s_or_b64 exec, exec, s[6:7]
	s_waitcnt lgkmcnt(0)
	s_barrier
	ds_read_b128 v[4:7], v21 offset:3072
	v_mov_b32_e32 v2, s92
	v_add_co_u32_e64 v10, s[6:7], s33, v10
	v_addc_co_u32_e64 v11, s[6:7], v11, v2, s[6:7]
	s_waitcnt lgkmcnt(0)
	v_cmp_neq_f64_e32 vcc, 0, v[4:5]
	v_cmp_ge_u64_e64 s[6:7], v[10:11], v[8:9]
	s_or_b64 s[6:7], s[6:7], vcc
	s_and_b64 s[6:7], exec, s[6:7]
	s_or_b64 s[46:47], s[6:7], s[46:47]
	s_andn2_b64 s[6:7], s[44:45], exec
	s_and_b64 s[30:31], vcc, exec
	v_add_u32_e32 v12, s2, v12
	s_or_b64 s[44:45], s[6:7], s[30:31]
	s_barrier
	s_andn2_b64 exec, exec, s[46:47]
	s_cbranch_execz .LBB189_366
.LBB189_358:                            ;   Parent Loop BB189_31 Depth=1
                                        ; =>  This Inner Loop Header: Depth=2
	v_cmp_gt_u64_e32 vcc, s[0:1], v[10:11]
	v_pk_mov_b32 v[4:5], 0, 0
	s_and_saveexec_b64 s[6:7], vcc
	s_cbranch_execz .LBB189_360
; %bb.359:                              ;   in Loop: Header=BB189_358 Depth=2
	ds_read_b64 v[4:5], v12
.LBB189_360:                            ;   in Loop: Header=BB189_358 Depth=2
	s_or_b64 exec, exec, s[6:7]
	s_and_saveexec_b64 s[6:7], vcc
	s_cbranch_execz .LBB189_357
; %bb.361:                              ;   in Loop: Header=BB189_358 Depth=2
	s_waitcnt lgkmcnt(0)
	v_ashrrev_i32_e32 v2, 31, v5
	v_or_b32_e32 v6, 0x80000000, v2
	v_xor_b32_e32 v6, v6, v5
	v_xor_b32_e32 v2, v2, v4
	v_cmp_o_f64_e32 vcc, v[4:5], v[4:5]
	v_cndmask_b32_e32 v6, -1, v6, vcc
	v_cndmask_b32_e32 v2, -1, v2, vcc
	v_and_b32_e32 v7, v6, v37
	v_and_b32_e32 v6, v2, v36
	v_cmp_eq_u64_e32 vcc, v[6:7], v[34:35]
	s_and_b64 exec, exec, vcc
	s_cbranch_execz .LBB189_357
; %bb.362:                              ;   in Loop: Header=BB189_358 Depth=2
	v_mov_b32_e32 v2, v21
	ds_write_b128 v21, v[2:5] offset:3072
	s_branch .LBB189_357
.LBB189_363:                            ;   in Loop: Header=BB189_31 Depth=1
                                        ; implicit-def: $vgpr4_vgpr5
	s_branch .LBB189_310
.LBB189_364:                            ;   in Loop: Header=BB189_31 Depth=1
                                        ; implicit-def: $vgpr4_vgpr5
	s_branch .LBB189_324
.LBB189_365:                            ;   in Loop: Header=BB189_31 Depth=1
	s_mov_b64 s[40:41], -1
	s_mov_b64 s[6:7], 0
                                        ; implicit-def: $sgpr44_sgpr45
                                        ; implicit-def: $vgpr6_vgpr7
	s_mov_b64 s[46:47], s[40:41]
	s_cbranch_execnz .LBB189_368
	s_branch .LBB189_381
.LBB189_366:                            ;   in Loop: Header=BB189_31 Depth=1
	s_or_b64 exec, exec, s[46:47]
	s_and_b64 s[6:7], s[44:45], exec
.LBB189_367:                            ;   in Loop: Header=BB189_31 Depth=1
	s_or_b64 exec, exec, s[40:41]
	s_mov_b64 s[40:41], 0
	s_mov_b64 s[44:45], -1
	s_mov_b64 s[46:47], s[40:41]
	s_branch .LBB189_381
.LBB189_368:                            ;   in Loop: Header=BB189_31 Depth=1
	v_readlane_b32 s6, v73, 31
	v_readlane_b32 s7, v73, 32
	s_mov_b32 s6, s87
	s_mov_b32 s1, s7
	s_cmp_lg_u64 s[6:7], 0
	v_writelane_b32 v73, s0, 31
	v_writelane_b32 v73, s1, 32
	s_cbranch_scc0 .LBB189_410
; %bb.369:                              ;   in Loop: Header=BB189_31 Depth=1
	v_cvt_f32_u32_e32 v2, s33
	s_sub_u32 s0, 0, s33
	s_subb_u32 s1, 0, 0
	v_mac_f32_e32 v2, 0, v61
	v_rcp_f32_e32 v2, v2
	v_mul_f32_e32 v2, 0x5f7ffffc, v2
	v_mul_f32_e32 v4, 0x2f800000, v2
	v_trunc_f32_e32 v4, v4
	v_mac_f32_e32 v2, 0xcf800000, v4
	v_cvt_u32_f32_e32 v4, v4
	v_cvt_u32_f32_e32 v2, v2
	v_readfirstlane_b32 s3, v4
	v_readfirstlane_b32 s6, v2
	s_mul_i32 s7, s0, s3
	s_mul_hi_u32 s31, s0, s6
	s_mul_i32 s30, s1, s6
	s_add_i32 s7, s31, s7
	s_mul_i32 s40, s0, s6
	s_add_i32 s7, s7, s30
	s_mul_hi_u32 s31, s6, s40
	s_mul_hi_u32 s30, s6, s7
	s_mul_i32 s6, s6, s7
	s_add_u32 s6, s31, s6
	s_addc_u32 s30, 0, s30
	s_mul_hi_u32 s41, s3, s40
	s_mul_i32 s40, s3, s40
	s_add_u32 s6, s6, s40
	s_mul_hi_u32 s31, s3, s7
	s_addc_u32 s6, s30, s41
	s_addc_u32 s30, s31, 0
	s_mul_i32 s7, s3, s7
	s_add_u32 s6, s6, s7
	s_addc_u32 s7, 0, s30
	v_add_co_u32_e32 v2, vcc, s6, v2
	s_cmp_lg_u64 vcc, 0
	s_addc_u32 s3, s3, s7
	v_readfirstlane_b32 s7, v2
	s_mul_i32 s6, s0, s3
	s_mul_hi_u32 s30, s0, s7
	s_add_i32 s6, s30, s6
	s_mul_i32 s1, s1, s7
	s_add_i32 s6, s6, s1
	s_mul_i32 s0, s0, s7
	s_mul_hi_u32 s30, s3, s0
	s_mul_i32 s31, s3, s0
	s_mul_i32 s41, s7, s6
	s_mul_hi_u32 s0, s7, s0
	s_mul_hi_u32 s40, s7, s6
	s_add_u32 s0, s0, s41
	s_addc_u32 s7, 0, s40
	s_add_u32 s0, s0, s31
	s_mul_hi_u32 s1, s3, s6
	s_addc_u32 s0, s7, s30
	s_addc_u32 s1, s1, 0
	s_mul_i32 s6, s3, s6
	s_add_u32 s0, s0, s6
	s_addc_u32 s1, 0, s1
	v_add_co_u32_e32 v2, vcc, s0, v2
	s_cmp_lg_u64 vcc, 0
	s_addc_u32 s0, s3, s1
	v_readlane_b32 s31, v73, 29
	v_readfirstlane_b32 s6, v2
	v_readlane_b32 s40, v73, 31
	s_mul_i32 s3, s31, s0
	s_mul_hi_u32 s7, s31, s6
	v_readlane_b32 s41, v73, 32
	s_add_u32 s3, s7, s3
	s_mul_hi_u32 s7, s41, s0
	v_readlane_b32 s40, v73, 31
	v_readlane_b32 s41, v73, 32
	s_mul_hi_u32 s30, s41, s6
	v_readlane_b32 s40, v73, 31
	s_mul_hi_u32 s1, s31, s0
	v_readlane_b32 s41, v73, 32
	s_addc_u32 s1, 0, s1
	s_mul_i32 s6, s41, s6
	s_add_u32 s3, s3, s6
	s_addc_u32 s1, s1, s30
	s_addc_u32 s3, s7, 0
	v_readlane_b32 s6, v73, 31
	v_readlane_b32 s7, v73, 32
	s_mul_i32 s0, s7, s0
	s_add_u32 s0, s1, s0
	s_addc_u32 s1, 0, s3
	s_mul_hi_u32 s3, s33, s0
	s_mul_i32 s0, s33, s0
	s_mul_i32 s1, s33, s1
	v_mov_b32_e32 v2, s0
	s_add_i32 s3, s3, s1
	v_sub_co_u32_e32 v2, vcc, s31, v2
	s_cmp_lg_u64 vcc, 0
	s_subb_u32 s0, s7, s3
	v_subrev_co_u32_e32 v4, vcc, s33, v2
	s_cmp_lg_u64 vcc, 0
	s_subb_u32 s1, s0, 0
	v_subrev_co_u32_e32 v5, vcc, s33, v4
	s_cmp_lg_u64 vcc, 0
	s_subb_u32 s3, s1, 0
	v_cmp_le_u32_e32 vcc, s33, v4
	s_cmp_eq_u32 s1, 0
	v_cndmask_b32_e64 v6, 0, -1, vcc
	s_cselect_b64 vcc, -1, 0
	v_cndmask_b32_e32 v6, -1, v6, vcc
	v_mov_b32_e32 v7, s1
	v_mov_b32_e32 v8, s3
	v_cmp_ne_u32_e32 vcc, 0, v6
	v_cndmask_b32_e32 v6, v7, v8, vcc
	v_cndmask_b32_e32 v4, v4, v5, vcc
	v_cmp_le_u32_e32 vcc, s33, v2
	s_cmp_eq_u32 s0, 0
	v_cndmask_b32_e64 v5, 0, -1, vcc
	s_cselect_b64 vcc, -1, 0
	v_cndmask_b32_e32 v5, -1, v5, vcc
	v_mov_b32_e32 v7, s0
	v_cmp_ne_u32_e32 vcc, 0, v5
	v_cndmask_b32_e32 v5, v7, v6, vcc
	v_cndmask_b32_e32 v4, v2, v4, vcc
	s_cbranch_execnz .LBB189_371
.LBB189_370:                            ;   in Loop: Header=BB189_31 Depth=1
	v_cvt_f32_u32_e32 v2, s33
	s_sub_i32 s0, 0, s33
	v_rcp_iflag_f32_e32 v2, v2
	v_mul_f32_e32 v2, 0x4f7ffffe, v2
	v_cvt_u32_f32_e32 v2, v2
	v_mul_lo_u32 v4, s0, v2
	v_mul_hi_u32 v4, v2, v4
	v_add_u32_e32 v2, v2, v4
	v_readlane_b32 s0, v73, 29
	v_mul_hi_u32 v2, s0, v2
	v_mul_lo_u32 v2, v2, s33
	v_sub_u32_e32 v2, s0, v2
	v_subrev_u32_e32 v4, s33, v2
	v_cmp_le_u32_e32 vcc, s33, v2
	v_cndmask_b32_e32 v2, v2, v4, vcc
	v_subrev_u32_e32 v4, s33, v2
	v_cmp_le_u32_e32 vcc, s33, v2
	v_cndmask_b32_e32 v20, v2, v4, vcc
	v_pk_mov_b32 v[4:5], v[20:21], v[20:21] op_sel:[0,1]
.LBB189_371:                            ;   in Loop: Header=BB189_31 Depth=1
	v_readlane_b32 s0, v73, 29
	v_mov_b32_e32 v2, s7
	v_sub_co_u32_e32 v8, vcc, s0, v4
	v_subb_co_u32_e32 v9, vcc, v2, v5, vcc
	v_cmp_gt_u64_e32 vcc, v[8:9], v[0:1]
	s_mov_b64 s[6:7], 0
                                        ; implicit-def: $vgpr6_vgpr7
	s_and_saveexec_b64 s[0:1], vcc
	s_cbranch_execz .LBB189_380
; %bb.372:                              ;   in Loop: Header=BB189_31 Depth=1
	s_mov_b64 s[44:45], 0
	v_pk_mov_b32 v[10:11], v[32:33], v[32:33] op_sel:[0,1]
	v_pk_mov_b32 v[12:13], v[0:1], v[0:1] op_sel:[0,1]
                                        ; implicit-def: $sgpr40_sgpr41
	s_branch .LBB189_374
.LBB189_373:                            ;   in Loop: Header=BB189_374 Depth=2
	s_or_b64 exec, exec, s[6:7]
	s_waitcnt lgkmcnt(0)
	s_barrier
	s_waitcnt vmcnt(0)
	ds_read_b128 v[4:7], v21 offset:3072
	v_mov_b32_e32 v2, s92
	v_add_co_u32_e64 v12, s[6:7], s33, v12
	v_addc_co_u32_e64 v13, s[6:7], v13, v2, s[6:7]
	s_waitcnt lgkmcnt(0)
	v_cmp_neq_f64_e32 vcc, 0, v[4:5]
	v_cmp_ge_u64_e64 s[6:7], v[12:13], v[8:9]
	s_or_b64 s[30:31], s[6:7], vcc
	v_mov_b32_e32 v2, s65
	v_add_co_u32_e64 v10, s[6:7], s64, v10
	v_addc_co_u32_e64 v11, s[6:7], v11, v2, s[6:7]
	s_and_b64 s[6:7], exec, s[30:31]
	s_or_b64 s[44:45], s[6:7], s[44:45]
	s_andn2_b64 s[6:7], s[40:41], exec
	s_and_b64 s[30:31], vcc, exec
	s_or_b64 s[40:41], s[6:7], s[30:31]
	s_barrier
	s_andn2_b64 exec, exec, s[44:45]
	s_cbranch_execz .LBB189_379
.LBB189_374:                            ;   Parent Loop BB189_31 Depth=1
                                        ; =>  This Inner Loop Header: Depth=2
	v_cmp_gt_u64_e32 vcc, s[60:61], v[12:13]
	v_pk_mov_b32 v[4:5], 0, 0
	s_and_saveexec_b64 s[6:7], vcc
	s_cbranch_execz .LBB189_376
; %bb.375:                              ;   in Loop: Header=BB189_374 Depth=2
	global_load_dwordx2 v[4:5], v[10:11], off
.LBB189_376:                            ;   in Loop: Header=BB189_374 Depth=2
	s_or_b64 exec, exec, s[6:7]
	s_and_saveexec_b64 s[6:7], vcc
	s_cbranch_execz .LBB189_373
; %bb.377:                              ;   in Loop: Header=BB189_374 Depth=2
	s_waitcnt vmcnt(0)
	v_ashrrev_i32_e32 v2, 31, v5
	v_or_b32_e32 v6, 0x80000000, v2
	v_xor_b32_e32 v6, v6, v5
	v_xor_b32_e32 v2, v2, v4
	v_cmp_o_f64_e32 vcc, v[4:5], v[4:5]
	v_cndmask_b32_e32 v6, -1, v6, vcc
	v_cndmask_b32_e32 v2, -1, v2, vcc
	v_and_b32_e32 v7, v6, v37
	v_and_b32_e32 v6, v2, v36
	v_cmp_eq_u64_e32 vcc, v[6:7], v[34:35]
	s_and_b64 exec, exec, vcc
	s_cbranch_execz .LBB189_373
; %bb.378:                              ;   in Loop: Header=BB189_374 Depth=2
	v_mov_b32_e32 v2, v21
	ds_write_b128 v21, v[2:5] offset:3072
	s_branch .LBB189_373
.LBB189_379:                            ;   in Loop: Header=BB189_31 Depth=1
	s_or_b64 exec, exec, s[44:45]
	s_and_b64 s[6:7], s[40:41], exec
.LBB189_380:                            ;   in Loop: Header=BB189_31 Depth=1
	s_or_b64 exec, exec, s[0:1]
	s_mov_b64 s[44:45], 0
	s_mov_b64 s[40:41], -1
	s_mov_b64 s[46:47], 0
.LBB189_381:                            ;   in Loop: Header=BB189_31 Depth=1
	s_orn2_b64 s[0:1], s[6:7], exec
.LBB189_382:                            ;   in Loop: Header=BB189_31 Depth=1
	s_or_b64 exec, exec, s[48:49]
	s_mov_b64 s[6:7], 0
                                        ; implicit-def: $vgpr2
	s_and_saveexec_b64 s[48:49], s[0:1]
	s_cbranch_execz .LBB189_495
; %bb.383:                              ;   in Loop: Header=BB189_31 Depth=1
	v_mov_b32_e32 v8, 1
	s_xor_b64 s[6:7], s[50:51], -1
	s_mov_b64 s[54:55], 0
	v_mov_b32_e32 v9, 0
	v_mov_b32_e32 v2, 1
	s_and_saveexec_b64 s[0:1], s[6:7]
	s_cbranch_execz .LBB189_393
; %bb.384:                              ;   in Loop: Header=BB189_31 Depth=1
	v_cmp_ge_u64_e32 vcc, s[26:27], v[40:41]
                                        ; implicit-def: $sgpr3
                                        ; implicit-def: $sgpr6_sgpr7
	s_and_saveexec_b64 s[30:31], vcc
	s_xor_b64 s[50:51], exec, s[30:31]
	s_cbranch_execz .LBB189_390
; %bb.385:                              ;   in Loop: Header=BB189_31 Depth=1
	ds_read_b64 v[4:5], v21 offset:5120
	s_waitcnt lgkmcnt(0)
	v_cmp_ne_u64_e32 vcc, 0, v[4:5]
	s_cbranch_vccnz .LBB189_389
; %bb.386:                              ;   in Loop: Header=BB189_31 Depth=1
	s_mov_b64 s[6:7], exec
	v_readlane_b32 s30, v73, 10
	v_readlane_b32 s31, v73, 11
	s_and_b64 s[30:31], s[6:7], s[30:31]
	s_mov_b64 exec, s[30:31]
	s_cbranch_execz .LBB189_388
; %bb.387:                              ;   in Loop: Header=BB189_31 Depth=1
	v_pk_mov_b32 v[4:5], s[26:27], s[26:27] op_sel:[0,1]
	ds_write_b64 v21, v[4:5] offset:5128
.LBB189_388:                            ;   in Loop: Header=BB189_31 Depth=1
	s_or_b64 exec, exec, s[6:7]
	s_waitcnt lgkmcnt(0)
	s_barrier
.LBB189_389:                            ;   in Loop: Header=BB189_31 Depth=1
	s_lshl_b64 s[6:7], 2, s86
	v_and_b32_e32 v2, s21, v35
	v_and_b32_e32 v4, s20, v34
	v_or_b32_e32 v35, s7, v2
	v_or_b32_e32 v34, s6, v4
	;; [unrolled: 1-line block ×4, first 2 shown]
	s_mov_b64 s[6:7], 0
	s_mov_b32 s3, 5
.LBB189_390:                            ;   in Loop: Header=BB189_31 Depth=1
	s_or_saveexec_b64 s[50:51], s[50:51]
	v_mov_b32_e32 v2, s3
	s_xor_b64 exec, exec, s[50:51]
; %bb.391:                              ;   in Loop: Header=BB189_31 Depth=1
	v_mov_b32_e32 v2, s27
	v_subrev_co_u32_e32 v40, vcc, s26, v40
	v_subb_co_u32_e32 v41, vcc, v41, v2, vcc
	v_mov_b32_e32 v2, 0
	s_or_b64 s[6:7], s[6:7], exec
; %bb.392:                              ;   in Loop: Header=BB189_31 Depth=1
	s_or_b64 exec, exec, s[50:51]
	s_and_b64 s[54:55], s[6:7], exec
	v_pk_mov_b32 v[8:9], v[40:41], v[40:41] op_sel:[0,1]
.LBB189_393:                            ;   in Loop: Header=BB189_31 Depth=1
	s_or_b64 exec, exec, s[0:1]
	s_mov_b64 s[0:1], -1
                                        ; implicit-def: $sgpr6_sgpr7
                                        ; implicit-def: $sgpr50_sgpr51
                                        ; implicit-def: $sgpr52_sgpr53
	s_and_saveexec_b64 s[26:27], s[54:55]
	s_cbranch_execz .LBB189_494
; %bb.394:                              ;   in Loop: Header=BB189_31 Depth=1
	s_cmp_eq_u64 s[22:23], 1
	s_cselect_b64 s[0:1], -1, 0
	v_cmp_eq_u64_e32 vcc, 1, v[8:9]
	s_and_b64 s[52:53], s[0:1], vcc
	s_mov_b64 s[6:7], -1
                                        ; implicit-def: $sgpr50_sgpr51
                                        ; implicit-def: $sgpr4_sgpr5
                                        ; implicit-def: $sgpr54_sgpr55
	s_and_saveexec_b64 s[68:69], s[52:53]
	s_cbranch_execz .LBB189_428
; %bb.395:                              ;   in Loop: Header=BB189_31 Depth=1
	ds_read_b64 v[4:5], v21 offset:5120
	s_waitcnt lgkmcnt(0)
	s_barrier
	v_readfirstlane_b32 s0, v4
	v_readfirstlane_b32 s1, v5
	s_mov_b64 s[6:7], exec
	v_readlane_b32 s30, v73, 24
	v_readlane_b32 s31, v73, 25
	s_and_b64 s[30:31], s[6:7], s[30:31]
	s_mov_b64 exec, s[30:31]
	s_cbranch_execz .LBB189_397
; %bb.396:                              ;   in Loop: Header=BB189_31 Depth=1
	v_mov_b32_e32 v20, v21
	ds_write_b64 v58, v[20:21]
.LBB189_397:                            ;   in Loop: Header=BB189_31 Depth=1
	s_or_b64 exec, exec, s[6:7]
	s_lshl_b64 s[6:7], 1, s86
	v_and_b32_e32 v2, s21, v35
	v_and_b32_e32 v4, s20, v34
	v_or_b32_e32 v35, s7, v2
	v_or_b32_e32 v34, s6, v4
	;; [unrolled: 1-line block ×4, first 2 shown]
	s_cmp_eq_u64 s[0:1], 0
	s_waitcnt lgkmcnt(0)
	s_barrier
	s_cbranch_scc1 .LBB189_411
; %bb.398:                              ;   in Loop: Header=BB189_31 Depth=1
	v_readlane_b32 s3, v73, 28
	s_add_u32 s3, s3, s0
	v_readlane_b32 s6, v73, 30
	s_addc_u32 s7, s6, s1
	s_mov_b32 s6, s87
	s_cmp_lg_u64 s[6:7], 0
	s_cbranch_scc0 .LBB189_446
; %bb.399:                              ;   in Loop: Header=BB189_31 Depth=1
	v_cvt_f32_u32_e32 v2, s33
	s_sub_u32 s6, 0, s33
	s_subb_u32 s30, 0, 0
	v_mac_f32_e32 v2, 0, v61
	v_rcp_f32_e32 v2, v2
	v_mul_f32_e32 v2, 0x5f7ffffc, v2
	v_mul_f32_e32 v4, 0x2f800000, v2
	v_trunc_f32_e32 v4, v4
	v_mac_f32_e32 v2, 0xcf800000, v4
	v_cvt_u32_f32_e32 v4, v4
	v_cvt_u32_f32_e32 v2, v2
	v_readfirstlane_b32 s31, v4
	v_readfirstlane_b32 s50, v2
	s_mul_i32 s51, s6, s31
	s_mul_hi_u32 s55, s6, s50
	s_mul_i32 s54, s30, s50
	s_add_i32 s51, s55, s51
	s_mul_i32 s66, s6, s50
	s_add_i32 s51, s51, s54
	s_mul_hi_u32 s55, s50, s66
	s_mul_hi_u32 s54, s50, s51
	s_mul_i32 s50, s50, s51
	s_add_u32 s50, s55, s50
	s_addc_u32 s54, 0, s54
	s_mul_hi_u32 s67, s31, s66
	s_mul_i32 s66, s31, s66
	s_add_u32 s50, s50, s66
	s_mul_hi_u32 s55, s31, s51
	s_addc_u32 s50, s54, s67
	s_addc_u32 s54, s55, 0
	s_mul_i32 s51, s31, s51
	s_add_u32 s50, s50, s51
	s_addc_u32 s51, 0, s54
	v_add_co_u32_e32 v2, vcc, s50, v2
	s_cmp_lg_u64 vcc, 0
	s_addc_u32 s31, s31, s51
	v_readfirstlane_b32 s51, v2
	s_mul_i32 s50, s6, s31
	s_mul_hi_u32 s54, s6, s51
	s_add_i32 s50, s54, s50
	s_mul_i32 s30, s30, s51
	s_add_i32 s50, s50, s30
	s_mul_i32 s6, s6, s51
	s_mul_hi_u32 s54, s31, s6
	s_mul_i32 s55, s31, s6
	s_mul_i32 s67, s51, s50
	s_mul_hi_u32 s6, s51, s6
	s_mul_hi_u32 s66, s51, s50
	s_add_u32 s6, s6, s67
	s_addc_u32 s51, 0, s66
	s_add_u32 s6, s6, s55
	s_mul_hi_u32 s30, s31, s50
	s_addc_u32 s6, s51, s54
	s_addc_u32 s30, s30, 0
	s_mul_i32 s50, s31, s50
	s_add_u32 s6, s6, s50
	s_addc_u32 s30, 0, s30
	v_add_co_u32_e32 v2, vcc, s6, v2
	s_cmp_lg_u64 vcc, 0
	s_addc_u32 s6, s31, s30
	v_readfirstlane_b32 s50, v2
	s_mul_i32 s31, s3, s6
	s_mul_hi_u32 s51, s3, s50
	s_mul_hi_u32 s30, s3, s6
	s_add_u32 s31, s51, s31
	s_addc_u32 s30, 0, s30
	s_mul_hi_u32 s54, s7, s50
	s_mul_i32 s50, s7, s50
	s_add_u32 s31, s31, s50
	s_mul_hi_u32 s51, s7, s6
	s_addc_u32 s30, s30, s54
	s_addc_u32 s31, s51, 0
	s_mul_i32 s6, s7, s6
	s_add_u32 s6, s30, s6
	s_addc_u32 s30, 0, s31
	s_mul_hi_u32 s31, s33, s6
	s_mul_i32 s6, s33, s6
	s_mul_i32 s30, s33, s30
	v_mov_b32_e32 v2, s6
	s_add_i32 s31, s31, s30
	v_sub_co_u32_e32 v2, vcc, s3, v2
	s_cmp_lg_u64 vcc, 0
	s_subb_u32 s6, s7, s31
	v_subrev_co_u32_e32 v4, vcc, s33, v2
	s_cmp_lg_u64 vcc, 0
	s_subb_u32 s30, s6, 0
	v_subrev_co_u32_e32 v5, vcc, s33, v4
	s_cmp_lg_u64 vcc, 0
	s_subb_u32 s31, s30, 0
	v_cmp_le_u32_e32 vcc, s33, v4
	s_cmp_eq_u32 s30, 0
	v_cndmask_b32_e64 v6, 0, -1, vcc
	s_cselect_b64 vcc, -1, 0
	v_cndmask_b32_e32 v6, -1, v6, vcc
	v_mov_b32_e32 v7, s30
	v_mov_b32_e32 v10, s31
	v_cmp_ne_u32_e32 vcc, 0, v6
	v_cndmask_b32_e32 v6, v7, v10, vcc
	v_cndmask_b32_e32 v4, v4, v5, vcc
	v_cmp_le_u32_e32 vcc, s33, v2
	s_cmp_eq_u32 s6, 0
	v_cndmask_b32_e64 v5, 0, -1, vcc
	s_cselect_b64 vcc, -1, 0
	v_cndmask_b32_e32 v5, -1, v5, vcc
	v_mov_b32_e32 v7, s6
	v_cmp_ne_u32_e32 vcc, 0, v5
	v_cndmask_b32_e32 v5, v7, v6, vcc
	v_cndmask_b32_e32 v4, v2, v4, vcc
	s_cbranch_execnz .LBB189_401
.LBB189_400:                            ;   in Loop: Header=BB189_31 Depth=1
	v_cvt_f32_u32_e32 v2, s33
	s_sub_i32 s6, 0, s33
	v_rcp_iflag_f32_e32 v2, v2
	v_mul_f32_e32 v2, 0x4f7ffffe, v2
	v_cvt_u32_f32_e32 v2, v2
	v_mul_lo_u32 v4, s6, v2
	v_mul_hi_u32 v4, v2, v4
	v_add_u32_e32 v2, v2, v4
	v_mul_hi_u32 v2, s3, v2
	v_mul_lo_u32 v2, v2, s33
	v_sub_u32_e32 v2, s3, v2
	v_subrev_u32_e32 v4, s33, v2
	v_cmp_le_u32_e32 vcc, s33, v2
	v_cndmask_b32_e32 v2, v2, v4, vcc
	v_subrev_u32_e32 v4, s33, v2
	v_cmp_le_u32_e32 vcc, s33, v2
	v_cndmask_b32_e32 v20, v2, v4, vcc
	v_pk_mov_b32 v[4:5], v[20:21], v[20:21] op_sel:[0,1]
.LBB189_401:                            ;   in Loop: Header=BB189_31 Depth=1
	v_mov_b32_e32 v2, s7
	v_sub_co_u32_e32 v10, vcc, s3, v4
	v_subb_co_u32_e32 v11, vcc, v2, v5, vcc
	v_cmp_gt_u64_e32 vcc, v[10:11], v[0:1]
	s_mov_b64 s[6:7], 0
                                        ; implicit-def: $vgpr6_vgpr7
	s_and_saveexec_b64 s[50:51], vcc
	s_cbranch_execz .LBB189_413
; %bb.402:                              ;   in Loop: Header=BB189_31 Depth=1
	s_mov_b64 s[66:67], 0
	v_mov_b32_e32 v14, v57
	v_pk_mov_b32 v[12:13], v[0:1], v[0:1] op_sel:[0,1]
                                        ; implicit-def: $sgpr54_sgpr55
	s_branch .LBB189_404
.LBB189_403:                            ;   in Loop: Header=BB189_404 Depth=2
	s_or_b64 exec, exec, s[6:7]
	s_waitcnt lgkmcnt(0)
	s_barrier
	ds_read_b128 v[4:7], v21 offset:3072
	v_mov_b32_e32 v2, s92
	v_add_co_u32_e64 v12, s[6:7], s33, v12
	v_addc_co_u32_e64 v13, s[6:7], v13, v2, s[6:7]
	s_waitcnt lgkmcnt(0)
	v_cmp_neq_f64_e32 vcc, 0, v[4:5]
	v_cmp_ge_u64_e64 s[6:7], v[12:13], v[10:11]
	s_or_b64 s[6:7], s[6:7], vcc
	s_and_b64 s[6:7], exec, s[6:7]
	s_or_b64 s[66:67], s[6:7], s[66:67]
	s_andn2_b64 s[6:7], s[54:55], exec
	s_and_b64 s[30:31], vcc, exec
	v_add_u32_e32 v14, s2, v14
	s_or_b64 s[54:55], s[6:7], s[30:31]
	s_barrier
	s_andn2_b64 exec, exec, s[66:67]
	s_cbranch_execz .LBB189_412
.LBB189_404:                            ;   Parent Loop BB189_31 Depth=1
                                        ; =>  This Inner Loop Header: Depth=2
	v_cmp_gt_u64_e32 vcc, s[0:1], v[12:13]
	v_pk_mov_b32 v[4:5], 0, 0
	s_and_saveexec_b64 s[6:7], vcc
	s_cbranch_execz .LBB189_406
; %bb.405:                              ;   in Loop: Header=BB189_404 Depth=2
	ds_read_b64 v[4:5], v14
.LBB189_406:                            ;   in Loop: Header=BB189_404 Depth=2
	s_or_b64 exec, exec, s[6:7]
	s_and_saveexec_b64 s[6:7], vcc
	s_cbranch_execz .LBB189_403
; %bb.407:                              ;   in Loop: Header=BB189_404 Depth=2
	s_waitcnt lgkmcnt(0)
	v_ashrrev_i32_e32 v2, 31, v5
	v_or_b32_e32 v6, 0x80000000, v2
	v_xor_b32_e32 v6, v6, v5
	v_xor_b32_e32 v2, v2, v4
	v_cmp_o_f64_e32 vcc, v[4:5], v[4:5]
	v_cndmask_b32_e32 v6, -1, v6, vcc
	v_cndmask_b32_e32 v2, -1, v2, vcc
	v_and_b32_e32 v7, v6, v37
	v_and_b32_e32 v6, v2, v36
	v_cmp_eq_u64_e32 vcc, v[6:7], v[34:35]
	s_and_b64 exec, exec, vcc
	s_cbranch_execz .LBB189_403
; %bb.408:                              ;   in Loop: Header=BB189_404 Depth=2
	v_mov_b32_e32 v2, v21
	ds_write_b128 v21, v[2:5] offset:3072
	s_branch .LBB189_403
.LBB189_409:                            ;   in Loop: Header=BB189_31 Depth=1
                                        ; implicit-def: $vgpr4_vgpr5
	s_branch .LBB189_354
.LBB189_410:                            ;   in Loop: Header=BB189_31 Depth=1
                                        ; implicit-def: $vgpr4_vgpr5
	s_branch .LBB189_370
.LBB189_411:                            ;   in Loop: Header=BB189_31 Depth=1
	s_mov_b64 s[50:51], -1
	s_mov_b64 s[6:7], 0
                                        ; implicit-def: $sgpr4_sgpr5
                                        ; implicit-def: $vgpr6_vgpr7
	s_mov_b64 s[54:55], s[50:51]
	s_cbranch_execnz .LBB189_414
	s_branch .LBB189_427
.LBB189_412:                            ;   in Loop: Header=BB189_31 Depth=1
	s_or_b64 exec, exec, s[66:67]
	s_and_b64 s[6:7], s[54:55], exec
.LBB189_413:                            ;   in Loop: Header=BB189_31 Depth=1
	s_or_b64 exec, exec, s[50:51]
	s_mov_b64 s[50:51], 0
	s_mov_b64 s[4:5], -1
	s_mov_b64 s[54:55], s[50:51]
	s_branch .LBB189_427
.LBB189_414:                            ;   in Loop: Header=BB189_31 Depth=1
	v_readlane_b32 s6, v73, 31
	v_readlane_b32 s7, v73, 32
	s_mov_b32 s6, s87
	s_mov_b32 s1, s7
	s_cmp_lg_u64 s[6:7], 0
	v_writelane_b32 v73, s0, 31
	v_writelane_b32 v73, s1, 32
	s_cbranch_scc0 .LBB189_447
; %bb.415:                              ;   in Loop: Header=BB189_31 Depth=1
	v_cvt_f32_u32_e32 v2, s33
	s_sub_u32 s0, 0, s33
	s_subb_u32 s1, 0, 0
	v_mac_f32_e32 v2, 0, v61
	v_rcp_f32_e32 v2, v2
	v_mul_f32_e32 v2, 0x5f7ffffc, v2
	v_mul_f32_e32 v4, 0x2f800000, v2
	v_trunc_f32_e32 v4, v4
	v_mac_f32_e32 v2, 0xcf800000, v4
	v_cvt_u32_f32_e32 v4, v4
	v_cvt_u32_f32_e32 v2, v2
	v_readfirstlane_b32 s3, v4
	v_readfirstlane_b32 s6, v2
	s_mul_i32 s7, s0, s3
	s_mul_hi_u32 s31, s0, s6
	s_mul_i32 s30, s1, s6
	s_add_i32 s7, s31, s7
	s_mul_i32 s50, s0, s6
	s_add_i32 s7, s7, s30
	s_mul_hi_u32 s31, s6, s50
	s_mul_hi_u32 s30, s6, s7
	s_mul_i32 s6, s6, s7
	s_add_u32 s6, s31, s6
	s_addc_u32 s30, 0, s30
	s_mul_hi_u32 s51, s3, s50
	s_mul_i32 s50, s3, s50
	s_add_u32 s6, s6, s50
	s_mul_hi_u32 s31, s3, s7
	s_addc_u32 s6, s30, s51
	s_addc_u32 s30, s31, 0
	s_mul_i32 s7, s3, s7
	s_add_u32 s6, s6, s7
	s_addc_u32 s7, 0, s30
	v_add_co_u32_e32 v2, vcc, s6, v2
	s_cmp_lg_u64 vcc, 0
	s_addc_u32 s3, s3, s7
	v_readfirstlane_b32 s7, v2
	s_mul_i32 s6, s0, s3
	s_mul_hi_u32 s30, s0, s7
	s_add_i32 s6, s30, s6
	s_mul_i32 s1, s1, s7
	s_add_i32 s6, s6, s1
	s_mul_i32 s0, s0, s7
	s_mul_hi_u32 s30, s3, s0
	s_mul_i32 s31, s3, s0
	s_mul_i32 s51, s7, s6
	s_mul_hi_u32 s0, s7, s0
	s_mul_hi_u32 s50, s7, s6
	s_add_u32 s0, s0, s51
	s_addc_u32 s7, 0, s50
	s_add_u32 s0, s0, s31
	s_mul_hi_u32 s1, s3, s6
	s_addc_u32 s0, s7, s30
	s_addc_u32 s1, s1, 0
	s_mul_i32 s6, s3, s6
	s_add_u32 s0, s0, s6
	s_addc_u32 s1, 0, s1
	v_add_co_u32_e32 v2, vcc, s0, v2
	s_cmp_lg_u64 vcc, 0
	s_addc_u32 s0, s3, s1
	v_readlane_b32 s31, v73, 29
	v_readfirstlane_b32 s6, v2
	v_readlane_b32 s50, v73, 31
	s_mul_i32 s3, s31, s0
	s_mul_hi_u32 s7, s31, s6
	v_readlane_b32 s51, v73, 32
	s_add_u32 s3, s7, s3
	s_mul_hi_u32 s7, s51, s0
	v_readlane_b32 s50, v73, 31
	v_readlane_b32 s51, v73, 32
	s_mul_hi_u32 s30, s51, s6
	v_readlane_b32 s50, v73, 31
	s_mul_hi_u32 s1, s31, s0
	v_readlane_b32 s51, v73, 32
	s_addc_u32 s1, 0, s1
	s_mul_i32 s6, s51, s6
	s_add_u32 s3, s3, s6
	s_addc_u32 s1, s1, s30
	s_addc_u32 s3, s7, 0
	v_readlane_b32 s6, v73, 31
	v_readlane_b32 s7, v73, 32
	s_mul_i32 s0, s7, s0
	s_add_u32 s0, s1, s0
	s_addc_u32 s1, 0, s3
	s_mul_hi_u32 s3, s33, s0
	s_mul_i32 s0, s33, s0
	s_mul_i32 s1, s33, s1
	v_mov_b32_e32 v2, s0
	s_add_i32 s3, s3, s1
	v_sub_co_u32_e32 v2, vcc, s31, v2
	s_cmp_lg_u64 vcc, 0
	s_subb_u32 s0, s7, s3
	v_subrev_co_u32_e32 v4, vcc, s33, v2
	s_cmp_lg_u64 vcc, 0
	s_subb_u32 s1, s0, 0
	v_subrev_co_u32_e32 v5, vcc, s33, v4
	s_cmp_lg_u64 vcc, 0
	s_subb_u32 s3, s1, 0
	v_cmp_le_u32_e32 vcc, s33, v4
	s_cmp_eq_u32 s1, 0
	v_cndmask_b32_e64 v6, 0, -1, vcc
	s_cselect_b64 vcc, -1, 0
	v_cndmask_b32_e32 v6, -1, v6, vcc
	v_mov_b32_e32 v7, s1
	v_mov_b32_e32 v10, s3
	v_cmp_ne_u32_e32 vcc, 0, v6
	v_cndmask_b32_e32 v6, v7, v10, vcc
	v_cndmask_b32_e32 v4, v4, v5, vcc
	v_cmp_le_u32_e32 vcc, s33, v2
	s_cmp_eq_u32 s0, 0
	v_cndmask_b32_e64 v5, 0, -1, vcc
	s_cselect_b64 vcc, -1, 0
	v_cndmask_b32_e32 v5, -1, v5, vcc
	v_mov_b32_e32 v7, s0
	v_cmp_ne_u32_e32 vcc, 0, v5
	v_cndmask_b32_e32 v5, v7, v6, vcc
	v_cndmask_b32_e32 v4, v2, v4, vcc
	s_cbranch_execnz .LBB189_417
.LBB189_416:                            ;   in Loop: Header=BB189_31 Depth=1
	v_cvt_f32_u32_e32 v2, s33
	s_sub_i32 s0, 0, s33
	v_rcp_iflag_f32_e32 v2, v2
	v_mul_f32_e32 v2, 0x4f7ffffe, v2
	v_cvt_u32_f32_e32 v2, v2
	v_mul_lo_u32 v4, s0, v2
	v_mul_hi_u32 v4, v2, v4
	v_add_u32_e32 v2, v2, v4
	v_readlane_b32 s0, v73, 29
	v_mul_hi_u32 v2, s0, v2
	v_mul_lo_u32 v2, v2, s33
	v_sub_u32_e32 v2, s0, v2
	v_subrev_u32_e32 v4, s33, v2
	v_cmp_le_u32_e32 vcc, s33, v2
	v_cndmask_b32_e32 v2, v2, v4, vcc
	v_subrev_u32_e32 v4, s33, v2
	v_cmp_le_u32_e32 vcc, s33, v2
	v_cndmask_b32_e32 v20, v2, v4, vcc
	v_pk_mov_b32 v[4:5], v[20:21], v[20:21] op_sel:[0,1]
.LBB189_417:                            ;   in Loop: Header=BB189_31 Depth=1
	v_readlane_b32 s0, v73, 29
	v_mov_b32_e32 v2, s7
	v_sub_co_u32_e32 v10, vcc, s0, v4
	v_subb_co_u32_e32 v11, vcc, v2, v5, vcc
	v_cmp_gt_u64_e32 vcc, v[10:11], v[0:1]
	s_mov_b64 s[6:7], 0
                                        ; implicit-def: $vgpr6_vgpr7
	s_and_saveexec_b64 s[0:1], vcc
	s_cbranch_execz .LBB189_426
; %bb.418:                              ;   in Loop: Header=BB189_31 Depth=1
	s_mov_b64 s[54:55], 0
	v_pk_mov_b32 v[12:13], v[32:33], v[32:33] op_sel:[0,1]
	v_pk_mov_b32 v[14:15], v[0:1], v[0:1] op_sel:[0,1]
                                        ; implicit-def: $sgpr50_sgpr51
	s_branch .LBB189_420
.LBB189_419:                            ;   in Loop: Header=BB189_420 Depth=2
	s_or_b64 exec, exec, s[6:7]
	s_waitcnt lgkmcnt(0)
	s_barrier
	s_waitcnt vmcnt(0)
	ds_read_b128 v[4:7], v21 offset:3072
	v_mov_b32_e32 v2, s92
	v_add_co_u32_e64 v14, s[6:7], s33, v14
	v_addc_co_u32_e64 v15, s[6:7], v15, v2, s[6:7]
	s_waitcnt lgkmcnt(0)
	v_cmp_neq_f64_e32 vcc, 0, v[4:5]
	v_cmp_ge_u64_e64 s[6:7], v[14:15], v[10:11]
	s_or_b64 s[30:31], s[6:7], vcc
	v_mov_b32_e32 v2, s65
	v_add_co_u32_e64 v12, s[6:7], s64, v12
	v_addc_co_u32_e64 v13, s[6:7], v13, v2, s[6:7]
	s_and_b64 s[6:7], exec, s[30:31]
	s_or_b64 s[54:55], s[6:7], s[54:55]
	s_andn2_b64 s[6:7], s[50:51], exec
	s_and_b64 s[30:31], vcc, exec
	s_or_b64 s[50:51], s[6:7], s[30:31]
	s_barrier
	s_andn2_b64 exec, exec, s[54:55]
	s_cbranch_execz .LBB189_425
.LBB189_420:                            ;   Parent Loop BB189_31 Depth=1
                                        ; =>  This Inner Loop Header: Depth=2
	v_cmp_gt_u64_e32 vcc, s[60:61], v[14:15]
	v_pk_mov_b32 v[4:5], 0, 0
	s_and_saveexec_b64 s[6:7], vcc
	s_cbranch_execz .LBB189_422
; %bb.421:                              ;   in Loop: Header=BB189_420 Depth=2
	global_load_dwordx2 v[4:5], v[12:13], off
.LBB189_422:                            ;   in Loop: Header=BB189_420 Depth=2
	s_or_b64 exec, exec, s[6:7]
	s_and_saveexec_b64 s[6:7], vcc
	s_cbranch_execz .LBB189_419
; %bb.423:                              ;   in Loop: Header=BB189_420 Depth=2
	s_waitcnt vmcnt(0)
	v_ashrrev_i32_e32 v2, 31, v5
	v_or_b32_e32 v6, 0x80000000, v2
	v_xor_b32_e32 v6, v6, v5
	v_xor_b32_e32 v2, v2, v4
	v_cmp_o_f64_e32 vcc, v[4:5], v[4:5]
	v_cndmask_b32_e32 v6, -1, v6, vcc
	v_cndmask_b32_e32 v2, -1, v2, vcc
	v_and_b32_e32 v7, v6, v37
	v_and_b32_e32 v6, v2, v36
	v_cmp_eq_u64_e32 vcc, v[6:7], v[34:35]
	s_and_b64 exec, exec, vcc
	s_cbranch_execz .LBB189_419
; %bb.424:                              ;   in Loop: Header=BB189_420 Depth=2
	v_mov_b32_e32 v2, v21
	ds_write_b128 v21, v[2:5] offset:3072
	s_branch .LBB189_419
.LBB189_425:                            ;   in Loop: Header=BB189_31 Depth=1
	s_or_b64 exec, exec, s[54:55]
	s_and_b64 s[6:7], s[50:51], exec
.LBB189_426:                            ;   in Loop: Header=BB189_31 Depth=1
	s_or_b64 exec, exec, s[0:1]
	s_mov_b64 s[4:5], 0
	s_mov_b64 s[50:51], -1
	s_mov_b64 s[54:55], 0
.LBB189_427:                            ;   in Loop: Header=BB189_31 Depth=1
	s_orn2_b64 s[6:7], s[6:7], exec
.LBB189_428:                            ;   in Loop: Header=BB189_31 Depth=1
	s_or_b64 exec, exec, s[68:69]
	s_mov_b64 s[0:1], 0
                                        ; implicit-def: $vgpr2
	s_and_saveexec_b64 s[68:69], s[6:7]
	s_cbranch_execz .LBB189_493
; %bb.429:                              ;   in Loop: Header=BB189_31 Depth=1
	v_mov_b32_e32 v10, 1
	s_xor_b64 s[6:7], s[52:53], -1
	s_mov_b64 s[80:81], 0
	v_mov_b32_e32 v11, 0
	v_mov_b32_e32 v2, 1
	s_and_saveexec_b64 s[0:1], s[6:7]
	s_cbranch_execz .LBB189_439
; %bb.430:                              ;   in Loop: Header=BB189_31 Depth=1
	v_cmp_ge_u64_e32 vcc, s[22:23], v[8:9]
                                        ; implicit-def: $sgpr3
                                        ; implicit-def: $sgpr6_sgpr7
	s_and_saveexec_b64 s[30:31], vcc
	s_xor_b64 s[52:53], exec, s[30:31]
	s_cbranch_execz .LBB189_436
; %bb.431:                              ;   in Loop: Header=BB189_31 Depth=1
	ds_read_b64 v[4:5], v21 offset:5120
	s_waitcnt lgkmcnt(0)
	v_cmp_ne_u64_e32 vcc, 0, v[4:5]
	s_cbranch_vccnz .LBB189_435
; %bb.432:                              ;   in Loop: Header=BB189_31 Depth=1
	s_mov_b64 s[6:7], exec
	v_readlane_b32 s30, v73, 10
	v_readlane_b32 s31, v73, 11
	s_and_b64 s[30:31], s[6:7], s[30:31]
	s_mov_b64 exec, s[30:31]
	s_cbranch_execz .LBB189_434
; %bb.433:                              ;   in Loop: Header=BB189_31 Depth=1
	v_pk_mov_b32 v[4:5], s[22:23], s[22:23] op_sel:[0,1]
	ds_write_b64 v21, v[4:5] offset:5128
.LBB189_434:                            ;   in Loop: Header=BB189_31 Depth=1
	s_or_b64 exec, exec, s[6:7]
	s_waitcnt lgkmcnt(0)
	s_barrier
.LBB189_435:                            ;   in Loop: Header=BB189_31 Depth=1
	s_lshl_b64 s[6:7], 1, s86
	v_and_b32_e32 v2, s21, v35
	v_and_b32_e32 v4, s20, v34
	v_or_b32_e32 v35, s7, v2
	v_or_b32_e32 v34, s6, v4
	;; [unrolled: 1-line block ×4, first 2 shown]
	s_mov_b64 s[6:7], 0
	s_mov_b32 s3, 5
.LBB189_436:                            ;   in Loop: Header=BB189_31 Depth=1
	s_or_saveexec_b64 s[52:53], s[52:53]
	v_mov_b32_e32 v2, s3
	s_xor_b64 exec, exec, s[52:53]
; %bb.437:                              ;   in Loop: Header=BB189_31 Depth=1
	v_mov_b32_e32 v2, s23
	v_subrev_co_u32_e32 v8, vcc, s22, v8
	v_subb_co_u32_e32 v9, vcc, v9, v2, vcc
	v_mov_b32_e32 v2, 0
	s_or_b64 s[6:7], s[6:7], exec
; %bb.438:                              ;   in Loop: Header=BB189_31 Depth=1
	s_or_b64 exec, exec, s[52:53]
	s_and_b64 s[80:81], s[6:7], exec
	v_pk_mov_b32 v[10:11], v[8:9], v[8:9] op_sel:[0,1]
.LBB189_439:                            ;   in Loop: Header=BB189_31 Depth=1
	s_or_b64 exec, exec, s[0:1]
	s_mov_b64 s[52:53], -1
                                        ; implicit-def: $sgpr0_sgpr1
                                        ; implicit-def: $sgpr6_sgpr7
                                        ; implicit-def: $sgpr66_sgpr67
	s_and_saveexec_b64 s[22:23], s[80:81]
	s_cbranch_execz .LBB189_492
; %bb.440:                              ;   in Loop: Header=BB189_31 Depth=1
	s_cmp_eq_u64 s[16:17], 1
	s_cselect_b64 s[0:1], -1, 0
	v_cmp_eq_u64_e32 vcc, 1, v[10:11]
	v_writelane_b32 v73, s4, 62
	s_and_b64 vcc, s[0:1], vcc
	s_mov_b64 s[80:81], -1
	v_writelane_b32 v73, s5, 63
                                        ; implicit-def: $sgpr0_sgpr1
                                        ; implicit-def: $sgpr6_sgpr7
                                        ; implicit-def: $sgpr66_sgpr67
	s_and_saveexec_b64 s[52:53], vcc
	s_cbranch_execz .LBB189_479
; %bb.441:                              ;   in Loop: Header=BB189_31 Depth=1
	ds_read_b64 v[4:5], v21 offset:5120
	s_waitcnt lgkmcnt(0)
	s_barrier
	v_readfirstlane_b32 s0, v4
	v_readfirstlane_b32 s1, v5
	s_mov_b64 s[6:7], exec
	v_readlane_b32 s30, v73, 24
	v_readlane_b32 s31, v73, 25
	s_and_b64 s[30:31], s[6:7], s[30:31]
	s_mov_b64 exec, s[30:31]
	s_cbranch_execz .LBB189_443
; %bb.442:                              ;   in Loop: Header=BB189_31 Depth=1
	v_mov_b32_e32 v20, v21
	ds_write_b64 v58, v[20:21]
.LBB189_443:                            ;   in Loop: Header=BB189_31 Depth=1
	s_or_b64 exec, exec, s[6:7]
	v_and_b32_e32 v35, s21, v35
	v_and_b32_e32 v34, s20, v34
	v_or_b32_e32 v37, s19, v37
	v_or_b32_e32 v36, s18, v36
	s_cmp_eq_u64 s[0:1], 0
	s_mov_b64 s[4:5], vcc
	s_waitcnt lgkmcnt(0)
	s_barrier
	s_cbranch_scc1 .LBB189_448
; %bb.444:                              ;   in Loop: Header=BB189_31 Depth=1
	v_readlane_b32 s3, v73, 28
	s_add_u32 s3, s3, s0
	v_readlane_b32 s6, v73, 30
	s_addc_u32 s7, s6, s1
	s_mov_b32 s6, s87
	s_cmp_lg_u64 s[6:7], 0
	s_cbranch_scc0 .LBB189_449
; %bb.445:                              ;   in Loop: Header=BB189_31 Depth=1
	v_cvt_f32_u32_e32 v2, s33
	s_sub_u32 s6, 0, s33
	s_subb_u32 s30, 0, 0
	v_mac_f32_e32 v2, 0, v61
	v_rcp_f32_e32 v2, v2
	v_mul_f32_e32 v2, 0x5f7ffffc, v2
	v_mul_f32_e32 v4, 0x2f800000, v2
	v_trunc_f32_e32 v4, v4
	v_mac_f32_e32 v2, 0xcf800000, v4
	v_cvt_u32_f32_e32 v4, v4
	v_cvt_u32_f32_e32 v2, v2
	v_readfirstlane_b32 s31, v4
	v_readfirstlane_b32 s66, v2
	s_mul_i32 s67, s6, s31
	s_mul_hi_u32 s81, s6, s66
	s_mul_i32 s80, s30, s66
	s_add_i32 s67, s81, s67
	s_mul_i32 s86, s6, s66
	s_add_i32 s67, s67, s80
	s_mul_hi_u32 s81, s66, s86
	s_mul_hi_u32 s80, s66, s67
	s_mul_i32 s66, s66, s67
	s_add_u32 s66, s81, s66
	s_addc_u32 s80, 0, s80
	s_mul_hi_u32 s88, s31, s86
	s_mul_i32 s86, s31, s86
	s_add_u32 s66, s66, s86
	s_mul_hi_u32 s81, s31, s67
	s_addc_u32 s66, s80, s88
	s_addc_u32 s80, s81, 0
	s_mul_i32 s67, s31, s67
	s_add_u32 s66, s66, s67
	s_addc_u32 s67, 0, s80
	v_add_co_u32_e32 v2, vcc, s66, v2
	s_cmp_lg_u64 vcc, 0
	s_addc_u32 s31, s31, s67
	v_readfirstlane_b32 s67, v2
	s_mul_i32 s66, s6, s31
	s_mul_hi_u32 s80, s6, s67
	s_add_i32 s66, s80, s66
	s_mul_i32 s30, s30, s67
	s_add_i32 s66, s66, s30
	s_mul_i32 s6, s6, s67
	s_mul_hi_u32 s80, s31, s6
	s_mul_i32 s81, s31, s6
	s_mul_i32 s88, s67, s66
	s_mul_hi_u32 s6, s67, s6
	s_mul_hi_u32 s86, s67, s66
	s_add_u32 s6, s6, s88
	s_addc_u32 s67, 0, s86
	s_add_u32 s6, s6, s81
	s_mul_hi_u32 s30, s31, s66
	s_addc_u32 s6, s67, s80
	s_addc_u32 s30, s30, 0
	s_mul_i32 s66, s31, s66
	s_add_u32 s6, s6, s66
	s_addc_u32 s30, 0, s30
	v_add_co_u32_e32 v2, vcc, s6, v2
	s_cmp_lg_u64 vcc, 0
	s_addc_u32 s6, s31, s30
	v_readfirstlane_b32 s66, v2
	s_mul_i32 s31, s3, s6
	s_mul_hi_u32 s67, s3, s66
	s_mul_hi_u32 s30, s3, s6
	s_add_u32 s31, s67, s31
	s_addc_u32 s30, 0, s30
	s_mul_hi_u32 s80, s7, s66
	s_mul_i32 s66, s7, s66
	s_add_u32 s31, s31, s66
	s_mul_hi_u32 s67, s7, s6
	s_addc_u32 s30, s30, s80
	s_addc_u32 s31, s67, 0
	s_mul_i32 s6, s7, s6
	s_add_u32 s6, s30, s6
	s_addc_u32 s30, 0, s31
	s_mul_hi_u32 s31, s33, s6
	s_mul_i32 s6, s33, s6
	s_mul_i32 s30, s33, s30
	v_mov_b32_e32 v2, s6
	s_add_i32 s31, s31, s30
	v_sub_co_u32_e32 v2, vcc, s3, v2
	s_cmp_lg_u64 vcc, 0
	s_subb_u32 s6, s7, s31
	v_subrev_co_u32_e32 v4, vcc, s33, v2
	s_cmp_lg_u64 vcc, 0
	s_subb_u32 s30, s6, 0
	v_subrev_co_u32_e32 v5, vcc, s33, v4
	s_cmp_lg_u64 vcc, 0
	s_subb_u32 s31, s30, 0
	v_cmp_le_u32_e32 vcc, s33, v4
	s_cmp_eq_u32 s30, 0
	v_cndmask_b32_e64 v6, 0, -1, vcc
	s_cselect_b64 vcc, -1, 0
	v_cndmask_b32_e32 v6, -1, v6, vcc
	v_mov_b32_e32 v7, s30
	v_mov_b32_e32 v8, s31
	v_cmp_ne_u32_e32 vcc, 0, v6
	v_cndmask_b32_e32 v6, v7, v8, vcc
	v_cndmask_b32_e32 v4, v4, v5, vcc
	v_cmp_le_u32_e32 vcc, s33, v2
	s_cmp_eq_u32 s6, 0
	v_cndmask_b32_e64 v5, 0, -1, vcc
	s_cselect_b64 vcc, -1, 0
	v_cndmask_b32_e32 v5, -1, v5, vcc
	v_mov_b32_e32 v7, s6
	v_cmp_ne_u32_e32 vcc, 0, v5
	v_cndmask_b32_e32 v5, v7, v6, vcc
	v_cndmask_b32_e32 v4, v2, v4, vcc
	s_mov_b64 s[66:67], 0
	s_branch .LBB189_450
.LBB189_446:                            ;   in Loop: Header=BB189_31 Depth=1
                                        ; implicit-def: $vgpr4_vgpr5
	s_branch .LBB189_400
.LBB189_447:                            ;   in Loop: Header=BB189_31 Depth=1
                                        ; implicit-def: $vgpr4_vgpr5
	s_branch .LBB189_416
.LBB189_448:                            ;   in Loop: Header=BB189_31 Depth=1
	s_mov_b64 s[0:1], -1
	s_mov_b64 s[80:81], 0
                                        ; implicit-def: $sgpr6_sgpr7
                                        ; implicit-def: $vgpr6_vgpr7
	s_branch .LBB189_462
.LBB189_449:                            ;   in Loop: Header=BB189_31 Depth=1
	s_mov_b64 s[66:67], -1
                                        ; implicit-def: $vgpr4_vgpr5
.LBB189_450:                            ;   in Loop: Header=BB189_31 Depth=1
	s_andn2_b64 vcc, exec, s[66:67]
	s_cbranch_vccnz .LBB189_452
; %bb.451:                              ;   in Loop: Header=BB189_31 Depth=1
	v_cvt_f32_u32_e32 v2, s33
	s_sub_i32 s6, 0, s33
	v_rcp_iflag_f32_e32 v2, v2
	v_mul_f32_e32 v2, 0x4f7ffffe, v2
	v_cvt_u32_f32_e32 v2, v2
	v_mul_lo_u32 v4, s6, v2
	v_mul_hi_u32 v4, v2, v4
	v_add_u32_e32 v2, v2, v4
	v_mul_hi_u32 v2, s3, v2
	v_mul_lo_u32 v2, v2, s33
	v_sub_u32_e32 v2, s3, v2
	v_subrev_u32_e32 v4, s33, v2
	v_cmp_le_u32_e32 vcc, s33, v2
	v_cndmask_b32_e32 v2, v2, v4, vcc
	v_subrev_u32_e32 v4, s33, v2
	v_cmp_le_u32_e32 vcc, s33, v2
	v_cndmask_b32_e32 v20, v2, v4, vcc
	v_pk_mov_b32 v[4:5], v[20:21], v[20:21] op_sel:[0,1]
.LBB189_452:                            ;   in Loop: Header=BB189_31 Depth=1
	v_mov_b32_e32 v2, s7
	v_sub_co_u32_e32 v8, vcc, s3, v4
	v_subb_co_u32_e32 v9, vcc, v2, v5, vcc
	v_cmp_gt_u64_e32 vcc, v[8:9], v[0:1]
	s_mov_b64 s[80:81], 0
                                        ; implicit-def: $vgpr6_vgpr7
	s_and_saveexec_b64 s[66:67], vcc
	s_cbranch_execz .LBB189_461
; %bb.453:                              ;   in Loop: Header=BB189_31 Depth=1
	s_mov_b64 s[88:89], 0
	v_mov_b32_e32 v14, v57
	v_pk_mov_b32 v[12:13], v[0:1], v[0:1] op_sel:[0,1]
                                        ; implicit-def: $sgpr80_sgpr81
	s_branch .LBB189_455
.LBB189_454:                            ;   in Loop: Header=BB189_455 Depth=2
	s_or_b64 exec, exec, s[6:7]
	s_waitcnt lgkmcnt(0)
	s_barrier
	ds_read_b128 v[4:7], v21 offset:3072
	v_mov_b32_e32 v2, s92
	v_add_co_u32_e64 v12, s[6:7], s33, v12
	v_addc_co_u32_e64 v13, s[6:7], v13, v2, s[6:7]
	s_waitcnt lgkmcnt(0)
	v_cmp_neq_f64_e32 vcc, 0, v[4:5]
	v_cmp_ge_u64_e64 s[6:7], v[12:13], v[8:9]
	s_or_b64 s[6:7], s[6:7], vcc
	s_and_b64 s[6:7], exec, s[6:7]
	s_or_b64 s[88:89], s[6:7], s[88:89]
	s_andn2_b64 s[6:7], s[80:81], exec
	s_and_b64 s[30:31], vcc, exec
	v_add_u32_e32 v14, s2, v14
	s_or_b64 s[80:81], s[6:7], s[30:31]
	s_barrier
	s_andn2_b64 exec, exec, s[88:89]
	s_cbranch_execz .LBB189_460
.LBB189_455:                            ;   Parent Loop BB189_31 Depth=1
                                        ; =>  This Inner Loop Header: Depth=2
	v_cmp_gt_u64_e32 vcc, s[0:1], v[12:13]
	v_pk_mov_b32 v[4:5], 0, 0
	s_and_saveexec_b64 s[6:7], vcc
	s_cbranch_execz .LBB189_457
; %bb.456:                              ;   in Loop: Header=BB189_455 Depth=2
	ds_read_b64 v[4:5], v14
.LBB189_457:                            ;   in Loop: Header=BB189_455 Depth=2
	s_or_b64 exec, exec, s[6:7]
	s_and_saveexec_b64 s[6:7], vcc
	s_cbranch_execz .LBB189_454
; %bb.458:                              ;   in Loop: Header=BB189_455 Depth=2
	s_waitcnt lgkmcnt(0)
	v_ashrrev_i32_e32 v2, 31, v5
	v_or_b32_e32 v6, 0x80000000, v2
	v_xor_b32_e32 v6, v6, v5
	v_xor_b32_e32 v2, v2, v4
	v_cmp_o_f64_e32 vcc, v[4:5], v[4:5]
	v_cndmask_b32_e32 v6, -1, v6, vcc
	v_cndmask_b32_e32 v2, -1, v2, vcc
	v_and_b32_e32 v7, v6, v37
	v_and_b32_e32 v6, v2, v36
	v_cmp_eq_u64_e32 vcc, v[6:7], v[34:35]
	s_and_b64 exec, exec, vcc
	s_cbranch_execz .LBB189_454
; %bb.459:                              ;   in Loop: Header=BB189_455 Depth=2
	v_mov_b32_e32 v2, v21
	ds_write_b128 v21, v[2:5] offset:3072
	s_branch .LBB189_454
.LBB189_460:                            ;   in Loop: Header=BB189_31 Depth=1
	s_or_b64 exec, exec, s[88:89]
	s_and_b64 s[80:81], s[80:81], exec
.LBB189_461:                            ;   in Loop: Header=BB189_31 Depth=1
	s_or_b64 exec, exec, s[66:67]
	s_mov_b64 s[0:1], 0
	s_mov_b64 s[6:7], -1
.LBB189_462:                            ;   in Loop: Header=BB189_31 Depth=1
	s_and_b64 vcc, exec, s[0:1]
	s_mov_b64 s[66:67], s[0:1]
	s_cbranch_vccz .LBB189_478
; %bb.463:                              ;   in Loop: Header=BB189_31 Depth=1
	v_readlane_b32 s6, v73, 31
	v_readlane_b32 s7, v73, 32
	s_mov_b32 s6, s87
	s_mov_b32 s1, s7
	s_cmp_lg_u64 s[6:7], 0
	v_writelane_b32 v73, s0, 31
	v_writelane_b32 v73, s1, 32
	s_cbranch_scc0 .LBB189_465
; %bb.464:                              ;   in Loop: Header=BB189_31 Depth=1
	v_cvt_f32_u32_e32 v2, s33
	s_sub_u32 s0, 0, s33
	s_subb_u32 s1, 0, 0
	v_mac_f32_e32 v2, 0, v61
	v_rcp_f32_e32 v2, v2
	v_mul_f32_e32 v2, 0x5f7ffffc, v2
	v_mul_f32_e32 v4, 0x2f800000, v2
	v_trunc_f32_e32 v4, v4
	v_mac_f32_e32 v2, 0xcf800000, v4
	v_cvt_u32_f32_e32 v4, v4
	v_cvt_u32_f32_e32 v2, v2
	v_readfirstlane_b32 s3, v4
	v_readfirstlane_b32 s6, v2
	s_mul_i32 s7, s0, s3
	s_mul_hi_u32 s31, s0, s6
	s_mul_i32 s30, s1, s6
	s_add_i32 s7, s31, s7
	s_mul_i32 s66, s0, s6
	s_add_i32 s7, s7, s30
	s_mul_hi_u32 s31, s6, s66
	s_mul_hi_u32 s30, s6, s7
	s_mul_i32 s6, s6, s7
	s_add_u32 s6, s31, s6
	s_addc_u32 s30, 0, s30
	s_mul_hi_u32 s67, s3, s66
	s_mul_i32 s66, s3, s66
	s_add_u32 s6, s6, s66
	s_mul_hi_u32 s31, s3, s7
	s_addc_u32 s6, s30, s67
	s_addc_u32 s30, s31, 0
	s_mul_i32 s7, s3, s7
	s_add_u32 s6, s6, s7
	s_addc_u32 s7, 0, s30
	v_add_co_u32_e32 v2, vcc, s6, v2
	s_cmp_lg_u64 vcc, 0
	s_addc_u32 s3, s3, s7
	v_readfirstlane_b32 s7, v2
	s_mul_i32 s6, s0, s3
	s_mul_hi_u32 s30, s0, s7
	s_add_i32 s6, s30, s6
	s_mul_i32 s1, s1, s7
	s_add_i32 s6, s6, s1
	s_mul_i32 s0, s0, s7
	s_mul_hi_u32 s30, s3, s0
	s_mul_i32 s31, s3, s0
	s_mul_i32 s67, s7, s6
	s_mul_hi_u32 s0, s7, s0
	s_mul_hi_u32 s66, s7, s6
	s_add_u32 s0, s0, s67
	s_addc_u32 s7, 0, s66
	s_add_u32 s0, s0, s31
	s_mul_hi_u32 s1, s3, s6
	s_addc_u32 s0, s7, s30
	s_addc_u32 s1, s1, 0
	s_mul_i32 s6, s3, s6
	s_add_u32 s0, s0, s6
	s_addc_u32 s1, 0, s1
	v_add_co_u32_e32 v2, vcc, s0, v2
	s_cmp_lg_u64 vcc, 0
	s_addc_u32 s0, s3, s1
	v_readlane_b32 s31, v73, 29
	v_readfirstlane_b32 s6, v2
	v_readlane_b32 s66, v73, 31
	s_mul_i32 s3, s31, s0
	s_mul_hi_u32 s7, s31, s6
	v_readlane_b32 s67, v73, 32
	s_add_u32 s3, s7, s3
	s_mul_hi_u32 s7, s67, s0
	v_readlane_b32 s66, v73, 31
	v_readlane_b32 s67, v73, 32
	s_mul_hi_u32 s30, s67, s6
	v_readlane_b32 s66, v73, 31
	s_mul_hi_u32 s1, s31, s0
	v_readlane_b32 s67, v73, 32
	s_addc_u32 s1, 0, s1
	s_mul_i32 s6, s67, s6
	s_add_u32 s3, s3, s6
	s_addc_u32 s1, s1, s30
	s_addc_u32 s3, s7, 0
	v_readlane_b32 s6, v73, 31
	v_readlane_b32 s7, v73, 32
	s_mul_i32 s0, s7, s0
	s_add_u32 s0, s1, s0
	s_addc_u32 s1, 0, s3
	s_mul_hi_u32 s3, s33, s0
	s_mul_i32 s0, s33, s0
	s_mul_i32 s1, s33, s1
	v_mov_b32_e32 v2, s0
	s_add_i32 s3, s3, s1
	v_sub_co_u32_e32 v2, vcc, s31, v2
	s_cmp_lg_u64 vcc, 0
	s_subb_u32 s0, s7, s3
	v_subrev_co_u32_e32 v4, vcc, s33, v2
	s_cmp_lg_u64 vcc, 0
	s_subb_u32 s1, s0, 0
	v_subrev_co_u32_e32 v5, vcc, s33, v4
	s_cmp_lg_u64 vcc, 0
	s_subb_u32 s3, s1, 0
	v_cmp_le_u32_e32 vcc, s33, v4
	s_cmp_eq_u32 s1, 0
	v_cndmask_b32_e64 v6, 0, -1, vcc
	s_cselect_b64 vcc, -1, 0
	v_cndmask_b32_e32 v6, -1, v6, vcc
	v_mov_b32_e32 v7, s1
	v_mov_b32_e32 v8, s3
	v_cmp_ne_u32_e32 vcc, 0, v6
	v_cndmask_b32_e32 v6, v7, v8, vcc
	v_cndmask_b32_e32 v4, v4, v5, vcc
	v_cmp_le_u32_e32 vcc, s33, v2
	s_cmp_eq_u32 s0, 0
	v_cndmask_b32_e64 v5, 0, -1, vcc
	s_cselect_b64 vcc, -1, 0
	v_cndmask_b32_e32 v5, -1, v5, vcc
	v_mov_b32_e32 v7, s0
	v_cmp_ne_u32_e32 vcc, 0, v5
	v_cndmask_b32_e32 v5, v7, v6, vcc
	v_cndmask_b32_e32 v4, v2, v4, vcc
	s_mov_b64 s[0:1], 0
	s_branch .LBB189_466
.LBB189_465:                            ;   in Loop: Header=BB189_31 Depth=1
	s_mov_b64 s[0:1], -1
                                        ; implicit-def: $vgpr4_vgpr5
.LBB189_466:                            ;   in Loop: Header=BB189_31 Depth=1
	s_andn2_b64 vcc, exec, s[0:1]
	s_cbranch_vccnz .LBB189_468
; %bb.467:                              ;   in Loop: Header=BB189_31 Depth=1
	v_cvt_f32_u32_e32 v2, s33
	s_sub_i32 s0, 0, s33
	v_rcp_iflag_f32_e32 v2, v2
	v_mul_f32_e32 v2, 0x4f7ffffe, v2
	v_cvt_u32_f32_e32 v2, v2
	v_mul_lo_u32 v4, s0, v2
	v_mul_hi_u32 v4, v2, v4
	v_add_u32_e32 v2, v2, v4
	v_readlane_b32 s0, v73, 29
	v_mul_hi_u32 v2, s0, v2
	v_mul_lo_u32 v2, v2, s33
	v_sub_u32_e32 v2, s0, v2
	v_subrev_u32_e32 v4, s33, v2
	v_cmp_le_u32_e32 vcc, s33, v2
	v_cndmask_b32_e32 v2, v2, v4, vcc
	v_subrev_u32_e32 v4, s33, v2
	v_cmp_le_u32_e32 vcc, s33, v2
	v_cndmask_b32_e32 v20, v2, v4, vcc
	v_pk_mov_b32 v[4:5], v[20:21], v[20:21] op_sel:[0,1]
.LBB189_468:                            ;   in Loop: Header=BB189_31 Depth=1
	v_readlane_b32 s0, v73, 29
	v_mov_b32_e32 v2, s7
	v_sub_co_u32_e32 v8, vcc, s0, v4
	v_subb_co_u32_e32 v9, vcc, v2, v5, vcc
	v_cmp_gt_u64_e32 vcc, v[8:9], v[0:1]
	s_mov_b64 s[80:81], 0
                                        ; implicit-def: $vgpr6_vgpr7
	s_and_saveexec_b64 s[0:1], vcc
	s_cbranch_execz .LBB189_477
; %bb.469:                              ;   in Loop: Header=BB189_31 Depth=1
	v_pk_mov_b32 v[12:13], v[32:33], v[32:33] op_sel:[0,1]
	v_pk_mov_b32 v[14:15], v[0:1], v[0:1] op_sel:[0,1]
                                        ; implicit-def: $sgpr66_sgpr67
	s_branch .LBB189_471
.LBB189_470:                            ;   in Loop: Header=BB189_471 Depth=2
	s_or_b64 exec, exec, s[6:7]
	s_waitcnt lgkmcnt(0)
	s_barrier
	s_waitcnt vmcnt(0)
	ds_read_b128 v[4:7], v21 offset:3072
	v_mov_b32_e32 v2, s92
	v_add_co_u32_e64 v14, s[6:7], s33, v14
	v_addc_co_u32_e64 v15, s[6:7], v15, v2, s[6:7]
	s_waitcnt lgkmcnt(0)
	v_cmp_neq_f64_e32 vcc, 0, v[4:5]
	v_cmp_ge_u64_e64 s[6:7], v[14:15], v[8:9]
	s_or_b64 s[30:31], s[6:7], vcc
	v_mov_b32_e32 v2, s65
	v_add_co_u32_e64 v12, s[6:7], s64, v12
	v_addc_co_u32_e64 v13, s[6:7], v13, v2, s[6:7]
	s_and_b64 s[6:7], exec, s[30:31]
	s_or_b64 s[80:81], s[6:7], s[80:81]
	s_andn2_b64 s[6:7], s[66:67], exec
	s_and_b64 s[30:31], vcc, exec
	s_or_b64 s[66:67], s[6:7], s[30:31]
	s_barrier
	s_andn2_b64 exec, exec, s[80:81]
	s_cbranch_execz .LBB189_476
.LBB189_471:                            ;   Parent Loop BB189_31 Depth=1
                                        ; =>  This Inner Loop Header: Depth=2
	v_cmp_gt_u64_e32 vcc, s[60:61], v[14:15]
	v_pk_mov_b32 v[4:5], 0, 0
	s_and_saveexec_b64 s[6:7], vcc
	s_cbranch_execz .LBB189_473
; %bb.472:                              ;   in Loop: Header=BB189_471 Depth=2
	global_load_dwordx2 v[4:5], v[12:13], off
.LBB189_473:                            ;   in Loop: Header=BB189_471 Depth=2
	s_or_b64 exec, exec, s[6:7]
	s_and_saveexec_b64 s[6:7], vcc
	s_cbranch_execz .LBB189_470
; %bb.474:                              ;   in Loop: Header=BB189_471 Depth=2
	s_waitcnt vmcnt(0)
	v_ashrrev_i32_e32 v2, 31, v5
	v_or_b32_e32 v6, 0x80000000, v2
	v_xor_b32_e32 v6, v6, v5
	v_xor_b32_e32 v2, v2, v4
	v_cmp_o_f64_e32 vcc, v[4:5], v[4:5]
	v_cndmask_b32_e32 v6, -1, v6, vcc
	v_cndmask_b32_e32 v2, -1, v2, vcc
	v_and_b32_e32 v7, v6, v37
	v_and_b32_e32 v6, v2, v36
	v_cmp_eq_u64_e32 vcc, v[6:7], v[34:35]
	s_and_b64 exec, exec, vcc
	s_cbranch_execz .LBB189_470
; %bb.475:                              ;   in Loop: Header=BB189_471 Depth=2
	v_mov_b32_e32 v2, v21
	ds_write_b128 v21, v[2:5] offset:3072
	s_branch .LBB189_470
.LBB189_476:                            ;   in Loop: Header=BB189_31 Depth=1
	s_or_b64 exec, exec, s[80:81]
	s_and_b64 s[80:81], s[66:67], exec
.LBB189_477:                            ;   in Loop: Header=BB189_31 Depth=1
	s_or_b64 exec, exec, s[0:1]
	s_mov_b64 s[6:7], 0
	s_mov_b64 s[0:1], -1
	s_mov_b64 s[66:67], 0
.LBB189_478:                            ;   in Loop: Header=BB189_31 Depth=1
	s_orn2_b64 s[80:81], s[80:81], exec
	s_mov_b64 vcc, s[4:5]
.LBB189_479:                            ;   in Loop: Header=BB189_31 Depth=1
	s_or_b64 exec, exec, s[52:53]
	s_mov_b64 s[88:89], 0
                                        ; implicit-def: $vgpr2
                                        ; implicit-def: $vgpr4_vgpr5
	s_and_saveexec_b64 s[52:53], s[80:81]
	v_readlane_b32 s4, v73, 62
	v_readlane_b32 s5, v73, 63
	s_cbranch_execz .LBB189_491
; %bb.480:                              ;   in Loop: Header=BB189_31 Depth=1
	v_mov_b32_e32 v4, 1
	s_xor_b64 s[30:31], vcc, -1
	v_mov_b32_e32 v2, 1
	v_mov_b32_e32 v5, 0
	s_and_saveexec_b64 s[80:81], s[30:31]
	s_cbranch_execz .LBB189_490
; %bb.481:                              ;   in Loop: Header=BB189_31 Depth=1
	s_mov_b32 s5, s91
	s_mov_b32 s4, s90
	v_cmp_ge_u64_e32 vcc, s[16:17], v[10:11]
                                        ; implicit-def: $sgpr3
	s_and_saveexec_b64 s[30:31], vcc
	s_xor_b64 s[88:89], exec, s[30:31]
	s_cbranch_execz .LBB189_487
; %bb.482:                              ;   in Loop: Header=BB189_31 Depth=1
	ds_read_b64 v[4:5], v21 offset:5120
	s_waitcnt lgkmcnt(0)
	v_cmp_ne_u64_e32 vcc, 0, v[4:5]
	s_cbranch_vccnz .LBB189_486
; %bb.483:                              ;   in Loop: Header=BB189_31 Depth=1
	s_mov_b64 s[90:91], exec
	v_readlane_b32 s30, v73, 10
	v_readlane_b32 s31, v73, 11
	s_and_b64 s[30:31], s[90:91], s[30:31]
	s_mov_b64 exec, s[30:31]
	s_cbranch_execz .LBB189_485
; %bb.484:                              ;   in Loop: Header=BB189_31 Depth=1
	v_pk_mov_b32 v[4:5], s[16:17], s[16:17] op_sel:[0,1]
	ds_write_b64 v21, v[4:5] offset:5128
.LBB189_485:                            ;   in Loop: Header=BB189_31 Depth=1
	s_or_b64 exec, exec, s[90:91]
	s_waitcnt lgkmcnt(0)
	s_barrier
.LBB189_486:                            ;   in Loop: Header=BB189_31 Depth=1
	v_and_b32_e32 v35, s21, v35
	v_and_b32_e32 v34, s20, v34
	v_or_b32_e32 v37, s19, v37
	v_or_b32_e32 v36, s18, v36
	s_mov_b32 s3, 5
.LBB189_487:                            ;   in Loop: Header=BB189_31 Depth=1
	s_or_saveexec_b64 s[18:19], s[88:89]
	v_mov_b32_e32 v2, s3
	s_xor_b64 exec, exec, s[18:19]
; %bb.488:                              ;   in Loop: Header=BB189_31 Depth=1
	v_mov_b32_e32 v2, s17
	v_subrev_co_u32_e32 v10, vcc, s16, v10
	v_subb_co_u32_e32 v11, vcc, v11, v2, vcc
	v_mov_b32_e32 v2, 5
; %bb.489:                              ;   in Loop: Header=BB189_31 Depth=1
	s_or_b64 exec, exec, s[18:19]
	s_mov_b32 s90, s4
	s_mov_b32 s91, s5
	v_readlane_b32 s4, v73, 62
	v_pk_mov_b32 v[4:5], v[10:11], v[10:11] op_sel:[0,1]
	v_readlane_b32 s5, v73, 63
.LBB189_490:                            ;   in Loop: Header=BB189_31 Depth=1
	s_or_b64 exec, exec, s[80:81]
	s_mov_b64 s[88:89], exec
.LBB189_491:                            ;   in Loop: Header=BB189_31 Depth=1
	s_or_b64 exec, exec, s[52:53]
	s_orn2_b64 s[52:53], s[88:89], exec
	v_pk_mov_b32 v[10:11], v[4:5], v[4:5] op_sel:[0,1]
.LBB189_492:                            ;   in Loop: Header=BB189_31 Depth=1
	s_or_b64 exec, exec, s[22:23]
	s_andn2_b64 s[16:17], s[50:51], exec
	s_and_b64 s[0:1], s[0:1], exec
	s_or_b64 s[50:51], s[16:17], s[0:1]
	s_andn2_b64 s[0:1], s[4:5], exec
	s_and_b64 s[6:7], s[6:7], exec
	s_or_b64 s[4:5], s[0:1], s[6:7]
	;; [unrolled: 3-line block ×3, first 2 shown]
	s_and_b64 s[0:1], s[52:53], exec
	v_pk_mov_b32 v[8:9], v[10:11], v[10:11] op_sel:[0,1]
.LBB189_493:                            ;   in Loop: Header=BB189_31 Depth=1
	s_or_b64 exec, exec, s[68:69]
	s_and_b64 s[52:53], s[50:51], exec
	s_and_b64 s[50:51], s[4:5], exec
	;; [unrolled: 1-line block ×3, first 2 shown]
	s_orn2_b64 s[0:1], s[0:1], exec
.LBB189_494:                            ;   in Loop: Header=BB189_31 Depth=1
	s_or_b64 exec, exec, s[26:27]
	s_andn2_b64 s[16:17], s[40:41], exec
	s_and_b64 s[18:19], s[52:53], exec
	s_or_b64 s[40:41], s[16:17], s[18:19]
	s_andn2_b64 s[16:17], s[44:45], exec
	s_and_b64 s[18:19], s[50:51], exec
	s_or_b64 s[44:45], s[16:17], s[18:19]
	s_andn2_b64 s[16:17], s[46:47], exec
	s_and_b64 s[6:7], s[6:7], exec
	s_or_b64 s[46:47], s[16:17], s[6:7]
	s_and_b64 s[6:7], s[0:1], exec
	v_pk_mov_b32 v[40:41], v[8:9], v[8:9] op_sel:[0,1]
.LBB189_495:                            ;   in Loop: Header=BB189_31 Depth=1
	s_or_b64 exec, exec, s[48:49]
	s_and_b64 s[48:49], s[40:41], exec
	s_and_b64 s[40:41], s[44:45], exec
	;; [unrolled: 1-line block ×3, first 2 shown]
	s_orn2_b64 s[44:45], s[6:7], exec
.LBB189_496:                            ;   in Loop: Header=BB189_31 Depth=1
	s_or_b64 exec, exec, s[28:29]
	s_mov_b64 s[6:7], s[36:37]
	s_mov_b64 s[16:17], s[34:35]
	s_and_saveexec_b64 s[18:19], s[44:45]
; %bb.497:                              ;   in Loop: Header=BB189_31 Depth=1
	v_cmp_ne_u32_e64 s[6:7], 5, v2
	v_cmp_eq_u32_e32 vcc, 5, v2
	s_andn2_b64 s[16:17], s[34:35], exec
	s_and_b64 s[6:7], s[6:7], exec
	s_or_b64 s[16:17], s[16:17], s[6:7]
	s_andn2_b64 s[6:7], s[36:37], exec
	s_and_b64 s[20:21], vcc, exec
	s_andn2_b64 s[48:49], s[48:49], exec
	s_andn2_b64 s[40:41], s[40:41], exec
	;; [unrolled: 1-line block ×3, first 2 shown]
	s_or_b64 s[6:7], s[6:7], s[20:21]
; %bb.498:                              ;   in Loop: Header=BB189_31 Depth=1
	s_or_b64 exec, exec, s[18:19]
	s_andn2_b64 s[14:15], s[14:15], exec
	s_and_b64 s[18:19], s[48:49], exec
	s_or_b64 s[14:15], s[14:15], s[18:19]
	s_andn2_b64 s[18:19], s[42:43], exec
	s_and_b64 s[20:21], s[40:41], exec
	s_or_b64 s[42:43], s[18:19], s[20:21]
	;; [unrolled: 3-line block ×5, first 2 shown]
	v_pk_mov_b32 v[12:13], v[34:35], v[34:35] op_sel:[0,1]
	v_pk_mov_b32 v[14:15], v[36:37], v[36:37] op_sel:[0,1]
	;; [unrolled: 1-line block ×3, first 2 shown]
.LBB189_499:                            ;   in Loop: Header=BB189_31 Depth=1
	s_or_b64 exec, exec, s[38:39]
	s_mov_b64 s[40:41], s[24:25]
	s_mov_b64 s[38:39], s[24:25]
	s_and_saveexec_b64 s[0:1], s[36:37]
.LBB189_500:                            ;   in Loop: Header=BB189_31 Depth=1
	v_mov_b32_e32 v2, 0
	s_andn2_b64 s[24:25], s[24:25], exec
	s_andn2_b64 s[14:15], s[14:15], exec
	;; [unrolled: 1-line block ×5, first 2 shown]
	s_or_b64 s[34:35], s[34:35], exec
.LBB189_501:                            ;   in Loop: Header=BB189_31 Depth=1
	s_or_b64 exec, exec, s[0:1]
	v_readlane_b32 s0, v73, 60
	v_readlane_b32 s1, v73, 61
	s_andn2_b64 s[0:1], s[0:1], exec
	s_and_b64 s[4:5], s[24:25], exec
	s_or_b64 s[36:37], s[0:1], s[4:5]
	v_readlane_b32 s0, v73, 58
	v_readlane_b32 s1, v73, 59
	s_andn2_b64 s[0:1], s[0:1], exec
	s_and_b64 s[14:15], s[14:15], exec
	s_or_b64 s[4:5], s[0:1], s[14:15]
	;; [unrolled: 5-line block ×4, first 2 shown]
	v_readlane_b32 s0, v73, 52
	v_readlane_b32 s1, v73, 53
	s_andn2_b64 s[0:1], s[0:1], exec
	s_and_b64 s[14:15], s[38:39], exec
	s_mov_b64 s[6:7], -1
	s_or_b64 s[26:27], s[0:1], s[14:15]
                                        ; implicit-def: $vgpr36_vgpr37
                                        ; implicit-def: $vgpr34_vgpr35
                                        ; implicit-def: $vgpr38_vgpr39
                                        ; implicit-def: $vgpr6_vgpr7
	s_and_saveexec_b64 s[0:1], s[34:35]
	s_mov_b64 s[34:35], s[4:5]
	s_xor_b64 s[0:1], exec, s[0:1]
	s_cbranch_execz .LBB189_30
; %bb.502:                              ;   in Loop: Header=BB189_31 Depth=1
	v_cmp_eq_u32_e32 vcc, 0, v2
	s_mov_b64 s[14:15], -1
	s_and_saveexec_b64 s[16:17], vcc
	s_cbranch_execz .LBB189_29
; %bb.503:                              ;   in Loop: Header=BB189_31 Depth=1
	s_xor_b32 s91, s91, 1
	s_add_i32 s3, s90, -2
	s_cmp_eq_u32 s90, 0
	s_cselect_b64 s[6:7], -1, 0
	s_xor_b64 s[14:15], exec, -1
	s_orn2_b64 s[6:7], s[6:7], exec
	s_mov_b32 s90, s3
	s_branch .LBB189_29
.LBB189_504:
	s_or_b64 exec, exec, s[70:71]
	s_xor_b64 s[2:3], s[10:11], -1
	s_xor_b64 s[10:11], s[8:9], -1
	s_xor_b64 s[8:9], s[82:83], -1
	s_xor_b64 s[6:7], s[84:85], -1
	s_xor_b64 s[0:1], s[76:77], -1
	s_mov_b64 s[4:5], 0
	s_and_saveexec_b64 s[12:13], s[6:7]
	s_xor_b64 s[6:7], exec, s[12:13]
	s_cbranch_execnz .LBB189_509
; %bb.505:
	s_andn2_saveexec_b64 s[0:1], s[6:7]
	s_cbranch_execnz .LBB189_528
.LBB189_506:
	s_or_b64 exec, exec, s[0:1]
	s_and_saveexec_b64 s[0:1], s[4:5]
.LBB189_507:
	; divergent unreachable
.LBB189_508:
	s_endpgm
.LBB189_509:
	s_and_saveexec_b64 s[12:13], s[8:9]
	s_xor_b64 s[8:9], exec, s[12:13]
	s_cbranch_execz .LBB189_526
; %bb.510:
	s_and_saveexec_b64 s[12:13], s[10:11]
	s_xor_b64 s[10:11], exec, s[12:13]
	s_cbranch_execz .LBB189_524
; %bb.511:
	;; [unrolled: 4-line block ×3, first 2 shown]
	s_and_saveexec_b64 s[2:3], s[0:1]
	s_xor_b64 s[0:1], exec, s[2:3]
; %bb.513:
	v_lshrrev_b32_e32 v2, 31, v13
	v_add_co_u32_e32 v2, vcc, -1, v2
	v_addc_co_u32_e64 v3, s[2:3], 0, -1, vcc
	v_or_b32_e32 v3, 0x80000000, v3
	v_xor_b32_e32 v11, v3, v13
	v_xor_b32_e32 v10, v2, v12
; %bb.514:
	s_or_b64 exec, exec, s[0:1]
	s_mov_b64 s[0:1], exec
	v_readlane_b32 s2, v73, 10
	v_readlane_b32 s3, v73, 11
	;; [unrolled: 1-line block ×3, first 2 shown]
	s_and_b64 s[2:3], s[0:1], s[2:3]
	v_readlane_b32 s37, v73, 15
	s_mov_b64 exec, s[2:3]
	s_cbranch_execz .LBB189_516
; %bb.515:
	v_mov_b32_e32 v2, 0
	v_mov_b32_e32 v3, v2
	ds_write_b64 v2, v[2:3] offset:5136
.LBB189_516:
	s_or_b64 exec, exec, s[0:1]
	s_waitcnt vmcnt(0)
	v_pk_mov_b32 v[4:5], 0, 0
	s_waitcnt lgkmcnt(0)
	s_barrier
	s_mov_b64 s[0:1], exec
	v_readlane_b32 s2, v73, 22
	v_readlane_b32 s3, v73, 23
	s_and_b64 s[2:3], s[0:1], s[2:3]
	s_mov_b64 exec, s[2:3]
	s_cbranch_execz .LBB189_518
; %bb.517:
	global_load_dwordx2 v[4:5], v[18:19], off
.LBB189_518:
	s_or_b64 exec, exec, s[0:1]
	v_readlane_b32 s2, v73, 2
	s_add_u32 s0, s60, 63
	v_readlane_b32 s3, v73, 3
	v_readlane_b32 s4, v73, 0
	s_addc_u32 s15, s61, 0
	s_and_b32 s14, s0, 0xffffffc0
	v_readlane_b32 s5, v73, 1
	s_mul_i32 s0, s4, s3
	s_mul_hi_u32 s1, s4, s2
	s_add_i32 s0, s1, s0
	s_mul_i32 s1, s5, s2
	s_add_i32 s1, s0, s1
	s_mul_i32 s0, s4, s2
	v_readlane_b32 s4, v73, 6
	v_readlane_b32 s5, v73, 7
	s_mul_i32 s2, s4, s79
	s_mul_hi_u32 s3, s4, s78
	s_add_i32 s2, s3, s2
	s_mul_i32 s3, s5, s78
	s_add_i32 s3, s2, s3
	s_mul_i32 s2, s4, s78
	s_lshl_b64 s[0:1], s[0:1], 3
	v_readlane_b32 s4, v73, 4
	v_readlane_b32 s5, v73, 5
	s_add_u32 s4, s4, s0
	s_addc_u32 s5, s5, s1
	s_lshl_b64 s[0:1], s[56:57], 3
	s_add_u32 s44, s4, s0
	s_addc_u32 s45, s5, s1
	s_lshl_b64 s[0:1], s[2:3], 3
	v_readlane_b32 s2, v73, 8
	v_readlane_b32 s3, v73, 9
	s_add_u32 s2, s2, s0
	s_addc_u32 s3, s3, s1
	s_lshl_b64 s[0:1], s[74:75], 3
	s_add_u32 s46, s2, s0
	s_addc_u32 s47, s3, s1
	v_readlane_b32 s0, v73, 12
	v_readlane_b32 s1, v73, 13
	s_load_dwordx2 s[16:17], s[0:1], 0x368
	s_load_dwordx2 s[18:19], s[0:1], 0x510
	v_ashrrev_i32_e32 v2, 31, v11
	v_or_b32_e32 v3, 0x80000000, v2
	v_xor_b32_e32 v3, v3, v11
	v_xor_b32_e32 v2, v2, v10
	v_cmp_o_f64_e32 vcc, v[10:11], v[10:11]
	v_cndmask_b32_e32 v3, -1, v3, vcc
	v_cndmask_b32_e32 v2, -1, v2, vcc
	v_cmp_gt_u64_e32 vcc, s[14:15], v[0:1]
	s_mov_b64 s[22:23], -1
	s_mov_b64 s[2:3], 0
	v_add_u32_e32 v24, s33, v0
	s_mov_b64 s[0:1], 0
	s_and_saveexec_b64 s[20:21], vcc
	s_cbranch_execnz .LBB189_529
; %bb.519:
	s_or_b64 exec, exec, s[20:21]
	s_and_saveexec_b64 s[4:5], s[22:23]
	s_cbranch_execnz .LBB189_546
.LBB189_520:
	s_or_b64 exec, exec, s[4:5]
	s_and_saveexec_b64 s[4:5], s[0:1]
	s_xor_b64 s[0:1], exec, s[4:5]
	s_cbranch_execnz .LBB189_570
.LBB189_521:
	s_or_b64 exec, exec, s[0:1]
	s_and_b64 s[4:5], s[2:3], exec
.LBB189_522:
	s_andn2_saveexec_b64 s[0:1], s[12:13]
	s_cbranch_execnz .LBB189_573
.LBB189_523:
	s_or_b64 exec, exec, s[0:1]
	s_and_b64 s[4:5], s[4:5], exec
.LBB189_524:
	s_andn2_saveexec_b64 s[0:1], s[10:11]
	s_cbranch_execnz .LBB189_572
.LBB189_525:
	s_or_b64 exec, exec, s[0:1]
	s_and_b64 s[4:5], s[4:5], exec
.LBB189_526:
	s_andn2_saveexec_b64 s[0:1], s[8:9]
	s_cbranch_execnz .LBB189_571
.LBB189_527:
	s_or_b64 exec, exec, s[0:1]
	s_and_b64 s[4:5], s[4:5], exec
	s_andn2_saveexec_b64 s[0:1], s[6:7]
	s_cbranch_execz .LBB189_506
.LBB189_528:
	s_or_b64 s[4:5], s[4:5], exec
	s_trap 2
	s_or_b64 exec, exec, s[0:1]
	s_and_saveexec_b64 s[0:1], s[4:5]
	s_cbranch_execnz .LBB189_507
	s_branch .LBB189_508
.LBB189_529:
	v_mad_u64_u32 v[6:7], s[0:1], s58, v24, 0
	v_mov_b32_e32 v8, v7
	v_mad_u64_u32 v[8:9], s[0:1], s59, v24, v[8:9]
	v_readlane_b32 s0, v73, 46
	v_readlane_b32 s1, v73, 47
	s_add_u32 s0, s0, s72
	s_addc_u32 s1, s1, s73
	v_readlane_b32 s4, v73, 48
	v_mov_b32_e32 v7, v8
	v_readlane_b32 s5, v73, 49
	s_add_u32 s0, s0, s4
	v_lshlrev_b64 v[6:7], 3, v[6:7]
	s_addc_u32 s1, s1, s5
	v_mov_b32_e32 v8, s1
	v_add_co_u32_e32 v6, vcc, s0, v6
	v_addc_co_u32_e32 v7, vcc, v8, v7, vcc
	s_mov_b64 s[0:1], 0
	v_mov_b32_e32 v25, s92
	v_mov_b32_e32 v9, 0
	v_pk_mov_b32 v[20:21], v[0:1], v[0:1] op_sel:[0,1]
                                        ; implicit-def: $sgpr22_sgpr23
                                        ; implicit-def: $vgpr14_vgpr15
	s_branch .LBB189_531
.LBB189_530:                            ;   in Loop: Header=BB189_531 Depth=1
	s_or_b64 exec, exec, s[24:25]
	s_xor_b64 s[24:25], s[28:29], -1
	s_and_b64 s[4:5], exec, s[4:5]
	s_or_b64 s[0:1], s[4:5], s[0:1]
	s_andn2_b64 s[4:5], s[22:23], exec
	s_and_b64 s[22:23], s[24:25], exec
	s_or_b64 s[22:23], s[4:5], s[22:23]
	s_waitcnt vmcnt(0)
	v_pk_mov_b32 v[4:5], v[12:13], v[12:13] op_sel:[0,1]
	v_pk_mov_b32 v[20:21], v[10:11], v[10:11] op_sel:[0,1]
	s_andn2_b64 exec, exec, s[0:1]
	s_cbranch_execz .LBB189_545
.LBB189_531:                            ; =>This Inner Loop Header: Depth=1
	v_add_co_u32_e32 v10, vcc, s33, v20
	v_addc_co_u32_e32 v11, vcc, v21, v25, vcc
	v_cmp_gt_u64_e32 vcc, s[60:61], v[10:11]
	v_pk_mov_b32 v[12:13], 0, 0
	s_and_saveexec_b64 s[4:5], vcc
	s_cbranch_execz .LBB189_533
; %bb.532:                              ;   in Loop: Header=BB189_531 Depth=1
	global_load_dwordx2 v[12:13], v[6:7], off
.LBB189_533:                            ;   in Loop: Header=BB189_531 Depth=1
	s_or_b64 exec, exec, s[4:5]
	v_cmp_gt_u64_e32 vcc, s[60:61], v[20:21]
	s_mov_b64 s[24:25], 0
	s_and_saveexec_b64 s[4:5], vcc
	s_cbranch_execz .LBB189_535
; %bb.534:                              ;   in Loop: Header=BB189_531 Depth=1
	s_waitcnt vmcnt(0)
	v_ashrrev_i32_e32 v8, 31, v5
	v_or_b32_e32 v22, 0x80000000, v8
	v_xor_b32_e32 v22, v22, v5
	v_xor_b32_e32 v8, v8, v4
	v_cmp_o_f64_e32 vcc, v[4:5], v[4:5]
	v_cndmask_b32_e32 v23, -1, v22, vcc
	v_cndmask_b32_e32 v22, -1, v8, vcc
	v_cmp_gt_u64_e32 vcc, v[22:23], v[2:3]
	v_cndmask_b32_e64 v8, 0, 1, vcc
	v_cmp_lt_u64_e32 vcc, v[22:23], v[2:3]
	v_cndmask_b32_e64 v22, 0, 1, vcc
	v_cndmask_b32_e64 v8, v22, v8, s[36:37]
	v_and_b32_e32 v8, 1, v8
	v_cmp_eq_u32_e32 vcc, 1, v8
	s_and_b64 s[24:25], vcc, exec
.LBB189_535:                            ;   in Loop: Header=BB189_531 Depth=1
	s_or_b64 exec, exec, s[4:5]
	v_cndmask_b32_e64 v8, 0, 1, s[24:25]
	v_cmp_ne_u32_e32 vcc, 0, v8
	s_cmp_lg_u64 vcc, 0
	s_cselect_b64 s[4:5], -1, 0
	s_and_b64 s[4:5], s[94:95], s[4:5]
	s_and_saveexec_b64 s[26:27], s[4:5]
	s_cbranch_execz .LBB189_539
; %bb.536:                              ;   in Loop: Header=BB189_531 Depth=1
	s_mov_b64 s[30:31], exec
	v_mbcnt_lo_u32_b32 v8, s30, 0
	v_mbcnt_hi_u32_b32 v22, s31, v8
	s_bcnt1_i32_b64 s34, vcc
	v_cmp_eq_u32_e64 s[4:5], 0, v22
                                        ; implicit-def: $vgpr14_vgpr15
	s_and_saveexec_b64 s[28:29], s[4:5]
	s_cbranch_execz .LBB189_538
; %bb.537:                              ;   in Loop: Header=BB189_531 Depth=1
	s_bcnt1_i32_b64 s4, s[30:31]
	s_mul_i32 s4, s34, s4
	v_mov_b32_e32 v8, s4
	s_waitcnt lgkmcnt(0)
	ds_add_rtn_u64 v[14:15], v9, v[8:9] offset:5136
.LBB189_538:                            ;   in Loop: Header=BB189_531 Depth=1
	s_or_b64 exec, exec, s[28:29]
	s_waitcnt lgkmcnt(0)
	v_readfirstlane_b32 s4, v15
	v_readfirstlane_b32 s5, v14
	v_mov_b32_e32 v14, s5
	v_mov_b32_e32 v15, s4
	v_mad_u64_u32 v[14:15], s[4:5], s34, v22, v[14:15]
.LBB189_539:                            ;   in Loop: Header=BB189_531 Depth=1
	s_or_b64 exec, exec, s[26:27]
	s_waitcnt lgkmcnt(0)
	ds_bpermute_b32 v14, v54, v14
	ds_bpermute_b32 v15, v54, v15
	s_mov_b64 s[4:5], -1
	s_mov_b64 s[30:31], -1
                                        ; implicit-def: $sgpr28_sgpr29
	s_and_saveexec_b64 s[26:27], s[24:25]
	s_cbranch_execz .LBB189_543
; %bb.540:                              ;   in Loop: Header=BB189_531 Depth=1
	v_and_b32_e32 v22, vcc_lo, v16
	v_and_b32_e32 v8, vcc_hi, v17
	v_bcnt_u32_b32 v22, v22, 0
	v_bcnt_u32_b32 v8, v8, v22
	s_waitcnt lgkmcnt(0)
	v_add_co_u32_e32 v22, vcc, v14, v8
	v_addc_co_u32_e32 v23, vcc, 0, v15, vcc
	v_cmp_gt_u64_e32 vcc, s[62:63], v[22:23]
	s_mov_b64 s[24:25], 0
	s_and_saveexec_b64 s[28:29], vcc
	s_cbranch_execz .LBB189_542
; %bb.541:                              ;   in Loop: Header=BB189_531 Depth=1
	v_mul_lo_u32 v8, v23, s16
	v_mul_lo_u32 v28, v22, s17
	v_mad_u64_u32 v[26:27], s[30:31], v22, s16, 0
	v_add3_u32 v27, v27, v28, v8
	v_mul_lo_u32 v8, v23, s18
	v_mul_lo_u32 v28, v22, s19
	v_mad_u64_u32 v[22:23], s[30:31], v22, s18, 0
	v_lshlrev_b64 v[26:27], 3, v[26:27]
	v_add3_u32 v23, v23, v28, v8
	v_mov_b32_e32 v8, s45
	v_add_co_u32_e32 v26, vcc, s44, v26
	v_addc_co_u32_e32 v27, vcc, v8, v27, vcc
	s_waitcnt vmcnt(0)
	global_store_dwordx2 v[26:27], v[4:5], off
	v_lshlrev_b64 v[4:5], 3, v[22:23]
	v_mov_b32_e32 v8, s47
	v_add_co_u32_e32 v4, vcc, s46, v4
	s_mov_b64 s[24:25], exec
	v_addc_co_u32_e32 v5, vcc, v8, v5, vcc
	global_store_dwordx2 v[4:5], v[20:21], off
.LBB189_542:                            ;   in Loop: Header=BB189_531 Depth=1
	s_or_b64 exec, exec, s[28:29]
	s_mov_b64 s[28:29], -1
	s_orn2_b64 s[30:31], s[24:25], exec
.LBB189_543:                            ;   in Loop: Header=BB189_531 Depth=1
	s_or_b64 exec, exec, s[26:27]
	s_and_saveexec_b64 s[24:25], s[30:31]
	s_cbranch_execz .LBB189_530
; %bb.544:                              ;   in Loop: Header=BB189_531 Depth=1
	s_waitcnt vmcnt(0)
	v_mov_b32_e32 v4, s65
	v_add_co_u32_e32 v6, vcc, s64, v6
	v_addc_co_u32_e32 v7, vcc, v7, v4, vcc
	v_cmp_le_u64_e32 vcc, s[14:15], v[10:11]
	s_andn2_b64 s[28:29], s[28:29], exec
	s_orn2_b64 s[4:5], vcc, exec
	s_branch .LBB189_530
.LBB189_545:
	s_or_b64 exec, exec, s[0:1]
	s_mov_b64 s[0:1], exec
	s_orn2_b64 s[22:23], s[22:23], exec
	s_or_b64 exec, exec, s[20:21]
	s_and_saveexec_b64 s[4:5], s[22:23]
	s_cbranch_execz .LBB189_520
.LBB189_546:
	v_pk_mov_b32 v[10:11], 0, 0
	s_waitcnt lgkmcnt(0)
	s_barrier
	s_mov_b64 s[2:3], exec
	v_readlane_b32 s20, v73, 22
	v_readlane_b32 s21, v73, 23
	s_and_b64 s[20:21], s[2:3], s[20:21]
	s_mov_b64 exec, s[20:21]
	s_cbranch_execz .LBB189_548
; %bb.547:
	global_load_dwordx2 v[10:11], v[18:19], off
.LBB189_548:
	s_or_b64 exec, exec, s[2:3]
	s_waitcnt vmcnt(0)
	v_mad_u64_u32 v[4:5], s[2:3], s58, v24, 0
	v_mov_b32_e32 v6, v5
	v_mad_u64_u32 v[6:7], s[2:3], s59, v24, v[6:7]
	v_readlane_b32 s2, v73, 46
	v_readlane_b32 s3, v73, 47
	s_add_u32 s2, s2, s72
	s_addc_u32 s3, s3, s73
	v_readlane_b32 s20, v73, 48
	v_mov_b32_e32 v5, v6
	v_readlane_b32 s21, v73, 49
	s_add_u32 s2, s2, s20
	v_lshlrev_b64 v[4:5], 3, v[4:5]
	s_addc_u32 s3, s3, s21
	v_mov_b32_e32 v6, s3
	v_add_co_u32_e32 v4, vcc, s2, v4
	v_addc_co_u32_e32 v5, vcc, v6, v5, vcc
	s_mov_b64 s[20:21], 0
	v_mov_b32_e32 v7, 0
                                        ; implicit-def: $sgpr22_sgpr23
                                        ; implicit-def: $sgpr24_sgpr25
                                        ; implicit-def: $sgpr26_sgpr27
                                        ; implicit-def: $vgpr8_vgpr9
	s_branch .LBB189_551
.LBB189_549:                            ;   in Loop: Header=BB189_551 Depth=1
	s_or_b64 exec, exec, s[34:35]
	s_andn2_b64 s[26:27], s[26:27], exec
	s_and_b64 s[30:31], s[38:39], exec
	s_andn2_b64 s[24:25], s[24:25], exec
	s_and_b64 s[2:3], s[2:3], exec
	s_or_b64 s[26:27], s[26:27], s[30:31]
	s_or_b64 s[24:25], s[24:25], s[2:3]
	v_pk_mov_b32 v[0:1], v[12:13], v[12:13] op_sel:[0,1]
	v_pk_mov_b32 v[10:11], v[18:19], v[18:19] op_sel:[0,1]
.LBB189_550:                            ;   in Loop: Header=BB189_551 Depth=1
	s_or_b64 exec, exec, s[28:29]
	s_xor_b64 s[2:3], s[26:27], -1
	s_and_b64 s[28:29], exec, s[24:25]
	s_or_b64 s[20:21], s[28:29], s[20:21]
	s_andn2_b64 s[22:23], s[22:23], exec
	s_and_b64 s[2:3], s[2:3], exec
	s_or_b64 s[22:23], s[22:23], s[2:3]
	s_andn2_b64 exec, exec, s[20:21]
	s_cbranch_execz .LBB189_568
.LBB189_551:                            ; =>This Inner Loop Header: Depth=1
	v_cmp_gt_u64_e32 vcc, s[14:15], v[0:1]
	s_or_b64 s[26:27], s[26:27], exec
	s_or_b64 s[24:25], s[24:25], exec
	s_and_saveexec_b64 s[28:29], vcc
	s_cbranch_execz .LBB189_550
; %bb.552:                              ;   in Loop: Header=BB189_551 Depth=1
	v_mov_b32_e32 v6, s92
	v_add_co_u32_e32 v12, vcc, s33, v0
	v_addc_co_u32_e32 v13, vcc, v1, v6, vcc
	v_cmp_gt_u64_e32 vcc, s[60:61], v[12:13]
	v_pk_mov_b32 v[14:15], 0, 0
	s_and_saveexec_b64 s[2:3], vcc
	s_cbranch_execz .LBB189_554
; %bb.553:                              ;   in Loop: Header=BB189_551 Depth=1
	global_load_dwordx2 v[14:15], v[4:5], off
.LBB189_554:                            ;   in Loop: Header=BB189_551 Depth=1
	s_or_b64 exec, exec, s[2:3]
	v_cmp_gt_u64_e32 vcc, s[60:61], v[0:1]
	s_mov_b64 s[34:35], 0
	s_and_saveexec_b64 s[2:3], vcc
; %bb.555:                              ;   in Loop: Header=BB189_551 Depth=1
	v_ashrrev_i32_e32 v6, 31, v11
	v_or_b32_e32 v18, 0x80000000, v6
	v_xor_b32_e32 v18, v18, v11
	v_xor_b32_e32 v6, v6, v10
	v_cmp_o_f64_e32 vcc, v[10:11], v[10:11]
	v_cndmask_b32_e32 v19, -1, v18, vcc
	v_cndmask_b32_e32 v18, -1, v6, vcc
	v_cmp_eq_u64_e32 vcc, v[18:19], v[2:3]
	s_and_b64 s[34:35], vcc, exec
; %bb.556:                              ;   in Loop: Header=BB189_551 Depth=1
	s_or_b64 exec, exec, s[2:3]
	v_cndmask_b32_e64 v6, 0, 1, s[34:35]
	v_cmp_ne_u32_e32 vcc, 0, v6
	s_cmp_lg_u64 vcc, 0
	s_cselect_b64 s[2:3], -1, 0
	s_and_b64 s[2:3], s[94:95], s[2:3]
	s_and_saveexec_b64 s[30:31], s[2:3]
	s_cbranch_execz .LBB189_560
; %bb.557:                              ;   in Loop: Header=BB189_551 Depth=1
	s_mov_b64 s[38:39], exec
	v_mbcnt_lo_u32_b32 v6, s38, 0
	v_mbcnt_hi_u32_b32 v18, s39, v6
	s_bcnt1_i32_b64 s40, vcc
	v_cmp_eq_u32_e64 s[2:3], 0, v18
                                        ; implicit-def: $vgpr8_vgpr9
	s_and_saveexec_b64 s[36:37], s[2:3]
	s_cbranch_execz .LBB189_559
; %bb.558:                              ;   in Loop: Header=BB189_551 Depth=1
	s_bcnt1_i32_b64 s2, s[38:39]
	s_mul_i32 s2, s40, s2
	v_mov_b32_e32 v6, s2
	ds_add_rtn_u64 v[8:9], v7, v[6:7] offset:5136
.LBB189_559:                            ;   in Loop: Header=BB189_551 Depth=1
	s_or_b64 exec, exec, s[36:37]
	s_waitcnt lgkmcnt(0)
	v_readfirstlane_b32 s2, v9
	v_readfirstlane_b32 s3, v8
	v_mov_b32_e32 v8, s3
	v_mov_b32_e32 v9, s2
	v_mad_u64_u32 v[8:9], s[2:3], s40, v18, v[8:9]
.LBB189_560:                            ;   in Loop: Header=BB189_551 Depth=1
	s_or_b64 exec, exec, s[30:31]
	ds_bpermute_b32 v8, v54, v8
	ds_bpermute_b32 v9, v54, v9
	s_cmp_eq_u64 vcc, 0
	s_cselect_b64 s[30:31], -1, 0
	s_mov_b64 s[36:37], -1
	s_mov_b64 s[38:39], -1
	s_waitcnt lgkmcnt(0)
	v_cmp_gt_u64_e64 s[2:3], s[62:63], v[8:9]
	s_or_b64 s[30:31], s[30:31], s[2:3]
	s_waitcnt vmcnt(0)
	v_cndmask_b32_e64 v19, v11, v15, s[30:31]
	s_and_b64 s[40:41], s[34:35], s[30:31]
	v_cndmask_b32_e64 v18, v10, v14, s[30:31]
	s_mov_b64 s[2:3], -1
	s_and_saveexec_b64 s[34:35], s[40:41]
	s_cbranch_execz .LBB189_566
; %bb.561:                              ;   in Loop: Header=BB189_551 Depth=1
	v_and_b32_e32 v18, vcc_lo, v16
	v_and_b32_e32 v6, vcc_hi, v17
	v_bcnt_u32_b32 v18, v18, 0
	v_bcnt_u32_b32 v6, v6, v18
	v_mov_b32_e32 v19, s63
	v_sub_co_u32_e32 v18, vcc, s62, v8
	v_subb_co_u32_e32 v19, vcc, v19, v9, vcc
	v_cmp_le_u64_e64 s[36:37], v[18:19], v[6:7]
	v_cmp_gt_u64_e32 vcc, v[18:19], v[6:7]
	s_mov_b64 s[40:41], -1
	s_and_saveexec_b64 s[38:39], vcc
	s_cbranch_execz .LBB189_565
; %bb.562:                              ;   in Loop: Header=BB189_551 Depth=1
	v_add_co_u32_e32 v18, vcc, v8, v6
	v_addc_co_u32_e32 v19, vcc, 0, v9, vcc
	v_cmp_gt_u64_e32 vcc, s[62:63], v[18:19]
	s_mov_b64 s[42:43], s[36:37]
	s_and_saveexec_b64 s[40:41], vcc
	s_cbranch_execz .LBB189_564
; %bb.563:                              ;   in Loop: Header=BB189_551 Depth=1
	v_mul_lo_u32 v6, v19, s16
	v_mul_lo_u32 v22, v18, s17
	v_mad_u64_u32 v[20:21], s[42:43], v18, s16, 0
	v_add3_u32 v21, v21, v22, v6
	v_mul_lo_u32 v6, v19, s18
	v_mul_lo_u32 v22, v18, s19
	v_mad_u64_u32 v[18:19], s[42:43], v18, s18, 0
	v_lshlrev_b64 v[20:21], 3, v[20:21]
	v_add3_u32 v19, v19, v22, v6
	v_mov_b32_e32 v6, s45
	v_add_co_u32_e32 v20, vcc, s44, v20
	v_addc_co_u32_e32 v21, vcc, v6, v21, vcc
	global_store_dwordx2 v[20:21], v[10:11], off
	v_lshlrev_b64 v[10:11], 3, v[18:19]
	v_mov_b32_e32 v6, s47
	v_add_co_u32_e32 v10, vcc, s46, v10
	v_addc_co_u32_e32 v11, vcc, v6, v11, vcc
	s_or_b64 s[42:43], s[36:37], exec
	global_store_dwordx2 v[10:11], v[0:1], off
.LBB189_564:                            ;   in Loop: Header=BB189_551 Depth=1
	s_or_b64 exec, exec, s[40:41]
	s_andn2_b64 s[36:37], s[36:37], exec
	s_and_b64 s[42:43], s[42:43], exec
	s_xor_b64 s[40:41], exec, -1
	s_or_b64 s[36:37], s[36:37], s[42:43]
.LBB189_565:                            ;   in Loop: Header=BB189_551 Depth=1
	s_or_b64 exec, exec, s[38:39]
	s_orn2_b64 s[38:39], s[40:41], exec
	s_or_b64 s[30:31], s[30:31], exec
	s_orn2_b64 s[36:37], s[36:37], exec
	v_pk_mov_b32 v[18:19], v[14:15], v[14:15] op_sel:[0,1]
.LBB189_566:                            ;   in Loop: Header=BB189_551 Depth=1
	s_or_b64 exec, exec, s[34:35]
	s_and_saveexec_b64 s[34:35], s[36:37]
	s_cbranch_execz .LBB189_549
; %bb.567:                              ;   in Loop: Header=BB189_551 Depth=1
	s_xor_b64 s[2:3], s[30:31], -1
	v_mov_b32_e32 v0, s65
	v_add_co_u32_e32 v4, vcc, s64, v4
	v_addc_co_u32_e32 v5, vcc, v5, v0, vcc
	s_or_b64 s[38:39], s[38:39], exec
	s_orn2_b64 s[2:3], s[2:3], exec
	s_branch .LBB189_549
.LBB189_568:
	s_or_b64 exec, exec, s[20:21]
	s_mov_b64 s[2:3], 0
	s_and_saveexec_b64 s[14:15], s[22:23]
	s_xor_b64 s[14:15], exec, s[14:15]
	s_cbranch_execnz .LBB189_574
.LBB189_569:
	s_or_b64 exec, exec, s[14:15]
	s_and_b64 s[2:3], s[2:3], exec
	s_andn2_b64 s[0:1], s[0:1], exec
	s_or_b64 exec, exec, s[4:5]
	s_and_saveexec_b64 s[4:5], s[0:1]
	s_xor_b64 s[0:1], exec, s[4:5]
	s_cbranch_execz .LBB189_521
.LBB189_570:
	s_or_b64 s[2:3], s[2:3], exec
	s_trap 2
	s_branch .LBB189_521
.LBB189_571:
	s_or_b64 s[4:5], s[4:5], exec
	s_trap 2
	s_branch .LBB189_527
.LBB189_572:
	s_or_b64 s[4:5], s[4:5], exec
	s_trap 2
	s_branch .LBB189_525
.LBB189_573:
	s_trap 2
	s_or_b64 s[4:5], s[4:5], exec
	s_branch .LBB189_523
.LBB189_574:
	s_mov_b64 s[2:3], exec
	s_trap 2
	s_branch .LBB189_569
	.section	.rodata,"a",@progbits
	.p2align	6, 0x0
	.amdhsa_kernel _ZN2at6native6sbtopk10gatherTopKIdmLin1ELb0EEEvNS_4cuda6detail10TensorInfoIKT_T0_EES8_S8_bS8_S8_NS5_IS6_S8_EES8_NS5_IlS8_EES8_PS6_
		.amdhsa_group_segment_fixed_size 5152
		.amdhsa_private_segment_fixed_size 0
		.amdhsa_kernarg_size 1568
		.amdhsa_user_sgpr_count 6
		.amdhsa_user_sgpr_private_segment_buffer 1
		.amdhsa_user_sgpr_dispatch_ptr 0
		.amdhsa_user_sgpr_queue_ptr 0
		.amdhsa_user_sgpr_kernarg_segment_ptr 1
		.amdhsa_user_sgpr_dispatch_id 0
		.amdhsa_user_sgpr_flat_scratch_init 0
		.amdhsa_user_sgpr_kernarg_preload_length 0
		.amdhsa_user_sgpr_kernarg_preload_offset 0
		.amdhsa_user_sgpr_private_segment_size 0
		.amdhsa_uses_dynamic_stack 0
		.amdhsa_system_sgpr_private_segment_wavefront_offset 0
		.amdhsa_system_sgpr_workgroup_id_x 1
		.amdhsa_system_sgpr_workgroup_id_y 1
		.amdhsa_system_sgpr_workgroup_id_z 1
		.amdhsa_system_sgpr_workgroup_info 0
		.amdhsa_system_vgpr_workitem_id 0
		.amdhsa_next_free_vgpr 74
		.amdhsa_next_free_sgpr 96
		.amdhsa_accum_offset 76
		.amdhsa_reserve_vcc 1
		.amdhsa_reserve_flat_scratch 0
		.amdhsa_float_round_mode_32 0
		.amdhsa_float_round_mode_16_64 0
		.amdhsa_float_denorm_mode_32 3
		.amdhsa_float_denorm_mode_16_64 3
		.amdhsa_dx10_clamp 1
		.amdhsa_ieee_mode 1
		.amdhsa_fp16_overflow 0
		.amdhsa_tg_split 0
		.amdhsa_exception_fp_ieee_invalid_op 0
		.amdhsa_exception_fp_denorm_src 0
		.amdhsa_exception_fp_ieee_div_zero 0
		.amdhsa_exception_fp_ieee_overflow 0
		.amdhsa_exception_fp_ieee_underflow 0
		.amdhsa_exception_fp_ieee_inexact 0
		.amdhsa_exception_int_div_zero 0
	.end_amdhsa_kernel
	.section	.text._ZN2at6native6sbtopk10gatherTopKIdmLin1ELb0EEEvNS_4cuda6detail10TensorInfoIKT_T0_EES8_S8_bS8_S8_NS5_IS6_S8_EES8_NS5_IlS8_EES8_PS6_,"axG",@progbits,_ZN2at6native6sbtopk10gatherTopKIdmLin1ELb0EEEvNS_4cuda6detail10TensorInfoIKT_T0_EES8_S8_bS8_S8_NS5_IS6_S8_EES8_NS5_IlS8_EES8_PS6_,comdat
.Lfunc_end189:
	.size	_ZN2at6native6sbtopk10gatherTopKIdmLin1ELb0EEEvNS_4cuda6detail10TensorInfoIKT_T0_EES8_S8_bS8_S8_NS5_IS6_S8_EES8_NS5_IlS8_EES8_PS6_, .Lfunc_end189-_ZN2at6native6sbtopk10gatherTopKIdmLin1ELb0EEEvNS_4cuda6detail10TensorInfoIKT_T0_EES8_S8_bS8_S8_NS5_IS6_S8_EES8_NS5_IlS8_EES8_PS6_
                                        ; -- End function
	.section	.AMDGPU.csdata,"",@progbits
; Kernel info:
; codeLenInByte = 31492
; NumSgprs: 100
; NumVgprs: 74
; NumAgprs: 0
; TotalNumVgprs: 74
; ScratchSize: 0
; MemoryBound: 0
; FloatMode: 240
; IeeeMode: 1
; LDSByteSize: 5152 bytes/workgroup (compile time only)
; SGPRBlocks: 12
; VGPRBlocks: 9
; NumSGPRsForWavesPerEU: 100
; NumVGPRsForWavesPerEU: 74
; AccumOffset: 76
; Occupancy: 6
; WaveLimiterHint : 1
; COMPUTE_PGM_RSRC2:SCRATCH_EN: 0
; COMPUTE_PGM_RSRC2:USER_SGPR: 6
; COMPUTE_PGM_RSRC2:TRAP_HANDLER: 0
; COMPUTE_PGM_RSRC2:TGID_X_EN: 1
; COMPUTE_PGM_RSRC2:TGID_Y_EN: 1
; COMPUTE_PGM_RSRC2:TGID_Z_EN: 1
; COMPUTE_PGM_RSRC2:TIDIG_COMP_CNT: 0
; COMPUTE_PGM_RSRC3_GFX90A:ACCUM_OFFSET: 18
; COMPUTE_PGM_RSRC3_GFX90A:TG_SPLIT: 0
	.section	.text._ZN2at6native6mbtopk23computeBlockDigitCountsIfmjLi1EEEvNS_4cuda6detail10TensorInfoIKT_T0_EEjPjjS8_iijT1_PSB_Ps,"axG",@progbits,_ZN2at6native6mbtopk23computeBlockDigitCountsIfmjLi1EEEvNS_4cuda6detail10TensorInfoIKT_T0_EEjPjjS8_iijT1_PSB_Ps,comdat
	.protected	_ZN2at6native6mbtopk23computeBlockDigitCountsIfmjLi1EEEvNS_4cuda6detail10TensorInfoIKT_T0_EEjPjjS8_iijT1_PSB_Ps ; -- Begin function _ZN2at6native6mbtopk23computeBlockDigitCountsIfmjLi1EEEvNS_4cuda6detail10TensorInfoIKT_T0_EEjPjjS8_iijT1_PSB_Ps
	.globl	_ZN2at6native6mbtopk23computeBlockDigitCountsIfmjLi1EEEvNS_4cuda6detail10TensorInfoIKT_T0_EEjPjjS8_iijT1_PSB_Ps
	.p2align	8
	.type	_ZN2at6native6mbtopk23computeBlockDigitCountsIfmjLi1EEEvNS_4cuda6detail10TensorInfoIKT_T0_EEjPjjS8_iijT1_PSB_Ps,@function
_ZN2at6native6mbtopk23computeBlockDigitCountsIfmjLi1EEEvNS_4cuda6detail10TensorInfoIKT_T0_EEjPjjS8_iijT1_PSB_Ps: ; @_ZN2at6native6mbtopk23computeBlockDigitCountsIfmjLi1EEEvNS_4cuda6detail10TensorInfoIKT_T0_EEjPjjS8_iijT1_PSB_Ps
; %bb.0:
	s_load_dwordx4 s[12:15], s[4:5], 0x1c0
	s_load_dword s2, s[4:5], 0x1b0
	s_load_dwordx2 s[0:1], s[4:5], 0x1e0
	s_mov_b32 s9, 0
	s_waitcnt lgkmcnt(0)
	v_cvt_f32_u32_e32 v1, s14
	s_sub_i32 s3, 0, s14
	s_mul_i32 s1, s1, s8
	s_add_i32 s1, s1, s7
	v_rcp_iflag_f32_e32 v1, v1
	s_mul_i32 s10, s1, s0
	s_add_i32 s10, s10, s6
	v_mul_f32_e32 v1, 0x4f7ffffe, v1
	v_cvt_u32_f32_e32 v1, v1
	v_readfirstlane_b32 s0, v1
	s_mul_i32 s3, s3, s0
	s_mul_hi_u32 s1, s0, s3
	s_add_i32 s0, s0, s1
	s_mul_hi_u32 s0, s10, s0
	s_mul_i32 s1, s0, s14
	s_sub_i32 s1, s10, s1
	s_add_i32 s3, s0, 1
	s_sub_i32 s6, s1, s14
	s_cmp_ge_u32 s1, s14
	s_cselect_b32 s0, s3, s0
	s_cselect_b32 s1, s6, s1
	s_add_i32 s3, s0, 1
	s_cmp_ge_u32 s1, s14
	s_cselect_b32 s8, s3, s0
	s_cmp_ge_u32 s8, s2
	s_cbranch_scc1 .LBB190_23
; %bb.1:
	s_load_dwordx4 s[0:3], s[4:5], 0x1d0
	s_lshl_b64 s[6:7], s[8:9], 2
	s_movk_i32 s9, 0x100
	v_cmp_gt_u32_e32 vcc, s9, v0
	v_lshlrev_b32_e32 v1, 2, v0
	s_waitcnt lgkmcnt(0)
	s_add_u32 s0, s0, s6
	s_addc_u32 s1, s1, s7
	s_and_saveexec_b64 s[6:7], vcc
	s_cbranch_execz .LBB190_3
; %bb.2:
	v_mov_b32_e32 v2, 0
	ds_write_b32 v1, v2
.LBB190_3:
	s_or_b64 exec, exec, s[6:7]
	s_load_dword s9, s[4:5], 0x1a0
	s_mul_i32 s6, s8, s14
	s_sub_i32 s6, s10, s6
	s_add_i32 s7, s6, 1
	s_mul_i32 s6, s13, s6
	s_lshl_b32 s18, s6, 8
	s_waitcnt lgkmcnt(0)
	s_sub_i32 s6, s9, s18
	s_add_u32 s6, s6, 0xff
	s_addc_u32 s11, 0, 0
	v_mov_b32_e32 v2, s6
	v_alignbit_b32 v2, s11, v2, 8
	s_cmp_lt_u32 s7, s14
	v_readfirstlane_b32 s6, v2
	s_cselect_b32 s13, s13, s6
	s_cmp_lt_i32 s13, 1
	s_mov_b32 s17, 0
	s_barrier
	s_cbranch_scc1 .LBB190_19
; %bb.4:
	s_load_dwordx2 s[20:21], s[4:5], 0xd0
	s_load_dwordx2 s[6:7], s[4:5], 0x1b8
	;; [unrolled: 1-line block ×3, first 2 shown]
	s_load_dword s11, s[0:1], 0x0
	v_add_u32_e32 v2, s18, v0
	s_waitcnt lgkmcnt(0)
	s_mul_i32 s0, s21, s8
	s_mul_hi_u32 s1, s20, s8
	s_add_i32 s1, s1, s0
	s_mul_i32 s0, s20, s8
	s_lshl_b64 s[0:1], s[0:1], 2
	s_add_u32 s14, s22, s0
	s_addc_u32 s16, s23, s1
	s_and_b32 s8, s12, 0xff
	s_cmp_eq_u32 s13, 1
	s_cbranch_scc1 .LBB190_14
; %bb.5:
	s_and_b32 s12, s13, 0x7ffffffe
	v_mov_b32_e32 v3, 1
	v_bfrev_b32_e32 v4, 1
	v_mov_b32_e32 v5, v2
	s_branch .LBB190_7
.LBB190_6:                              ;   in Loop: Header=BB190_7 Depth=1
	s_or_b64 exec, exec, s[4:5]
	s_add_i32 s17, s17, 2
	s_cmp_eq_u32 s12, s17
	v_add_u32_e32 v5, 0x200, v5
	s_cbranch_scc1 .LBB190_13
.LBB190_7:                              ; =>This Inner Loop Header: Depth=1
	v_cmp_gt_u32_e64 s[0:1], s9, v5
	s_and_saveexec_b64 s[4:5], s[0:1]
	s_cbranch_execz .LBB190_10
; %bb.8:                                ;   in Loop: Header=BB190_7 Depth=1
	v_mad_u64_u32 v[6:7], s[0:1], v5, s6, 0
	v_mov_b32_e32 v8, v7
	v_mad_u64_u32 v[8:9], s[0:1], v5, s7, v[8:9]
	v_mov_b32_e32 v7, v8
	v_lshlrev_b64 v[6:7], 2, v[6:7]
	v_mov_b32_e32 v8, s16
	v_add_co_u32_e64 v6, s[0:1], s14, v6
	v_addc_co_u32_e64 v7, s[0:1], v8, v7, s[0:1]
	global_load_dword v6, v[6:7], off
	s_waitcnt vmcnt(0)
	v_cmp_lt_i32_e64 s[0:1], -1, v6
	v_cndmask_b32_e64 v7, -1, v4, s[0:1]
	v_xor_b32_e32 v7, v7, v6
	v_cmp_o_f32_e64 s[0:1], v6, v6
	v_cndmask_b32_e64 v6, -1, v7, s[0:1]
	v_xor_b32_e32 v7, s11, v6
	v_and_b32_e32 v7, s15, v7
	v_cmp_eq_u32_e64 s[0:1], 0, v7
	s_and_b64 exec, exec, s[0:1]
	s_cbranch_execz .LBB190_10
; %bb.9:                                ;   in Loop: Header=BB190_7 Depth=1
	v_bfe_u32 v6, v6, s8, 8
	v_lshlrev_b32_e32 v6, 2, v6
	ds_add_u32 v6, v3
.LBB190_10:                             ;   in Loop: Header=BB190_7 Depth=1
	s_or_b64 exec, exec, s[4:5]
	v_add_u32_e32 v6, 0x100, v5
	v_cmp_gt_u32_e64 s[0:1], s9, v6
	s_and_saveexec_b64 s[4:5], s[0:1]
	s_cbranch_execz .LBB190_6
; %bb.11:                               ;   in Loop: Header=BB190_7 Depth=1
	v_mad_u64_u32 v[8:9], s[0:1], v6, s6, 0
	v_mov_b32_e32 v10, v9
	v_mad_u64_u32 v[6:7], s[0:1], v6, s7, v[10:11]
	v_mov_b32_e32 v9, v6
	v_lshlrev_b64 v[6:7], 2, v[8:9]
	v_mov_b32_e32 v8, s16
	v_add_co_u32_e64 v6, s[0:1], s14, v6
	v_addc_co_u32_e64 v7, s[0:1], v8, v7, s[0:1]
	global_load_dword v6, v[6:7], off
	s_waitcnt vmcnt(0)
	v_cmp_lt_i32_e64 s[0:1], -1, v6
	v_cndmask_b32_e64 v7, -1, v4, s[0:1]
	v_xor_b32_e32 v7, v7, v6
	v_cmp_o_f32_e64 s[0:1], v6, v6
	v_cndmask_b32_e64 v6, -1, v7, s[0:1]
	v_xor_b32_e32 v7, s11, v6
	v_and_b32_e32 v7, s15, v7
	v_cmp_eq_u32_e64 s[0:1], 0, v7
	s_and_b64 exec, exec, s[0:1]
	s_cbranch_execz .LBB190_6
; %bb.12:                               ;   in Loop: Header=BB190_7 Depth=1
	v_bfe_u32 v6, v6, s8, 8
	v_lshlrev_b32_e32 v6, 2, v6
	ds_add_u32 v6, v3
	s_branch .LBB190_6
.LBB190_13:
	s_lshl_b32 s17, s12, 8
.LBB190_14:
	s_bitcmp0_b32 s13, 0
	s_cbranch_scc1 .LBB190_19
; %bb.15:
	v_add_u32_e32 v2, s17, v2
	v_cmp_gt_u32_e64 s[0:1], s9, v2
	s_and_saveexec_b64 s[4:5], s[0:1]
	s_cbranch_execz .LBB190_18
; %bb.16:
	v_mad_u64_u32 v[4:5], s[0:1], v2, s6, 0
	v_mov_b32_e32 v6, v5
	v_mad_u64_u32 v[2:3], s[0:1], v2, s7, v[6:7]
	v_mov_b32_e32 v5, v2
	v_lshlrev_b64 v[2:3], 2, v[4:5]
	v_mov_b32_e32 v4, s16
	v_add_co_u32_e64 v2, s[0:1], s14, v2
	v_addc_co_u32_e64 v3, s[0:1], v4, v3, s[0:1]
	global_load_dword v2, v[2:3], off
	v_bfrev_b32_e32 v3, 1
	s_waitcnt vmcnt(0)
	v_cmp_lt_i32_e64 s[0:1], -1, v2
	v_cndmask_b32_e64 v3, -1, v3, s[0:1]
	v_xor_b32_e32 v3, v3, v2
	v_cmp_o_f32_e64 s[0:1], v2, v2
	v_cndmask_b32_e64 v2, -1, v3, s[0:1]
	v_xor_b32_e32 v3, s11, v2
	v_and_b32_e32 v3, s15, v3
	v_cmp_eq_u32_e64 s[0:1], 0, v3
	s_and_b64 exec, exec, s[0:1]
	s_cbranch_execz .LBB190_18
; %bb.17:
	v_bfe_u32 v2, v2, s8, 8
	v_lshlrev_b32_e32 v2, 2, v2
	v_mov_b32_e32 v3, 1
	ds_add_u32 v2, v3
.LBB190_18:
	s_or_b64 exec, exec, s[4:5]
.LBB190_19:
	v_mov_b32_e32 v2, 0
	s_waitcnt lgkmcnt(0)
	s_barrier
	s_and_saveexec_b64 s[0:1], vcc
	s_cbranch_execz .LBB190_21
; %bb.20:
	ds_read_b32 v2, v1
.LBB190_21:
	s_or_b64 exec, exec, s[0:1]
	s_and_saveexec_b64 s[0:1], vcc
	s_cbranch_execz .LBB190_23
; %bb.22:
	v_lshl_or_b32 v0, s10, 8, v0
	v_mov_b32_e32 v1, 0
	v_lshlrev_b64 v[0:1], 1, v[0:1]
	v_mov_b32_e32 v3, s3
	v_add_co_u32_e32 v0, vcc, s2, v0
	v_addc_co_u32_e32 v1, vcc, v3, v1, vcc
	s_waitcnt lgkmcnt(0)
	global_store_short v[0:1], v2, off
.LBB190_23:
	s_endpgm
	.section	.rodata,"a",@progbits
	.p2align	6, 0x0
	.amdhsa_kernel _ZN2at6native6mbtopk23computeBlockDigitCountsIfmjLi1EEEvNS_4cuda6detail10TensorInfoIKT_T0_EEjPjjS8_iijT1_PSB_Ps
		.amdhsa_group_segment_fixed_size 1024
		.amdhsa_private_segment_fixed_size 0
		.amdhsa_kernarg_size 736
		.amdhsa_user_sgpr_count 6
		.amdhsa_user_sgpr_private_segment_buffer 1
		.amdhsa_user_sgpr_dispatch_ptr 0
		.amdhsa_user_sgpr_queue_ptr 0
		.amdhsa_user_sgpr_kernarg_segment_ptr 1
		.amdhsa_user_sgpr_dispatch_id 0
		.amdhsa_user_sgpr_flat_scratch_init 0
		.amdhsa_user_sgpr_kernarg_preload_length 0
		.amdhsa_user_sgpr_kernarg_preload_offset 0
		.amdhsa_user_sgpr_private_segment_size 0
		.amdhsa_uses_dynamic_stack 0
		.amdhsa_system_sgpr_private_segment_wavefront_offset 0
		.amdhsa_system_sgpr_workgroup_id_x 1
		.amdhsa_system_sgpr_workgroup_id_y 1
		.amdhsa_system_sgpr_workgroup_id_z 1
		.amdhsa_system_sgpr_workgroup_info 0
		.amdhsa_system_vgpr_workitem_id 0
		.amdhsa_next_free_vgpr 12
		.amdhsa_next_free_sgpr 24
		.amdhsa_accum_offset 12
		.amdhsa_reserve_vcc 1
		.amdhsa_reserve_flat_scratch 0
		.amdhsa_float_round_mode_32 0
		.amdhsa_float_round_mode_16_64 0
		.amdhsa_float_denorm_mode_32 3
		.amdhsa_float_denorm_mode_16_64 3
		.amdhsa_dx10_clamp 1
		.amdhsa_ieee_mode 1
		.amdhsa_fp16_overflow 0
		.amdhsa_tg_split 0
		.amdhsa_exception_fp_ieee_invalid_op 0
		.amdhsa_exception_fp_denorm_src 0
		.amdhsa_exception_fp_ieee_div_zero 0
		.amdhsa_exception_fp_ieee_overflow 0
		.amdhsa_exception_fp_ieee_underflow 0
		.amdhsa_exception_fp_ieee_inexact 0
		.amdhsa_exception_int_div_zero 0
	.end_amdhsa_kernel
	.section	.text._ZN2at6native6mbtopk23computeBlockDigitCountsIfmjLi1EEEvNS_4cuda6detail10TensorInfoIKT_T0_EEjPjjS8_iijT1_PSB_Ps,"axG",@progbits,_ZN2at6native6mbtopk23computeBlockDigitCountsIfmjLi1EEEvNS_4cuda6detail10TensorInfoIKT_T0_EEjPjjS8_iijT1_PSB_Ps,comdat
.Lfunc_end190:
	.size	_ZN2at6native6mbtopk23computeBlockDigitCountsIfmjLi1EEEvNS_4cuda6detail10TensorInfoIKT_T0_EEjPjjS8_iijT1_PSB_Ps, .Lfunc_end190-_ZN2at6native6mbtopk23computeBlockDigitCountsIfmjLi1EEEvNS_4cuda6detail10TensorInfoIKT_T0_EEjPjjS8_iijT1_PSB_Ps
                                        ; -- End function
	.section	.AMDGPU.csdata,"",@progbits
; Kernel info:
; codeLenInByte = 1032
; NumSgprs: 28
; NumVgprs: 12
; NumAgprs: 0
; TotalNumVgprs: 12
; ScratchSize: 0
; MemoryBound: 0
; FloatMode: 240
; IeeeMode: 1
; LDSByteSize: 1024 bytes/workgroup (compile time only)
; SGPRBlocks: 3
; VGPRBlocks: 1
; NumSGPRsForWavesPerEU: 28
; NumVGPRsForWavesPerEU: 12
; AccumOffset: 12
; Occupancy: 8
; WaveLimiterHint : 1
; COMPUTE_PGM_RSRC2:SCRATCH_EN: 0
; COMPUTE_PGM_RSRC2:USER_SGPR: 6
; COMPUTE_PGM_RSRC2:TRAP_HANDLER: 0
; COMPUTE_PGM_RSRC2:TGID_X_EN: 1
; COMPUTE_PGM_RSRC2:TGID_Y_EN: 1
; COMPUTE_PGM_RSRC2:TGID_Z_EN: 1
; COMPUTE_PGM_RSRC2:TIDIG_COMP_CNT: 0
; COMPUTE_PGM_RSRC3_GFX90A:ACCUM_OFFSET: 2
; COMPUTE_PGM_RSRC3_GFX90A:TG_SPLIT: 0
	.section	.text._ZN2at6native6mbtopk10gatherTopKIfmLi1EEEvNS_4cuda6detail10TensorInfoIKT_T0_EES8_S8_bjS8_NS5_IS6_S8_EES8_NS5_IlS8_EES8_jjPS6_PjSD_j,"axG",@progbits,_ZN2at6native6mbtopk10gatherTopKIfmLi1EEEvNS_4cuda6detail10TensorInfoIKT_T0_EES8_S8_bjS8_NS5_IS6_S8_EES8_NS5_IlS8_EES8_jjPS6_PjSD_j,comdat
	.protected	_ZN2at6native6mbtopk10gatherTopKIfmLi1EEEvNS_4cuda6detail10TensorInfoIKT_T0_EES8_S8_bjS8_NS5_IS6_S8_EES8_NS5_IlS8_EES8_jjPS6_PjSD_j ; -- Begin function _ZN2at6native6mbtopk10gatherTopKIfmLi1EEEvNS_4cuda6detail10TensorInfoIKT_T0_EES8_S8_bjS8_NS5_IS6_S8_EES8_NS5_IlS8_EES8_jjPS6_PjSD_j
	.globl	_ZN2at6native6mbtopk10gatherTopKIfmLi1EEEvNS_4cuda6detail10TensorInfoIKT_T0_EES8_S8_bjS8_NS5_IS6_S8_EES8_NS5_IlS8_EES8_jjPS6_PjSD_j
	.p2align	8
	.type	_ZN2at6native6mbtopk10gatherTopKIfmLi1EEEvNS_4cuda6detail10TensorInfoIKT_T0_EES8_S8_bjS8_NS5_IS6_S8_EES8_NS5_IlS8_EES8_jjPS6_PjSD_j,@function
_ZN2at6native6mbtopk10gatherTopKIfmLi1EEEvNS_4cuda6detail10TensorInfoIKT_T0_EES8_S8_bjS8_NS5_IS6_S8_EES8_NS5_IlS8_EES8_jjPS6_PjSD_j: ; @_ZN2at6native6mbtopk10gatherTopKIfmLi1EEEvNS_4cuda6detail10TensorInfoIKT_T0_EES8_S8_bjS8_NS5_IS6_S8_EES8_NS5_IlS8_EES8_jjPS6_PjSD_j
; %bb.0:
	s_load_dwordx2 s[0:1], s[4:5], 0x538
	s_load_dword s2, s[4:5], 0x530
	s_waitcnt lgkmcnt(0)
	s_mul_i32 s1, s1, s8
	s_add_i32 s1, s1, s7
	s_mul_i32 s0, s1, s0
	s_add_i32 s0, s0, s6
	s_cmp_ge_u32 s0, s2
	s_cbranch_scc1 .LBB191_42
; %bb.1:
	s_load_dwordx2 s[20:21], s[4:5], 0x510
	s_load_dwordx4 s[8:11], s[4:5], 0x1a0
	s_mov_b32 s7, 0
	s_waitcnt lgkmcnt(0)
	v_cvt_f32_u32_e32 v1, s21
	s_sub_i32 s2, 0, s21
	s_lshl_b32 s1, s20, 8
	v_rcp_iflag_f32_e32 v1, v1
	v_mul_f32_e32 v1, 0x4f7ffffe, v1
	v_cvt_u32_f32_e32 v1, v1
	v_readfirstlane_b32 s3, v1
	s_mul_i32 s2, s2, s3
	s_mul_hi_u32 s2, s3, s2
	s_add_i32 s3, s3, s2
	s_mul_hi_u32 s2, s0, s3
	s_mul_i32 s3, s2, s21
	s_sub_i32 s3, s0, s3
	s_add_i32 s6, s2, 1
	s_sub_i32 s12, s3, s21
	s_cmp_ge_u32 s3, s21
	s_cselect_b32 s2, s6, s2
	s_cselect_b32 s3, s12, s3
	s_add_i32 s6, s2, 1
	s_cmp_ge_u32 s3, s21
	s_cselect_b32 s6, s6, s2
	s_mul_i32 s28, s6, s21
	s_sub_i32 s40, s0, s28
	s_add_i32 s0, s40, 1
	s_cmp_lt_u32 s0, s21
	s_mul_i32 s33, s40, s1
	s_cbranch_scc1 .LBB191_3
; %bb.2:
	s_sub_u32 s0, s8, s33
	s_subb_u32 s1, s9, 0
	s_add_u32 s0, s0, 0xff
	s_addc_u32 s1, s1, 0
	s_ashr_i32 s2, s1, 31
	s_lshr_b32 s2, s2, 24
	s_add_u32 s0, s0, s2
	s_addc_u32 s1, s1, 0
	v_mov_b32_e32 v1, s0
	v_alignbit_b32 v1, s1, v1, 8
	v_readfirstlane_b32 s20, v1
.LBB191_3:
	s_load_dwordx4 s[12:15], s[4:5], 0x518
	s_load_dwordx2 s[22:23], s[4:5], 0x0
	s_load_dwordx2 s[30:31], s[4:5], 0xd0
	;; [unrolled: 1-line block ×4, first 2 shown]
	s_lshl_b64 s[0:1], s[6:7], 2
	s_waitcnt lgkmcnt(0)
	s_add_u32 s0, s12, s0
	s_addc_u32 s1, s13, s1
	s_load_dword s7, s[0:1], 0x0
	v_cmp_ne_u32_e64 s[0:1], 0, v0
	v_cmp_eq_u32_e64 s[2:3], 0, v0
	s_and_saveexec_b64 s[12:13], s[2:3]
	s_cbranch_execz .LBB191_19
; %bb.4:
	s_load_dwordx2 s[34:35], s[4:5], 0x528
	s_mov_b32 s29, 0
	s_lshl_b64 s[36:37], s[28:29], 2
	s_add_u32 s16, s14, s36
	s_addc_u32 s17, s15, s37
	s_waitcnt lgkmcnt(0)
	s_add_u32 s18, s34, s36
	s_addc_u32 s19, s35, s37
	s_mov_b32 s28, 0
	s_mov_b32 s41, 0
	s_cmp_lt_u32 s21, 4
	s_cbranch_scc1 .LBB191_16
; %bb.5:
	s_mov_b32 s42, 0
.LBB191_6:                              ; =>This Inner Loop Header: Depth=1
	s_add_u32 s16, s14, s36
	s_addc_u32 s17, s15, s37
	s_load_dwordx4 s[16:19], s[16:17], 0x0
	s_add_u32 s38, s34, s36
	s_addc_u32 s39, s35, s37
	s_cmp_ge_u32 s42, s40
	s_cbranch_scc0 .LBB191_13
; %bb.7:                                ;   in Loop: Header=BB191_6 Depth=1
	s_add_i32 s43, s42, 1
	s_cmp_ge_u32 s43, s40
	s_cbranch_scc0 .LBB191_14
.LBB191_8:                              ;   in Loop: Header=BB191_6 Depth=1
	s_add_i32 s43, s43, 1
	s_cmp_ge_u32 s43, s40
	s_cbranch_scc0 .LBB191_15
.LBB191_9:                              ;   in Loop: Header=BB191_6 Depth=1
	s_add_i32 s43, s43, 1
	s_cmp_ge_u32 s43, s40
	s_cbranch_scc1 .LBB191_11
.LBB191_10:                             ;   in Loop: Header=BB191_6 Depth=1
	s_load_dword s38, s[38:39], 0xc
	s_waitcnt lgkmcnt(0)
	s_add_i32 s29, s29, s19
	s_add_i32 s28, s38, s28
.LBB191_11:                             ;   in Loop: Header=BB191_6 Depth=1
	s_waitcnt lgkmcnt(0)
	s_add_i32 s16, s16, s41
	s_add_i32 s16, s16, s17
	;; [unrolled: 1-line block ×4, first 2 shown]
	s_add_u32 s14, s14, 16
	s_addc_u32 s15, s15, 0
	s_add_u32 s34, s34, 16
	s_addc_u32 s35, s35, 0
	s_add_i32 s39, s43, 4
	s_add_u32 s18, s34, s36
	s_addc_u32 s19, s35, s37
	s_add_u32 s16, s14, s36
	s_addc_u32 s17, s15, s37
	s_add_i32 s38, s43, 1
	s_cmp_ge_u32 s39, s21
	s_cbranch_scc1 .LBB191_17
; %bb.12:                               ;   in Loop: Header=BB191_6 Depth=1
	s_mov_b32 s42, s38
	s_branch .LBB191_6
.LBB191_13:                             ;   in Loop: Header=BB191_6 Depth=1
	s_load_dword s43, s[38:39], 0x0
	s_waitcnt lgkmcnt(0)
	s_add_i32 s29, s16, s29
	s_add_i32 s28, s43, s28
	;; [unrolled: 1-line block ×3, first 2 shown]
	s_cmp_ge_u32 s43, s40
	s_cbranch_scc1 .LBB191_8
.LBB191_14:                             ;   in Loop: Header=BB191_6 Depth=1
	s_load_dword s44, s[38:39], 0x4
	s_waitcnt lgkmcnt(0)
	s_add_i32 s29, s29, s17
	s_add_i32 s28, s44, s28
	s_add_i32 s43, s43, 1
	s_cmp_ge_u32 s43, s40
	s_cbranch_scc1 .LBB191_9
.LBB191_15:                             ;   in Loop: Header=BB191_6 Depth=1
	s_load_dword s44, s[38:39], 0x8
	s_waitcnt lgkmcnt(0)
	s_add_i32 s29, s29, s18
	s_add_i32 s28, s44, s28
	;; [unrolled: 1-line block ×3, first 2 shown]
	s_cmp_ge_u32 s43, s40
	s_cbranch_scc0 .LBB191_10
	s_branch .LBB191_11
.LBB191_16:
	s_mov_b32 s14, 0
	s_cmp_ge_u32 s14, s21
	s_cbranch_scc0 .LBB191_40
	s_branch .LBB191_18
.LBB191_17:
	s_add_i32 s14, s42, 4
	s_cmp_ge_u32 s14, s21
	s_cbranch_scc0 .LBB191_40
.LBB191_18:
	v_mov_b32_e32 v2, s28
	v_mov_b32_e32 v3, s41
	;; [unrolled: 1-line block ×4, first 2 shown]
	ds_write_b96 v1, v[2:4] offset:1056
.LBB191_19:
	s_or_b64 exec, exec, s[12:13]
	s_load_dwordx4 s[12:15], s[4:5], 0x1b8
	s_load_dwordx4 s[16:19], s[4:5], 0x360
	s_cmp_eq_u32 s20, 0
	s_waitcnt lgkmcnt(0)
	s_barrier
	s_cbranch_scc1 .LBB191_42
; %bb.20:
	s_mul_i32 s21, s31, s6
	s_mul_hi_u32 s28, s30, s6
	s_add_i32 s29, s28, s21
	s_mul_i32 s21, s27, s6
	s_mul_hi_u32 s27, s26, s6
	s_mul_i32 s28, s30, s6
	s_add_i32 s27, s27, s21
	s_mul_i32 s21, s25, s6
	s_mul_hi_u32 s25, s24, s6
	s_add_i32 s31, s25, s21
	s_mul_i32 s30, s24, s6
	s_lshl_b64 s[24:25], s[28:29], 2
	s_mul_i32 s26, s26, s6
	s_add_u32 s21, s22, s24
	s_addc_u32 s22, s23, s25
	s_lshl_b64 s[24:25], s[26:27], 2
	s_add_u32 s23, s14, s24
	s_addc_u32 s24, s15, s25
	s_lshl_b64 s[14:15], s[30:31], 3
	s_add_u32 s25, s18, s14
	v_mov_b32_e32 v1, 0
	s_addc_u32 s26, s19, s15
	ds_read_b96 v[2:4], v1 offset:1056
	s_cmp_gt_i32 s7, -1
	s_cselect_b32 s6, 0x80000000, -1
	v_cmp_o_f32_e64 s[14:15], s7, s7
	s_xor_b32 s18, s6, s7
	s_and_b64 s[6:7], s[14:15], exec
	s_load_dword s6, s[4:5], 0x1b0
	s_load_dwordx2 s[14:15], s[4:5], 0x508
	s_waitcnt lgkmcnt(0)
	v_add_u32_e32 v2, v2, v3
	v_lshrrev_b32_e32 v3, 5, v0
	v_add_lshl_u32 v5, v3, v0, 2
	v_lshlrev_b32_e32 v3, 2, v0
	v_lshrrev_b32_e32 v6, 3, v0
	v_add_lshl_u32 v8, v6, v3, 2
	v_add_u32_e32 v3, -1, v0
	v_lshrrev_b32_e32 v6, 5, v3
	v_add_lshl_u32 v9, v6, v3, 2
	v_mbcnt_lo_u32_b32 v3, -1, 0
	s_cselect_b32 s27, s18, -1
	s_bitcmp1_b32 s6, 0
	v_mbcnt_hi_u32_b32 v11, -1, v3
	s_cselect_b64 s[4:5], -1, 0
	v_cmp_gt_u32_e64 s[6:7], 64, v0
	v_add_u32_e32 v0, s33, v0
	v_bfrev_b32_e32 v10, 1
	v_and_b32_e32 v12, 15, v11
	v_bfe_i32 v13, v11, 4, 1
	v_add_u32_e32 v14, -1, v11
	v_and_b32_e32 v15, 64, v11
                                        ; implicit-def: $vgpr16
	s_branch .LBB191_23
.LBB191_21:                             ;   in Loop: Header=BB191_23 Depth=1
	s_or_b64 exec, exec, s[18:19]
	v_add_u32_e32 v2, v3, v2
.LBB191_22:                             ;   in Loop: Header=BB191_23 Depth=1
	s_add_i32 s20, s20, -1
	v_add_u32_e32 v4, v17, v4
	s_cmp_lg_u32 s20, 0
	v_add_u32_e32 v0, 0x100, v0
	s_cbranch_scc0 .LBB191_42
.LBB191_23:                             ; =>This Inner Loop Header: Depth=1
	v_cmp_gt_u64_e32 vcc, s[8:9], v[0:1]
	v_mov_b32_e32 v3, v1
	v_mov_b32_e32 v6, v1
	s_and_saveexec_b64 s[18:19], vcc
	s_cbranch_execz .LBB191_25
; %bb.24:                               ;   in Loop: Header=BB191_23 Depth=1
	v_mad_u64_u32 v[6:7], s[28:29], v0, s12, 0
	v_mov_b32_e32 v16, v7
	v_mad_u64_u32 v[16:17], s[28:29], v0, s13, v[16:17]
	v_mov_b32_e32 v7, v16
	v_lshlrev_b64 v[6:7], 2, v[6:7]
	v_mov_b32_e32 v3, s22
	v_add_co_u32_e32 v6, vcc, s21, v6
	v_addc_co_u32_e32 v7, vcc, v3, v7, vcc
	global_load_dword v16, v[6:7], off
	s_waitcnt vmcnt(0)
	v_cmp_lt_i32_e32 vcc, -1, v16
	v_cndmask_b32_e32 v3, -1, v10, vcc
	v_xor_b32_e32 v3, v3, v16
	v_cmp_o_f32_e32 vcc, v16, v16
	v_cndmask_b32_e32 v6, -1, v3, vcc
	v_cmp_lt_u32_e32 vcc, s27, v6
	v_cndmask_b32_e64 v3, 0, 1, vcc
	v_cmp_gt_u32_e32 vcc, s27, v6
	v_cndmask_b32_e64 v7, 0, 1, vcc
	v_cndmask_b32_e64 v3, v7, v3, s[4:5]
	v_cmp_eq_u32_e32 vcc, s27, v6
	v_and_b32_e32 v3, 1, v3
	v_cndmask_b32_e64 v6, 0, 1, vcc
.LBB191_25:                             ;   in Loop: Header=BB191_23 Depth=1
	s_or_b64 exec, exec, s[18:19]
	ds_write_b32 v5, v3
	s_waitcnt lgkmcnt(0)
	s_barrier
	s_and_saveexec_b64 s[18:19], s[6:7]
	s_cbranch_execz .LBB191_27
; %bb.26:                               ;   in Loop: Header=BB191_23 Depth=1
	ds_read2_b32 v[18:19], v8 offset1:1
	ds_read2_b32 v[20:21], v8 offset0:2 offset1:3
	v_cmp_ne_u32_e32 vcc, 0, v12
	; wave barrier
	s_waitcnt lgkmcnt(1)
	v_add_u32_e32 v7, v19, v18
	s_waitcnt lgkmcnt(0)
	v_add3_u32 v7, v7, v20, v21
	s_nop 1
	v_mov_b32_dpp v17, v7 row_shr:1 row_mask:0xf bank_mask:0xf
	v_cndmask_b32_e32 v17, 0, v17, vcc
	v_add_u32_e32 v7, v17, v7
	v_cmp_lt_u32_e32 vcc, 1, v12
	s_nop 0
	v_mov_b32_dpp v17, v7 row_shr:2 row_mask:0xf bank_mask:0xf
	v_cndmask_b32_e32 v17, 0, v17, vcc
	v_add_u32_e32 v7, v7, v17
	v_cmp_lt_u32_e32 vcc, 3, v12
	;; [unrolled: 5-line block ×4, first 2 shown]
	s_nop 0
	v_mov_b32_dpp v17, v7 row_bcast:15 row_mask:0xf bank_mask:0xf
	v_and_b32_e32 v17, v13, v17
	v_add_u32_e32 v7, v7, v17
	s_nop 1
	v_mov_b32_dpp v17, v7 row_bcast:31 row_mask:0xf bank_mask:0xf
	v_cndmask_b32_e32 v17, 0, v17, vcc
	v_cmp_lt_i32_e32 vcc, v14, v15
	v_add_u32_e32 v7, v7, v17
	v_cndmask_b32_e32 v17, v14, v11, vcc
	v_lshlrev_b32_e32 v17, 2, v17
	ds_bpermute_b32 v7, v17, v7
	s_waitcnt lgkmcnt(0)
	v_add_u32_e32 v7, v7, v18
	v_cndmask_b32_e64 v7, v7, v3, s[2:3]
	ds_write_b32 v8, v7
	; wave barrier
	ds_read2_b32 v[18:19], v8 offset0:1 offset1:2
	ds_read_b32 v17, v8 offset:12
	s_waitcnt lgkmcnt(1)
	v_add_u32_e32 v7, v18, v7
	v_add_u32_e32 v18, v19, v7
	ds_write2_b32 v8, v7, v18 offset0:1 offset1:2
	s_waitcnt lgkmcnt(1)
	v_add_u32_e32 v7, v17, v18
	ds_write_b32 v8, v7 offset:12
.LBB191_27:                             ;   in Loop: Header=BB191_23 Depth=1
	s_or_b64 exec, exec, s[18:19]
	v_mov_b32_e32 v7, 0
	s_waitcnt lgkmcnt(0)
	s_barrier
	s_and_saveexec_b64 s[18:19], s[0:1]
	s_cbranch_execz .LBB191_29
; %bb.28:                               ;   in Loop: Header=BB191_23 Depth=1
	ds_read_b32 v7, v9
.LBB191_29:                             ;   in Loop: Header=BB191_23 Depth=1
	s_or_b64 exec, exec, s[18:19]
	ds_read_b32 v17, v1 offset:1048
	v_cmp_ne_u32_e32 vcc, 0, v3
	s_waitcnt lgkmcnt(0)
	s_barrier
	s_and_saveexec_b64 s[18:19], vcc
	s_cbranch_execz .LBB191_31
; %bb.30:                               ;   in Loop: Header=BB191_23 Depth=1
	v_add_u32_e32 v3, v7, v4
	v_mad_u64_u32 v[18:19], s[28:29], v3, s16, 0
	v_mov_b32_e32 v20, v19
	v_mad_u64_u32 v[20:21], s[28:29], v3, s17, v[20:21]
	v_mov_b32_e32 v19, v20
	v_lshlrev_b64 v[18:19], 2, v[18:19]
	v_mov_b32_e32 v7, s24
	v_add_co_u32_e32 v18, vcc, s23, v18
	v_addc_co_u32_e32 v19, vcc, v7, v19, vcc
	global_store_dword v[18:19], v16, off
	v_mad_u64_u32 v[18:19], s[28:29], v3, s14, 0
	v_mov_b32_e32 v20, v19
	v_mad_u64_u32 v[20:21], s[28:29], v3, s15, v[20:21]
	v_mov_b32_e32 v19, v20
	v_lshlrev_b64 v[18:19], 3, v[18:19]
	v_mov_b32_e32 v3, s26
	v_add_co_u32_e32 v18, vcc, s25, v18
	v_addc_co_u32_e32 v19, vcc, v3, v19, vcc
	global_store_dwordx2 v[18:19], v[0:1], off
.LBB191_31:                             ;   in Loop: Header=BB191_23 Depth=1
	s_or_b64 exec, exec, s[18:19]
	v_mov_b32_e32 v3, v1
	v_cmp_le_u64_e32 vcc, s[10:11], v[2:3]
	s_cbranch_vccnz .LBB191_22
; %bb.32:                               ;   in Loop: Header=BB191_23 Depth=1
	ds_write_b32 v5, v6
	s_waitcnt lgkmcnt(0)
	s_barrier
	s_and_saveexec_b64 s[18:19], s[6:7]
	s_cbranch_execz .LBB191_34
; %bb.33:                               ;   in Loop: Header=BB191_23 Depth=1
	ds_read2_b32 v[18:19], v8 offset1:1
	ds_read2_b32 v[20:21], v8 offset0:2 offset1:3
	v_cmp_ne_u32_e32 vcc, 0, v12
	; wave barrier
	s_waitcnt lgkmcnt(1)
	v_add_u32_e32 v3, v19, v18
	s_waitcnt lgkmcnt(0)
	v_add3_u32 v3, v3, v20, v21
	s_nop 1
	v_mov_b32_dpp v7, v3 row_shr:1 row_mask:0xf bank_mask:0xf
	v_cndmask_b32_e32 v7, 0, v7, vcc
	v_add_u32_e32 v3, v7, v3
	v_cmp_lt_u32_e32 vcc, 1, v12
	s_nop 0
	v_mov_b32_dpp v7, v3 row_shr:2 row_mask:0xf bank_mask:0xf
	v_cndmask_b32_e32 v7, 0, v7, vcc
	v_add_u32_e32 v3, v3, v7
	v_cmp_lt_u32_e32 vcc, 3, v12
	;; [unrolled: 5-line block ×4, first 2 shown]
	s_nop 0
	v_mov_b32_dpp v7, v3 row_bcast:15 row_mask:0xf bank_mask:0xf
	v_and_b32_e32 v7, v13, v7
	v_add_u32_e32 v3, v3, v7
	s_nop 1
	v_mov_b32_dpp v7, v3 row_bcast:31 row_mask:0xf bank_mask:0xf
	v_cndmask_b32_e32 v7, 0, v7, vcc
	v_cmp_lt_i32_e32 vcc, v14, v15
	v_add_u32_e32 v3, v3, v7
	v_cndmask_b32_e32 v7, v14, v11, vcc
	v_lshlrev_b32_e32 v7, 2, v7
	ds_bpermute_b32 v3, v7, v3
	s_waitcnt lgkmcnt(0)
	v_add_u32_e32 v3, v3, v18
	v_cndmask_b32_e64 v3, v3, v6, s[2:3]
	ds_write_b32 v8, v3
	; wave barrier
	ds_read2_b32 v[18:19], v8 offset0:1 offset1:2
	ds_read_b32 v7, v8 offset:12
	s_waitcnt lgkmcnt(1)
	v_add_u32_e32 v3, v18, v3
	v_add_u32_e32 v18, v19, v3
	ds_write2_b32 v8, v3, v18 offset0:1 offset1:2
	s_waitcnt lgkmcnt(1)
	v_add_u32_e32 v3, v7, v18
	ds_write_b32 v8, v3 offset:12
.LBB191_34:                             ;   in Loop: Header=BB191_23 Depth=1
	s_or_b64 exec, exec, s[18:19]
	v_mov_b32_e32 v7, 0
	s_waitcnt lgkmcnt(0)
	s_barrier
	s_and_saveexec_b64 s[18:19], s[0:1]
	s_cbranch_execz .LBB191_36
; %bb.35:                               ;   in Loop: Header=BB191_23 Depth=1
	ds_read_b32 v7, v9
.LBB191_36:                             ;   in Loop: Header=BB191_23 Depth=1
	s_or_b64 exec, exec, s[18:19]
	ds_read_b32 v3, v1 offset:1048
	v_cmp_ne_u32_e32 vcc, 0, v6
	s_waitcnt lgkmcnt(0)
	s_barrier
	s_and_saveexec_b64 s[18:19], vcc
	s_cbranch_execz .LBB191_21
; %bb.37:                               ;   in Loop: Header=BB191_23 Depth=1
	v_add_u32_e32 v6, v7, v2
	v_mov_b32_e32 v7, v1
	v_cmp_gt_u64_e32 vcc, s[10:11], v[6:7]
	s_and_b64 exec, exec, vcc
	s_cbranch_execz .LBB191_21
; %bb.38:                               ;   in Loop: Header=BB191_23 Depth=1
	v_mad_u64_u32 v[18:19], s[28:29], v6, s16, 0
	v_mov_b32_e32 v20, v19
	v_mad_u64_u32 v[20:21], s[28:29], v6, s17, v[20:21]
	v_mov_b32_e32 v19, v20
	v_lshlrev_b64 v[18:19], 2, v[18:19]
	v_mov_b32_e32 v7, s24
	v_add_co_u32_e32 v18, vcc, s23, v18
	v_addc_co_u32_e32 v19, vcc, v7, v19, vcc
	global_store_dword v[18:19], v16, off
	v_mad_u64_u32 v[18:19], s[28:29], v6, s14, 0
	v_mov_b32_e32 v20, v19
	v_mad_u64_u32 v[6:7], s[28:29], v6, s15, v[20:21]
	v_mov_b32_e32 v19, v6
	v_lshlrev_b64 v[6:7], 3, v[18:19]
	v_mov_b32_e32 v18, s26
	v_add_co_u32_e32 v6, vcc, s25, v6
	v_addc_co_u32_e32 v7, vcc, v18, v7, vcc
	global_store_dwordx2 v[6:7], v[0:1], off
	s_branch .LBB191_21
.LBB191_39:                             ;   in Loop: Header=BB191_40 Depth=1
	s_add_u32 s16, s16, 4
	s_addc_u32 s17, s17, 0
	s_waitcnt lgkmcnt(0)
	s_add_i32 s41, s15, s41
	s_add_u32 s18, s18, 4
	s_addc_u32 s19, s19, 0
	s_add_i32 s14, s14, 1
	s_cmp_lt_u32 s14, s21
	s_cbranch_scc0 .LBB191_18
.LBB191_40:                             ; =>This Inner Loop Header: Depth=1
	s_load_dword s15, s[16:17], 0x0
	s_cmp_ge_u32 s14, s40
	s_cbranch_scc1 .LBB191_39
; %bb.41:                               ;   in Loop: Header=BB191_40 Depth=1
	s_load_dword s34, s[18:19], 0x0
	s_waitcnt lgkmcnt(0)
	s_add_i32 s29, s15, s29
	s_add_i32 s28, s34, s28
	s_branch .LBB191_39
.LBB191_42:
	s_endpgm
	.section	.rodata,"a",@progbits
	.p2align	6, 0x0
	.amdhsa_kernel _ZN2at6native6mbtopk10gatherTopKIfmLi1EEEvNS_4cuda6detail10TensorInfoIKT_T0_EES8_S8_bjS8_NS5_IS6_S8_EES8_NS5_IlS8_EES8_jjPS6_PjSD_j
		.amdhsa_group_segment_fixed_size 1068
		.amdhsa_private_segment_fixed_size 0
		.amdhsa_kernarg_size 1592
		.amdhsa_user_sgpr_count 6
		.amdhsa_user_sgpr_private_segment_buffer 1
		.amdhsa_user_sgpr_dispatch_ptr 0
		.amdhsa_user_sgpr_queue_ptr 0
		.amdhsa_user_sgpr_kernarg_segment_ptr 1
		.amdhsa_user_sgpr_dispatch_id 0
		.amdhsa_user_sgpr_flat_scratch_init 0
		.amdhsa_user_sgpr_kernarg_preload_length 0
		.amdhsa_user_sgpr_kernarg_preload_offset 0
		.amdhsa_user_sgpr_private_segment_size 0
		.amdhsa_uses_dynamic_stack 0
		.amdhsa_system_sgpr_private_segment_wavefront_offset 0
		.amdhsa_system_sgpr_workgroup_id_x 1
		.amdhsa_system_sgpr_workgroup_id_y 1
		.amdhsa_system_sgpr_workgroup_id_z 1
		.amdhsa_system_sgpr_workgroup_info 0
		.amdhsa_system_vgpr_workitem_id 0
		.amdhsa_next_free_vgpr 22
		.amdhsa_next_free_sgpr 45
		.amdhsa_accum_offset 24
		.amdhsa_reserve_vcc 1
		.amdhsa_reserve_flat_scratch 0
		.amdhsa_float_round_mode_32 0
		.amdhsa_float_round_mode_16_64 0
		.amdhsa_float_denorm_mode_32 3
		.amdhsa_float_denorm_mode_16_64 3
		.amdhsa_dx10_clamp 1
		.amdhsa_ieee_mode 1
		.amdhsa_fp16_overflow 0
		.amdhsa_tg_split 0
		.amdhsa_exception_fp_ieee_invalid_op 0
		.amdhsa_exception_fp_denorm_src 0
		.amdhsa_exception_fp_ieee_div_zero 0
		.amdhsa_exception_fp_ieee_overflow 0
		.amdhsa_exception_fp_ieee_underflow 0
		.amdhsa_exception_fp_ieee_inexact 0
		.amdhsa_exception_int_div_zero 0
	.end_amdhsa_kernel
	.section	.text._ZN2at6native6mbtopk10gatherTopKIfmLi1EEEvNS_4cuda6detail10TensorInfoIKT_T0_EES8_S8_bjS8_NS5_IS6_S8_EES8_NS5_IlS8_EES8_jjPS6_PjSD_j,"axG",@progbits,_ZN2at6native6mbtopk10gatherTopKIfmLi1EEEvNS_4cuda6detail10TensorInfoIKT_T0_EES8_S8_bjS8_NS5_IS6_S8_EES8_NS5_IlS8_EES8_jjPS6_PjSD_j,comdat
.Lfunc_end191:
	.size	_ZN2at6native6mbtopk10gatherTopKIfmLi1EEEvNS_4cuda6detail10TensorInfoIKT_T0_EES8_S8_bjS8_NS5_IS6_S8_EES8_NS5_IlS8_EES8_jjPS6_PjSD_j, .Lfunc_end191-_ZN2at6native6mbtopk10gatherTopKIfmLi1EEEvNS_4cuda6detail10TensorInfoIKT_T0_EES8_S8_bjS8_NS5_IS6_S8_EES8_NS5_IlS8_EES8_jjPS6_PjSD_j
                                        ; -- End function
	.section	.AMDGPU.csdata,"",@progbits
; Kernel info:
; codeLenInByte = 2220
; NumSgprs: 49
; NumVgprs: 22
; NumAgprs: 0
; TotalNumVgprs: 22
; ScratchSize: 0
; MemoryBound: 0
; FloatMode: 240
; IeeeMode: 1
; LDSByteSize: 1068 bytes/workgroup (compile time only)
; SGPRBlocks: 6
; VGPRBlocks: 2
; NumSGPRsForWavesPerEU: 49
; NumVGPRsForWavesPerEU: 22
; AccumOffset: 24
; Occupancy: 8
; WaveLimiterHint : 1
; COMPUTE_PGM_RSRC2:SCRATCH_EN: 0
; COMPUTE_PGM_RSRC2:USER_SGPR: 6
; COMPUTE_PGM_RSRC2:TRAP_HANDLER: 0
; COMPUTE_PGM_RSRC2:TGID_X_EN: 1
; COMPUTE_PGM_RSRC2:TGID_Y_EN: 1
; COMPUTE_PGM_RSRC2:TGID_Z_EN: 1
; COMPUTE_PGM_RSRC2:TIDIG_COMP_CNT: 0
; COMPUTE_PGM_RSRC3_GFX90A:ACCUM_OFFSET: 5
; COMPUTE_PGM_RSRC3_GFX90A:TG_SPLIT: 0
	.section	.text._ZN2at6native6sbtopk10gatherTopKIfmLi1ELb0EEEvNS_4cuda6detail10TensorInfoIKT_T0_EES8_S8_bS8_S8_NS5_IS6_S8_EES8_NS5_IlS8_EES8_PS6_,"axG",@progbits,_ZN2at6native6sbtopk10gatherTopKIfmLi1ELb0EEEvNS_4cuda6detail10TensorInfoIKT_T0_EES8_S8_bS8_S8_NS5_IS6_S8_EES8_NS5_IlS8_EES8_PS6_,comdat
	.protected	_ZN2at6native6sbtopk10gatherTopKIfmLi1ELb0EEEvNS_4cuda6detail10TensorInfoIKT_T0_EES8_S8_bS8_S8_NS5_IS6_S8_EES8_NS5_IlS8_EES8_PS6_ ; -- Begin function _ZN2at6native6sbtopk10gatherTopKIfmLi1ELb0EEEvNS_4cuda6detail10TensorInfoIKT_T0_EES8_S8_bS8_S8_NS5_IS6_S8_EES8_NS5_IlS8_EES8_PS6_
	.globl	_ZN2at6native6sbtopk10gatherTopKIfmLi1ELb0EEEvNS_4cuda6detail10TensorInfoIKT_T0_EES8_S8_bS8_S8_NS5_IS6_S8_EES8_NS5_IlS8_EES8_PS6_
	.p2align	8
	.type	_ZN2at6native6sbtopk10gatherTopKIfmLi1ELb0EEEvNS_4cuda6detail10TensorInfoIKT_T0_EES8_S8_bS8_S8_NS5_IS6_S8_EES8_NS5_IlS8_EES8_PS6_,@function
_ZN2at6native6sbtopk10gatherTopKIfmLi1ELb0EEEvNS_4cuda6detail10TensorInfoIKT_T0_EES8_S8_bS8_S8_NS5_IS6_S8_EES8_NS5_IlS8_EES8_PS6_: ; @_ZN2at6native6sbtopk10gatherTopKIfmLi1ELb0EEEvNS_4cuda6detail10TensorInfoIKT_T0_EES8_S8_bS8_S8_NS5_IS6_S8_EES8_NS5_IlS8_EES8_PS6_
; %bb.0:
	s_load_dwordx4 s[60:63], s[4:5], 0x1b8
	s_load_dwordx2 s[10:11], s[4:5], 0x520
	s_add_u32 s14, s4, 0x520
	s_addc_u32 s15, s5, 0
	s_mov_b32 s17, 0
	s_waitcnt lgkmcnt(0)
	v_mov_b32_e32 v2, s60
	s_mul_i32 s0, s11, s8
	s_add_i32 s0, s0, s7
	s_mul_i32 s0, s0, s10
	v_mov_b32_e32 v3, s61
	s_add_i32 s16, s0, s6
	v_cmp_ge_u64_e32 vcc, s[16:17], v[2:3]
	s_cbranch_vccnz .LBB192_483
; %bb.1:
	s_load_dwordx2 s[0:1], s[4:5], 0x440
                                        ; implicit-def: $vgpr54 : SGPR spill to VGPR lane
	v_cmp_eq_u32_e64 s[8:9], 0, v0
	s_waitcnt lgkmcnt(0)
	v_writelane_b32 v54, s0, 0
	v_writelane_b32 v54, s1, 1
	s_load_dwordx2 s[0:1], s[4:5], 0x370
	s_waitcnt lgkmcnt(0)
	v_writelane_b32 v54, s0, 2
	v_writelane_b32 v54, s1, 3
	s_load_dwordx2 s[0:1], s[4:5], 0x298
	s_waitcnt lgkmcnt(0)
	v_writelane_b32 v54, s0, 4
	v_writelane_b32 v54, s1, 5
	s_load_dwordx4 s[56:59], s[4:5], 0x1a0
	s_load_dwordx2 s[0:1], s[4:5], 0x1c8
	s_waitcnt lgkmcnt(0)
	v_writelane_b32 v54, s0, 6
	v_writelane_b32 v54, s1, 7
	s_load_dwordx2 s[0:1], s[4:5], 0xd0
	s_load_dwordx2 s[12:13], s[4:5], 0x0
	s_mov_b64 s[2:3], exec
	v_writelane_b32 v54, s8, 8
	v_writelane_b32 v54, s9, 9
	s_and_b64 s[8:9], s[2:3], s[8:9]
	s_mov_b64 exec, s[8:9]
	s_cbranch_execz .LBB192_3
; %bb.2:
	v_mov_b32_e32 v2, 0
	v_mov_b32_e32 v4, s56
	;; [unrolled: 1-line block ×4, first 2 shown]
	ds_write_b32 v2, v2 offset:5144
	ds_write_b128 v2, v[2:5] offset:5120
.LBB192_3:
	s_or_b64 exec, exec, s[2:3]
	s_waitcnt lgkmcnt(0)
	s_mul_i32 s1, s1, s16
	s_mul_hi_u32 s2, s0, s16
	s_add_i32 s1, s2, s1
	v_writelane_b32 v54, s4, 10
	s_load_dword s2, s[4:5], 0x1b0
	v_writelane_b32 v54, s5, 11
	s_mov_b32 s4, s16
	s_mul_i32 s0, s0, s16
	v_writelane_b32 v54, s4, 12
	s_lshl_b64 s[0:1], s[0:1], 2
	v_writelane_b32 v54, s5, 13
	s_add_u32 s70, s12, s0
	v_writelane_b32 v54, s0, 14
	s_addc_u32 s71, s13, s1
	s_waitcnt lgkmcnt(0)
	s_bitcmp1_b32 s2, 0
	v_writelane_b32 v54, s1, 15
	s_cselect_b64 s[0:1], -1, 0
	v_writelane_b32 v54, s0, 16
	v_mbcnt_lo_u32_b32 v1, -1, 0
	v_writelane_b32 v54, s1, 17
	s_xor_b64 s[0:1], s[0:1], -1
	v_mbcnt_hi_u32_b32 v37, -1, v1
	v_writelane_b32 v54, s0, 18
	v_cmp_gt_u32_e32 vcc, 64, v0
	v_cmp_gt_i32_e64 s[2:3], 4, v37
	v_writelane_b32 v54, s1, 19
	s_and_b64 s[0:1], vcc, s[2:3]
	v_mov_b32_e32 v2, 0x300
	v_writelane_b32 v54, s0, 20
	v_mov_b32_e32 v3, 0
	v_mov_b32_e32 v15, 0
	v_writelane_b32 v54, s1, 21
	v_cmp_gt_u64_e64 s[0:1], s[56:57], v[2:3]
	v_writelane_b32 v54, s0, 22
	v_mov_b32_e32 v1, v15
	v_writelane_b32 v54, s1, 23
	v_cmp_gt_u64_e64 s[0:1], s[56:57], v[0:1]
	v_writelane_b32 v54, s0, 24
	v_writelane_b32 v54, s1, 25
	v_mad_u64_u32 v[2:3], s[0:1], v0, s62, 0
	v_mov_b32_e32 v4, v3
	v_mad_u64_u32 v[4:5], s[0:1], v0, s63, v[4:5]
	v_cmp_gt_u32_e64 s[0:1], 2, v0
	v_writelane_b32 v54, s0, 26
	s_barrier
	v_writelane_b32 v54, s1, 27
	s_load_dword s0, s[14:15], 0xc
	v_mov_b32_e32 v3, v4
	v_lshlrev_b64 v[4:5], 2, v[2:3]
	v_add_co_u32_e32 v12, vcc, s70, v4
	s_waitcnt lgkmcnt(0)
	v_cmp_gt_u16_e64 s[2:3], s0, 63
	s_and_b32 s33, s0, 0xffff
	s_bfe_u32 s1, s0, 0xa0006
	v_writelane_b32 v54, s2, 28
	v_writelane_b32 v54, s3, 29
	s_add_u32 s2, s33, -1
	s_addc_u32 s3, 0, -1
	v_writelane_b32 v54, s2, 30
	s_add_u32 s89, s2, s56
	v_writelane_b32 v54, s3, 31
	s_addc_u32 s3, s3, s57
	v_writelane_b32 v54, s2, 32
	s_cmp_lt_u32 s6, s10
	v_writelane_b32 v54, s3, 33
	s_cselect_b32 s2, 12, 18
	s_add_u32 s2, s14, s2
	s_addc_u32 s3, s15, 0
	v_writelane_b32 v54, s2, 34
	v_writelane_b32 v54, s3, 35
	s_add_i32 s2, s1, -1
	s_bfe_u32 s3, s33, 0x30006
	s_cmp_gt_u32 s2, 6
	s_cselect_b64 s[4:5], -1, 0
	v_writelane_b32 v54, s4, 36
	s_and_b32 s1, s1, 0x3f8
	v_writelane_b32 v54, s5, 37
	s_cmp_lg_u32 s3, 0
	v_lshrrev_b32_e32 v4, 4, v0
	v_writelane_b32 v54, s3, 38
	s_cselect_b64 s[2:3], -1, 0
	v_mov_b32_e32 v6, s71
	v_and_b32_e32 v38, 60, v4
	v_lshlrev_b32_e32 v4, 2, v37
	v_writelane_b32 v54, s2, 39
	v_addc_co_u32_e32 v13, vcc, v6, v5, vcc
	v_and_b32_e32 v36, 0x100, v4
	v_lshlrev_b64 v[4:5], v37, -1
	v_writelane_b32 v54, s3, 40
	s_lshl_b64 s[2:3], s[62:63], 2
	v_lshlrev_b32_e32 v40, 4, v0
	v_not_b32_e32 v11, v5
	v_writelane_b32 v54, s2, 41
	v_or_b32_e32 v5, 12, v40
	v_writelane_b32 v54, s3, 42
	v_mad_u64_u32 v[18:19], s[2:3], s62, v5, 0
	v_not_b32_e32 v10, v4
	v_mov_b32_e32 v4, v19
	v_mad_u64_u32 v[4:5], s[2:3], s63, v5, v[4:5]
	s_lshl_b64 s[2:3], s[62:63], 4
	v_writelane_b32 v54, s2, 43
	v_or_b32_e32 v5, 8, v40
	v_writelane_b32 v54, s3, 44
	v_mad_u64_u32 v[20:21], s[2:3], s62, v5, 0
	v_mov_b32_e32 v19, v4
	v_mov_b32_e32 v4, v21
	v_mad_u64_u32 v[4:5], s[2:3], s63, v5, v[4:5]
	v_or_b32_e32 v5, 4, v40
	v_mad_u64_u32 v[22:23], s[2:3], s62, v5, 0
	v_mov_b32_e32 v21, v4
	v_mov_b32_e32 v4, v23
	v_mad_u64_u32 v[4:5], s[2:3], s63, v5, v[4:5]
	s_mul_i32 s2, s63, s33
	s_mul_hi_u32 s3, s62, s33
	s_add_i32 s3, s3, s2
	s_mul_i32 s2, s62, s33
	s_lshl_b64 s[60:61], s[2:3], 2
	s_mov_b32 s2, 30
	s_mov_b32 s83, 0
	v_lshlrev_b32_e32 v16, 2, v0
	v_lshlrev_b64 v[24:25], 4, v[2:3]
	v_mov_b32_e32 v2, 0xc00
	v_writelane_b32 v54, s2, 45
	s_mov_b32 s2, 0
	v_cmp_eq_u32_e64 s[94:95], 0, v37
	v_mov_b32_e32 v17, v15
	v_add_u32_e32 v39, 0xc00, v16
	s_mov_b32 s0, s83
	v_mov_b32_e32 v23, v4
	v_lshl_or_b32 v41, v37, 3, v2
	s_lshl_b32 s88, s33, 2
	s_mov_b64 s[74:75], 0
	v_pk_mov_b32 v[30:31], s[58:59], s[58:59] op_sel:[0,1]
	v_mov_b32_e32 v26, 1.0
	v_bfrev_b32_e32 v42, 1
	v_mov_b32_e32 v43, 0x4f800000
	v_mov_b32_e32 v29, 0
	v_writelane_b32 v54, s2, 46
	v_mov_b32_e32 v45, 0
	v_mov_b32_e32 v44, 0
                                        ; implicit-def: $sgpr64_sgpr65
                                        ; implicit-def: $sgpr30_sgpr31
                                        ; implicit-def: $sgpr76_sgpr77
                                        ; implicit-def: $sgpr92_sgpr93
                                        ; implicit-def: $sgpr66_sgpr67
                                        ; implicit-def: $sgpr28_sgpr29
                                        ; implicit-def: $sgpr36_sgpr37
                                        ; implicit-def: $sgpr8_sgpr9
                                        ; implicit-def: $sgpr10_sgpr11
                                        ; implicit-def: $sgpr86_sgpr87
	v_writelane_b32 v54, s89, 47
	s_branch .LBB192_6
.LBB192_4:                              ;   in Loop: Header=BB192_6 Depth=1
	s_or_b64 exec, exec, s[12:13]
	s_andn2_b64 s[12:13], s[86:87], exec
	s_and_b64 s[6:7], s[6:7], exec
	s_or_b64 s[86:87], s[12:13], s[6:7]
	s_andn2_b64 s[10:11], s[10:11], exec
	s_andn2_b64 s[8:9], s[8:9], exec
	;; [unrolled: 1-line block ×4, first 2 shown]
	s_orn2_b64 s[4:5], s[4:5], exec
	v_mov_b32_e32 v44, v34
	v_mov_b32_e32 v45, v28
	v_pk_mov_b32 v[30:31], v[2:3], v[2:3] op_sel:[0,1]
	v_mov_b32_e32 v29, v5
.LBB192_5:                              ;   in Loop: Header=BB192_6 Depth=1
	s_or_b64 exec, exec, s[2:3]
	s_and_b64 s[2:3], exec, s[4:5]
	s_or_b64 s[74:75], s[2:3], s[74:75]
	s_andn2_b64 s[2:3], s[66:67], exec
	s_and_b64 s[4:5], s[86:87], exec
	s_or_b64 s[66:67], s[2:3], s[4:5]
	s_andn2_b64 s[2:3], s[92:93], exec
	s_and_b64 s[4:5], s[10:11], exec
	;; [unrolled: 3-line block ×5, first 2 shown]
	s_or_b64 s[64:65], s[2:3], s[4:5]
	s_andn2_b64 exec, exec, s[74:75]
	s_cbranch_execz .LBB192_479
.LBB192_6:                              ; =>This Loop Header: Depth=1
                                        ;     Child Loop BB192_14 Depth 2
                                        ;     Child Loop BB192_29 Depth 2
	;; [unrolled: 1-line block ×24, first 2 shown]
	ds_read_b128 v[2:5], v15 offset:5120
	s_waitcnt lgkmcnt(0)
	v_readfirstlane_b32 s3, v3
	v_readfirstlane_b32 s2, v2
	s_cmp_lg_u64 s[2:3], 0
	s_cbranch_scc1 .LBB192_36
; %bb.7:                                ;   in Loop: Header=BB192_6 Depth=1
	v_readlane_b32 s2, v54, 22
	v_readlane_b32 s3, v54, 23
	s_and_b64 vcc, exec, s[2:3]
	s_cbranch_vccz .LBB192_22
; %bb.8:                                ;   in Loop: Header=BB192_6 Depth=1
	s_mov_b64 s[2:3], 0x301
	v_cmp_gt_u64_e32 vcc, s[2:3], v[4:5]
	s_mov_b64 s[2:3], 0
	s_mov_b64 s[4:5], 0
	s_cbranch_vccz .LBB192_23
; %bb.9:                                ;   in Loop: Header=BB192_6 Depth=1
	v_mov_b32_e32 v6, 0
	s_mov_b64 s[4:5], exec
	v_readlane_b32 s6, v54, 24
	v_readlane_b32 s7, v54, 25
	s_and_b64 s[6:7], s[4:5], s[6:7]
	s_mov_b64 exec, s[6:7]
	s_cbranch_execz .LBB192_11
; %bb.10:                               ;   in Loop: Header=BB192_6 Depth=1
	global_load_dword v6, v[12:13], off
.LBB192_11:                             ;   in Loop: Header=BB192_6 Depth=1
	s_or_b64 exec, exec, s[4:5]
	s_mov_b64 s[4:5], exec
	v_readlane_b32 s6, v54, 24
	v_readlane_b32 s7, v54, 25
	s_and_b64 s[6:7], s[4:5], s[6:7]
	s_mov_b64 exec, s[6:7]
	s_cbranch_execz .LBB192_95
; %bb.12:                               ;   in Loop: Header=BB192_6 Depth=1
	v_readlane_b32 s6, v54, 34
	v_readlane_b32 s7, v54, 35
	;; [unrolled: 1-line block ×3, first 2 shown]
	v_pk_mov_b32 v[2:3], s[70:71], s[70:71] op_sel:[0,1]
	v_readlane_b32 s17, v54, 42
	s_mov_b64 s[12:13], 0
	s_nop 0
	global_load_ushort v7, v15, s[6:7]
	s_waitcnt vmcnt(0)
	v_readfirstlane_b32 s6, v7
	s_and_b32 s6, 0xffff, s6
	v_add_u32_e32 v5, s6, v0
	s_mul_i32 s14, s17, s6
	s_mul_hi_u32 s15, s16, s6
	s_mul_i32 s22, s16, s6
	v_mad_u64_u32 v[2:3], s[6:7], s16, v5, v[2:3]
	v_mov_b32_e32 v4, v3
	v_mad_u64_u32 v[4:5], s[6:7], s17, v5, v[4:5]
	s_add_i32 s23, s15, s14
	v_mov_b32_e32 v3, v4
	v_pk_mov_b32 v[4:5], v[0:1], v[0:1] op_sel:[0,1]
	s_branch .LBB192_14
.LBB192_13:                             ;   in Loop: Header=BB192_14 Depth=2
	s_or_b64 exec, exec, s[6:7]
	v_mov_b32_e32 v6, s23
	v_add_co_u32_e32 v2, vcc, s22, v2
	v_addc_co_u32_e32 v3, vcc, v3, v6, vcc
	s_waitcnt vmcnt(0)
	v_mov_b32_e32 v6, v8
	s_andn2_b64 exec, exec, s[12:13]
	s_cbranch_execz .LBB192_95
.LBB192_14:                             ;   Parent Loop BB192_6 Depth=1
                                        ; =>  This Inner Loop Header: Depth=2
	v_add_co_u32_sdwa v4, vcc, v4, v7 dst_sel:DWORD dst_unused:UNUSED_PAD src0_sel:DWORD src1_sel:WORD_0
	v_addc_co_u32_e32 v5, vcc, 0, v5, vcc
	v_cmp_gt_u64_e64 s[6:7], s[56:57], v[4:5]
	v_cmp_le_u64_e32 vcc, s[56:57], v[4:5]
	s_waitcnt lgkmcnt(0)
	v_mov_b32_e32 v9, 0
	v_mov_b32_e32 v8, 0
	s_and_saveexec_b64 s[14:15], s[6:7]
	s_cbranch_execz .LBB192_16
; %bb.15:                               ;   in Loop: Header=BB192_14 Depth=2
	global_load_dword v8, v[2:3], off
.LBB192_16:                             ;   in Loop: Header=BB192_14 Depth=2
	s_or_b64 exec, exec, s[14:15]
	v_cmp_lt_i32_e64 s[6:7], -1, v6
	v_cndmask_b32_e64 v14, -1, v42, s[6:7]
	v_xor_b32_e32 v14, v14, v6
	v_cmp_o_f32_e64 s[6:7], v6, v6
	v_cndmask_b32_e64 v14, -1, v14, s[6:7]
	v_and_b32_e32 v14, v14, v44
	v_cmp_eq_u32_e64 s[14:15], v14, v45
	s_cmp_lg_u64 s[14:15], 0
	s_cselect_b64 s[6:7], -1, 0
	s_and_b64 s[6:7], s[94:95], s[6:7]
	s_and_saveexec_b64 s[16:17], s[6:7]
	s_cbranch_execz .LBB192_20
; %bb.17:                               ;   in Loop: Header=BB192_14 Depth=2
	s_mov_b64 s[20:21], exec
	v_mbcnt_lo_u32_b32 v9, s20, 0
	v_mbcnt_hi_u32_b32 v9, s21, v9
	s_bcnt1_i32_b64 s24, s[14:15]
	v_cmp_eq_u32_e64 s[6:7], 0, v9
                                        ; implicit-def: $vgpr14
	s_and_saveexec_b64 s[18:19], s[6:7]
	s_cbranch_execz .LBB192_19
; %bb.18:                               ;   in Loop: Header=BB192_14 Depth=2
	s_bcnt1_i32_b64 s6, s[20:21]
	s_mul_i32 s6, s24, s6
	v_mov_b32_e32 v14, s6
	ds_add_rtn_u32 v14, v15, v14 offset:5144
.LBB192_19:                             ;   in Loop: Header=BB192_14 Depth=2
	s_or_b64 exec, exec, s[18:19]
	s_waitcnt lgkmcnt(0)
	v_readfirstlane_b32 s6, v14
	v_mov_b32_e32 v14, s6
	v_mad_u32_u24 v9, s24, v9, v14
.LBB192_20:                             ;   in Loop: Header=BB192_14 Depth=2
	s_or_b64 exec, exec, s[16:17]
	ds_bpermute_b32 v9, v36, v9
	s_and_b64 s[6:7], exec, vcc
	s_or_b64 s[12:13], s[6:7], s[12:13]
	s_and_saveexec_b64 s[6:7], s[14:15]
	s_cbranch_execz .LBB192_13
; %bb.21:                               ;   in Loop: Header=BB192_14 Depth=2
	v_and_b32_e32 v27, s14, v10
	v_and_b32_e32 v14, s15, v11
	v_bcnt_u32_b32 v27, v27, 0
	v_bcnt_u32_b32 v14, v14, v27
	v_lshlrev_b32_e32 v14, 2, v14
	s_waitcnt lgkmcnt(0)
	v_lshl_add_u32 v9, v9, 2, v14
	ds_write_b32 v9, v6
	s_branch .LBB192_13
.LBB192_22:                             ;   in Loop: Header=BB192_6 Depth=1
	s_mov_b64 s[2:3], -1
	s_mov_b64 s[4:5], 0
.LBB192_23:                             ;   in Loop: Header=BB192_6 Depth=1
	s_and_b64 vcc, exec, s[2:3]
	s_cbranch_vccz .LBB192_34
.LBB192_24:                             ;   in Loop: Header=BB192_6 Depth=1
	s_waitcnt vmcnt(0)
	v_mov_b32_e32 v6, 0
	s_mov_b64 s[2:3], exec
	v_readlane_b32 s4, v54, 24
	v_readlane_b32 s5, v54, 25
	s_and_b64 s[4:5], s[2:3], s[4:5]
	s_mov_b64 exec, s[4:5]
	s_cbranch_execz .LBB192_26
; %bb.25:                               ;   in Loop: Header=BB192_6 Depth=1
	global_load_dword v6, v[12:13], off
.LBB192_26:                             ;   in Loop: Header=BB192_6 Depth=1
	s_or_b64 exec, exec, s[2:3]
	s_mov_b64 s[2:3], exec
	v_readlane_b32 s4, v54, 24
	v_readlane_b32 s5, v54, 25
	s_and_b64 s[4:5], s[2:3], s[4:5]
	s_mov_b64 exec, s[4:5]
	s_cbranch_execz .LBB192_31
; %bb.27:                               ;   in Loop: Header=BB192_6 Depth=1
	v_readlane_b32 s4, v54, 34
	v_readlane_b32 s5, v54, 35
	;; [unrolled: 1-line block ×3, first 2 shown]
	v_pk_mov_b32 v[2:3], s[70:71], s[70:71] op_sel:[0,1]
	v_readlane_b32 s17, v54, 42
	v_mov_b32_e32 v8, v16
	s_nop 0
	global_load_ushort v7, v15, s[4:5]
	s_mov_b64 s[4:5], 0
	s_waitcnt vmcnt(0)
	v_readfirstlane_b32 s6, v7
	s_and_b32 s6, 0xffff, s6
	v_add_u32_e32 v5, s6, v0
	s_lshl_b32 s14, s6, 2
	s_mul_i32 s12, s17, s6
	s_mul_hi_u32 s13, s16, s6
	s_mul_i32 s15, s16, s6
	v_mad_u64_u32 v[2:3], s[6:7], s16, v5, v[2:3]
	v_mov_b32_e32 v4, v3
	v_mad_u64_u32 v[4:5], s[6:7], s17, v5, v[4:5]
	s_add_i32 s16, s13, s12
	v_mov_b32_e32 v3, v4
	v_pk_mov_b32 v[4:5], v[0:1], v[0:1] op_sel:[0,1]
	s_branch .LBB192_29
.LBB192_28:                             ;   in Loop: Header=BB192_29 Depth=2
	s_or_b64 exec, exec, s[12:13]
	s_and_b64 s[6:7], exec, vcc
	ds_write_b32 v8, v6
	v_mov_b32_e32 v6, s16
	v_add_co_u32_e32 v2, vcc, s15, v2
	s_or_b64 s[4:5], s[6:7], s[4:5]
	v_add_u32_e32 v8, s14, v8
	v_addc_co_u32_e32 v3, vcc, v3, v6, vcc
	s_waitcnt vmcnt(0)
	v_mov_b32_e32 v6, v9
	s_andn2_b64 exec, exec, s[4:5]
	s_cbranch_execz .LBB192_31
.LBB192_29:                             ;   Parent Loop BB192_6 Depth=1
                                        ; =>  This Inner Loop Header: Depth=2
	v_add_co_u32_sdwa v4, vcc, v4, v7 dst_sel:DWORD dst_unused:UNUSED_PAD src0_sel:DWORD src1_sel:WORD_0
	v_addc_co_u32_e32 v5, vcc, 0, v5, vcc
	v_cmp_gt_u64_e64 s[6:7], s[56:57], v[4:5]
	v_cmp_le_u64_e32 vcc, s[56:57], v[4:5]
	v_mov_b32_e32 v9, 0
	s_and_saveexec_b64 s[12:13], s[6:7]
	s_cbranch_execz .LBB192_28
; %bb.30:                               ;   in Loop: Header=BB192_29 Depth=2
	global_load_dword v9, v[2:3], off
	s_branch .LBB192_28
.LBB192_31:                             ;   in Loop: Header=BB192_6 Depth=1
	s_or_b64 exec, exec, s[2:3]
	s_waitcnt lgkmcnt(0)
	s_barrier
	s_mov_b64 s[2:3], exec
	v_readlane_b32 s4, v54, 8
	v_readlane_b32 s5, v54, 9
	s_and_b64 s[4:5], s[2:3], s[4:5]
	s_mov_b64 exec, s[4:5]
	s_cbranch_execz .LBB192_33
; %bb.32:                               ;   in Loop: Header=BB192_6 Depth=1
	v_pk_mov_b32 v[2:3], s[56:57], s[56:57] op_sel:[0,1]
	ds_write_b64 v15, v[2:3] offset:5120
.LBB192_33:                             ;   in Loop: Header=BB192_6 Depth=1
	s_or_b64 exec, exec, s[2:3]
	s_mov_b64 s[4:5], -1
	s_waitcnt lgkmcnt(0)
	s_barrier
                                        ; implicit-def: $sgpr2_sgpr3
.LBB192_34:                             ;   in Loop: Header=BB192_6 Depth=1
	s_and_b64 vcc, exec, s[4:5]
	s_cbranch_vccz .LBB192_36
; %bb.35:                               ;   in Loop: Header=BB192_6 Depth=1
	ds_read_b64 v[2:3], v15 offset:5120
	s_waitcnt lgkmcnt(0)
	v_readfirstlane_b32 s2, v2
.LBB192_36:                             ;   in Loop: Header=BB192_6 Depth=1
	v_writelane_b32 v54, s28, 48
	v_writelane_b32 v54, s29, 49
	s_cmp_lt_i32 s2, 1
	v_writelane_b32 v54, s36, 50
	v_writelane_b32 v54, s37, 51
	s_cbranch_scc0 .LBB192_51
; %bb.37:                               ;   in Loop: Header=BB192_6 Depth=1
	v_readlane_b32 s4, v54, 34
	v_readlane_b32 s5, v54, 35
	s_nop 4
	global_load_ushort v2, v15, s[4:5]
	s_mov_b32 s4, s83
	s_mov_b32 s5, s57
	s_waitcnt vmcnt(0)
	v_readfirstlane_b32 s3, v2
	s_and_b32 s3, s3, 0xffff
	s_lshl_b32 s82, s3, 2
	s_cmp_lg_u64 s[4:5], 0
	s_cbranch_scc0 .LBB192_71
; %bb.38:                               ;   in Loop: Header=BB192_6 Depth=1
	v_cvt_f32_u32_e32 v2, s82
	s_sub_u32 s4, 0, s82
	s_subb_u32 s5, 0, 0
	v_mac_f32_e32 v2, 0, v43
	v_rcp_f32_e32 v2, v2
	v_mul_f32_e32 v2, 0x5f7ffffc, v2
	v_mul_f32_e32 v3, 0x2f800000, v2
	v_trunc_f32_e32 v3, v3
	v_mac_f32_e32 v2, 0xcf800000, v3
	v_cvt_u32_f32_e32 v3, v3
	v_cvt_u32_f32_e32 v2, v2
	v_readfirstlane_b32 s6, v3
	v_readfirstlane_b32 s7, v2
	s_mul_i32 s12, s4, s6
	s_mul_hi_u32 s14, s4, s7
	s_mul_i32 s13, s5, s7
	s_add_i32 s12, s14, s12
	s_mul_i32 s15, s4, s7
	s_add_i32 s12, s12, s13
	s_mul_hi_u32 s14, s7, s15
	s_mul_hi_u32 s13, s7, s12
	s_mul_i32 s7, s7, s12
	s_add_u32 s7, s14, s7
	s_addc_u32 s13, 0, s13
	s_mul_hi_u32 s16, s6, s15
	s_mul_i32 s15, s6, s15
	s_add_u32 s7, s7, s15
	s_mul_hi_u32 s14, s6, s12
	s_addc_u32 s7, s13, s16
	s_addc_u32 s13, s14, 0
	s_mul_i32 s12, s6, s12
	s_add_u32 s7, s7, s12
	s_addc_u32 s12, 0, s13
	v_add_co_u32_e32 v2, vcc, s7, v2
	s_cmp_lg_u64 vcc, 0
	s_addc_u32 s6, s6, s12
	v_readfirstlane_b32 s12, v2
	s_mul_i32 s7, s4, s6
	s_mul_hi_u32 s13, s4, s12
	s_add_i32 s7, s13, s7
	s_mul_i32 s5, s5, s12
	s_add_i32 s7, s7, s5
	s_mul_i32 s4, s4, s12
	s_mul_hi_u32 s13, s6, s4
	s_mul_i32 s14, s6, s4
	s_mul_i32 s16, s12, s7
	s_mul_hi_u32 s4, s12, s4
	s_mul_hi_u32 s15, s12, s7
	s_add_u32 s4, s4, s16
	s_addc_u32 s12, 0, s15
	s_add_u32 s4, s4, s14
	s_mul_hi_u32 s5, s6, s7
	s_addc_u32 s4, s12, s13
	s_addc_u32 s5, s5, 0
	s_mul_i32 s7, s6, s7
	s_add_u32 s4, s4, s7
	s_addc_u32 s5, 0, s5
	v_add_co_u32_e32 v2, vcc, s4, v2
	s_cmp_lg_u64 vcc, 0
	s_addc_u32 s4, s6, s5
	v_readfirstlane_b32 s7, v2
	s_mul_i32 s6, s56, s4
	s_mul_hi_u32 s12, s56, s7
	s_mul_hi_u32 s5, s56, s4
	s_add_u32 s6, s12, s6
	s_addc_u32 s5, 0, s5
	s_mul_hi_u32 s13, s57, s7
	s_mul_i32 s7, s57, s7
	s_add_u32 s6, s6, s7
	s_mul_hi_u32 s12, s57, s4
	s_addc_u32 s5, s5, s13
	s_addc_u32 s6, s12, 0
	s_mul_i32 s4, s57, s4
	s_add_u32 s4, s5, s4
	s_addc_u32 s5, 0, s6
	s_mul_hi_u32 s6, s82, s4
	s_mul_i32 s4, s82, s4
	s_mul_i32 s5, s82, s5
	v_mov_b32_e32 v2, s4
	s_add_i32 s6, s6, s5
	v_sub_co_u32_e32 v2, vcc, s56, v2
	s_cmp_lg_u64 vcc, 0
	s_subb_u32 s4, s57, s6
	v_subrev_co_u32_e32 v3, vcc, s82, v2
	s_cmp_lg_u64 vcc, 0
	s_subb_u32 s5, s4, 0
	v_subrev_co_u32_e32 v4, vcc, s82, v3
	s_cmp_lg_u64 vcc, 0
	s_subb_u32 s6, s5, 0
	v_cmp_le_u32_e32 vcc, s82, v3
	s_cmp_eq_u32 s5, 0
	v_cndmask_b32_e64 v5, 0, -1, vcc
	s_cselect_b64 vcc, -1, 0
	v_cndmask_b32_e32 v5, -1, v5, vcc
	v_mov_b32_e32 v6, s5
	v_mov_b32_e32 v7, s6
	v_cmp_ne_u32_e32 vcc, 0, v5
	v_cndmask_b32_e32 v5, v6, v7, vcc
	v_cndmask_b32_e32 v4, v3, v4, vcc
	v_cmp_le_u32_e32 vcc, s82, v2
	s_cmp_eq_u32 s4, 0
	v_cndmask_b32_e64 v3, 0, -1, vcc
	s_cselect_b64 vcc, -1, 0
	v_cndmask_b32_e32 v3, -1, v3, vcc
	v_mov_b32_e32 v6, s4
	v_cmp_ne_u32_e32 vcc, 0, v3
	v_cndmask_b32_e32 v3, v6, v5, vcc
	v_cndmask_b32_e32 v2, v2, v4, vcc
	s_cbranch_execnz .LBB192_40
.LBB192_39:                             ;   in Loop: Header=BB192_6 Depth=1
	v_cvt_f32_u32_e32 v2, s82
	s_sub_i32 s4, 0, s82
	v_rcp_iflag_f32_e32 v2, v2
	v_mul_f32_e32 v2, 0x4f7ffffe, v2
	v_cvt_u32_f32_e32 v2, v2
	v_mul_lo_u32 v3, s4, v2
	v_mul_hi_u32 v3, v2, v3
	v_add_u32_e32 v2, v2, v3
	v_mul_hi_u32 v2, s56, v2
	v_mul_lo_u32 v2, v2, s82
	v_sub_u32_e32 v2, s56, v2
	v_subrev_u32_e32 v3, s82, v2
	v_cmp_le_u32_e32 vcc, s82, v2
	v_cndmask_b32_e32 v2, v2, v3, vcc
	v_subrev_u32_e32 v3, s82, v2
	v_cmp_le_u32_e32 vcc, s82, v2
	v_cndmask_b32_e32 v14, v2, v3, vcc
	v_pk_mov_b32 v[2:3], v[14:15], v[14:15] op_sel:[0,1]
.LBB192_40:                             ;   in Loop: Header=BB192_6 Depth=1
	v_mov_b32_e32 v4, s57
	v_sub_co_u32_e32 v32, vcc, s56, v2
	v_subb_co_u32_e32 v33, vcc, v4, v3, vcc
	v_pk_mov_b32 v[2:3], 0, 0
	v_cmp_gt_u64_e32 vcc, v[32:33], v[16:17]
	s_mov_b64 s[12:13], 0
	v_pk_mov_b32 v[4:5], v[2:3], v[2:3] op_sel:[0,1]
	v_pk_mov_b32 v[6:7], v[2:3], v[2:3] op_sel:[0,1]
	;; [unrolled: 1-line block ×3, first 2 shown]
	s_and_saveexec_b64 s[4:5], vcc
	s_cbranch_execz .LBB192_44
; %bb.41:                               ;   in Loop: Header=BB192_6 Depth=1
	v_readlane_b32 s14, v54, 43
	v_readlane_b32 s6, v54, 45
	;; [unrolled: 1-line block ×3, first 2 shown]
	s_and_b32 s89, s6, 0xfe
	s_mul_i32 s6, s15, s3
	s_mul_hi_u32 s7, s14, s3
	s_mov_b64 s[68:69], s[94:95]
	s_add_i32 s94, s7, s6
	s_mul_i32 s95, s14, s3
	s_mov_b64 s[78:79], s[70:71]
	s_mov_b64 s[72:73], 0
	;; [unrolled: 1-line block ×5, first 2 shown]
	v_pk_mov_b32 v[34:35], v[16:17], v[16:17] op_sel:[0,1]
.LBB192_42:                             ;   Parent Loop BB192_6 Depth=1
                                        ; =>  This Inner Loop Header: Depth=2
	v_add_co_u32_e64 v34, s[6:7], s82, v34
	v_addc_co_u32_e64 v35, s[6:7], 0, v35, s[6:7]
	v_mov_b32_e32 v7, s79
	v_add_co_u32_e32 v2, vcc, s78, v22
	v_add_co_u32_e64 v8, s[6:7], s78, v24
	v_add_co_u32_e64 v4, s[14:15], s78, v20
	;; [unrolled: 1-line block ×3, first 2 shown]
	v_addc_co_u32_e64 v9, s[6:7], v7, v25, s[6:7]
	v_addc_co_u32_e32 v3, vcc, v7, v23, vcc
	v_addc_co_u32_e64 v5, vcc, v7, v21, s[14:15]
	v_addc_co_u32_e64 v7, vcc, v7, v19, s[16:17]
	global_load_dword v8, v[8:9], off
	s_nop 0
	global_load_dword v2, v[2:3], off
	s_nop 0
	;; [unrolled: 2-line block ×3, first 2 shown]
	global_load_dword v4, v[6:7], off
	v_cmp_ge_u64_e32 vcc, v[34:35], v[32:33]
	s_waitcnt vmcnt(3)
	v_cmp_lt_i32_e64 s[6:7], -1, v8
	v_cndmask_b32_e64 v5, -1, v42, s[6:7]
	s_waitcnt vmcnt(2)
	v_cmp_lt_i32_e64 s[6:7], -1, v2
	v_cndmask_b32_e64 v6, -1, v42, s[6:7]
	;; [unrolled: 3-line block ×4, first 2 shown]
	v_xor_b32_e32 v6, v6, v2
	v_cmp_o_f32_e64 s[6:7], v2, v2
	v_xor_b32_e32 v2, v7, v3
	v_cmp_o_f32_e64 s[14:15], v3, v3
	;; [unrolled: 2-line block ×4, first 2 shown]
	v_cndmask_b32_e64 v4, -1, v4, s[18:19]
	v_cndmask_b32_e64 v5, -1, v6, s[6:7]
	v_and_b32_e32 v6, v4, v44
	v_bfe_u32 v4, v4, s89, 2
	v_cndmask_b32_e64 v2, -1, v2, s[14:15]
	v_and_b32_e32 v7, v5, v44
	v_bfe_u32 v5, v5, s89, 2
	v_cmp_eq_u32_e64 s[20:21], v6, v45
	v_cmp_eq_u32_e64 s[6:7], 0, v4
	v_cndmask_b32_e64 v3, -1, v3, s[16:17]
	v_and_b32_e32 v8, v2, v44
	v_bfe_u32 v2, v2, s89, 2
	v_cmp_eq_u32_e64 s[18:19], v7, v45
	v_cmp_eq_u32_e64 s[34:35], 0, v5
	s_and_b64 s[6:7], s[20:21], s[6:7]
	v_and_b32_e32 v9, v3, v44
	v_bfe_u32 v3, v3, s89, 2
	v_cmp_eq_u32_e64 s[16:17], v8, v45
	v_cmp_eq_u32_e64 s[36:37], 0, v2
	;; [unrolled: 1-line block ×5, first 2 shown]
	v_cndmask_b32_e64 v2, 0, 1, s[6:7]
	s_and_b64 s[6:7], s[18:19], s[34:35]
	v_cmp_eq_u32_e64 s[14:15], v9, v45
	v_cmp_eq_u32_e64 s[38:39], 0, v3
	;; [unrolled: 1-line block ×5, first 2 shown]
	v_cndmask_b32_e64 v3, 0, 1, s[6:7]
	s_and_b64 s[6:7], s[16:17], s[36:37]
	v_cmp_eq_u32_e64 s[40:41], 1, v4
	v_cmp_eq_u32_e64 s[48:49], 2, v4
	;; [unrolled: 1-line block ×3, first 2 shown]
	v_cndmask_b32_e64 v4, 0, 1, s[6:7]
	s_and_b64 s[6:7], s[14:15], s[38:39]
	v_cmp_eq_u32_e64 s[42:43], 1, v5
	v_cmp_eq_u32_e64 s[50:51], 2, v5
	;; [unrolled: 1-line block ×3, first 2 shown]
	v_cndmask_b32_e64 v5, 0, 1, s[6:7]
	v_cmp_ne_u32_e64 s[6:7], 0, v2
	v_cmp_ne_u32_e64 s[34:35], 0, v3
	v_cmp_ne_u32_e64 s[36:37], 0, v4
	v_cmp_ne_u32_e64 s[38:39], 0, v5
	s_bcnt1_i32_b64 s6, s[6:7]
	s_bcnt1_i32_b64 s7, s[34:35]
	s_bcnt1_i32_b64 s34, s[36:37]
	s_bcnt1_i32_b64 s35, s[38:39]
	s_add_u32 s6, s6, s90
	s_addc_u32 s36, 0, s91
	s_add_u32 s6, s6, s7
	s_addc_u32 s7, s36, 0
	s_add_u32 s6, s6, s34
	s_addc_u32 s7, s7, 0
	s_add_u32 s90, s6, s35
	s_addc_u32 s91, s7, 0
	s_and_b64 s[6:7], s[20:21], s[40:41]
	v_cndmask_b32_e64 v4, 0, 1, s[6:7]
	s_and_b64 s[6:7], s[18:19], s[42:43]
	v_cndmask_b32_e64 v5, 0, 1, s[6:7]
	s_and_b64 s[6:7], s[16:17], s[44:45]
	v_cndmask_b32_e64 v6, 0, 1, s[6:7]
	s_and_b64 s[6:7], s[14:15], s[46:47]
	v_cndmask_b32_e64 v7, 0, 1, s[6:7]
	v_cmp_ne_u32_e64 s[6:7], 0, v4
	v_cmp_ne_u32_e64 s[34:35], 0, v5
	v_cmp_ne_u32_e64 s[36:37], 0, v6
	v_cmp_ne_u32_e64 s[38:39], 0, v7
	s_bcnt1_i32_b64 s6, s[6:7]
	s_bcnt1_i32_b64 s7, s[34:35]
	s_bcnt1_i32_b64 s34, s[36:37]
	s_bcnt1_i32_b64 s35, s[38:39]
	s_add_u32 s6, s6, s84
	s_addc_u32 s36, 0, s85
	s_add_u32 s6, s6, s7
	s_addc_u32 s7, s36, 0
	s_add_u32 s6, s6, s34
	s_addc_u32 s7, s7, 0
	s_add_u32 s84, s6, s35
	s_addc_u32 s85, s7, 0
	s_and_b64 s[6:7], s[20:21], s[48:49]
	v_cndmask_b32_e64 v6, 0, 1, s[6:7]
	s_and_b64 s[6:7], s[18:19], s[50:51]
	v_cndmask_b32_e64 v7, 0, 1, s[6:7]
	s_and_b64 s[6:7], s[16:17], s[52:53]
	v_cndmask_b32_e64 v8, 0, 1, s[6:7]
	s_and_b64 s[6:7], s[14:15], s[54:55]
	;; [unrolled: 24-line block ×3, first 2 shown]
	v_cndmask_b32_e64 v27, 0, 1, s[6:7]
	v_cmp_ne_u32_e64 s[6:7], 0, v8
	v_cmp_ne_u32_e64 s[14:15], 0, v9
	;; [unrolled: 1-line block ×4, first 2 shown]
	s_bcnt1_i32_b64 s6, s[6:7]
	s_bcnt1_i32_b64 s7, s[14:15]
	;; [unrolled: 1-line block ×4, first 2 shown]
	s_add_u32 s6, s6, s72
	s_addc_u32 s16, 0, s73
	s_add_u32 s6, s6, s7
	s_addc_u32 s7, s16, 0
	;; [unrolled: 2-line block ×5, first 2 shown]
	v_pk_mov_b32 v[2:3], s[90:91], s[90:91] op_sel:[0,1]
	v_pk_mov_b32 v[4:5], s[84:85], s[84:85] op_sel:[0,1]
	;; [unrolled: 1-line block ×3, first 2 shown]
	s_or_b64 s[12:13], vcc, s[12:13]
	v_pk_mov_b32 v[8:9], s[72:73], s[72:73] op_sel:[0,1]
	s_andn2_b64 exec, exec, s[12:13]
	s_cbranch_execnz .LBB192_42
; %bb.43:                               ;   in Loop: Header=BB192_6 Depth=1
	s_or_b64 exec, exec, s[12:13]
	s_mov_b64 s[94:95], s[68:69]
	v_readlane_b32 s89, v54, 47
.LBB192_44:                             ;   in Loop: Header=BB192_6 Depth=1
	s_or_b64 exec, exec, s[4:5]
	v_add_co_u32_e32 v32, vcc, v32, v0
	v_addc_co_u32_e32 v33, vcc, 0, v33, vcc
	v_cmp_gt_u64_e32 vcc, s[56:57], v[32:33]
	v_mov_b32_e32 v14, 0
	s_and_saveexec_b64 s[4:5], vcc
	s_cbranch_execz .LBB192_46
; %bb.45:                               ;   in Loop: Header=BB192_6 Depth=1
	v_mul_lo_u32 v14, v33, s62
	v_mul_lo_u32 v27, v32, s63
	v_mad_u64_u32 v[34:35], s[6:7], v32, s62, 0
	v_add3_u32 v35, v35, v27, v14
	v_lshlrev_b64 v[34:35], 2, v[34:35]
	v_mov_b32_e32 v14, s71
	v_add_co_u32_e64 v34, s[6:7], s70, v34
	v_addc_co_u32_e64 v35, s[6:7], v14, v35, s[6:7]
	global_load_dword v14, v[34:35], off
.LBB192_46:                             ;   in Loop: Header=BB192_6 Depth=1
	s_or_b64 exec, exec, s[4:5]
	s_and_saveexec_b64 s[4:5], vcc
	s_cbranch_execz .LBB192_53
; %bb.47:                               ;   in Loop: Header=BB192_6 Depth=1
	v_readlane_b32 s6, v54, 45
	s_and_b32 s16, s6, 0xfe
	s_mov_b64 s[12:13], 0
	s_branch .LBB192_49
.LBB192_48:                             ;   in Loop: Header=BB192_49 Depth=2
	s_or_b64 exec, exec, s[14:15]
	s_and_b64 s[6:7], exec, vcc
	s_waitcnt vmcnt(0)
	v_cmp_lt_i32_e32 vcc, -1, v14
	v_cndmask_b32_e32 v28, -1, v42, vcc
	v_xor_b32_e32 v28, v28, v14
	v_cmp_o_f32_e32 vcc, v14, v14
	v_cndmask_b32_e32 v14, -1, v28, vcc
	v_and_b32_e32 v28, v14, v44
	v_bfe_u32 v14, v14, s16, 2
	s_or_b64 s[12:13], s[6:7], s[12:13]
	v_cmp_eq_u32_e32 vcc, v28, v45
	v_cmp_eq_u32_e64 s[6:7], 0, v14
	s_and_b64 s[6:7], vcc, s[6:7]
	v_cndmask_b32_e64 v28, 0, 1, s[6:7]
	v_cmp_ne_u32_e64 s[6:7], 0, v28
	s_bcnt1_i32_b64 s6, s[6:7]
	v_add_co_u32_e64 v2, s[6:7], s6, v2
	v_addc_co_u32_e64 v3, s[6:7], 0, v3, s[6:7]
	v_cmp_eq_u32_e64 s[6:7], 1, v14
	s_and_b64 s[6:7], vcc, s[6:7]
	v_cndmask_b32_e64 v28, 0, 1, s[6:7]
	v_cmp_ne_u32_e64 s[6:7], 0, v28
	s_bcnt1_i32_b64 s6, s[6:7]
	v_add_co_u32_e64 v4, s[6:7], s6, v4
	v_addc_co_u32_e64 v5, s[6:7], 0, v5, s[6:7]
	;; [unrolled: 7-line block ×3, first 2 shown]
	v_cmp_eq_u32_e64 s[6:7], 3, v14
	s_and_b64 s[6:7], vcc, s[6:7]
	v_cndmask_b32_e64 v14, 0, 1, s[6:7]
	v_cmp_ne_u32_e32 vcc, 0, v14
	s_bcnt1_i32_b64 s6, vcc
	v_add_co_u32_e32 v8, vcc, s6, v8
	v_addc_co_u32_e32 v9, vcc, 0, v9, vcc
	v_mov_b32_e32 v14, v27
	s_andn2_b64 exec, exec, s[12:13]
	s_cbranch_execz .LBB192_52
.LBB192_49:                             ;   Parent Loop BB192_6 Depth=1
                                        ; =>  This Inner Loop Header: Depth=2
	v_mov_b32_e32 v27, s83
	v_add_co_u32_e32 v32, vcc, s3, v32
	v_addc_co_u32_e32 v33, vcc, v33, v27, vcc
	v_cmp_gt_u64_e64 s[6:7], s[56:57], v[32:33]
	v_cmp_le_u64_e32 vcc, s[56:57], v[32:33]
	v_mov_b32_e32 v27, 0
	s_and_saveexec_b64 s[14:15], s[6:7]
	s_cbranch_execz .LBB192_48
; %bb.50:                               ;   in Loop: Header=BB192_49 Depth=2
	v_mul_lo_u32 v27, v33, s62
	v_mul_lo_u32 v28, v32, s63
	v_mad_u64_u32 v[34:35], s[6:7], v32, s62, 0
	v_add3_u32 v35, v35, v28, v27
	v_lshlrev_b64 v[34:35], 2, v[34:35]
	v_mov_b32_e32 v27, s71
	v_add_co_u32_e64 v34, s[6:7], s70, v34
	v_addc_co_u32_e64 v35, s[6:7], v27, v35, s[6:7]
	global_load_dword v27, v[34:35], off
	s_branch .LBB192_48
.LBB192_51:                             ;   in Loop: Header=BB192_6 Depth=1
                                        ; implicit-def: $vgpr8_vgpr9
                                        ; implicit-def: $vgpr4_vgpr5
	s_cbranch_execnz .LBB192_54
	s_branch .LBB192_63
.LBB192_52:                             ;   in Loop: Header=BB192_6 Depth=1
	s_or_b64 exec, exec, s[12:13]
.LBB192_53:                             ;   in Loop: Header=BB192_6 Depth=1
	s_or_b64 exec, exec, s[4:5]
	s_branch .LBB192_63
.LBB192_54:                             ;   in Loop: Header=BB192_6 Depth=1
	v_readlane_b32 s4, v54, 34
	v_readlane_b32 s5, v54, 35
	s_nop 4
	global_load_ushort v8, v15, s[4:5]
	s_mov_b64 s[4:5], 0
	s_waitcnt vmcnt(0)
	v_readfirstlane_b32 s3, v8
	s_and_b32 s3, 0xffff, s3
	s_lshl_b32 s90, s3, 2
	v_cvt_f32_u32_e32 v2, s90
	s_sub_i32 s3, 0, s90
	v_and_b32_e32 v27, 0xffff, v8
	v_rcp_iflag_f32_e32 v6, v2
	v_pk_mov_b32 v[2:3], 0, 0
	v_pk_mov_b32 v[4:5], v[2:3], v[2:3] op_sel:[0,1]
	v_mul_f32_e32 v6, 0x4f7ffffe, v6
	v_cvt_u32_f32_e32 v9, v6
	v_pk_mov_b32 v[6:7], v[2:3], v[2:3] op_sel:[0,1]
	v_readfirstlane_b32 s6, v9
	s_mul_i32 s3, s3, s6
	s_mul_hi_u32 s3, s6, s3
	s_add_i32 s6, s6, s3
	s_mul_hi_u32 s3, s2, s6
	s_mul_i32 s3, s3, s90
	s_sub_i32 s3, s2, s3
	s_sub_i32 s6, s3, s90
	s_cmp_ge_u32 s3, s90
	s_cselect_b32 s3, s6, s3
	s_sub_i32 s6, s3, s90
	s_cmp_ge_u32 s3, s90
	s_cselect_b32 s3, s6, s3
	s_sub_i32 s82, s2, s3
	v_cmp_gt_u32_e32 vcc, s82, v16
	v_pk_mov_b32 v[8:9], v[2:3], v[2:3] op_sel:[0,1]
	s_and_saveexec_b64 s[12:13], vcc
	s_cbranch_execz .LBB192_58
; %bb.55:                               ;   in Loop: Header=BB192_6 Depth=1
	v_readlane_b32 s3, v54, 45
	s_and_b32 s3, s3, 0xfe
	v_lshlrev_b32_e32 v14, 4, v27
	v_mov_b32_e32 v28, v40
	s_mov_b64 s[72:73], 0
	s_mov_b64 s[78:79], 0
	;; [unrolled: 1-line block ×4, first 2 shown]
	v_pk_mov_b32 v[32:33], v[16:17], v[16:17] op_sel:[0,1]
.LBB192_56:                             ;   Parent Loop BB192_6 Depth=1
                                        ; =>  This Inner Loop Header: Depth=2
	ds_read_b128 v[2:5], v28
	v_add_co_u32_e32 v32, vcc, s90, v32
	v_addc_co_u32_e32 v33, vcc, 0, v33, vcc
	s_waitcnt lgkmcnt(0)
	v_cmp_lt_i32_e64 s[6:7], -1, v2
	v_cndmask_b32_e64 v6, -1, v42, s[6:7]
	v_cmp_lt_i32_e64 s[6:7], -1, v3
	v_cndmask_b32_e64 v7, -1, v42, s[6:7]
	;; [unrolled: 2-line block ×4, first 2 shown]
	v_xor_b32_e32 v7, v7, v3
	v_cmp_o_f32_e64 s[6:7], v3, v3
	v_xor_b32_e32 v3, v8, v4
	v_cmp_o_f32_e64 s[14:15], v4, v4
	;; [unrolled: 2-line block ×4, first 2 shown]
	v_cndmask_b32_e64 v2, -1, v5, s[18:19]
	v_cndmask_b32_e64 v5, -1, v7, s[6:7]
	v_and_b32_e32 v6, v2, v44
	v_bfe_u32 v2, v2, s3, 2
	v_cndmask_b32_e64 v3, -1, v3, s[14:15]
	v_and_b32_e32 v7, v5, v44
	v_bfe_u32 v5, v5, s3, 2
	v_cmp_eq_u32_e64 s[20:21], v6, v45
	v_cmp_eq_u32_e64 s[6:7], 0, v2
	v_cndmask_b32_e64 v4, -1, v4, s[16:17]
	v_and_b32_e32 v8, v3, v44
	v_bfe_u32 v3, v3, s3, 2
	v_cmp_eq_u32_e64 s[18:19], v7, v45
	v_cmp_eq_u32_e64 s[34:35], 0, v5
	s_and_b64 s[6:7], s[20:21], s[6:7]
	v_and_b32_e32 v9, v4, v44
	v_bfe_u32 v4, v4, s3, 2
	v_cmp_eq_u32_e64 s[16:17], v8, v45
	v_cmp_eq_u32_e64 s[36:37], 0, v3
	;; [unrolled: 1-line block ×5, first 2 shown]
	v_cndmask_b32_e64 v2, 0, 1, s[6:7]
	s_and_b64 s[6:7], s[18:19], s[34:35]
	v_cmp_eq_u32_e64 s[14:15], v9, v45
	v_cmp_eq_u32_e64 s[38:39], 0, v4
	;; [unrolled: 1-line block ×5, first 2 shown]
	v_cndmask_b32_e64 v3, 0, 1, s[6:7]
	s_and_b64 s[6:7], s[16:17], s[36:37]
	v_cmp_eq_u32_e64 s[46:47], 1, v4
	v_cmp_eq_u32_e64 s[54:55], 2, v4
	;; [unrolled: 1-line block ×3, first 2 shown]
	v_cndmask_b32_e64 v4, 0, 1, s[6:7]
	s_and_b64 s[6:7], s[14:15], s[38:39]
	v_cmp_eq_u32_e64 s[42:43], 1, v5
	v_cmp_eq_u32_e64 s[50:51], 2, v5
	;; [unrolled: 1-line block ×3, first 2 shown]
	v_cndmask_b32_e64 v5, 0, 1, s[6:7]
	v_cmp_ne_u32_e64 s[6:7], 0, v2
	v_cmp_ne_u32_e64 s[34:35], 0, v3
	v_cmp_ne_u32_e64 s[36:37], 0, v4
	v_cmp_ne_u32_e64 s[38:39], 0, v5
	s_bcnt1_i32_b64 s6, s[6:7]
	s_bcnt1_i32_b64 s7, s[34:35]
	s_bcnt1_i32_b64 s34, s[36:37]
	s_bcnt1_i32_b64 s35, s[38:39]
	s_add_u32 s6, s6, s84
	s_addc_u32 s36, 0, s85
	s_add_u32 s6, s6, s7
	s_addc_u32 s7, s36, 0
	s_add_u32 s6, s6, s34
	s_addc_u32 s7, s7, 0
	s_add_u32 s84, s6, s35
	s_addc_u32 s85, s7, 0
	s_and_b64 s[6:7], s[20:21], s[40:41]
	v_cndmask_b32_e64 v4, 0, 1, s[6:7]
	s_and_b64 s[6:7], s[18:19], s[42:43]
	v_cndmask_b32_e64 v5, 0, 1, s[6:7]
	s_and_b64 s[6:7], s[16:17], s[44:45]
	v_cndmask_b32_e64 v6, 0, 1, s[6:7]
	s_and_b64 s[6:7], s[14:15], s[46:47]
	v_cndmask_b32_e64 v7, 0, 1, s[6:7]
	v_cmp_ne_u32_e64 s[6:7], 0, v4
	v_cmp_ne_u32_e64 s[34:35], 0, v5
	v_cmp_ne_u32_e64 s[36:37], 0, v6
	v_cmp_ne_u32_e64 s[38:39], 0, v7
	s_bcnt1_i32_b64 s6, s[6:7]
	s_bcnt1_i32_b64 s7, s[34:35]
	s_bcnt1_i32_b64 s34, s[36:37]
	s_bcnt1_i32_b64 s35, s[38:39]
	s_add_u32 s6, s6, s80
	s_addc_u32 s36, 0, s81
	s_add_u32 s6, s6, s7
	s_addc_u32 s7, s36, 0
	s_add_u32 s6, s6, s34
	s_addc_u32 s7, s7, 0
	s_add_u32 s80, s6, s35
	s_addc_u32 s81, s7, 0
	s_and_b64 s[6:7], s[20:21], s[48:49]
	v_cndmask_b32_e64 v6, 0, 1, s[6:7]
	s_and_b64 s[6:7], s[18:19], s[50:51]
	v_cndmask_b32_e64 v7, 0, 1, s[6:7]
	s_and_b64 s[6:7], s[16:17], s[52:53]
	v_cndmask_b32_e64 v8, 0, 1, s[6:7]
	s_and_b64 s[6:7], s[14:15], s[54:55]
	;; [unrolled: 24-line block ×3, first 2 shown]
	v_cndmask_b32_e64 v35, 0, 1, s[6:7]
	v_cmp_ne_u32_e64 s[6:7], 0, v8
	v_cmp_ne_u32_e64 s[14:15], 0, v9
	v_cmp_ne_u32_e64 s[16:17], 0, v34
	v_cmp_ne_u32_e64 s[18:19], 0, v35
	s_bcnt1_i32_b64 s6, s[6:7]
	s_bcnt1_i32_b64 s7, s[14:15]
	;; [unrolled: 1-line block ×4, first 2 shown]
	s_add_u32 s6, s6, s72
	s_addc_u32 s16, 0, s73
	s_add_u32 s6, s6, s7
	s_addc_u32 s7, s16, 0
	;; [unrolled: 2-line block ×3, first 2 shown]
	s_add_u32 s72, s6, s15
	v_cmp_le_u64_e32 vcc, s[82:83], v[32:33]
	s_addc_u32 s73, s7, 0
	v_add_u32_e32 v28, v28, v14
	v_pk_mov_b32 v[2:3], s[84:85], s[84:85] op_sel:[0,1]
	v_pk_mov_b32 v[4:5], s[80:81], s[80:81] op_sel:[0,1]
	;; [unrolled: 1-line block ×3, first 2 shown]
	s_or_b64 s[4:5], vcc, s[4:5]
	v_pk_mov_b32 v[8:9], s[72:73], s[72:73] op_sel:[0,1]
	s_andn2_b64 exec, exec, s[4:5]
	s_cbranch_execnz .LBB192_56
; %bb.57:                               ;   in Loop: Header=BB192_6 Depth=1
	s_or_b64 exec, exec, s[4:5]
.LBB192_58:                             ;   in Loop: Header=BB192_6 Depth=1
	s_or_b64 exec, exec, s[12:13]
	v_add_u32_e32 v14, s82, v0
	v_cmp_gt_u32_e32 vcc, s2, v14
	s_and_saveexec_b64 s[4:5], vcc
	s_cbranch_execz .LBB192_62
; %bb.59:                               ;   in Loop: Header=BB192_6 Depth=1
	s_and_b32 s82, s2, 0x7fffffff
	v_readlane_b32 s2, v54, 45
	s_and_b32 s12, s2, 0xfe
	v_lshlrev_b32_e32 v28, 2, v14
	s_mov_b64 s[2:3], 0
	v_pk_mov_b32 v[32:33], v[14:15], v[14:15] op_sel:[0,1]
.LBB192_60:                             ;   Parent Loop BB192_6 Depth=1
                                        ; =>  This Inner Loop Header: Depth=2
	ds_read_b32 v14, v28
	v_add_co_u32_e32 v32, vcc, v32, v27
	v_addc_co_u32_e32 v33, vcc, 0, v33, vcc
	s_waitcnt lgkmcnt(0)
	v_cmp_lt_i32_e64 s[6:7], -1, v14
	v_cndmask_b32_e64 v34, -1, v42, s[6:7]
	v_xor_b32_e32 v34, v34, v14
	v_cmp_o_f32_e64 s[6:7], v14, v14
	v_cndmask_b32_e64 v14, -1, v34, s[6:7]
	v_and_b32_e32 v34, v14, v44
	v_bfe_u32 v14, v14, s12, 2
	v_cmp_eq_u32_e64 s[6:7], v34, v45
	v_cmp_eq_u32_e64 s[14:15], 0, v14
	;; [unrolled: 1-line block ×3, first 2 shown]
	s_and_b64 s[14:15], s[6:7], s[14:15]
	v_cmp_eq_u32_e64 s[18:19], 2, v14
	v_cmp_eq_u32_e64 s[20:21], 3, v14
	v_cndmask_b32_e64 v14, 0, 1, s[14:15]
	s_and_b64 s[14:15], s[6:7], s[16:17]
	v_cndmask_b32_e64 v34, 0, 1, s[14:15]
	s_and_b64 s[14:15], s[6:7], s[18:19]
	s_and_b64 s[6:7], s[6:7], s[20:21]
	v_cndmask_b32_e64 v35, 0, 1, s[14:15]
	v_cndmask_b32_e64 v46, 0, 1, s[6:7]
	v_cmp_ne_u32_e64 s[6:7], 0, v14
	v_cmp_ne_u32_e64 s[14:15], 0, v34
	;; [unrolled: 1-line block ×4, first 2 shown]
	v_cmp_le_u64_e32 vcc, s[82:83], v[32:33]
	s_bcnt1_i32_b64 s6, s[6:7]
	s_bcnt1_i32_b64 s7, s[14:15]
	s_bcnt1_i32_b64 s13, s[16:17]
	s_bcnt1_i32_b64 s14, s[18:19]
	s_or_b64 s[2:3], vcc, s[2:3]
	v_add_co_u32_e32 v2, vcc, s6, v2
	v_addc_co_u32_e32 v3, vcc, 0, v3, vcc
	v_add_co_u32_e32 v4, vcc, s7, v4
	v_addc_co_u32_e32 v5, vcc, 0, v5, vcc
	;; [unrolled: 2-line block ×3, first 2 shown]
	v_add_co_u32_e32 v8, vcc, s14, v8
	v_add_u32_e32 v28, s90, v28
	v_addc_co_u32_e32 v9, vcc, 0, v9, vcc
	s_andn2_b64 exec, exec, s[2:3]
	s_cbranch_execnz .LBB192_60
; %bb.61:                               ;   in Loop: Header=BB192_6 Depth=1
	s_or_b64 exec, exec, s[2:3]
.LBB192_62:                             ;   in Loop: Header=BB192_6 Depth=1
	s_or_b64 exec, exec, s[4:5]
.LBB192_63:                             ;   in Loop: Header=BB192_6 Depth=1
	v_readlane_b32 s2, v54, 46
	s_lshl_b32 s4, s2, 6
	s_and_saveexec_b64 s[2:3], s[94:95]
	s_cbranch_execz .LBB192_65
; %bb.64:                               ;   in Loop: Header=BB192_6 Depth=1
	s_waitcnt vmcnt(0)
	v_or_b32_e32 v14, s4, v38
	v_lshlrev_b32_e32 v14, 3, v14
	ds_write_b128 v14, v[2:5] offset:3072
	ds_write_b128 v14, v[6:9] offset:3088
.LBB192_65:                             ;   in Loop: Header=BB192_6 Depth=1
	s_or_b64 exec, exec, s[2:3]
	s_waitcnt lgkmcnt(0)
	s_barrier
	s_mov_b64 s[2:3], exec
	v_readlane_b32 s6, v54, 20
	v_readlane_b32 s7, v54, 21
	s_and_b64 s[6:7], s[2:3], s[6:7]
	s_mov_b64 exec, s[6:7]
	s_cbranch_execz .LBB192_77
; %bb.66:                               ;   in Loop: Header=BB192_6 Depth=1
	v_readlane_b32 s6, v54, 28
	v_readlane_b32 s7, v54, 29
	s_andn2_b64 vcc, exec, s[6:7]
	v_pk_mov_b32 v[2:3], 0, 0
	s_cbranch_vccnz .LBB192_76
; %bb.67:                               ;   in Loop: Header=BB192_6 Depth=1
	v_readlane_b32 s6, v54, 36
	v_readlane_b32 s7, v54, 37
	s_andn2_b64 vcc, exec, s[6:7]
	s_cbranch_vccnz .LBB192_72
; %bb.68:                               ;   in Loop: Header=BB192_6 Depth=1
	v_readlane_b32 s5, v54, 46
	v_lshl_add_u32 v4, s5, 9, v41
	s_mov_b32 s5, 0
	v_pk_mov_b32 v[2:3], 0, 0
.LBB192_69:                             ;   Parent Loop BB192_6 Depth=1
                                        ; =>  This Inner Loop Header: Depth=2
	s_waitcnt vmcnt(0)
	ds_read2_b64 v[6:9], v4 offset1:4
	ds_read2_b64 v[32:35], v4 offset0:8 offset1:12
	ds_read2_b64 v[46:49], v4 offset0:16 offset1:20
	;; [unrolled: 1-line block ×3, first 2 shown]
	s_add_i32 s5, s5, 8
	s_waitcnt lgkmcnt(3)
	v_add_co_u32_e32 v2, vcc, v6, v2
	v_addc_co_u32_e32 v3, vcc, v7, v3, vcc
	v_add_co_u32_e32 v2, vcc, v8, v2
	v_addc_co_u32_e32 v3, vcc, v9, v3, vcc
	s_waitcnt lgkmcnt(2)
	v_add_co_u32_e32 v2, vcc, v32, v2
	v_addc_co_u32_e32 v3, vcc, v33, v3, vcc
	v_add_co_u32_e32 v2, vcc, v34, v2
	v_addc_co_u32_e32 v3, vcc, v35, v3, vcc
	;; [unrolled: 5-line block ×3, first 2 shown]
	s_waitcnt lgkmcnt(0)
	v_add_co_u32_e32 v2, vcc, v50, v2
	v_addc_co_u32_e32 v3, vcc, v51, v3, vcc
	v_add_co_u32_e32 v2, vcc, v52, v2
	v_add_u32_e32 v4, 0x100, v4
	s_cmp_eq_u32 s1, s5
	v_addc_co_u32_e32 v3, vcc, v53, v3, vcc
	s_cbranch_scc0 .LBB192_69
; %bb.70:                               ;   in Loop: Header=BB192_6 Depth=1
	s_mov_b32 s5, s1
	s_branch .LBB192_73
.LBB192_71:                             ;   in Loop: Header=BB192_6 Depth=1
                                        ; implicit-def: $vgpr2_vgpr3
	s_branch .LBB192_39
.LBB192_72:                             ;   in Loop: Header=BB192_6 Depth=1
	s_mov_b32 s5, 0
	v_pk_mov_b32 v[2:3], 0, 0
.LBB192_73:                             ;   in Loop: Header=BB192_6 Depth=1
	v_readlane_b32 s6, v54, 39
	v_readlane_b32 s7, v54, 40
	s_andn2_b64 vcc, exec, s[6:7]
	s_cbranch_vccnz .LBB192_76
; %bb.74:                               ;   in Loop: Header=BB192_6 Depth=1
	v_readlane_b32 s6, v54, 46
	s_lshl_b32 s6, s6, 9
	s_lshl_b32 s5, s5, 5
	s_add_i32 s6, s6, s5
	v_add_u32_e32 v4, s6, v41
	v_readlane_b32 s5, v54, 38
.LBB192_75:                             ;   Parent Loop BB192_6 Depth=1
                                        ; =>  This Inner Loop Header: Depth=2
	s_waitcnt vmcnt(0)
	ds_read_b64 v[6:7], v4
	s_add_i32 s5, s5, -1
	v_add_u32_e32 v4, 32, v4
	s_cmp_lg_u32 s5, 0
	s_waitcnt lgkmcnt(0)
	v_add_co_u32_e32 v2, vcc, v6, v2
	v_addc_co_u32_e32 v3, vcc, v7, v3, vcc
	s_cbranch_scc1 .LBB192_75
.LBB192_76:                             ;   in Loop: Header=BB192_6 Depth=1
	v_add_lshl_u32 v4, s4, v37, 3
	ds_write_b64 v4, v[2:3] offset:3072
.LBB192_77:                             ;   in Loop: Header=BB192_6 Depth=1
	s_or_b64 exec, exec, s[2:3]
	s_lshl_b32 s2, s4, 3
	s_waitcnt vmcnt(0)
	v_mov_b32_e32 v6, s2
	s_waitcnt lgkmcnt(0)
	s_barrier
	ds_read_b128 v[2:5], v6 offset:3072
	ds_read_b128 v[6:9], v6 offset:3088
	v_readlane_b32 s2, v54, 45
	s_and_b32 s91, s2, 0xfe
	v_readlane_b32 s2, v54, 18
	s_lshl_b32 s82, 3, s91
	v_readlane_b32 s3, v54, 19
	s_waitcnt lgkmcnt(1)
	v_readfirstlane_b32 s17, v3
	v_readfirstlane_b32 s16, v2
	;; [unrolled: 1-line block ×4, first 2 shown]
	s_waitcnt lgkmcnt(0)
	v_readfirstlane_b32 s23, v7
	v_readfirstlane_b32 s22, v6
	;; [unrolled: 1-line block ×4, first 2 shown]
	s_not_b32 s90, s82
	s_andn2_b64 vcc, exec, s[2:3]
	v_cmp_eq_u64_e64 s[14:15], 1, v[30:31]
	s_cbranch_vccnz .LBB192_93
; %bb.78:                               ;   in Loop: Header=BB192_6 Depth=1
	s_cmp_eq_u64 s[16:17], 1
	s_cselect_b64 s[2:3], -1, 0
	s_and_b64 s[2:3], s[2:3], s[14:15]
	s_mov_b64 s[6:7], -1
	v_mov_b32_e32 v28, v45
	v_mov_b32_e32 v34, v44
	;; [unrolled: 1-line block ×3, first 2 shown]
                                        ; implicit-def: $sgpr20_sgpr21
                                        ; implicit-def: $sgpr36_sgpr37
                                        ; implicit-def: $sgpr34_sgpr35
	s_and_saveexec_b64 s[4:5], s[2:3]
	s_cbranch_execz .LBB192_115
; %bb.79:                               ;   in Loop: Header=BB192_6 Depth=1
	ds_read_b64 v[2:3], v15 offset:5120
	s_waitcnt lgkmcnt(0)
	s_barrier
	v_readfirstlane_b32 s12, v2
	v_readfirstlane_b32 s13, v3
	s_mov_b64 s[6:7], exec
	v_readlane_b32 s20, v54, 26
	v_readlane_b32 s21, v54, 27
	s_and_b64 s[20:21], s[6:7], s[20:21]
	s_mov_b64 exec, s[20:21]
	s_cbranch_execz .LBB192_81
; %bb.80:                               ;   in Loop: Header=BB192_6 Depth=1
	ds_write_b32 v39, v15
.LBB192_81:                             ;   in Loop: Header=BB192_6 Depth=1
	s_or_b64 exec, exec, s[6:7]
	v_and_b32_e32 v28, s90, v45
	v_or_b32_e32 v34, s82, v44
	s_cmp_eq_u64 s[12:13], 0
	s_waitcnt lgkmcnt(0)
	s_barrier
	s_cbranch_scc1 .LBB192_98
; %bb.82:                               ;   in Loop: Header=BB192_6 Depth=1
	v_readlane_b32 s6, v54, 30
	s_add_u32 s26, s6, s12
	v_readlane_b32 s6, v54, 31
	s_addc_u32 s7, s6, s13
	s_mov_b32 s6, s83
	s_cmp_lg_u64 s[6:7], 0
	s_cbranch_scc0 .LBB192_142
; %bb.83:                               ;   in Loop: Header=BB192_6 Depth=1
	v_cvt_f32_u32_e32 v2, s33
	s_sub_u32 s6, 0, s33
	s_subb_u32 s20, 0, 0
	v_mac_f32_e32 v2, 0, v43
	v_rcp_f32_e32 v2, v2
	v_mul_f32_e32 v2, 0x5f7ffffc, v2
	v_mul_f32_e32 v3, 0x2f800000, v2
	v_trunc_f32_e32 v3, v3
	v_mac_f32_e32 v2, 0xcf800000, v3
	v_cvt_u32_f32_e32 v3, v3
	v_cvt_u32_f32_e32 v2, v2
	v_readfirstlane_b32 s21, v3
	v_readfirstlane_b32 s27, v2
	s_mul_i32 s28, s6, s21
	s_mul_hi_u32 s34, s6, s27
	s_mul_i32 s29, s20, s27
	s_add_i32 s28, s34, s28
	s_mul_i32 s35, s6, s27
	s_add_i32 s28, s28, s29
	s_mul_hi_u32 s34, s27, s35
	s_mul_hi_u32 s29, s27, s28
	s_mul_i32 s27, s27, s28
	s_add_u32 s27, s34, s27
	s_addc_u32 s29, 0, s29
	s_mul_hi_u32 s36, s21, s35
	s_mul_i32 s35, s21, s35
	s_add_u32 s27, s27, s35
	s_mul_hi_u32 s34, s21, s28
	s_addc_u32 s27, s29, s36
	s_addc_u32 s29, s34, 0
	s_mul_i32 s28, s21, s28
	s_add_u32 s27, s27, s28
	s_addc_u32 s28, 0, s29
	v_add_co_u32_e32 v2, vcc, s27, v2
	s_cmp_lg_u64 vcc, 0
	s_addc_u32 s21, s21, s28
	v_readfirstlane_b32 s28, v2
	s_mul_i32 s27, s6, s21
	s_mul_hi_u32 s29, s6, s28
	s_add_i32 s27, s29, s27
	s_mul_i32 s20, s20, s28
	s_add_i32 s27, s27, s20
	s_mul_i32 s6, s6, s28
	s_mul_hi_u32 s29, s21, s6
	s_mul_i32 s34, s21, s6
	s_mul_i32 s36, s28, s27
	s_mul_hi_u32 s6, s28, s6
	s_mul_hi_u32 s35, s28, s27
	s_add_u32 s6, s6, s36
	s_addc_u32 s28, 0, s35
	s_add_u32 s6, s6, s34
	s_mul_hi_u32 s20, s21, s27
	s_addc_u32 s6, s28, s29
	s_addc_u32 s20, s20, 0
	s_mul_i32 s27, s21, s27
	s_add_u32 s6, s6, s27
	s_addc_u32 s20, 0, s20
	v_add_co_u32_e32 v2, vcc, s6, v2
	s_cmp_lg_u64 vcc, 0
	s_addc_u32 s6, s21, s20
	v_readfirstlane_b32 s27, v2
	s_mul_i32 s21, s26, s6
	s_mul_hi_u32 s28, s26, s27
	s_mul_hi_u32 s20, s26, s6
	s_add_u32 s21, s28, s21
	s_addc_u32 s20, 0, s20
	s_mul_hi_u32 s29, s7, s27
	s_mul_i32 s27, s7, s27
	s_add_u32 s21, s21, s27
	s_mul_hi_u32 s28, s7, s6
	s_addc_u32 s20, s20, s29
	s_addc_u32 s21, s28, 0
	s_mul_i32 s6, s7, s6
	s_add_u32 s6, s20, s6
	s_addc_u32 s20, 0, s21
	s_mul_hi_u32 s21, s33, s6
	s_mul_i32 s6, s33, s6
	s_mul_i32 s20, s33, s20
	v_mov_b32_e32 v2, s6
	s_add_i32 s21, s21, s20
	v_sub_co_u32_e32 v2, vcc, s26, v2
	s_cmp_lg_u64 vcc, 0
	s_subb_u32 s6, s7, s21
	v_subrev_co_u32_e32 v3, vcc, s33, v2
	s_cmp_lg_u64 vcc, 0
	s_subb_u32 s20, s6, 0
	v_subrev_co_u32_e32 v4, vcc, s33, v3
	s_cmp_lg_u64 vcc, 0
	s_subb_u32 s21, s20, 0
	v_cmp_le_u32_e32 vcc, s33, v3
	s_cmp_eq_u32 s20, 0
	v_cndmask_b32_e64 v5, 0, -1, vcc
	s_cselect_b64 vcc, -1, 0
	v_cndmask_b32_e32 v5, -1, v5, vcc
	v_mov_b32_e32 v6, s20
	v_mov_b32_e32 v7, s21
	v_cmp_ne_u32_e32 vcc, 0, v5
	v_cndmask_b32_e32 v5, v6, v7, vcc
	v_cndmask_b32_e32 v4, v3, v4, vcc
	v_cmp_le_u32_e32 vcc, s33, v2
	s_cmp_eq_u32 s6, 0
	v_cndmask_b32_e64 v3, 0, -1, vcc
	s_cselect_b64 vcc, -1, 0
	v_cndmask_b32_e32 v3, -1, v3, vcc
	v_mov_b32_e32 v6, s6
	v_cmp_ne_u32_e32 vcc, 0, v3
	v_cndmask_b32_e32 v3, v6, v5, vcc
	v_cndmask_b32_e32 v2, v2, v4, vcc
	s_cbranch_execnz .LBB192_85
.LBB192_84:                             ;   in Loop: Header=BB192_6 Depth=1
	v_cvt_f32_u32_e32 v2, s33
	s_sub_i32 s6, 0, s33
	v_rcp_iflag_f32_e32 v2, v2
	v_mul_f32_e32 v2, 0x4f7ffffe, v2
	v_cvt_u32_f32_e32 v2, v2
	v_mul_lo_u32 v3, s6, v2
	v_mul_hi_u32 v3, v2, v3
	v_add_u32_e32 v2, v2, v3
	v_mul_hi_u32 v2, s26, v2
	v_mul_lo_u32 v2, v2, s33
	v_sub_u32_e32 v2, s26, v2
	v_subrev_u32_e32 v3, s33, v2
	v_cmp_le_u32_e32 vcc, s33, v2
	v_cndmask_b32_e32 v2, v2, v3, vcc
	v_subrev_u32_e32 v3, s33, v2
	v_cmp_le_u32_e32 vcc, s33, v2
	v_cndmask_b32_e32 v14, v2, v3, vcc
	v_pk_mov_b32 v[2:3], v[14:15], v[14:15] op_sel:[0,1]
.LBB192_85:                             ;   in Loop: Header=BB192_6 Depth=1
	v_mov_b32_e32 v4, s7
	v_sub_co_u32_e32 v2, vcc, s26, v2
	v_subb_co_u32_e32 v3, vcc, v4, v3, vcc
	v_cmp_gt_u64_e32 vcc, v[2:3], v[0:1]
	s_mov_b64 s[6:7], 0
                                        ; implicit-def: $vgpr5
	s_and_saveexec_b64 s[20:21], vcc
	s_cbranch_execz .LBB192_100
; %bb.86:                               ;   in Loop: Header=BB192_6 Depth=1
	s_mov_b64 s[26:27], 0
	v_mov_b32_e32 v8, v16
	v_pk_mov_b32 v[6:7], v[0:1], v[0:1] op_sel:[0,1]
                                        ; implicit-def: $sgpr28_sgpr29
	s_branch .LBB192_88
.LBB192_87:                             ;   in Loop: Header=BB192_88 Depth=2
	s_or_b64 exec, exec, s[6:7]
	s_waitcnt lgkmcnt(0)
	s_barrier
	ds_read_b64 v[4:5], v15 offset:3072
	v_add_co_u32_e64 v6, s[6:7], s33, v6
	v_add_u32_e32 v8, s88, v8
	s_waitcnt lgkmcnt(0)
	v_cmp_neq_f32_e32 vcc, 0, v4
	v_mov_b32_e32 v4, s0
	v_addc_co_u32_e64 v7, s[6:7], v7, v4, s[6:7]
	v_cmp_ge_u64_e64 s[6:7], v[6:7], v[2:3]
	s_or_b64 s[6:7], s[6:7], vcc
	s_and_b64 s[6:7], exec, s[6:7]
	s_or_b64 s[26:27], s[6:7], s[26:27]
	s_andn2_b64 s[6:7], s[28:29], exec
	s_and_b64 s[28:29], vcc, exec
	s_or_b64 s[28:29], s[6:7], s[28:29]
	s_barrier
	s_andn2_b64 exec, exec, s[26:27]
	s_cbranch_execz .LBB192_99
.LBB192_88:                             ;   Parent Loop BB192_6 Depth=1
                                        ; =>  This Inner Loop Header: Depth=2
	v_cmp_gt_u64_e32 vcc, s[12:13], v[6:7]
	v_mov_b32_e32 v27, 0
	s_and_saveexec_b64 s[6:7], vcc
	s_cbranch_execz .LBB192_90
; %bb.89:                               ;   in Loop: Header=BB192_88 Depth=2
	ds_read_b32 v27, v8
.LBB192_90:                             ;   in Loop: Header=BB192_88 Depth=2
	s_or_b64 exec, exec, s[6:7]
	s_and_saveexec_b64 s[6:7], vcc
	s_cbranch_execz .LBB192_87
; %bb.91:                               ;   in Loop: Header=BB192_88 Depth=2
	s_waitcnt lgkmcnt(0)
	v_cmp_lt_i32_e32 vcc, -1, v27
	v_cndmask_b32_e32 v4, -1, v42, vcc
	v_xor_b32_e32 v4, v4, v27
	v_cmp_o_f32_e32 vcc, v27, v27
	v_cndmask_b32_e32 v4, -1, v4, vcc
	v_and_b32_e32 v4, v4, v34
	v_cmp_eq_u32_e32 vcc, v4, v28
	s_and_b64 exec, exec, vcc
	s_cbranch_execz .LBB192_87
; %bb.92:                               ;   in Loop: Header=BB192_88 Depth=2
	ds_write_b64 v15, v[26:27] offset:3072
	s_branch .LBB192_87
.LBB192_93:                             ;   in Loop: Header=BB192_6 Depth=1
	s_mov_b64 s[28:29], 0
	s_mov_b64 s[26:27], 0
                                        ; implicit-def: $sgpr34_sgpr35
                                        ; implicit-def: $sgpr36_sgpr37
                                        ; implicit-def: $sgpr20_sgpr21
                                        ; implicit-def: $vgpr8
                                        ; implicit-def: $vgpr2_vgpr3
                                        ; implicit-def: $vgpr28
                                        ; implicit-def: $vgpr34
                                        ; implicit-def: $vgpr5
	s_cbranch_execnz .LBB192_279
.LBB192_94:                             ;   in Loop: Header=BB192_6 Depth=1
	s_mov_b64 s[14:15], s[20:21]
	s_mov_b64 s[38:39], s[20:21]
	s_and_saveexec_b64 s[2:3], s[28:29]
	s_cbranch_execnz .LBB192_475
	s_branch .LBB192_476
.LBB192_95:                             ;   in Loop: Header=BB192_6 Depth=1
	s_or_b64 exec, exec, s[4:5]
	s_waitcnt lgkmcnt(0)
	s_barrier
	s_mov_b64 s[4:5], exec
	v_readlane_b32 s6, v54, 8
	v_readlane_b32 s7, v54, 9
	s_and_b64 s[6:7], s[4:5], s[6:7]
	s_mov_b64 exec, s[6:7]
	s_cbranch_execz .LBB192_97
; %bb.96:                               ;   in Loop: Header=BB192_6 Depth=1
	ds_read_b32 v2, v15 offset:5144
	s_waitcnt lgkmcnt(0)
	v_ashrrev_i32_e32 v3, 31, v2
	ds_write_b64 v15, v[2:3] offset:5120
.LBB192_97:                             ;   in Loop: Header=BB192_6 Depth=1
	s_or_b64 exec, exec, s[4:5]
	s_waitcnt lgkmcnt(0)
	s_barrier
	s_mov_b64 s[4:5], -1
	s_and_b64 vcc, exec, s[2:3]
	s_cbranch_vccnz .LBB192_24
	s_branch .LBB192_34
.LBB192_98:                             ;   in Loop: Header=BB192_6 Depth=1
	s_mov_b64 s[20:21], -1
	s_mov_b64 s[6:7], 0
                                        ; implicit-def: $sgpr34_sgpr35
                                        ; implicit-def: $vgpr5
	s_mov_b64 s[36:37], s[20:21]
	s_cbranch_execnz .LBB192_101
	s_branch .LBB192_114
.LBB192_99:                             ;   in Loop: Header=BB192_6 Depth=1
	s_or_b64 exec, exec, s[26:27]
	s_and_b64 s[6:7], s[28:29], exec
.LBB192_100:                            ;   in Loop: Header=BB192_6 Depth=1
	s_or_b64 exec, exec, s[20:21]
	s_mov_b64 s[34:35], -1
	s_mov_b64 s[20:21], 0
	s_mov_b64 s[36:37], s[20:21]
	s_branch .LBB192_114
.LBB192_101:                            ;   in Loop: Header=BB192_6 Depth=1
	v_readlane_b32 s28, v54, 32
	v_readlane_b32 s29, v54, 33
	s_mov_b32 s28, s83
	s_cmp_lg_u64 s[28:29], 0
	v_writelane_b32 v54, s28, 32
	v_writelane_b32 v54, s29, 33
	s_cbranch_scc0 .LBB192_143
; %bb.102:                              ;   in Loop: Header=BB192_6 Depth=1
	v_cvt_f32_u32_e32 v2, s33
	s_sub_u32 s6, 0, s33
	s_subb_u32 s7, 0, 0
	v_mac_f32_e32 v2, 0, v43
	v_rcp_f32_e32 v2, v2
	v_mul_f32_e32 v2, 0x5f7ffffc, v2
	v_mul_f32_e32 v3, 0x2f800000, v2
	v_trunc_f32_e32 v3, v3
	v_mac_f32_e32 v2, 0xcf800000, v3
	v_cvt_u32_f32_e32 v3, v3
	v_cvt_u32_f32_e32 v2, v2
	v_readfirstlane_b32 s12, v3
	v_readfirstlane_b32 s13, v2
	s_mul_i32 s20, s6, s12
	s_mul_hi_u32 s26, s6, s13
	s_mul_i32 s21, s7, s13
	s_add_i32 s20, s26, s20
	s_mul_i32 s27, s6, s13
	s_add_i32 s20, s20, s21
	s_mul_hi_u32 s26, s13, s27
	s_mul_hi_u32 s21, s13, s20
	s_mul_i32 s13, s13, s20
	s_add_u32 s13, s26, s13
	s_addc_u32 s21, 0, s21
	s_mul_hi_u32 s28, s12, s27
	s_mul_i32 s27, s12, s27
	s_add_u32 s13, s13, s27
	s_mul_hi_u32 s26, s12, s20
	s_addc_u32 s13, s21, s28
	s_addc_u32 s21, s26, 0
	s_mul_i32 s20, s12, s20
	s_add_u32 s13, s13, s20
	s_addc_u32 s20, 0, s21
	v_add_co_u32_e32 v2, vcc, s13, v2
	s_cmp_lg_u64 vcc, 0
	s_addc_u32 s12, s12, s20
	v_readfirstlane_b32 s20, v2
	s_mul_i32 s13, s6, s12
	s_mul_hi_u32 s21, s6, s20
	s_add_i32 s13, s21, s13
	s_mul_i32 s7, s7, s20
	s_add_i32 s13, s13, s7
	s_mul_i32 s6, s6, s20
	s_mul_hi_u32 s21, s12, s6
	s_mul_i32 s26, s12, s6
	s_mul_i32 s28, s20, s13
	s_mul_hi_u32 s6, s20, s6
	s_mul_hi_u32 s27, s20, s13
	s_add_u32 s6, s6, s28
	s_addc_u32 s20, 0, s27
	s_add_u32 s6, s6, s26
	s_mul_hi_u32 s7, s12, s13
	s_addc_u32 s6, s20, s21
	s_addc_u32 s7, s7, 0
	s_mul_i32 s13, s12, s13
	s_add_u32 s6, s6, s13
	s_addc_u32 s7, 0, s7
	v_add_co_u32_e32 v2, vcc, s6, v2
	s_cmp_lg_u64 vcc, 0
	s_addc_u32 s6, s12, s7
	v_readfirstlane_b32 s13, v2
	s_mul_i32 s12, s89, s6
	s_mul_hi_u32 s20, s89, s13
	s_mul_hi_u32 s7, s89, s6
	s_add_u32 s12, s20, s12
	s_addc_u32 s7, 0, s7
	s_mul_hi_u32 s21, s29, s13
	s_mul_i32 s13, s29, s13
	s_add_u32 s12, s12, s13
	s_mul_hi_u32 s20, s29, s6
	s_addc_u32 s7, s7, s21
	s_addc_u32 s12, s20, 0
	s_mul_i32 s6, s29, s6
	s_add_u32 s6, s7, s6
	s_addc_u32 s7, 0, s12
	s_mul_hi_u32 s12, s33, s6
	s_mul_i32 s6, s33, s6
	s_mul_i32 s7, s33, s7
	v_mov_b32_e32 v2, s6
	s_add_i32 s12, s12, s7
	v_sub_co_u32_e32 v2, vcc, s89, v2
	s_cmp_lg_u64 vcc, 0
	s_subb_u32 s6, s29, s12
	v_subrev_co_u32_e32 v3, vcc, s33, v2
	s_cmp_lg_u64 vcc, 0
	s_subb_u32 s7, s6, 0
	v_subrev_co_u32_e32 v4, vcc, s33, v3
	s_cmp_lg_u64 vcc, 0
	s_subb_u32 s12, s7, 0
	v_cmp_le_u32_e32 vcc, s33, v3
	s_cmp_eq_u32 s7, 0
	v_cndmask_b32_e64 v5, 0, -1, vcc
	s_cselect_b64 vcc, -1, 0
	v_cndmask_b32_e32 v5, -1, v5, vcc
	v_mov_b32_e32 v6, s7
	v_mov_b32_e32 v7, s12
	v_cmp_ne_u32_e32 vcc, 0, v5
	v_cndmask_b32_e32 v5, v6, v7, vcc
	v_cndmask_b32_e32 v4, v3, v4, vcc
	v_cmp_le_u32_e32 vcc, s33, v2
	s_cmp_eq_u32 s6, 0
	v_cndmask_b32_e64 v3, 0, -1, vcc
	s_cselect_b64 vcc, -1, 0
	v_cndmask_b32_e32 v3, -1, v3, vcc
	v_mov_b32_e32 v6, s6
	v_cmp_ne_u32_e32 vcc, 0, v3
	v_cndmask_b32_e32 v3, v6, v5, vcc
	v_cndmask_b32_e32 v2, v2, v4, vcc
	s_cbranch_execnz .LBB192_104
.LBB192_103:                            ;   in Loop: Header=BB192_6 Depth=1
	v_cvt_f32_u32_e32 v2, s33
	s_sub_i32 s6, 0, s33
	v_rcp_iflag_f32_e32 v2, v2
	v_mul_f32_e32 v2, 0x4f7ffffe, v2
	v_cvt_u32_f32_e32 v2, v2
	v_mul_lo_u32 v3, s6, v2
	v_mul_hi_u32 v3, v2, v3
	v_add_u32_e32 v2, v2, v3
	v_mul_hi_u32 v2, s89, v2
	v_mul_lo_u32 v2, v2, s33
	v_sub_u32_e32 v2, s89, v2
	v_subrev_u32_e32 v3, s33, v2
	v_cmp_le_u32_e32 vcc, s33, v2
	v_cndmask_b32_e32 v2, v2, v3, vcc
	v_subrev_u32_e32 v3, s33, v2
	v_cmp_le_u32_e32 vcc, s33, v2
	v_cndmask_b32_e32 v14, v2, v3, vcc
	v_pk_mov_b32 v[2:3], v[14:15], v[14:15] op_sel:[0,1]
.LBB192_104:                            ;   in Loop: Header=BB192_6 Depth=1
	v_readlane_b32 s6, v54, 32
	v_readlane_b32 s7, v54, 33
	v_mov_b32_e32 v4, s7
	v_sub_co_u32_e32 v2, vcc, s89, v2
	v_subb_co_u32_e32 v3, vcc, v4, v3, vcc
	v_cmp_gt_u64_e32 vcc, v[2:3], v[0:1]
	s_mov_b64 s[6:7], 0
                                        ; implicit-def: $vgpr5
	s_and_saveexec_b64 s[12:13], vcc
	s_cbranch_execz .LBB192_113
; %bb.105:                              ;   in Loop: Header=BB192_6 Depth=1
	s_mov_b64 s[20:21], 0
	v_pk_mov_b32 v[6:7], v[12:13], v[12:13] op_sel:[0,1]
	v_pk_mov_b32 v[8:9], v[0:1], v[0:1] op_sel:[0,1]
                                        ; implicit-def: $sgpr26_sgpr27
	s_branch .LBB192_107
.LBB192_106:                            ;   in Loop: Header=BB192_107 Depth=2
	s_or_b64 exec, exec, s[6:7]
	s_waitcnt lgkmcnt(0)
	s_barrier
	ds_read_b64 v[4:5], v15 offset:3072
	v_add_co_u32_e64 v8, s[6:7], s33, v8
	s_waitcnt lgkmcnt(0)
	s_barrier
	v_cmp_neq_f32_e32 vcc, 0, v4
	v_mov_b32_e32 v4, s0
	v_addc_co_u32_e64 v9, s[6:7], v9, v4, s[6:7]
	v_cmp_ge_u64_e64 s[6:7], v[8:9], v[2:3]
	s_or_b64 s[28:29], s[6:7], vcc
	v_mov_b32_e32 v4, s61
	v_add_co_u32_e64 v6, s[6:7], s60, v6
	v_addc_co_u32_e64 v7, s[6:7], v7, v4, s[6:7]
	s_and_b64 s[6:7], exec, s[28:29]
	s_or_b64 s[20:21], s[6:7], s[20:21]
	s_andn2_b64 s[6:7], s[26:27], exec
	s_and_b64 s[26:27], vcc, exec
	s_or_b64 s[26:27], s[6:7], s[26:27]
	s_andn2_b64 exec, exec, s[20:21]
	s_cbranch_execz .LBB192_112
.LBB192_107:                            ;   Parent Loop BB192_6 Depth=1
                                        ; =>  This Inner Loop Header: Depth=2
	v_cmp_gt_u64_e32 vcc, s[56:57], v[8:9]
	s_waitcnt vmcnt(0)
	v_mov_b32_e32 v27, 0
	s_and_saveexec_b64 s[6:7], vcc
	s_cbranch_execz .LBB192_109
; %bb.108:                              ;   in Loop: Header=BB192_107 Depth=2
	global_load_dword v27, v[6:7], off
.LBB192_109:                            ;   in Loop: Header=BB192_107 Depth=2
	s_or_b64 exec, exec, s[6:7]
	s_and_saveexec_b64 s[6:7], vcc
	s_cbranch_execz .LBB192_106
; %bb.110:                              ;   in Loop: Header=BB192_107 Depth=2
	s_waitcnt vmcnt(0)
	v_cmp_lt_i32_e32 vcc, -1, v27
	v_cndmask_b32_e32 v4, -1, v42, vcc
	v_xor_b32_e32 v4, v4, v27
	v_cmp_o_f32_e32 vcc, v27, v27
	v_cndmask_b32_e32 v4, -1, v4, vcc
	v_and_b32_e32 v4, v4, v34
	v_cmp_eq_u32_e32 vcc, v4, v28
	s_and_b64 exec, exec, vcc
	s_cbranch_execz .LBB192_106
; %bb.111:                              ;   in Loop: Header=BB192_107 Depth=2
	ds_write_b64 v15, v[26:27] offset:3072
	s_branch .LBB192_106
.LBB192_112:                            ;   in Loop: Header=BB192_6 Depth=1
	s_or_b64 exec, exec, s[20:21]
	s_and_b64 s[6:7], s[26:27], exec
.LBB192_113:                            ;   in Loop: Header=BB192_6 Depth=1
	s_or_b64 exec, exec, s[12:13]
	s_mov_b64 s[36:37], -1
	s_mov_b64 s[20:21], 0
	s_mov_b64 s[34:35], 0
.LBB192_114:                            ;   in Loop: Header=BB192_6 Depth=1
	s_orn2_b64 s[6:7], s[6:7], exec
.LBB192_115:                            ;   in Loop: Header=BB192_6 Depth=1
	s_or_b64 exec, exec, s[4:5]
	s_mov_b64 s[38:39], 0
	s_mov_b64 s[28:29], 0
	;; [unrolled: 1-line block ×3, first 2 shown]
                                        ; implicit-def: $vgpr8
                                        ; implicit-def: $vgpr2_vgpr3
	s_and_saveexec_b64 s[40:41], s[6:7]
	s_cbranch_execz .LBB192_278
; %bb.116:                              ;   in Loop: Header=BB192_6 Depth=1
	v_mov_b32_e32 v2, 1
	s_xor_b64 s[4:5], s[2:3], -1
	s_mov_b64 s[6:7], 0
	v_mov_b32_e32 v3, 0
	v_mov_b32_e32 v8, 1
	s_and_saveexec_b64 s[2:3], s[4:5]
	s_cbranch_execz .LBB192_126
; %bb.117:                              ;   in Loop: Header=BB192_6 Depth=1
	v_cmp_ge_u64_e32 vcc, s[16:17], v[30:31]
                                        ; implicit-def: $sgpr12
                                        ; implicit-def: $sgpr4_sgpr5
	s_and_saveexec_b64 s[6:7], vcc
	s_xor_b64 s[6:7], exec, s[6:7]
	s_cbranch_execz .LBB192_123
; %bb.118:                              ;   in Loop: Header=BB192_6 Depth=1
	ds_read_b64 v[2:3], v15 offset:5120
	s_waitcnt lgkmcnt(0)
	v_cmp_ne_u64_e32 vcc, 0, v[2:3]
	s_cbranch_vccnz .LBB192_122
; %bb.119:                              ;   in Loop: Header=BB192_6 Depth=1
	s_mov_b64 s[4:5], exec
	v_readlane_b32 s12, v54, 8
	v_readlane_b32 s13, v54, 9
	s_and_b64 s[12:13], s[4:5], s[12:13]
	s_mov_b64 exec, s[12:13]
	s_cbranch_execz .LBB192_121
; %bb.120:                              ;   in Loop: Header=BB192_6 Depth=1
	v_pk_mov_b32 v[2:3], s[16:17], s[16:17] op_sel:[0,1]
	ds_write_b64 v15, v[2:3] offset:5128
.LBB192_121:                            ;   in Loop: Header=BB192_6 Depth=1
	s_or_b64 exec, exec, s[4:5]
	s_waitcnt lgkmcnt(0)
	s_barrier
.LBB192_122:                            ;   in Loop: Header=BB192_6 Depth=1
	v_and_b32_e32 v28, s90, v28
	v_or_b32_e32 v34, s82, v34
	s_mov_b64 s[4:5], 0
	s_mov_b32 s12, 8
.LBB192_123:                            ;   in Loop: Header=BB192_6 Depth=1
	s_or_saveexec_b64 s[6:7], s[6:7]
	v_mov_b32_e32 v8, s12
	v_pk_mov_b32 v[2:3], v[30:31], v[30:31] op_sel:[0,1]
	s_xor_b64 exec, exec, s[6:7]
; %bb.124:                              ;   in Loop: Header=BB192_6 Depth=1
	v_mov_b32_e32 v3, s17
	v_subrev_co_u32_e32 v2, vcc, s16, v30
	v_subb_co_u32_e32 v3, vcc, v31, v3, vcc
	v_mov_b32_e32 v8, 0
	s_or_b64 s[4:5], s[4:5], exec
; %bb.125:                              ;   in Loop: Header=BB192_6 Depth=1
	s_or_b64 exec, exec, s[6:7]
	s_and_b64 s[6:7], s[4:5], exec
.LBB192_126:                            ;   in Loop: Header=BB192_6 Depth=1
	s_or_b64 exec, exec, s[2:3]
	s_mov_b64 s[28:29], -1
                                        ; implicit-def: $sgpr2_sgpr3
                                        ; implicit-def: $sgpr4_sgpr5
                                        ; implicit-def: $sgpr12_sgpr13
	s_and_saveexec_b64 s[26:27], s[6:7]
	s_xor_b64 s[26:27], exec, s[26:27]
	s_cbranch_execz .LBB192_275
; %bb.127:                              ;   in Loop: Header=BB192_6 Depth=1
	s_cmp_eq_u64 s[18:19], 1
	s_cselect_b64 s[2:3], -1, 0
	v_cmp_eq_u64_e32 vcc, 1, v[2:3]
	s_and_b64 s[2:3], s[2:3], vcc
	s_mov_b64 s[12:13], -1
                                        ; implicit-def: $sgpr28_sgpr29
                                        ; implicit-def: $sgpr44_sgpr45
                                        ; implicit-def: $sgpr42_sgpr43
	s_and_saveexec_b64 s[4:5], s[2:3]
	s_cbranch_execz .LBB192_161
; %bb.128:                              ;   in Loop: Header=BB192_6 Depth=1
	ds_read_b64 v[4:5], v15 offset:5120
	s_waitcnt lgkmcnt(0)
	s_barrier
	v_readfirstlane_b32 s12, v4
	v_readfirstlane_b32 s13, v5
	s_mov_b64 s[6:7], exec
	v_readlane_b32 s28, v54, 26
	v_readlane_b32 s29, v54, 27
	s_and_b64 s[28:29], s[6:7], s[28:29]
	s_mov_b64 exec, s[28:29]
	s_cbranch_execz .LBB192_130
; %bb.129:                              ;   in Loop: Header=BB192_6 Depth=1
	ds_write_b32 v39, v15
.LBB192_130:                            ;   in Loop: Header=BB192_6 Depth=1
	s_or_b64 exec, exec, s[6:7]
	v_and_b32_e32 v4, s90, v28
	v_lshl_or_b32 v28, 1, s91, v4
	v_or_b32_e32 v34, s82, v34
	s_cmp_eq_u64 s[12:13], 0
	s_waitcnt lgkmcnt(0)
	s_barrier
	s_cbranch_scc1 .LBB192_144
; %bb.131:                              ;   in Loop: Header=BB192_6 Depth=1
	v_readlane_b32 s6, v54, 30
	s_add_u32 s42, s6, s12
	v_readlane_b32 s6, v54, 31
	s_addc_u32 s7, s6, s13
	s_mov_b32 s6, s83
	s_cmp_lg_u64 s[6:7], 0
	s_cbranch_scc0 .LBB192_188
; %bb.132:                              ;   in Loop: Header=BB192_6 Depth=1
	v_cvt_f32_u32_e32 v4, s33
	s_sub_u32 s6, 0, s33
	s_subb_u32 s28, 0, 0
	v_mac_f32_e32 v4, 0, v43
	v_rcp_f32_e32 v4, v4
	v_mul_f32_e32 v4, 0x5f7ffffc, v4
	v_mul_f32_e32 v5, 0x2f800000, v4
	v_trunc_f32_e32 v5, v5
	v_mac_f32_e32 v4, 0xcf800000, v5
	v_cvt_u32_f32_e32 v5, v5
	v_cvt_u32_f32_e32 v4, v4
	v_readfirstlane_b32 s29, v5
	v_readfirstlane_b32 s43, v4
	s_mul_i32 s44, s6, s29
	s_mul_hi_u32 s46, s6, s43
	s_mul_i32 s45, s28, s43
	s_add_i32 s44, s46, s44
	s_mul_i32 s47, s6, s43
	s_add_i32 s44, s44, s45
	s_mul_hi_u32 s46, s43, s47
	s_mul_hi_u32 s45, s43, s44
	s_mul_i32 s43, s43, s44
	s_add_u32 s43, s46, s43
	s_addc_u32 s45, 0, s45
	s_mul_hi_u32 s48, s29, s47
	s_mul_i32 s47, s29, s47
	s_add_u32 s43, s43, s47
	s_mul_hi_u32 s46, s29, s44
	s_addc_u32 s43, s45, s48
	s_addc_u32 s45, s46, 0
	s_mul_i32 s44, s29, s44
	s_add_u32 s43, s43, s44
	s_addc_u32 s44, 0, s45
	v_add_co_u32_e32 v4, vcc, s43, v4
	s_cmp_lg_u64 vcc, 0
	s_addc_u32 s29, s29, s44
	v_readfirstlane_b32 s44, v4
	s_mul_i32 s43, s6, s29
	s_mul_hi_u32 s45, s6, s44
	s_add_i32 s43, s45, s43
	s_mul_i32 s28, s28, s44
	s_add_i32 s43, s43, s28
	s_mul_i32 s6, s6, s44
	s_mul_hi_u32 s45, s29, s6
	s_mul_i32 s46, s29, s6
	s_mul_i32 s48, s44, s43
	s_mul_hi_u32 s6, s44, s6
	s_mul_hi_u32 s47, s44, s43
	s_add_u32 s6, s6, s48
	s_addc_u32 s44, 0, s47
	s_add_u32 s6, s6, s46
	s_mul_hi_u32 s28, s29, s43
	s_addc_u32 s6, s44, s45
	s_addc_u32 s28, s28, 0
	s_mul_i32 s43, s29, s43
	s_add_u32 s6, s6, s43
	s_addc_u32 s28, 0, s28
	v_add_co_u32_e32 v4, vcc, s6, v4
	s_cmp_lg_u64 vcc, 0
	s_addc_u32 s6, s29, s28
	v_readfirstlane_b32 s43, v4
	s_mul_i32 s29, s42, s6
	s_mul_hi_u32 s44, s42, s43
	s_mul_hi_u32 s28, s42, s6
	s_add_u32 s29, s44, s29
	s_addc_u32 s28, 0, s28
	s_mul_hi_u32 s45, s7, s43
	s_mul_i32 s43, s7, s43
	s_add_u32 s29, s29, s43
	s_mul_hi_u32 s44, s7, s6
	s_addc_u32 s28, s28, s45
	s_addc_u32 s29, s44, 0
	s_mul_i32 s6, s7, s6
	s_add_u32 s6, s28, s6
	s_addc_u32 s28, 0, s29
	s_mul_hi_u32 s29, s33, s6
	s_mul_i32 s6, s33, s6
	s_mul_i32 s28, s33, s28
	v_mov_b32_e32 v4, s6
	s_add_i32 s29, s29, s28
	v_sub_co_u32_e32 v4, vcc, s42, v4
	s_cmp_lg_u64 vcc, 0
	s_subb_u32 s6, s7, s29
	v_subrev_co_u32_e32 v5, vcc, s33, v4
	s_cmp_lg_u64 vcc, 0
	s_subb_u32 s28, s6, 0
	v_subrev_co_u32_e32 v6, vcc, s33, v5
	s_cmp_lg_u64 vcc, 0
	s_subb_u32 s29, s28, 0
	v_cmp_le_u32_e32 vcc, s33, v5
	s_cmp_eq_u32 s28, 0
	v_cndmask_b32_e64 v7, 0, -1, vcc
	s_cselect_b64 vcc, -1, 0
	v_cndmask_b32_e32 v7, -1, v7, vcc
	v_mov_b32_e32 v8, s28
	v_mov_b32_e32 v9, s29
	v_cmp_ne_u32_e32 vcc, 0, v7
	v_cndmask_b32_e32 v7, v8, v9, vcc
	v_cndmask_b32_e32 v6, v5, v6, vcc
	v_cmp_le_u32_e32 vcc, s33, v4
	s_cmp_eq_u32 s6, 0
	v_cndmask_b32_e64 v5, 0, -1, vcc
	s_cselect_b64 vcc, -1, 0
	v_cndmask_b32_e32 v5, -1, v5, vcc
	v_mov_b32_e32 v8, s6
	v_cmp_ne_u32_e32 vcc, 0, v5
	v_cndmask_b32_e32 v5, v8, v7, vcc
	v_cndmask_b32_e32 v4, v4, v6, vcc
	s_cbranch_execnz .LBB192_134
.LBB192_133:                            ;   in Loop: Header=BB192_6 Depth=1
	v_cvt_f32_u32_e32 v4, s33
	s_sub_i32 s6, 0, s33
	v_rcp_iflag_f32_e32 v4, v4
	v_mul_f32_e32 v4, 0x4f7ffffe, v4
	v_cvt_u32_f32_e32 v4, v4
	v_mul_lo_u32 v5, s6, v4
	v_mul_hi_u32 v5, v4, v5
	v_add_u32_e32 v4, v4, v5
	v_mul_hi_u32 v4, s42, v4
	v_mul_lo_u32 v4, v4, s33
	v_sub_u32_e32 v4, s42, v4
	v_subrev_u32_e32 v5, s33, v4
	v_cmp_le_u32_e32 vcc, s33, v4
	v_cndmask_b32_e32 v4, v4, v5, vcc
	v_subrev_u32_e32 v5, s33, v4
	v_cmp_le_u32_e32 vcc, s33, v4
	v_cndmask_b32_e32 v14, v4, v5, vcc
	v_pk_mov_b32 v[4:5], v[14:15], v[14:15] op_sel:[0,1]
.LBB192_134:                            ;   in Loop: Header=BB192_6 Depth=1
	v_mov_b32_e32 v7, s7
	v_sub_co_u32_e32 v6, vcc, s42, v4
	v_subb_co_u32_e32 v7, vcc, v7, v5, vcc
	v_cmp_gt_u64_e32 vcc, v[6:7], v[0:1]
	s_mov_b64 s[6:7], 0
                                        ; implicit-def: $vgpr5
	s_and_saveexec_b64 s[28:29], vcc
	s_cbranch_execz .LBB192_146
; %bb.135:                              ;   in Loop: Header=BB192_6 Depth=1
	s_mov_b64 s[42:43], 0
	v_mov_b32_e32 v14, v16
	v_pk_mov_b32 v[8:9], v[0:1], v[0:1] op_sel:[0,1]
                                        ; implicit-def: $sgpr44_sgpr45
	s_branch .LBB192_137
.LBB192_136:                            ;   in Loop: Header=BB192_137 Depth=2
	s_or_b64 exec, exec, s[6:7]
	s_waitcnt lgkmcnt(0)
	s_barrier
	ds_read_b64 v[4:5], v15 offset:3072
	v_add_co_u32_e64 v8, s[6:7], s33, v8
	v_add_u32_e32 v14, s88, v14
	s_waitcnt lgkmcnt(0)
	v_cmp_neq_f32_e32 vcc, 0, v4
	v_mov_b32_e32 v4, s0
	v_addc_co_u32_e64 v9, s[6:7], v9, v4, s[6:7]
	v_cmp_ge_u64_e64 s[6:7], v[8:9], v[6:7]
	s_or_b64 s[6:7], s[6:7], vcc
	s_and_b64 s[6:7], exec, s[6:7]
	s_or_b64 s[42:43], s[6:7], s[42:43]
	s_andn2_b64 s[6:7], s[44:45], exec
	s_and_b64 s[44:45], vcc, exec
	s_or_b64 s[44:45], s[6:7], s[44:45]
	s_barrier
	s_andn2_b64 exec, exec, s[42:43]
	s_cbranch_execz .LBB192_145
.LBB192_137:                            ;   Parent Loop BB192_6 Depth=1
                                        ; =>  This Inner Loop Header: Depth=2
	v_cmp_gt_u64_e32 vcc, s[12:13], v[8:9]
	s_waitcnt vmcnt(0)
	v_mov_b32_e32 v27, 0
	s_and_saveexec_b64 s[6:7], vcc
	s_cbranch_execz .LBB192_139
; %bb.138:                              ;   in Loop: Header=BB192_137 Depth=2
	ds_read_b32 v27, v14
.LBB192_139:                            ;   in Loop: Header=BB192_137 Depth=2
	s_or_b64 exec, exec, s[6:7]
	s_and_saveexec_b64 s[6:7], vcc
	s_cbranch_execz .LBB192_136
; %bb.140:                              ;   in Loop: Header=BB192_137 Depth=2
	s_waitcnt lgkmcnt(0)
	v_cmp_lt_i32_e32 vcc, -1, v27
	v_cndmask_b32_e32 v4, -1, v42, vcc
	v_xor_b32_e32 v4, v4, v27
	v_cmp_o_f32_e32 vcc, v27, v27
	v_cndmask_b32_e32 v4, -1, v4, vcc
	v_and_b32_e32 v4, v4, v34
	v_cmp_eq_u32_e32 vcc, v4, v28
	s_and_b64 exec, exec, vcc
	s_cbranch_execz .LBB192_136
; %bb.141:                              ;   in Loop: Header=BB192_137 Depth=2
	ds_write_b64 v15, v[26:27] offset:3072
	s_branch .LBB192_136
.LBB192_142:                            ;   in Loop: Header=BB192_6 Depth=1
                                        ; implicit-def: $vgpr2_vgpr3
	s_branch .LBB192_84
.LBB192_143:                            ;   in Loop: Header=BB192_6 Depth=1
                                        ; implicit-def: $vgpr2_vgpr3
	s_branch .LBB192_103
.LBB192_144:                            ;   in Loop: Header=BB192_6 Depth=1
	s_mov_b64 s[28:29], -1
	s_mov_b64 s[6:7], 0
                                        ; implicit-def: $sgpr42_sgpr43
                                        ; implicit-def: $vgpr5
	s_mov_b64 s[44:45], s[28:29]
	s_cbranch_execnz .LBB192_147
	s_branch .LBB192_160
.LBB192_145:                            ;   in Loop: Header=BB192_6 Depth=1
	s_or_b64 exec, exec, s[42:43]
	s_and_b64 s[6:7], s[44:45], exec
.LBB192_146:                            ;   in Loop: Header=BB192_6 Depth=1
	s_or_b64 exec, exec, s[28:29]
	s_mov_b64 s[42:43], -1
	s_mov_b64 s[28:29], 0
	s_mov_b64 s[44:45], s[28:29]
	s_branch .LBB192_160
.LBB192_147:                            ;   in Loop: Header=BB192_6 Depth=1
	v_readlane_b32 s44, v54, 32
	v_readlane_b32 s45, v54, 33
	s_mov_b32 s44, s83
	s_cmp_lg_u64 s[44:45], 0
	v_writelane_b32 v54, s44, 32
	v_writelane_b32 v54, s45, 33
	s_cbranch_scc0 .LBB192_189
; %bb.148:                              ;   in Loop: Header=BB192_6 Depth=1
	v_cvt_f32_u32_e32 v4, s33
	s_sub_u32 s6, 0, s33
	s_subb_u32 s7, 0, 0
	v_mac_f32_e32 v4, 0, v43
	v_rcp_f32_e32 v4, v4
	v_mul_f32_e32 v4, 0x5f7ffffc, v4
	v_mul_f32_e32 v5, 0x2f800000, v4
	v_trunc_f32_e32 v5, v5
	v_mac_f32_e32 v4, 0xcf800000, v5
	v_cvt_u32_f32_e32 v5, v5
	v_cvt_u32_f32_e32 v4, v4
	v_readfirstlane_b32 s12, v5
	v_readfirstlane_b32 s13, v4
	s_mul_i32 s28, s6, s12
	s_mul_hi_u32 s42, s6, s13
	s_mul_i32 s29, s7, s13
	s_add_i32 s28, s42, s28
	s_mul_i32 s43, s6, s13
	s_add_i32 s28, s28, s29
	s_mul_hi_u32 s42, s13, s43
	s_mul_hi_u32 s29, s13, s28
	s_mul_i32 s13, s13, s28
	s_add_u32 s13, s42, s13
	s_addc_u32 s29, 0, s29
	s_mul_hi_u32 s44, s12, s43
	s_mul_i32 s43, s12, s43
	s_add_u32 s13, s13, s43
	s_mul_hi_u32 s42, s12, s28
	s_addc_u32 s13, s29, s44
	s_addc_u32 s29, s42, 0
	s_mul_i32 s28, s12, s28
	s_add_u32 s13, s13, s28
	s_addc_u32 s28, 0, s29
	v_add_co_u32_e32 v4, vcc, s13, v4
	s_cmp_lg_u64 vcc, 0
	s_addc_u32 s12, s12, s28
	v_readfirstlane_b32 s28, v4
	s_mul_i32 s13, s6, s12
	s_mul_hi_u32 s29, s6, s28
	s_add_i32 s13, s29, s13
	s_mul_i32 s7, s7, s28
	s_add_i32 s13, s13, s7
	s_mul_i32 s6, s6, s28
	s_mul_hi_u32 s29, s12, s6
	s_mul_i32 s42, s12, s6
	s_mul_i32 s44, s28, s13
	s_mul_hi_u32 s6, s28, s6
	s_mul_hi_u32 s43, s28, s13
	s_add_u32 s6, s6, s44
	s_addc_u32 s28, 0, s43
	s_add_u32 s6, s6, s42
	s_mul_hi_u32 s7, s12, s13
	s_addc_u32 s6, s28, s29
	s_addc_u32 s7, s7, 0
	s_mul_i32 s13, s12, s13
	s_add_u32 s6, s6, s13
	s_addc_u32 s7, 0, s7
	v_add_co_u32_e32 v4, vcc, s6, v4
	s_cmp_lg_u64 vcc, 0
	s_addc_u32 s6, s12, s7
	v_readfirstlane_b32 s13, v4
	s_mul_i32 s12, s89, s6
	s_mul_hi_u32 s28, s89, s13
	s_mul_hi_u32 s7, s89, s6
	s_add_u32 s12, s28, s12
	s_addc_u32 s7, 0, s7
	s_mul_hi_u32 s29, s45, s13
	s_mul_i32 s13, s45, s13
	s_add_u32 s12, s12, s13
	s_mul_hi_u32 s28, s45, s6
	s_addc_u32 s7, s7, s29
	s_addc_u32 s12, s28, 0
	s_mul_i32 s6, s45, s6
	s_add_u32 s6, s7, s6
	s_addc_u32 s7, 0, s12
	s_mul_hi_u32 s12, s33, s6
	s_mul_i32 s6, s33, s6
	s_mul_i32 s7, s33, s7
	v_mov_b32_e32 v4, s6
	s_add_i32 s12, s12, s7
	v_sub_co_u32_e32 v4, vcc, s89, v4
	s_cmp_lg_u64 vcc, 0
	s_subb_u32 s6, s45, s12
	v_subrev_co_u32_e32 v5, vcc, s33, v4
	s_cmp_lg_u64 vcc, 0
	s_subb_u32 s7, s6, 0
	v_subrev_co_u32_e32 v6, vcc, s33, v5
	s_cmp_lg_u64 vcc, 0
	s_subb_u32 s12, s7, 0
	v_cmp_le_u32_e32 vcc, s33, v5
	s_cmp_eq_u32 s7, 0
	v_cndmask_b32_e64 v7, 0, -1, vcc
	s_cselect_b64 vcc, -1, 0
	v_cndmask_b32_e32 v7, -1, v7, vcc
	v_mov_b32_e32 v8, s7
	v_mov_b32_e32 v9, s12
	v_cmp_ne_u32_e32 vcc, 0, v7
	v_cndmask_b32_e32 v7, v8, v9, vcc
	v_cndmask_b32_e32 v6, v5, v6, vcc
	v_cmp_le_u32_e32 vcc, s33, v4
	s_cmp_eq_u32 s6, 0
	v_cndmask_b32_e64 v5, 0, -1, vcc
	s_cselect_b64 vcc, -1, 0
	v_cndmask_b32_e32 v5, -1, v5, vcc
	v_mov_b32_e32 v8, s6
	v_cmp_ne_u32_e32 vcc, 0, v5
	v_cndmask_b32_e32 v5, v8, v7, vcc
	v_cndmask_b32_e32 v4, v4, v6, vcc
	s_cbranch_execnz .LBB192_150
.LBB192_149:                            ;   in Loop: Header=BB192_6 Depth=1
	v_cvt_f32_u32_e32 v4, s33
	s_sub_i32 s6, 0, s33
	v_rcp_iflag_f32_e32 v4, v4
	v_mul_f32_e32 v4, 0x4f7ffffe, v4
	v_cvt_u32_f32_e32 v4, v4
	v_mul_lo_u32 v5, s6, v4
	v_mul_hi_u32 v5, v4, v5
	v_add_u32_e32 v4, v4, v5
	v_mul_hi_u32 v4, s89, v4
	v_mul_lo_u32 v4, v4, s33
	v_sub_u32_e32 v4, s89, v4
	v_subrev_u32_e32 v5, s33, v4
	v_cmp_le_u32_e32 vcc, s33, v4
	v_cndmask_b32_e32 v4, v4, v5, vcc
	v_subrev_u32_e32 v5, s33, v4
	v_cmp_le_u32_e32 vcc, s33, v4
	v_cndmask_b32_e32 v14, v4, v5, vcc
	v_pk_mov_b32 v[4:5], v[14:15], v[14:15] op_sel:[0,1]
.LBB192_150:                            ;   in Loop: Header=BB192_6 Depth=1
	v_readlane_b32 s6, v54, 32
	v_readlane_b32 s7, v54, 33
	v_mov_b32_e32 v7, s7
	v_sub_co_u32_e32 v6, vcc, s89, v4
	v_subb_co_u32_e32 v7, vcc, v7, v5, vcc
	v_cmp_gt_u64_e32 vcc, v[6:7], v[0:1]
	s_mov_b64 s[6:7], 0
                                        ; implicit-def: $vgpr5
	s_and_saveexec_b64 s[12:13], vcc
	s_cbranch_execz .LBB192_159
; %bb.151:                              ;   in Loop: Header=BB192_6 Depth=1
	s_mov_b64 s[28:29], 0
	v_pk_mov_b32 v[8:9], v[12:13], v[12:13] op_sel:[0,1]
	v_pk_mov_b32 v[32:33], v[0:1], v[0:1] op_sel:[0,1]
                                        ; implicit-def: $sgpr42_sgpr43
	s_branch .LBB192_153
.LBB192_152:                            ;   in Loop: Header=BB192_153 Depth=2
	s_or_b64 exec, exec, s[6:7]
	s_waitcnt lgkmcnt(0)
	s_barrier
	ds_read_b64 v[4:5], v15 offset:3072
	v_add_co_u32_e64 v32, s[6:7], s33, v32
	s_waitcnt lgkmcnt(0)
	s_barrier
	v_cmp_neq_f32_e32 vcc, 0, v4
	v_mov_b32_e32 v4, s0
	v_addc_co_u32_e64 v33, s[6:7], v33, v4, s[6:7]
	v_cmp_ge_u64_e64 s[6:7], v[32:33], v[6:7]
	s_or_b64 s[44:45], s[6:7], vcc
	v_mov_b32_e32 v4, s61
	v_add_co_u32_e64 v8, s[6:7], s60, v8
	v_addc_co_u32_e64 v9, s[6:7], v9, v4, s[6:7]
	s_and_b64 s[6:7], exec, s[44:45]
	s_or_b64 s[28:29], s[6:7], s[28:29]
	s_andn2_b64 s[6:7], s[42:43], exec
	s_and_b64 s[42:43], vcc, exec
	s_or_b64 s[42:43], s[6:7], s[42:43]
	s_andn2_b64 exec, exec, s[28:29]
	s_cbranch_execz .LBB192_158
.LBB192_153:                            ;   Parent Loop BB192_6 Depth=1
                                        ; =>  This Inner Loop Header: Depth=2
	v_cmp_gt_u64_e32 vcc, s[56:57], v[32:33]
	s_waitcnt vmcnt(0)
	v_mov_b32_e32 v27, 0
	s_and_saveexec_b64 s[6:7], vcc
	s_cbranch_execz .LBB192_155
; %bb.154:                              ;   in Loop: Header=BB192_153 Depth=2
	global_load_dword v27, v[8:9], off
.LBB192_155:                            ;   in Loop: Header=BB192_153 Depth=2
	s_or_b64 exec, exec, s[6:7]
	s_and_saveexec_b64 s[6:7], vcc
	s_cbranch_execz .LBB192_152
; %bb.156:                              ;   in Loop: Header=BB192_153 Depth=2
	s_waitcnt vmcnt(0)
	v_cmp_lt_i32_e32 vcc, -1, v27
	v_cndmask_b32_e32 v4, -1, v42, vcc
	v_xor_b32_e32 v4, v4, v27
	v_cmp_o_f32_e32 vcc, v27, v27
	v_cndmask_b32_e32 v4, -1, v4, vcc
	v_and_b32_e32 v4, v4, v34
	v_cmp_eq_u32_e32 vcc, v4, v28
	s_and_b64 exec, exec, vcc
	s_cbranch_execz .LBB192_152
; %bb.157:                              ;   in Loop: Header=BB192_153 Depth=2
	ds_write_b64 v15, v[26:27] offset:3072
	s_branch .LBB192_152
.LBB192_158:                            ;   in Loop: Header=BB192_6 Depth=1
	s_or_b64 exec, exec, s[28:29]
	s_and_b64 s[6:7], s[42:43], exec
.LBB192_159:                            ;   in Loop: Header=BB192_6 Depth=1
	s_or_b64 exec, exec, s[12:13]
	s_mov_b64 s[44:45], -1
	s_mov_b64 s[28:29], 0
	s_mov_b64 s[42:43], 0
.LBB192_160:                            ;   in Loop: Header=BB192_6 Depth=1
	s_orn2_b64 s[12:13], s[6:7], exec
.LBB192_161:                            ;   in Loop: Header=BB192_6 Depth=1
	s_or_b64 exec, exec, s[4:5]
	s_mov_b64 s[6:7], 0
                                        ; implicit-def: $vgpr8
	s_and_saveexec_b64 s[46:47], s[12:13]
	s_cbranch_execz .LBB192_274
; %bb.162:                              ;   in Loop: Header=BB192_6 Depth=1
	v_mov_b32_e32 v6, 1
	s_xor_b64 s[4:5], s[2:3], -1
	v_mov_b32_e32 v7, 0
	v_mov_b32_e32 v8, 1
	s_and_saveexec_b64 s[2:3], s[4:5]
	s_cbranch_execz .LBB192_172
; %bb.163:                              ;   in Loop: Header=BB192_6 Depth=1
	v_cmp_ge_u64_e32 vcc, s[18:19], v[2:3]
                                        ; implicit-def: $sgpr12
                                        ; implicit-def: $sgpr4_sgpr5
	s_and_saveexec_b64 s[6:7], vcc
	s_xor_b64 s[6:7], exec, s[6:7]
	s_cbranch_execz .LBB192_169
; %bb.164:                              ;   in Loop: Header=BB192_6 Depth=1
	ds_read_b64 v[6:7], v15 offset:5120
	s_waitcnt lgkmcnt(0)
	v_cmp_ne_u64_e32 vcc, 0, v[6:7]
	s_cbranch_vccnz .LBB192_168
; %bb.165:                              ;   in Loop: Header=BB192_6 Depth=1
	s_mov_b64 s[4:5], exec
	v_readlane_b32 s12, v54, 8
	v_readlane_b32 s13, v54, 9
	s_and_b64 s[12:13], s[4:5], s[12:13]
	s_mov_b64 exec, s[12:13]
	s_cbranch_execz .LBB192_167
; %bb.166:                              ;   in Loop: Header=BB192_6 Depth=1
	v_pk_mov_b32 v[6:7], s[18:19], s[18:19] op_sel:[0,1]
	ds_write_b64 v15, v[6:7] offset:5128
.LBB192_167:                            ;   in Loop: Header=BB192_6 Depth=1
	s_or_b64 exec, exec, s[4:5]
	s_waitcnt lgkmcnt(0)
	s_barrier
.LBB192_168:                            ;   in Loop: Header=BB192_6 Depth=1
	v_and_b32_e32 v4, s90, v28
	v_lshl_or_b32 v28, 1, s91, v4
	v_or_b32_e32 v34, s82, v34
	s_mov_b64 s[4:5], 0
	s_mov_b32 s12, 8
.LBB192_169:                            ;   in Loop: Header=BB192_6 Depth=1
	s_or_saveexec_b64 s[6:7], s[6:7]
	v_mov_b32_e32 v8, s12
	s_xor_b64 exec, exec, s[6:7]
; %bb.170:                              ;   in Loop: Header=BB192_6 Depth=1
	v_mov_b32_e32 v4, s19
	v_subrev_co_u32_e32 v2, vcc, s18, v2
	v_subb_co_u32_e32 v3, vcc, v3, v4, vcc
	v_mov_b32_e32 v8, 0
	s_or_b64 s[4:5], s[4:5], exec
; %bb.171:                              ;   in Loop: Header=BB192_6 Depth=1
	s_or_b64 exec, exec, s[6:7]
	s_and_b64 s[6:7], s[4:5], exec
	v_pk_mov_b32 v[6:7], v[2:3], v[2:3] op_sel:[0,1]
.LBB192_172:                            ;   in Loop: Header=BB192_6 Depth=1
	s_or_b64 exec, exec, s[2:3]
	s_mov_b64 s[2:3], -1
                                        ; implicit-def: $sgpr4_sgpr5
                                        ; implicit-def: $sgpr12_sgpr13
                                        ; implicit-def: $sgpr50_sgpr51
	s_and_saveexec_b64 s[48:49], s[6:7]
	s_cbranch_execz .LBB192_273
; %bb.173:                              ;   in Loop: Header=BB192_6 Depth=1
	s_cmp_eq_u64 s[22:23], 1
	s_cselect_b64 s[2:3], -1, 0
	v_cmp_eq_u64_e32 vcc, 1, v[6:7]
	s_and_b64 s[50:51], s[2:3], vcc
	s_mov_b64 s[12:13], -1
                                        ; implicit-def: $sgpr2_sgpr3
                                        ; implicit-def: $sgpr52_sgpr53
                                        ; implicit-def: $sgpr4_sgpr5
	s_and_saveexec_b64 s[54:55], s[50:51]
	s_cbranch_execz .LBB192_207
; %bb.174:                              ;   in Loop: Header=BB192_6 Depth=1
	ds_read_b64 v[2:3], v15 offset:5120
	s_waitcnt lgkmcnt(0)
	s_barrier
	v_readfirstlane_b32 s2, v2
	v_readfirstlane_b32 s3, v3
	s_mov_b64 s[4:5], exec
	v_readlane_b32 s6, v54, 26
	v_readlane_b32 s7, v54, 27
	s_and_b64 s[6:7], s[4:5], s[6:7]
	s_mov_b64 exec, s[6:7]
	s_cbranch_execz .LBB192_176
; %bb.175:                              ;   in Loop: Header=BB192_6 Depth=1
	ds_write_b32 v39, v15
.LBB192_176:                            ;   in Loop: Header=BB192_6 Depth=1
	s_or_b64 exec, exec, s[4:5]
	v_and_b32_e32 v2, s90, v28
	v_lshl_or_b32 v28, 2, s91, v2
	v_or_b32_e32 v34, s82, v34
	s_cmp_eq_u64 s[2:3], 0
	s_waitcnt lgkmcnt(0)
	s_barrier
	s_cbranch_scc1 .LBB192_190
; %bb.177:                              ;   in Loop: Header=BB192_6 Depth=1
	v_readlane_b32 s4, v54, 30
	s_add_u32 s12, s4, s2
	v_readlane_b32 s4, v54, 31
	s_addc_u32 s5, s4, s3
	s_mov_b32 s4, s83
	s_cmp_lg_u64 s[4:5], 0
	s_cbranch_scc0 .LBB192_225
; %bb.178:                              ;   in Loop: Header=BB192_6 Depth=1
	v_cvt_f32_u32_e32 v2, s33
	s_sub_u32 s4, 0, s33
	s_subb_u32 s6, 0, 0
	v_mac_f32_e32 v2, 0, v43
	v_rcp_f32_e32 v2, v2
	v_mul_f32_e32 v2, 0x5f7ffffc, v2
	v_mul_f32_e32 v3, 0x2f800000, v2
	v_trunc_f32_e32 v3, v3
	v_mac_f32_e32 v2, 0xcf800000, v3
	v_cvt_u32_f32_e32 v3, v3
	v_cvt_u32_f32_e32 v2, v2
	v_readfirstlane_b32 s7, v3
	v_readfirstlane_b32 s13, v2
	s_mul_i32 s52, s4, s7
	s_mul_hi_u32 s72, s4, s13
	s_mul_i32 s53, s6, s13
	s_add_i32 s52, s72, s52
	s_mul_i32 s73, s4, s13
	s_add_i32 s52, s52, s53
	s_mul_hi_u32 s72, s13, s73
	s_mul_hi_u32 s53, s13, s52
	s_mul_i32 s13, s13, s52
	s_add_u32 s13, s72, s13
	s_addc_u32 s53, 0, s53
	s_mul_hi_u32 s78, s7, s73
	s_mul_i32 s73, s7, s73
	s_add_u32 s13, s13, s73
	s_mul_hi_u32 s72, s7, s52
	s_addc_u32 s13, s53, s78
	s_addc_u32 s53, s72, 0
	s_mul_i32 s52, s7, s52
	s_add_u32 s13, s13, s52
	s_addc_u32 s52, 0, s53
	v_add_co_u32_e32 v2, vcc, s13, v2
	s_cmp_lg_u64 vcc, 0
	s_addc_u32 s7, s7, s52
	v_readfirstlane_b32 s52, v2
	s_mul_i32 s13, s4, s7
	s_mul_hi_u32 s53, s4, s52
	s_add_i32 s13, s53, s13
	s_mul_i32 s6, s6, s52
	s_add_i32 s13, s13, s6
	s_mul_i32 s4, s4, s52
	s_mul_hi_u32 s53, s7, s4
	s_mul_i32 s72, s7, s4
	s_mul_i32 s78, s52, s13
	s_mul_hi_u32 s4, s52, s4
	s_mul_hi_u32 s73, s52, s13
	s_add_u32 s4, s4, s78
	s_addc_u32 s52, 0, s73
	s_add_u32 s4, s4, s72
	s_mul_hi_u32 s6, s7, s13
	s_addc_u32 s4, s52, s53
	s_addc_u32 s6, s6, 0
	s_mul_i32 s13, s7, s13
	s_add_u32 s4, s4, s13
	s_addc_u32 s6, 0, s6
	v_add_co_u32_e32 v2, vcc, s4, v2
	s_cmp_lg_u64 vcc, 0
	s_addc_u32 s4, s7, s6
	v_readfirstlane_b32 s13, v2
	s_mul_i32 s7, s12, s4
	s_mul_hi_u32 s52, s12, s13
	s_mul_hi_u32 s6, s12, s4
	s_add_u32 s7, s52, s7
	s_addc_u32 s6, 0, s6
	s_mul_hi_u32 s53, s5, s13
	s_mul_i32 s13, s5, s13
	s_add_u32 s7, s7, s13
	s_mul_hi_u32 s52, s5, s4
	s_addc_u32 s6, s6, s53
	s_addc_u32 s7, s52, 0
	s_mul_i32 s4, s5, s4
	s_add_u32 s4, s6, s4
	s_addc_u32 s6, 0, s7
	s_mul_hi_u32 s7, s33, s4
	s_mul_i32 s4, s33, s4
	s_mul_i32 s6, s33, s6
	v_mov_b32_e32 v2, s4
	s_add_i32 s7, s7, s6
	v_sub_co_u32_e32 v2, vcc, s12, v2
	s_cmp_lg_u64 vcc, 0
	s_subb_u32 s4, s5, s7
	v_subrev_co_u32_e32 v3, vcc, s33, v2
	s_cmp_lg_u64 vcc, 0
	s_subb_u32 s6, s4, 0
	v_subrev_co_u32_e32 v4, vcc, s33, v3
	s_cmp_lg_u64 vcc, 0
	s_subb_u32 s7, s6, 0
	v_cmp_le_u32_e32 vcc, s33, v3
	s_cmp_eq_u32 s6, 0
	v_cndmask_b32_e64 v5, 0, -1, vcc
	s_cselect_b64 vcc, -1, 0
	v_cndmask_b32_e32 v5, -1, v5, vcc
	v_mov_b32_e32 v8, s6
	v_mov_b32_e32 v9, s7
	v_cmp_ne_u32_e32 vcc, 0, v5
	v_cndmask_b32_e32 v5, v8, v9, vcc
	v_cndmask_b32_e32 v4, v3, v4, vcc
	v_cmp_le_u32_e32 vcc, s33, v2
	s_cmp_eq_u32 s4, 0
	v_cndmask_b32_e64 v3, 0, -1, vcc
	s_cselect_b64 vcc, -1, 0
	v_cndmask_b32_e32 v3, -1, v3, vcc
	v_mov_b32_e32 v8, s4
	v_cmp_ne_u32_e32 vcc, 0, v3
	v_cndmask_b32_e32 v3, v8, v5, vcc
	v_cndmask_b32_e32 v2, v2, v4, vcc
	s_cbranch_execnz .LBB192_180
.LBB192_179:                            ;   in Loop: Header=BB192_6 Depth=1
	v_cvt_f32_u32_e32 v2, s33
	s_sub_i32 s4, 0, s33
	v_rcp_iflag_f32_e32 v2, v2
	v_mul_f32_e32 v2, 0x4f7ffffe, v2
	v_cvt_u32_f32_e32 v2, v2
	v_mul_lo_u32 v3, s4, v2
	v_mul_hi_u32 v3, v2, v3
	v_add_u32_e32 v2, v2, v3
	v_mul_hi_u32 v2, s12, v2
	v_mul_lo_u32 v2, v2, s33
	v_sub_u32_e32 v2, s12, v2
	v_subrev_u32_e32 v3, s33, v2
	v_cmp_le_u32_e32 vcc, s33, v2
	v_cndmask_b32_e32 v2, v2, v3, vcc
	v_subrev_u32_e32 v3, s33, v2
	v_cmp_le_u32_e32 vcc, s33, v2
	v_cndmask_b32_e32 v14, v2, v3, vcc
	v_pk_mov_b32 v[2:3], v[14:15], v[14:15] op_sel:[0,1]
.LBB192_180:                            ;   in Loop: Header=BB192_6 Depth=1
	v_mov_b32_e32 v4, s5
	v_sub_co_u32_e32 v2, vcc, s12, v2
	v_subb_co_u32_e32 v3, vcc, v4, v3, vcc
	v_cmp_gt_u64_e32 vcc, v[2:3], v[0:1]
	s_mov_b64 s[6:7], 0
                                        ; implicit-def: $vgpr5
	s_and_saveexec_b64 s[4:5], vcc
	s_cbranch_execz .LBB192_192
; %bb.181:                              ;   in Loop: Header=BB192_6 Depth=1
	s_mov_b64 s[12:13], 0
	v_mov_b32_e32 v14, v16
	v_pk_mov_b32 v[8:9], v[0:1], v[0:1] op_sel:[0,1]
                                        ; implicit-def: $sgpr52_sgpr53
	s_branch .LBB192_183
.LBB192_182:                            ;   in Loop: Header=BB192_183 Depth=2
	s_or_b64 exec, exec, s[6:7]
	s_waitcnt lgkmcnt(0)
	s_barrier
	ds_read_b64 v[4:5], v15 offset:3072
	v_add_co_u32_e64 v8, s[6:7], s33, v8
	v_add_u32_e32 v14, s88, v14
	s_waitcnt lgkmcnt(0)
	v_cmp_neq_f32_e32 vcc, 0, v4
	v_mov_b32_e32 v4, s0
	v_addc_co_u32_e64 v9, s[6:7], v9, v4, s[6:7]
	v_cmp_ge_u64_e64 s[6:7], v[8:9], v[2:3]
	s_or_b64 s[6:7], s[6:7], vcc
	s_and_b64 s[6:7], exec, s[6:7]
	s_or_b64 s[12:13], s[6:7], s[12:13]
	s_andn2_b64 s[6:7], s[52:53], exec
	s_and_b64 s[52:53], vcc, exec
	s_or_b64 s[52:53], s[6:7], s[52:53]
	s_barrier
	s_andn2_b64 exec, exec, s[12:13]
	s_cbranch_execz .LBB192_191
.LBB192_183:                            ;   Parent Loop BB192_6 Depth=1
                                        ; =>  This Inner Loop Header: Depth=2
	v_cmp_gt_u64_e32 vcc, s[2:3], v[8:9]
	s_waitcnt vmcnt(0)
	v_mov_b32_e32 v27, 0
	s_and_saveexec_b64 s[6:7], vcc
	s_cbranch_execz .LBB192_185
; %bb.184:                              ;   in Loop: Header=BB192_183 Depth=2
	ds_read_b32 v27, v14
.LBB192_185:                            ;   in Loop: Header=BB192_183 Depth=2
	s_or_b64 exec, exec, s[6:7]
	s_and_saveexec_b64 s[6:7], vcc
	s_cbranch_execz .LBB192_182
; %bb.186:                              ;   in Loop: Header=BB192_183 Depth=2
	s_waitcnt lgkmcnt(0)
	v_cmp_lt_i32_e32 vcc, -1, v27
	v_cndmask_b32_e32 v4, -1, v42, vcc
	v_xor_b32_e32 v4, v4, v27
	v_cmp_o_f32_e32 vcc, v27, v27
	v_cndmask_b32_e32 v4, -1, v4, vcc
	v_and_b32_e32 v4, v4, v34
	v_cmp_eq_u32_e32 vcc, v4, v28
	s_and_b64 exec, exec, vcc
	s_cbranch_execz .LBB192_182
; %bb.187:                              ;   in Loop: Header=BB192_183 Depth=2
	ds_write_b64 v15, v[26:27] offset:3072
	s_branch .LBB192_182
.LBB192_188:                            ;   in Loop: Header=BB192_6 Depth=1
                                        ; implicit-def: $vgpr4_vgpr5
	s_branch .LBB192_133
.LBB192_189:                            ;   in Loop: Header=BB192_6 Depth=1
                                        ; implicit-def: $vgpr4_vgpr5
	s_branch .LBB192_149
.LBB192_190:                            ;   in Loop: Header=BB192_6 Depth=1
	s_mov_b64 s[2:3], -1
	s_mov_b64 s[6:7], 0
                                        ; implicit-def: $sgpr4_sgpr5
                                        ; implicit-def: $vgpr5
	s_mov_b64 s[52:53], s[2:3]
	s_cbranch_execnz .LBB192_193
	s_branch .LBB192_206
.LBB192_191:                            ;   in Loop: Header=BB192_6 Depth=1
	s_or_b64 exec, exec, s[12:13]
	s_and_b64 s[6:7], s[52:53], exec
.LBB192_192:                            ;   in Loop: Header=BB192_6 Depth=1
	s_or_b64 exec, exec, s[4:5]
	s_mov_b64 s[4:5], -1
	s_mov_b64 s[2:3], 0
	s_mov_b64 s[52:53], s[2:3]
	s_branch .LBB192_206
.LBB192_193:                            ;   in Loop: Header=BB192_6 Depth=1
	v_readlane_b32 s52, v54, 32
	v_readlane_b32 s53, v54, 33
	s_mov_b32 s52, s83
	s_cmp_lg_u64 s[52:53], 0
	v_writelane_b32 v54, s52, 32
	v_writelane_b32 v54, s53, 33
	s_cbranch_scc0 .LBB192_226
; %bb.194:                              ;   in Loop: Header=BB192_6 Depth=1
	v_cvt_f32_u32_e32 v2, s33
	s_sub_u32 s2, 0, s33
	s_subb_u32 s3, 0, 0
	v_mac_f32_e32 v2, 0, v43
	v_rcp_f32_e32 v2, v2
	v_mul_f32_e32 v2, 0x5f7ffffc, v2
	v_mul_f32_e32 v3, 0x2f800000, v2
	v_trunc_f32_e32 v3, v3
	v_mac_f32_e32 v2, 0xcf800000, v3
	v_cvt_u32_f32_e32 v3, v3
	v_cvt_u32_f32_e32 v2, v2
	v_readfirstlane_b32 s4, v3
	v_readfirstlane_b32 s5, v2
	s_mul_i32 s6, s2, s4
	s_mul_hi_u32 s12, s2, s5
	s_mul_i32 s7, s3, s5
	s_add_i32 s6, s12, s6
	s_mul_i32 s13, s2, s5
	s_add_i32 s6, s6, s7
	s_mul_hi_u32 s12, s5, s13
	s_mul_hi_u32 s7, s5, s6
	s_mul_i32 s5, s5, s6
	s_add_u32 s5, s12, s5
	s_addc_u32 s7, 0, s7
	s_mul_hi_u32 s52, s4, s13
	s_mul_i32 s13, s4, s13
	s_add_u32 s5, s5, s13
	s_mul_hi_u32 s12, s4, s6
	s_addc_u32 s5, s7, s52
	s_addc_u32 s7, s12, 0
	s_mul_i32 s6, s4, s6
	s_add_u32 s5, s5, s6
	s_addc_u32 s6, 0, s7
	v_add_co_u32_e32 v2, vcc, s5, v2
	s_cmp_lg_u64 vcc, 0
	s_addc_u32 s4, s4, s6
	v_readfirstlane_b32 s6, v2
	s_mul_i32 s5, s2, s4
	s_mul_hi_u32 s7, s2, s6
	s_add_i32 s5, s7, s5
	s_mul_i32 s3, s3, s6
	s_add_i32 s5, s5, s3
	s_mul_i32 s2, s2, s6
	s_mul_hi_u32 s7, s4, s2
	s_mul_i32 s12, s4, s2
	s_mul_i32 s52, s6, s5
	s_mul_hi_u32 s2, s6, s2
	s_mul_hi_u32 s13, s6, s5
	s_add_u32 s2, s2, s52
	s_addc_u32 s6, 0, s13
	s_add_u32 s2, s2, s12
	s_mul_hi_u32 s3, s4, s5
	s_addc_u32 s2, s6, s7
	s_addc_u32 s3, s3, 0
	s_mul_i32 s5, s4, s5
	s_add_u32 s2, s2, s5
	s_addc_u32 s3, 0, s3
	v_add_co_u32_e32 v2, vcc, s2, v2
	s_cmp_lg_u64 vcc, 0
	s_addc_u32 s2, s4, s3
	v_readfirstlane_b32 s5, v2
	s_mul_i32 s4, s89, s2
	s_mul_hi_u32 s6, s89, s5
	s_mul_hi_u32 s3, s89, s2
	s_add_u32 s4, s6, s4
	s_addc_u32 s3, 0, s3
	s_mul_hi_u32 s7, s53, s5
	s_mul_i32 s5, s53, s5
	s_add_u32 s4, s4, s5
	s_mul_hi_u32 s6, s53, s2
	s_addc_u32 s3, s3, s7
	s_addc_u32 s4, s6, 0
	s_mul_i32 s2, s53, s2
	s_add_u32 s2, s3, s2
	s_addc_u32 s3, 0, s4
	s_mul_hi_u32 s4, s33, s2
	s_mul_i32 s2, s33, s2
	s_mul_i32 s3, s33, s3
	v_mov_b32_e32 v2, s2
	s_add_i32 s4, s4, s3
	v_sub_co_u32_e32 v2, vcc, s89, v2
	s_cmp_lg_u64 vcc, 0
	s_subb_u32 s2, s53, s4
	v_subrev_co_u32_e32 v3, vcc, s33, v2
	s_cmp_lg_u64 vcc, 0
	s_subb_u32 s3, s2, 0
	v_subrev_co_u32_e32 v4, vcc, s33, v3
	s_cmp_lg_u64 vcc, 0
	s_subb_u32 s4, s3, 0
	v_cmp_le_u32_e32 vcc, s33, v3
	s_cmp_eq_u32 s3, 0
	v_cndmask_b32_e64 v5, 0, -1, vcc
	s_cselect_b64 vcc, -1, 0
	v_cndmask_b32_e32 v5, -1, v5, vcc
	v_mov_b32_e32 v8, s3
	v_mov_b32_e32 v9, s4
	v_cmp_ne_u32_e32 vcc, 0, v5
	v_cndmask_b32_e32 v5, v8, v9, vcc
	v_cndmask_b32_e32 v4, v3, v4, vcc
	v_cmp_le_u32_e32 vcc, s33, v2
	s_cmp_eq_u32 s2, 0
	v_cndmask_b32_e64 v3, 0, -1, vcc
	s_cselect_b64 vcc, -1, 0
	v_cndmask_b32_e32 v3, -1, v3, vcc
	v_mov_b32_e32 v8, s2
	v_cmp_ne_u32_e32 vcc, 0, v3
	v_cndmask_b32_e32 v3, v8, v5, vcc
	v_cndmask_b32_e32 v2, v2, v4, vcc
	s_cbranch_execnz .LBB192_196
.LBB192_195:                            ;   in Loop: Header=BB192_6 Depth=1
	v_cvt_f32_u32_e32 v2, s33
	s_sub_i32 s2, 0, s33
	v_rcp_iflag_f32_e32 v2, v2
	v_mul_f32_e32 v2, 0x4f7ffffe, v2
	v_cvt_u32_f32_e32 v2, v2
	v_mul_lo_u32 v3, s2, v2
	v_mul_hi_u32 v3, v2, v3
	v_add_u32_e32 v2, v2, v3
	v_mul_hi_u32 v2, s89, v2
	v_mul_lo_u32 v2, v2, s33
	v_sub_u32_e32 v2, s89, v2
	v_subrev_u32_e32 v3, s33, v2
	v_cmp_le_u32_e32 vcc, s33, v2
	v_cndmask_b32_e32 v2, v2, v3, vcc
	v_subrev_u32_e32 v3, s33, v2
	v_cmp_le_u32_e32 vcc, s33, v2
	v_cndmask_b32_e32 v14, v2, v3, vcc
	v_pk_mov_b32 v[2:3], v[14:15], v[14:15] op_sel:[0,1]
.LBB192_196:                            ;   in Loop: Header=BB192_6 Depth=1
	v_readlane_b32 s2, v54, 32
	v_readlane_b32 s3, v54, 33
	v_mov_b32_e32 v4, s3
	v_sub_co_u32_e32 v2, vcc, s89, v2
	v_subb_co_u32_e32 v3, vcc, v4, v3, vcc
	v_cmp_gt_u64_e32 vcc, v[2:3], v[0:1]
	s_mov_b64 s[6:7], 0
                                        ; implicit-def: $vgpr5
	s_and_saveexec_b64 s[2:3], vcc
	s_cbranch_execz .LBB192_205
; %bb.197:                              ;   in Loop: Header=BB192_6 Depth=1
	s_mov_b64 s[4:5], 0
	v_pk_mov_b32 v[8:9], v[12:13], v[12:13] op_sel:[0,1]
	v_pk_mov_b32 v[32:33], v[0:1], v[0:1] op_sel:[0,1]
                                        ; implicit-def: $sgpr12_sgpr13
	s_branch .LBB192_199
.LBB192_198:                            ;   in Loop: Header=BB192_199 Depth=2
	s_or_b64 exec, exec, s[6:7]
	s_waitcnt lgkmcnt(0)
	s_barrier
	ds_read_b64 v[4:5], v15 offset:3072
	v_add_co_u32_e64 v32, s[6:7], s33, v32
	s_waitcnt lgkmcnt(0)
	s_barrier
	v_cmp_neq_f32_e32 vcc, 0, v4
	v_mov_b32_e32 v4, s0
	v_addc_co_u32_e64 v33, s[6:7], v33, v4, s[6:7]
	v_cmp_ge_u64_e64 s[6:7], v[32:33], v[2:3]
	s_or_b64 s[52:53], s[6:7], vcc
	v_mov_b32_e32 v4, s61
	v_add_co_u32_e64 v8, s[6:7], s60, v8
	v_addc_co_u32_e64 v9, s[6:7], v9, v4, s[6:7]
	s_and_b64 s[6:7], exec, s[52:53]
	s_or_b64 s[4:5], s[6:7], s[4:5]
	s_andn2_b64 s[6:7], s[12:13], exec
	s_and_b64 s[12:13], vcc, exec
	s_or_b64 s[12:13], s[6:7], s[12:13]
	s_andn2_b64 exec, exec, s[4:5]
	s_cbranch_execz .LBB192_204
.LBB192_199:                            ;   Parent Loop BB192_6 Depth=1
                                        ; =>  This Inner Loop Header: Depth=2
	v_cmp_gt_u64_e32 vcc, s[56:57], v[32:33]
	s_waitcnt vmcnt(0)
	v_mov_b32_e32 v27, 0
	s_and_saveexec_b64 s[6:7], vcc
	s_cbranch_execz .LBB192_201
; %bb.200:                              ;   in Loop: Header=BB192_199 Depth=2
	global_load_dword v27, v[8:9], off
.LBB192_201:                            ;   in Loop: Header=BB192_199 Depth=2
	s_or_b64 exec, exec, s[6:7]
	s_and_saveexec_b64 s[6:7], vcc
	s_cbranch_execz .LBB192_198
; %bb.202:                              ;   in Loop: Header=BB192_199 Depth=2
	s_waitcnt vmcnt(0)
	v_cmp_lt_i32_e32 vcc, -1, v27
	v_cndmask_b32_e32 v4, -1, v42, vcc
	v_xor_b32_e32 v4, v4, v27
	v_cmp_o_f32_e32 vcc, v27, v27
	v_cndmask_b32_e32 v4, -1, v4, vcc
	v_and_b32_e32 v4, v4, v34
	v_cmp_eq_u32_e32 vcc, v4, v28
	s_and_b64 exec, exec, vcc
	s_cbranch_execz .LBB192_198
; %bb.203:                              ;   in Loop: Header=BB192_199 Depth=2
	ds_write_b64 v15, v[26:27] offset:3072
	s_branch .LBB192_198
.LBB192_204:                            ;   in Loop: Header=BB192_6 Depth=1
	s_or_b64 exec, exec, s[4:5]
	s_and_b64 s[6:7], s[12:13], exec
.LBB192_205:                            ;   in Loop: Header=BB192_6 Depth=1
	s_or_b64 exec, exec, s[2:3]
	s_mov_b64 s[52:53], -1
	s_mov_b64 s[2:3], 0
	s_mov_b64 s[4:5], 0
.LBB192_206:                            ;   in Loop: Header=BB192_6 Depth=1
	s_orn2_b64 s[12:13], s[6:7], exec
.LBB192_207:                            ;   in Loop: Header=BB192_6 Depth=1
	s_or_b64 exec, exec, s[54:55]
	s_mov_b64 s[6:7], 0
                                        ; implicit-def: $vgpr8
	s_and_saveexec_b64 s[54:55], s[12:13]
	s_cbranch_execz .LBB192_272
; %bb.208:                              ;   in Loop: Header=BB192_6 Depth=1
	v_mov_b32_e32 v2, 1
	s_xor_b64 s[12:13], s[50:51], -1
	s_mov_b64 s[78:79], 0
	v_mov_b32_e32 v3, 0
	v_mov_b32_e32 v8, 1
	s_and_saveexec_b64 s[6:7], s[12:13]
	s_cbranch_execz .LBB192_218
; %bb.209:                              ;   in Loop: Header=BB192_6 Depth=1
	v_cmp_ge_u64_e32 vcc, s[22:23], v[6:7]
                                        ; implicit-def: $sgpr72
                                        ; implicit-def: $sgpr12_sgpr13
	s_and_saveexec_b64 s[50:51], vcc
	s_xor_b64 s[50:51], exec, s[50:51]
	s_cbranch_execz .LBB192_215
; %bb.210:                              ;   in Loop: Header=BB192_6 Depth=1
	ds_read_b64 v[2:3], v15 offset:5120
	s_waitcnt lgkmcnt(0)
	v_cmp_ne_u64_e32 vcc, 0, v[2:3]
	s_cbranch_vccnz .LBB192_214
; %bb.211:                              ;   in Loop: Header=BB192_6 Depth=1
	v_readlane_b32 s68, v54, 8
	v_readlane_b32 s69, v54, 9
	s_and_saveexec_b64 s[12:13], s[68:69]
	s_cbranch_execz .LBB192_213
; %bb.212:                              ;   in Loop: Header=BB192_6 Depth=1
	v_pk_mov_b32 v[2:3], s[22:23], s[22:23] op_sel:[0,1]
	ds_write_b64 v15, v[2:3] offset:5128
.LBB192_213:                            ;   in Loop: Header=BB192_6 Depth=1
	s_or_b64 exec, exec, s[12:13]
	s_waitcnt lgkmcnt(0)
	s_barrier
.LBB192_214:                            ;   in Loop: Header=BB192_6 Depth=1
	v_and_b32_e32 v2, s90, v28
	v_lshl_or_b32 v28, 2, s91, v2
	v_or_b32_e32 v34, s82, v34
	s_mov_b64 s[12:13], 0
	s_mov_b32 s72, 8
.LBB192_215:                            ;   in Loop: Header=BB192_6 Depth=1
	s_or_saveexec_b64 s[50:51], s[50:51]
	v_mov_b32_e32 v8, s72
	s_xor_b64 exec, exec, s[50:51]
; %bb.216:                              ;   in Loop: Header=BB192_6 Depth=1
	v_mov_b32_e32 v2, s23
	v_subrev_co_u32_e32 v6, vcc, s22, v6
	v_subb_co_u32_e32 v7, vcc, v7, v2, vcc
	v_mov_b32_e32 v8, 0
	s_or_b64 s[12:13], s[12:13], exec
; %bb.217:                              ;   in Loop: Header=BB192_6 Depth=1
	s_or_b64 exec, exec, s[50:51]
	s_and_b64 s[78:79], s[12:13], exec
	v_pk_mov_b32 v[2:3], v[6:7], v[6:7] op_sel:[0,1]
.LBB192_218:                            ;   in Loop: Header=BB192_6 Depth=1
	s_or_b64 exec, exec, s[6:7]
	s_mov_b64 s[50:51], -1
                                        ; implicit-def: $sgpr6_sgpr7
                                        ; implicit-def: $sgpr72_sgpr73
                                        ; implicit-def: $sgpr12_sgpr13
	s_and_saveexec_b64 s[68:69], s[78:79]
	s_cbranch_execz .LBB192_271
; %bb.219:                              ;   in Loop: Header=BB192_6 Depth=1
	s_cmp_eq_u64 s[24:25], 1
	s_cselect_b64 s[6:7], -1, 0
	v_cmp_eq_u64_e32 vcc, 1, v[2:3]
	v_writelane_b32 v54, s68, 52
	s_and_b64 s[84:85], s[6:7], vcc
	s_mov_b64 s[78:79], -1
	v_writelane_b32 v54, s69, 53
                                        ; implicit-def: $sgpr6_sgpr7
                                        ; implicit-def: $sgpr72_sgpr73
                                        ; implicit-def: $sgpr12_sgpr13
	s_and_saveexec_b64 s[50:51], s[84:85]
	s_cbranch_execz .LBB192_258
; %bb.220:                              ;   in Loop: Header=BB192_6 Depth=1
	ds_read_b64 v[4:5], v15 offset:5120
	v_readlane_b32 s68, v54, 26
	v_readlane_b32 s69, v54, 27
	s_waitcnt lgkmcnt(0)
	s_barrier
	v_readfirstlane_b32 s12, v4
	v_readfirstlane_b32 s13, v5
	s_and_saveexec_b64 s[6:7], s[68:69]
	s_cbranch_execz .LBB192_222
; %bb.221:                              ;   in Loop: Header=BB192_6 Depth=1
	ds_write_b32 v39, v15
.LBB192_222:                            ;   in Loop: Header=BB192_6 Depth=1
	s_or_b64 exec, exec, s[6:7]
	v_or_b32_e32 v28, s82, v28
	v_or_b32_e32 v34, s82, v34
	s_cmp_eq_u64 s[12:13], 0
	v_writelane_b32 v54, s84, 54
	s_waitcnt lgkmcnt(0)
	s_barrier
	v_writelane_b32 v54, s85, 55
	s_cbranch_scc1 .LBB192_227
; %bb.223:                              ;   in Loop: Header=BB192_6 Depth=1
	v_readlane_b32 s6, v54, 30
	s_add_u32 s78, s6, s12
	v_readlane_b32 s6, v54, 31
	s_addc_u32 s7, s6, s13
	s_mov_b32 s6, s83
	s_cmp_lg_u64 s[6:7], 0
	s_cbranch_scc0 .LBB192_228
; %bb.224:                              ;   in Loop: Header=BB192_6 Depth=1
	v_cvt_f32_u32_e32 v4, s33
	s_sub_u32 s6, 0, s33
	s_subb_u32 s72, 0, 0
	v_mac_f32_e32 v4, 0, v43
	v_rcp_f32_e32 v4, v4
	v_mul_f32_e32 v4, 0x5f7ffffc, v4
	v_mul_f32_e32 v5, 0x2f800000, v4
	v_trunc_f32_e32 v5, v5
	v_mac_f32_e32 v4, 0xcf800000, v5
	v_cvt_u32_f32_e32 v5, v5
	v_cvt_u32_f32_e32 v4, v4
	v_readfirstlane_b32 s73, v5
	v_readfirstlane_b32 s79, v4
	s_mul_i32 s80, s6, s73
	s_mul_hi_u32 s84, s6, s79
	s_mul_i32 s81, s72, s79
	s_add_i32 s80, s84, s80
	s_mul_i32 s85, s6, s79
	s_add_i32 s80, s80, s81
	s_mul_hi_u32 s84, s79, s85
	s_mul_hi_u32 s81, s79, s80
	s_mul_i32 s79, s79, s80
	s_add_u32 s79, s84, s79
	s_addc_u32 s81, 0, s81
	s_mul_hi_u32 s89, s73, s85
	s_mul_i32 s85, s73, s85
	s_add_u32 s79, s79, s85
	s_mul_hi_u32 s84, s73, s80
	s_addc_u32 s79, s81, s89
	s_addc_u32 s81, s84, 0
	s_mul_i32 s80, s73, s80
	s_add_u32 s79, s79, s80
	s_addc_u32 s80, 0, s81
	v_add_co_u32_e32 v4, vcc, s79, v4
	s_cmp_lg_u64 vcc, 0
	s_addc_u32 s73, s73, s80
	v_readfirstlane_b32 s80, v4
	s_mul_i32 s79, s6, s73
	s_mul_hi_u32 s81, s6, s80
	s_add_i32 s79, s81, s79
	s_mul_i32 s72, s72, s80
	s_add_i32 s79, s79, s72
	s_mul_i32 s6, s6, s80
	s_mul_hi_u32 s81, s73, s6
	s_mul_i32 s84, s73, s6
	s_mul_i32 s89, s80, s79
	s_mul_hi_u32 s6, s80, s6
	s_mul_hi_u32 s85, s80, s79
	s_add_u32 s6, s6, s89
	s_addc_u32 s80, 0, s85
	s_add_u32 s6, s6, s84
	s_mul_hi_u32 s72, s73, s79
	s_addc_u32 s6, s80, s81
	s_addc_u32 s72, s72, 0
	s_mul_i32 s79, s73, s79
	s_add_u32 s6, s6, s79
	s_addc_u32 s72, 0, s72
	v_add_co_u32_e32 v4, vcc, s6, v4
	s_cmp_lg_u64 vcc, 0
	s_addc_u32 s6, s73, s72
	v_readfirstlane_b32 s79, v4
	s_mul_i32 s73, s78, s6
	s_mul_hi_u32 s80, s78, s79
	s_mul_hi_u32 s72, s78, s6
	s_add_u32 s73, s80, s73
	s_addc_u32 s72, 0, s72
	s_mul_hi_u32 s81, s7, s79
	s_mul_i32 s79, s7, s79
	s_add_u32 s73, s73, s79
	s_mul_hi_u32 s80, s7, s6
	s_addc_u32 s72, s72, s81
	s_addc_u32 s73, s80, 0
	s_mul_i32 s6, s7, s6
	s_add_u32 s6, s72, s6
	s_addc_u32 s72, 0, s73
	s_mul_hi_u32 s73, s33, s6
	s_mul_i32 s6, s33, s6
	s_mul_i32 s72, s33, s72
	v_mov_b32_e32 v4, s6
	s_add_i32 s73, s73, s72
	v_sub_co_u32_e32 v4, vcc, s78, v4
	s_cmp_lg_u64 vcc, 0
	s_subb_u32 s6, s7, s73
	v_subrev_co_u32_e32 v5, vcc, s33, v4
	s_cmp_lg_u64 vcc, 0
	s_subb_u32 s72, s6, 0
	v_subrev_co_u32_e32 v6, vcc, s33, v5
	s_cmp_lg_u64 vcc, 0
	s_subb_u32 s73, s72, 0
	v_cmp_le_u32_e32 vcc, s33, v5
	s_cmp_eq_u32 s72, 0
	v_cndmask_b32_e64 v7, 0, -1, vcc
	s_cselect_b64 vcc, -1, 0
	v_cndmask_b32_e32 v7, -1, v7, vcc
	v_mov_b32_e32 v8, s72
	v_mov_b32_e32 v9, s73
	v_cmp_ne_u32_e32 vcc, 0, v7
	v_cndmask_b32_e32 v7, v8, v9, vcc
	v_cndmask_b32_e32 v6, v5, v6, vcc
	v_cmp_le_u32_e32 vcc, s33, v4
	s_cmp_eq_u32 s6, 0
	v_cndmask_b32_e64 v5, 0, -1, vcc
	s_cselect_b64 vcc, -1, 0
	v_cndmask_b32_e32 v5, -1, v5, vcc
	v_mov_b32_e32 v8, s6
	v_cmp_ne_u32_e32 vcc, 0, v5
	v_cndmask_b32_e32 v5, v8, v7, vcc
	v_cndmask_b32_e32 v4, v4, v6, vcc
	s_mov_b64 s[72:73], 0
	s_branch .LBB192_229
.LBB192_225:                            ;   in Loop: Header=BB192_6 Depth=1
                                        ; implicit-def: $vgpr2_vgpr3
	s_branch .LBB192_179
.LBB192_226:                            ;   in Loop: Header=BB192_6 Depth=1
                                        ; implicit-def: $vgpr2_vgpr3
	s_branch .LBB192_195
.LBB192_227:                            ;   in Loop: Header=BB192_6 Depth=1
	s_mov_b64 s[6:7], -1
	s_mov_b64 s[78:79], 0
                                        ; implicit-def: $sgpr12_sgpr13
                                        ; implicit-def: $vgpr5
	s_branch .LBB192_241
.LBB192_228:                            ;   in Loop: Header=BB192_6 Depth=1
	s_mov_b64 s[72:73], -1
                                        ; implicit-def: $vgpr4_vgpr5
.LBB192_229:                            ;   in Loop: Header=BB192_6 Depth=1
	s_andn2_b64 vcc, exec, s[72:73]
	s_cbranch_vccnz .LBB192_231
; %bb.230:                              ;   in Loop: Header=BB192_6 Depth=1
	v_cvt_f32_u32_e32 v4, s33
	s_sub_i32 s6, 0, s33
	v_rcp_iflag_f32_e32 v4, v4
	v_mul_f32_e32 v4, 0x4f7ffffe, v4
	v_cvt_u32_f32_e32 v4, v4
	v_mul_lo_u32 v5, s6, v4
	v_mul_hi_u32 v5, v4, v5
	v_add_u32_e32 v4, v4, v5
	v_mul_hi_u32 v4, s78, v4
	v_mul_lo_u32 v4, v4, s33
	v_sub_u32_e32 v4, s78, v4
	v_subrev_u32_e32 v5, s33, v4
	v_cmp_le_u32_e32 vcc, s33, v4
	v_cndmask_b32_e32 v4, v4, v5, vcc
	v_subrev_u32_e32 v5, s33, v4
	v_cmp_le_u32_e32 vcc, s33, v4
	v_cndmask_b32_e32 v14, v4, v5, vcc
	v_pk_mov_b32 v[4:5], v[14:15], v[14:15] op_sel:[0,1]
.LBB192_231:                            ;   in Loop: Header=BB192_6 Depth=1
	v_mov_b32_e32 v7, s7
	v_sub_co_u32_e32 v6, vcc, s78, v4
	v_subb_co_u32_e32 v7, vcc, v7, v5, vcc
	v_cmp_gt_u64_e32 vcc, v[6:7], v[0:1]
	s_mov_b64 s[78:79], 0
                                        ; implicit-def: $vgpr5
	s_and_saveexec_b64 s[72:73], vcc
	v_readlane_b32 s89, v54, 47
	s_cbranch_execz .LBB192_240
; %bb.232:                              ;   in Loop: Header=BB192_6 Depth=1
	v_mov_b32_e32 v14, v16
	v_pk_mov_b32 v[8:9], v[0:1], v[0:1] op_sel:[0,1]
                                        ; implicit-def: $sgpr80_sgpr81
	s_branch .LBB192_234
.LBB192_233:                            ;   in Loop: Header=BB192_234 Depth=2
	s_or_b64 exec, exec, s[6:7]
	s_waitcnt lgkmcnt(0)
	s_barrier
	ds_read_b64 v[4:5], v15 offset:3072
	v_add_co_u32_e64 v8, s[6:7], s33, v8
	v_add_u32_e32 v14, s88, v14
	s_waitcnt lgkmcnt(0)
	v_cmp_neq_f32_e32 vcc, 0, v4
	v_mov_b32_e32 v4, s0
	v_addc_co_u32_e64 v9, s[6:7], v9, v4, s[6:7]
	v_cmp_ge_u64_e64 s[6:7], v[8:9], v[6:7]
	s_or_b64 s[6:7], s[6:7], vcc
	s_and_b64 s[6:7], exec, s[6:7]
	s_or_b64 s[78:79], s[6:7], s[78:79]
	s_andn2_b64 s[6:7], s[80:81], exec
	s_and_b64 s[80:81], vcc, exec
	s_or_b64 s[80:81], s[6:7], s[80:81]
	s_barrier
	s_andn2_b64 exec, exec, s[78:79]
	s_cbranch_execz .LBB192_239
.LBB192_234:                            ;   Parent Loop BB192_6 Depth=1
                                        ; =>  This Inner Loop Header: Depth=2
	v_cmp_gt_u64_e32 vcc, s[12:13], v[8:9]
	s_waitcnt vmcnt(0)
	v_mov_b32_e32 v27, 0
	s_and_saveexec_b64 s[6:7], vcc
	s_cbranch_execz .LBB192_236
; %bb.235:                              ;   in Loop: Header=BB192_234 Depth=2
	ds_read_b32 v27, v14
.LBB192_236:                            ;   in Loop: Header=BB192_234 Depth=2
	s_or_b64 exec, exec, s[6:7]
	s_and_saveexec_b64 s[6:7], vcc
	s_cbranch_execz .LBB192_233
; %bb.237:                              ;   in Loop: Header=BB192_234 Depth=2
	s_waitcnt lgkmcnt(0)
	v_cmp_lt_i32_e32 vcc, -1, v27
	v_cndmask_b32_e32 v4, -1, v42, vcc
	v_xor_b32_e32 v4, v4, v27
	v_cmp_o_f32_e32 vcc, v27, v27
	v_cndmask_b32_e32 v4, -1, v4, vcc
	v_and_b32_e32 v4, v4, v34
	v_cmp_eq_u32_e32 vcc, v4, v28
	s_and_b64 exec, exec, vcc
	s_cbranch_execz .LBB192_233
; %bb.238:                              ;   in Loop: Header=BB192_234 Depth=2
	ds_write_b64 v15, v[26:27] offset:3072
	s_branch .LBB192_233
.LBB192_239:                            ;   in Loop: Header=BB192_6 Depth=1
	s_or_b64 exec, exec, s[78:79]
	s_and_b64 s[78:79], s[80:81], exec
.LBB192_240:                            ;   in Loop: Header=BB192_6 Depth=1
	s_or_b64 exec, exec, s[72:73]
	s_mov_b64 s[12:13], -1
	s_mov_b64 s[6:7], 0
.LBB192_241:                            ;   in Loop: Header=BB192_6 Depth=1
	s_and_b64 vcc, exec, s[6:7]
	s_mov_b64 s[72:73], s[6:7]
	s_cbranch_vccz .LBB192_257
; %bb.242:                              ;   in Loop: Header=BB192_6 Depth=1
	v_readlane_b32 s68, v54, 32
	v_readlane_b32 s69, v54, 33
	s_mov_b32 s68, s83
	s_cmp_lg_u64 s[68:69], 0
	v_writelane_b32 v54, s68, 32
	v_writelane_b32 v54, s69, 33
	s_cbranch_scc0 .LBB192_244
; %bb.243:                              ;   in Loop: Header=BB192_6 Depth=1
	v_cvt_f32_u32_e32 v4, s33
	s_sub_u32 s6, 0, s33
	s_subb_u32 s7, 0, 0
	v_mac_f32_e32 v4, 0, v43
	v_rcp_f32_e32 v4, v4
	v_mul_f32_e32 v4, 0x5f7ffffc, v4
	v_mul_f32_e32 v5, 0x2f800000, v4
	v_trunc_f32_e32 v5, v5
	v_mac_f32_e32 v4, 0xcf800000, v5
	v_cvt_u32_f32_e32 v5, v5
	v_cvt_u32_f32_e32 v4, v4
	v_readfirstlane_b32 s12, v5
	v_readfirstlane_b32 s13, v4
	s_mul_i32 s72, s6, s12
	s_mul_hi_u32 s78, s6, s13
	s_mul_i32 s73, s7, s13
	s_add_i32 s72, s78, s72
	s_mul_i32 s79, s6, s13
	s_add_i32 s72, s72, s73
	s_mul_hi_u32 s78, s13, s79
	s_mul_hi_u32 s73, s13, s72
	s_mul_i32 s13, s13, s72
	s_add_u32 s13, s78, s13
	s_addc_u32 s73, 0, s73
	s_mul_hi_u32 s80, s12, s79
	s_mul_i32 s79, s12, s79
	s_add_u32 s13, s13, s79
	s_mul_hi_u32 s78, s12, s72
	s_addc_u32 s13, s73, s80
	s_addc_u32 s73, s78, 0
	s_mul_i32 s72, s12, s72
	s_add_u32 s13, s13, s72
	s_addc_u32 s72, 0, s73
	v_add_co_u32_e32 v4, vcc, s13, v4
	s_cmp_lg_u64 vcc, 0
	s_addc_u32 s12, s12, s72
	v_readfirstlane_b32 s72, v4
	s_mul_i32 s13, s6, s12
	s_mul_hi_u32 s73, s6, s72
	s_add_i32 s13, s73, s13
	s_mul_i32 s7, s7, s72
	s_add_i32 s13, s13, s7
	s_mul_i32 s6, s6, s72
	s_mul_hi_u32 s73, s12, s6
	s_mul_i32 s78, s12, s6
	s_mul_i32 s80, s72, s13
	s_mul_hi_u32 s6, s72, s6
	s_mul_hi_u32 s79, s72, s13
	s_add_u32 s6, s6, s80
	s_addc_u32 s72, 0, s79
	s_add_u32 s6, s6, s78
	s_mul_hi_u32 s7, s12, s13
	s_addc_u32 s6, s72, s73
	s_addc_u32 s7, s7, 0
	s_mul_i32 s13, s12, s13
	s_add_u32 s6, s6, s13
	s_addc_u32 s7, 0, s7
	v_add_co_u32_e32 v4, vcc, s6, v4
	s_cmp_lg_u64 vcc, 0
	s_addc_u32 s6, s12, s7
	v_readfirstlane_b32 s13, v4
	s_mul_i32 s12, s89, s6
	s_mul_hi_u32 s72, s89, s13
	s_mul_hi_u32 s7, s89, s6
	s_add_u32 s12, s72, s12
	s_addc_u32 s7, 0, s7
	s_mul_hi_u32 s73, s69, s13
	s_mul_i32 s13, s69, s13
	s_add_u32 s12, s12, s13
	s_mul_hi_u32 s72, s69, s6
	s_addc_u32 s7, s7, s73
	s_addc_u32 s12, s72, 0
	s_mul_i32 s6, s69, s6
	s_add_u32 s6, s7, s6
	s_addc_u32 s7, 0, s12
	s_mul_hi_u32 s12, s33, s6
	s_mul_i32 s6, s33, s6
	s_mul_i32 s7, s33, s7
	v_mov_b32_e32 v4, s6
	s_add_i32 s12, s12, s7
	v_sub_co_u32_e32 v4, vcc, s89, v4
	s_cmp_lg_u64 vcc, 0
	s_subb_u32 s6, s69, s12
	v_subrev_co_u32_e32 v5, vcc, s33, v4
	s_cmp_lg_u64 vcc, 0
	s_subb_u32 s7, s6, 0
	v_subrev_co_u32_e32 v6, vcc, s33, v5
	s_cmp_lg_u64 vcc, 0
	s_subb_u32 s12, s7, 0
	v_cmp_le_u32_e32 vcc, s33, v5
	s_cmp_eq_u32 s7, 0
	v_cndmask_b32_e64 v7, 0, -1, vcc
	s_cselect_b64 vcc, -1, 0
	v_cndmask_b32_e32 v7, -1, v7, vcc
	v_mov_b32_e32 v8, s7
	v_mov_b32_e32 v9, s12
	v_cmp_ne_u32_e32 vcc, 0, v7
	v_cndmask_b32_e32 v7, v8, v9, vcc
	v_cndmask_b32_e32 v6, v5, v6, vcc
	v_cmp_le_u32_e32 vcc, s33, v4
	s_cmp_eq_u32 s6, 0
	v_cndmask_b32_e64 v5, 0, -1, vcc
	s_cselect_b64 vcc, -1, 0
	v_cndmask_b32_e32 v5, -1, v5, vcc
	v_mov_b32_e32 v8, s6
	v_cmp_ne_u32_e32 vcc, 0, v5
	v_cndmask_b32_e32 v5, v8, v7, vcc
	v_cndmask_b32_e32 v4, v4, v6, vcc
	s_mov_b64 s[6:7], 0
	s_branch .LBB192_245
.LBB192_244:                            ;   in Loop: Header=BB192_6 Depth=1
	s_mov_b64 s[6:7], -1
                                        ; implicit-def: $vgpr4_vgpr5
.LBB192_245:                            ;   in Loop: Header=BB192_6 Depth=1
	s_andn2_b64 vcc, exec, s[6:7]
	s_cbranch_vccnz .LBB192_247
; %bb.246:                              ;   in Loop: Header=BB192_6 Depth=1
	v_cvt_f32_u32_e32 v4, s33
	s_sub_i32 s6, 0, s33
	v_rcp_iflag_f32_e32 v4, v4
	v_mul_f32_e32 v4, 0x4f7ffffe, v4
	v_cvt_u32_f32_e32 v4, v4
	v_mul_lo_u32 v5, s6, v4
	v_mul_hi_u32 v5, v4, v5
	v_add_u32_e32 v4, v4, v5
	v_mul_hi_u32 v4, s89, v4
	v_mul_lo_u32 v4, v4, s33
	v_sub_u32_e32 v4, s89, v4
	v_subrev_u32_e32 v5, s33, v4
	v_cmp_le_u32_e32 vcc, s33, v4
	v_cndmask_b32_e32 v4, v4, v5, vcc
	v_subrev_u32_e32 v5, s33, v4
	v_cmp_le_u32_e32 vcc, s33, v4
	v_cndmask_b32_e32 v14, v4, v5, vcc
	v_pk_mov_b32 v[4:5], v[14:15], v[14:15] op_sel:[0,1]
.LBB192_247:                            ;   in Loop: Header=BB192_6 Depth=1
	v_readlane_b32 s6, v54, 32
	v_readlane_b32 s7, v54, 33
	v_mov_b32_e32 v7, s7
	v_sub_co_u32_e32 v6, vcc, s89, v4
	v_subb_co_u32_e32 v7, vcc, v7, v5, vcc
	v_cmp_gt_u64_e32 vcc, v[6:7], v[0:1]
	s_mov_b64 s[78:79], 0
                                        ; implicit-def: $vgpr5
	s_and_saveexec_b64 s[12:13], vcc
	s_cbranch_execz .LBB192_256
; %bb.248:                              ;   in Loop: Header=BB192_6 Depth=1
	s_mov_b64 s[72:73], 0
	v_pk_mov_b32 v[8:9], v[12:13], v[12:13] op_sel:[0,1]
	v_pk_mov_b32 v[32:33], v[0:1], v[0:1] op_sel:[0,1]
                                        ; implicit-def: $sgpr78_sgpr79
	s_branch .LBB192_250
.LBB192_249:                            ;   in Loop: Header=BB192_250 Depth=2
	s_or_b64 exec, exec, s[6:7]
	s_waitcnt lgkmcnt(0)
	s_barrier
	ds_read_b64 v[4:5], v15 offset:3072
	v_add_co_u32_e64 v32, s[6:7], s33, v32
	s_waitcnt lgkmcnt(0)
	s_barrier
	v_cmp_neq_f32_e32 vcc, 0, v4
	v_mov_b32_e32 v4, s0
	v_addc_co_u32_e64 v33, s[6:7], v33, v4, s[6:7]
	v_cmp_ge_u64_e64 s[6:7], v[32:33], v[6:7]
	s_or_b64 s[80:81], s[6:7], vcc
	v_mov_b32_e32 v4, s61
	v_add_co_u32_e64 v8, s[6:7], s60, v8
	v_addc_co_u32_e64 v9, s[6:7], v9, v4, s[6:7]
	s_and_b64 s[6:7], exec, s[80:81]
	s_or_b64 s[72:73], s[6:7], s[72:73]
	s_andn2_b64 s[6:7], s[78:79], exec
	s_and_b64 s[78:79], vcc, exec
	s_or_b64 s[78:79], s[6:7], s[78:79]
	s_andn2_b64 exec, exec, s[72:73]
	s_cbranch_execz .LBB192_255
.LBB192_250:                            ;   Parent Loop BB192_6 Depth=1
                                        ; =>  This Inner Loop Header: Depth=2
	v_cmp_gt_u64_e32 vcc, s[56:57], v[32:33]
	s_waitcnt vmcnt(0)
	v_mov_b32_e32 v27, 0
	s_and_saveexec_b64 s[6:7], vcc
	s_cbranch_execz .LBB192_252
; %bb.251:                              ;   in Loop: Header=BB192_250 Depth=2
	global_load_dword v27, v[8:9], off
.LBB192_252:                            ;   in Loop: Header=BB192_250 Depth=2
	s_or_b64 exec, exec, s[6:7]
	s_and_saveexec_b64 s[6:7], vcc
	s_cbranch_execz .LBB192_249
; %bb.253:                              ;   in Loop: Header=BB192_250 Depth=2
	s_waitcnt vmcnt(0)
	v_cmp_lt_i32_e32 vcc, -1, v27
	v_cndmask_b32_e32 v4, -1, v42, vcc
	v_xor_b32_e32 v4, v4, v27
	v_cmp_o_f32_e32 vcc, v27, v27
	v_cndmask_b32_e32 v4, -1, v4, vcc
	v_and_b32_e32 v4, v4, v34
	v_cmp_eq_u32_e32 vcc, v4, v28
	s_and_b64 exec, exec, vcc
	s_cbranch_execz .LBB192_249
; %bb.254:                              ;   in Loop: Header=BB192_250 Depth=2
	ds_write_b64 v15, v[26:27] offset:3072
	s_branch .LBB192_249
.LBB192_255:                            ;   in Loop: Header=BB192_6 Depth=1
	s_or_b64 exec, exec, s[72:73]
	s_and_b64 s[78:79], s[78:79], exec
.LBB192_256:                            ;   in Loop: Header=BB192_6 Depth=1
	s_or_b64 exec, exec, s[12:13]
	s_mov_b64 s[72:73], -1
	s_mov_b64 s[6:7], 0
	s_mov_b64 s[12:13], 0
.LBB192_257:                            ;   in Loop: Header=BB192_6 Depth=1
	v_readlane_b32 s84, v54, 54
	s_orn2_b64 s[78:79], s[78:79], exec
	v_readlane_b32 s85, v54, 55
.LBB192_258:                            ;   in Loop: Header=BB192_6 Depth=1
	s_or_b64 exec, exec, s[50:51]
	s_mov_b64 s[80:81], 0
                                        ; implicit-def: $vgpr8
                                        ; implicit-def: $vgpr6_vgpr7
	s_and_saveexec_b64 s[50:51], s[78:79]
	v_readlane_b32 s68, v54, 52
	v_readlane_b32 s69, v54, 53
	s_cbranch_execz .LBB192_270
; %bb.259:                              ;   in Loop: Header=BB192_6 Depth=1
	v_mov_b32_e32 v6, 1
	s_xor_b64 s[80:81], s[84:85], -1
	v_mov_b32_e32 v8, 1
	v_mov_b32_e32 v7, 0
	s_and_saveexec_b64 s[78:79], s[80:81]
	s_cbranch_execz .LBB192_269
; %bb.260:                              ;   in Loop: Header=BB192_6 Depth=1
	s_mov_b64 s[68:69], s[94:95]
	v_cmp_ge_u64_e32 vcc, s[24:25], v[2:3]
                                        ; implicit-def: $sgpr84
	s_and_saveexec_b64 s[80:81], vcc
	s_xor_b64 s[80:81], exec, s[80:81]
	s_cbranch_execz .LBB192_266
; %bb.261:                              ;   in Loop: Header=BB192_6 Depth=1
	ds_read_b64 v[6:7], v15 offset:5120
	s_waitcnt lgkmcnt(0)
	v_cmp_ne_u64_e32 vcc, 0, v[6:7]
	s_cbranch_vccnz .LBB192_265
; %bb.262:                              ;   in Loop: Header=BB192_6 Depth=1
	s_mov_b64 s[84:85], exec
	v_readlane_b32 s94, v54, 8
	v_readlane_b32 s95, v54, 9
	s_and_b64 s[94:95], s[84:85], s[94:95]
	s_mov_b64 exec, s[94:95]
	s_cbranch_execz .LBB192_264
; %bb.263:                              ;   in Loop: Header=BB192_6 Depth=1
	v_pk_mov_b32 v[6:7], s[24:25], s[24:25] op_sel:[0,1]
	ds_write_b64 v15, v[6:7] offset:5128
.LBB192_264:                            ;   in Loop: Header=BB192_6 Depth=1
	s_or_b64 exec, exec, s[84:85]
	s_waitcnt lgkmcnt(0)
	s_barrier
.LBB192_265:                            ;   in Loop: Header=BB192_6 Depth=1
	v_or_b32_e32 v28, s82, v28
	v_or_b32_e32 v34, s82, v34
	s_mov_b32 s84, 8
.LBB192_266:                            ;   in Loop: Header=BB192_6 Depth=1
	s_or_saveexec_b64 s[80:81], s[80:81]
	v_mov_b32_e32 v8, s84
	s_xor_b64 exec, exec, s[80:81]
; %bb.267:                              ;   in Loop: Header=BB192_6 Depth=1
	v_mov_b32_e32 v4, s25
	v_subrev_co_u32_e32 v2, vcc, s24, v2
	v_subb_co_u32_e32 v3, vcc, v3, v4, vcc
	v_mov_b32_e32 v8, 8
; %bb.268:                              ;   in Loop: Header=BB192_6 Depth=1
	s_or_b64 exec, exec, s[80:81]
	s_mov_b64 s[94:95], s[68:69]
	v_readlane_b32 s68, v54, 52
	v_pk_mov_b32 v[6:7], v[2:3], v[2:3] op_sel:[0,1]
	v_readlane_b32 s69, v54, 53
.LBB192_269:                            ;   in Loop: Header=BB192_6 Depth=1
	s_or_b64 exec, exec, s[78:79]
	s_mov_b64 s[80:81], exec
.LBB192_270:                            ;   in Loop: Header=BB192_6 Depth=1
	s_or_b64 exec, exec, s[50:51]
	s_orn2_b64 s[50:51], s[80:81], exec
	v_pk_mov_b32 v[2:3], v[6:7], v[6:7] op_sel:[0,1]
.LBB192_271:                            ;   in Loop: Header=BB192_6 Depth=1
	s_or_b64 exec, exec, s[68:69]
	s_andn2_b64 s[2:3], s[2:3], exec
	s_and_b64 s[6:7], s[6:7], exec
	s_or_b64 s[2:3], s[2:3], s[6:7]
	s_andn2_b64 s[6:7], s[52:53], exec
	s_and_b64 s[52:53], s[72:73], exec
	s_or_b64 s[52:53], s[6:7], s[52:53]
	;; [unrolled: 3-line block ×3, first 2 shown]
	s_and_b64 s[6:7], s[50:51], exec
	v_pk_mov_b32 v[6:7], v[2:3], v[2:3] op_sel:[0,1]
.LBB192_272:                            ;   in Loop: Header=BB192_6 Depth=1
	s_or_b64 exec, exec, s[54:55]
	s_and_b64 s[50:51], s[2:3], exec
	s_and_b64 s[12:13], s[52:53], exec
	;; [unrolled: 1-line block ×3, first 2 shown]
	s_orn2_b64 s[2:3], s[6:7], exec
.LBB192_273:                            ;   in Loop: Header=BB192_6 Depth=1
	s_or_b64 exec, exec, s[48:49]
	s_andn2_b64 s[6:7], s[28:29], exec
	s_and_b64 s[28:29], s[50:51], exec
	s_or_b64 s[28:29], s[6:7], s[28:29]
	s_andn2_b64 s[6:7], s[44:45], exec
	s_and_b64 s[12:13], s[12:13], exec
	s_or_b64 s[44:45], s[6:7], s[12:13]
	;; [unrolled: 3-line block ×3, first 2 shown]
	s_and_b64 s[6:7], s[2:3], exec
	v_pk_mov_b32 v[2:3], v[6:7], v[6:7] op_sel:[0,1]
.LBB192_274:                            ;   in Loop: Header=BB192_6 Depth=1
	s_or_b64 exec, exec, s[46:47]
	s_and_b64 s[12:13], s[28:29], exec
	s_and_b64 s[4:5], s[44:45], exec
	;; [unrolled: 1-line block ×3, first 2 shown]
	s_orn2_b64 s[28:29], s[6:7], exec
.LBB192_275:                            ;   in Loop: Header=BB192_6 Depth=1
	s_or_b64 exec, exec, s[26:27]
	s_mov_b64 s[6:7], 0
	s_mov_b64 s[26:27], 0
	s_and_saveexec_b64 s[42:43], s[28:29]
	s_xor_b64 s[28:29], exec, s[42:43]
; %bb.276:                              ;   in Loop: Header=BB192_6 Depth=1
	v_cmp_eq_u32_e32 vcc, 8, v8
	v_cmp_ne_u32_e64 s[6:7], 8, v8
	s_andn2_b64 s[12:13], s[12:13], exec
	s_andn2_b64 s[4:5], s[4:5], exec
	;; [unrolled: 1-line block ×3, first 2 shown]
	s_and_b64 s[26:27], s[6:7], exec
	s_and_b64 s[6:7], vcc, exec
; %bb.277:                              ;   in Loop: Header=BB192_6 Depth=1
	s_or_b64 exec, exec, s[28:29]
	s_andn2_b64 s[20:21], s[20:21], exec
	s_and_b64 s[12:13], s[12:13], exec
	s_or_b64 s[20:21], s[20:21], s[12:13]
	s_andn2_b64 s[12:13], s[36:37], exec
	s_and_b64 s[4:5], s[4:5], exec
	s_or_b64 s[36:37], s[12:13], s[4:5]
	s_andn2_b64 s[4:5], s[34:35], exec
	s_and_b64 s[2:3], s[2:3], exec
	s_or_b64 s[34:35], s[4:5], s[2:3]
	s_and_b64 s[26:27], s[26:27], exec
	s_and_b64 s[28:29], s[6:7], exec
.LBB192_278:                            ;   in Loop: Header=BB192_6 Depth=1
	s_or_b64 exec, exec, s[40:41]
	s_and_b64 vcc, exec, s[38:39]
	s_cbranch_vccz .LBB192_94
.LBB192_279:                            ;   in Loop: Header=BB192_6 Depth=1
	s_cmp_eq_u64 s[24:25], 1
	s_cselect_b64 s[2:3], -1, 0
	s_and_b64 s[2:3], s[2:3], s[14:15]
	s_mov_b64 s[6:7], -1
                                        ; implicit-def: $sgpr14_sgpr15
                                        ; implicit-def: $sgpr38_sgpr39
                                        ; implicit-def: $sgpr20_sgpr21
	s_and_saveexec_b64 s[4:5], s[2:3]
	s_cbranch_execz .LBB192_311
; %bb.280:                              ;   in Loop: Header=BB192_6 Depth=1
	ds_read_b64 v[2:3], v15 offset:5120
	s_waitcnt lgkmcnt(0)
	s_barrier
	v_readfirstlane_b32 s12, v2
	v_readfirstlane_b32 s13, v3
	s_mov_b64 s[6:7], exec
	v_readlane_b32 s14, v54, 26
	v_readlane_b32 s15, v54, 27
	s_and_b64 s[14:15], s[6:7], s[14:15]
	s_mov_b64 exec, s[14:15]
	s_cbranch_execz .LBB192_282
; %bb.281:                              ;   in Loop: Header=BB192_6 Depth=1
	ds_write_b32 v39, v15
.LBB192_282:                            ;   in Loop: Header=BB192_6 Depth=1
	s_or_b64 exec, exec, s[6:7]
	v_or_b32_e32 v45, s82, v45
	v_or_b32_e32 v44, s82, v44
	s_cmp_eq_u64 s[12:13], 0
	s_waitcnt lgkmcnt(0)
	s_barrier
	s_cbranch_scc1 .LBB192_294
; %bb.283:                              ;   in Loop: Header=BB192_6 Depth=1
	v_readlane_b32 s6, v54, 30
	s_add_u32 s20, s6, s12
	v_readlane_b32 s6, v54, 31
	s_addc_u32 s7, s6, s13
	s_mov_b32 s6, s83
	s_cmp_lg_u64 s[6:7], 0
	s_cbranch_scc0 .LBB192_338
; %bb.284:                              ;   in Loop: Header=BB192_6 Depth=1
	v_cvt_f32_u32_e32 v2, s33
	s_sub_u32 s6, 0, s33
	s_subb_u32 s14, 0, 0
	v_mac_f32_e32 v2, 0, v43
	v_rcp_f32_e32 v2, v2
	v_mul_f32_e32 v2, 0x5f7ffffc, v2
	v_mul_f32_e32 v3, 0x2f800000, v2
	v_trunc_f32_e32 v3, v3
	v_mac_f32_e32 v2, 0xcf800000, v3
	v_cvt_u32_f32_e32 v3, v3
	v_cvt_u32_f32_e32 v2, v2
	v_readfirstlane_b32 s15, v3
	v_readfirstlane_b32 s21, v2
	s_mul_i32 s34, s6, s15
	s_mul_hi_u32 s36, s6, s21
	s_mul_i32 s35, s14, s21
	s_add_i32 s34, s36, s34
	s_mul_i32 s37, s6, s21
	s_add_i32 s34, s34, s35
	s_mul_hi_u32 s36, s21, s37
	s_mul_hi_u32 s35, s21, s34
	s_mul_i32 s21, s21, s34
	s_add_u32 s21, s36, s21
	s_addc_u32 s35, 0, s35
	s_mul_hi_u32 s38, s15, s37
	s_mul_i32 s37, s15, s37
	s_add_u32 s21, s21, s37
	s_mul_hi_u32 s36, s15, s34
	s_addc_u32 s21, s35, s38
	s_addc_u32 s35, s36, 0
	s_mul_i32 s34, s15, s34
	s_add_u32 s21, s21, s34
	s_addc_u32 s34, 0, s35
	v_add_co_u32_e32 v2, vcc, s21, v2
	s_cmp_lg_u64 vcc, 0
	s_addc_u32 s15, s15, s34
	v_readfirstlane_b32 s34, v2
	s_mul_i32 s21, s6, s15
	s_mul_hi_u32 s35, s6, s34
	s_add_i32 s21, s35, s21
	s_mul_i32 s14, s14, s34
	s_add_i32 s21, s21, s14
	s_mul_i32 s6, s6, s34
	s_mul_hi_u32 s35, s15, s6
	s_mul_i32 s36, s15, s6
	s_mul_i32 s38, s34, s21
	s_mul_hi_u32 s6, s34, s6
	s_mul_hi_u32 s37, s34, s21
	s_add_u32 s6, s6, s38
	s_addc_u32 s34, 0, s37
	s_add_u32 s6, s6, s36
	s_mul_hi_u32 s14, s15, s21
	s_addc_u32 s6, s34, s35
	s_addc_u32 s14, s14, 0
	s_mul_i32 s21, s15, s21
	s_add_u32 s6, s6, s21
	s_addc_u32 s14, 0, s14
	v_add_co_u32_e32 v2, vcc, s6, v2
	s_cmp_lg_u64 vcc, 0
	s_addc_u32 s6, s15, s14
	v_readfirstlane_b32 s21, v2
	s_mul_i32 s15, s20, s6
	s_mul_hi_u32 s34, s20, s21
	s_mul_hi_u32 s14, s20, s6
	s_add_u32 s15, s34, s15
	s_addc_u32 s14, 0, s14
	s_mul_hi_u32 s35, s7, s21
	s_mul_i32 s21, s7, s21
	s_add_u32 s15, s15, s21
	s_mul_hi_u32 s34, s7, s6
	s_addc_u32 s14, s14, s35
	s_addc_u32 s15, s34, 0
	s_mul_i32 s6, s7, s6
	s_add_u32 s6, s14, s6
	s_addc_u32 s14, 0, s15
	s_mul_hi_u32 s15, s33, s6
	s_mul_i32 s6, s33, s6
	s_mul_i32 s14, s33, s14
	v_mov_b32_e32 v2, s6
	s_add_i32 s15, s15, s14
	v_sub_co_u32_e32 v2, vcc, s20, v2
	s_cmp_lg_u64 vcc, 0
	s_subb_u32 s6, s7, s15
	v_subrev_co_u32_e32 v3, vcc, s33, v2
	s_cmp_lg_u64 vcc, 0
	s_subb_u32 s14, s6, 0
	v_subrev_co_u32_e32 v4, vcc, s33, v3
	s_cmp_lg_u64 vcc, 0
	s_subb_u32 s15, s14, 0
	v_cmp_le_u32_e32 vcc, s33, v3
	s_cmp_eq_u32 s14, 0
	v_cndmask_b32_e64 v5, 0, -1, vcc
	s_cselect_b64 vcc, -1, 0
	v_cndmask_b32_e32 v5, -1, v5, vcc
	v_mov_b32_e32 v6, s14
	v_mov_b32_e32 v7, s15
	v_cmp_ne_u32_e32 vcc, 0, v5
	v_cndmask_b32_e32 v5, v6, v7, vcc
	v_cndmask_b32_e32 v4, v3, v4, vcc
	v_cmp_le_u32_e32 vcc, s33, v2
	s_cmp_eq_u32 s6, 0
	v_cndmask_b32_e64 v3, 0, -1, vcc
	s_cselect_b64 vcc, -1, 0
	v_cndmask_b32_e32 v3, -1, v3, vcc
	v_mov_b32_e32 v6, s6
	v_cmp_ne_u32_e32 vcc, 0, v3
	v_cndmask_b32_e32 v3, v6, v5, vcc
	v_cndmask_b32_e32 v2, v2, v4, vcc
	s_cbranch_execnz .LBB192_286
.LBB192_285:                            ;   in Loop: Header=BB192_6 Depth=1
	v_cvt_f32_u32_e32 v2, s33
	s_sub_i32 s6, 0, s33
	v_rcp_iflag_f32_e32 v2, v2
	v_mul_f32_e32 v2, 0x4f7ffffe, v2
	v_cvt_u32_f32_e32 v2, v2
	v_mul_lo_u32 v3, s6, v2
	v_mul_hi_u32 v3, v2, v3
	v_add_u32_e32 v2, v2, v3
	v_mul_hi_u32 v2, s20, v2
	v_mul_lo_u32 v2, v2, s33
	v_sub_u32_e32 v2, s20, v2
	v_subrev_u32_e32 v3, s33, v2
	v_cmp_le_u32_e32 vcc, s33, v2
	v_cndmask_b32_e32 v2, v2, v3, vcc
	v_subrev_u32_e32 v3, s33, v2
	v_cmp_le_u32_e32 vcc, s33, v2
	v_cndmask_b32_e32 v14, v2, v3, vcc
	v_pk_mov_b32 v[2:3], v[14:15], v[14:15] op_sel:[0,1]
.LBB192_286:                            ;   in Loop: Header=BB192_6 Depth=1
	v_mov_b32_e32 v4, s7
	v_sub_co_u32_e32 v2, vcc, s20, v2
	v_subb_co_u32_e32 v3, vcc, v4, v3, vcc
	v_cmp_gt_u64_e32 vcc, v[2:3], v[0:1]
	s_mov_b64 s[6:7], 0
                                        ; implicit-def: $vgpr29
	s_and_saveexec_b64 s[14:15], vcc
	s_cbranch_execz .LBB192_296
; %bb.287:                              ;   in Loop: Header=BB192_6 Depth=1
	s_mov_b64 s[20:21], 0
	v_mov_b32_e32 v6, v16
	v_pk_mov_b32 v[4:5], v[0:1], v[0:1] op_sel:[0,1]
                                        ; implicit-def: $sgpr34_sgpr35
	s_branch .LBB192_289
.LBB192_288:                            ;   in Loop: Header=BB192_289 Depth=2
	s_or_b64 exec, exec, s[6:7]
	s_waitcnt lgkmcnt(0)
	s_barrier
	ds_read_b64 v[28:29], v15 offset:3072
	v_mov_b32_e32 v7, s0
	v_add_co_u32_e64 v4, s[6:7], s33, v4
	v_addc_co_u32_e64 v5, s[6:7], v5, v7, s[6:7]
	s_waitcnt lgkmcnt(0)
	v_cmp_neq_f32_e32 vcc, 0, v28
	v_cmp_ge_u64_e64 s[6:7], v[4:5], v[2:3]
	s_or_b64 s[6:7], s[6:7], vcc
	s_and_b64 s[6:7], exec, s[6:7]
	s_or_b64 s[20:21], s[6:7], s[20:21]
	s_andn2_b64 s[6:7], s[34:35], exec
	s_and_b64 s[34:35], vcc, exec
	v_add_u32_e32 v6, s88, v6
	s_or_b64 s[34:35], s[6:7], s[34:35]
	s_barrier
	s_andn2_b64 exec, exec, s[20:21]
	s_cbranch_execz .LBB192_295
.LBB192_289:                            ;   Parent Loop BB192_6 Depth=1
                                        ; =>  This Inner Loop Header: Depth=2
	v_cmp_gt_u64_e32 vcc, s[12:13], v[4:5]
	s_waitcnt vmcnt(0)
	v_mov_b32_e32 v27, 0
	s_and_saveexec_b64 s[6:7], vcc
	s_cbranch_execz .LBB192_291
; %bb.290:                              ;   in Loop: Header=BB192_289 Depth=2
	ds_read_b32 v27, v6
.LBB192_291:                            ;   in Loop: Header=BB192_289 Depth=2
	s_or_b64 exec, exec, s[6:7]
	s_and_saveexec_b64 s[6:7], vcc
	s_cbranch_execz .LBB192_288
; %bb.292:                              ;   in Loop: Header=BB192_289 Depth=2
	s_waitcnt lgkmcnt(0)
	v_cmp_lt_i32_e32 vcc, -1, v27
	v_cndmask_b32_e32 v7, -1, v42, vcc
	v_xor_b32_e32 v7, v7, v27
	v_cmp_o_f32_e32 vcc, v27, v27
	v_cndmask_b32_e32 v7, -1, v7, vcc
	v_and_b32_e32 v7, v7, v44
	v_cmp_eq_u32_e32 vcc, v7, v45
	s_and_b64 exec, exec, vcc
	s_cbranch_execz .LBB192_288
; %bb.293:                              ;   in Loop: Header=BB192_289 Depth=2
	ds_write_b64 v15, v[26:27] offset:3072
	s_branch .LBB192_288
.LBB192_294:                            ;   in Loop: Header=BB192_6 Depth=1
	s_mov_b64 s[14:15], -1
	s_mov_b64 s[6:7], 0
                                        ; implicit-def: $sgpr38_sgpr39
                                        ; implicit-def: $vgpr29
	s_mov_b64 s[20:21], s[14:15]
	s_cbranch_execnz .LBB192_297
	s_branch .LBB192_310
.LBB192_295:                            ;   in Loop: Header=BB192_6 Depth=1
	s_or_b64 exec, exec, s[20:21]
	s_and_b64 s[6:7], s[34:35], exec
.LBB192_296:                            ;   in Loop: Header=BB192_6 Depth=1
	s_or_b64 exec, exec, s[14:15]
	s_mov_b64 s[14:15], 0
	s_mov_b64 s[38:39], -1
	s_mov_b64 s[20:21], s[14:15]
	s_branch .LBB192_310
.LBB192_297:                            ;   in Loop: Header=BB192_6 Depth=1
	v_readlane_b32 s12, v54, 32
	v_readlane_b32 s13, v54, 33
	s_mov_b32 s12, s83
	s_mov_b32 s7, s13
	s_cmp_lg_u64 s[12:13], 0
	v_writelane_b32 v54, s6, 32
	v_writelane_b32 v54, s7, 33
	s_cbranch_scc0 .LBB192_339
; %bb.298:                              ;   in Loop: Header=BB192_6 Depth=1
	v_cvt_f32_u32_e32 v2, s33
	s_sub_u32 s6, 0, s33
	s_subb_u32 s7, 0, 0
	v_mac_f32_e32 v2, 0, v43
	v_rcp_f32_e32 v2, v2
	v_mul_f32_e32 v2, 0x5f7ffffc, v2
	v_mul_f32_e32 v3, 0x2f800000, v2
	v_trunc_f32_e32 v3, v3
	v_mac_f32_e32 v2, 0xcf800000, v3
	v_cvt_u32_f32_e32 v3, v3
	v_cvt_u32_f32_e32 v2, v2
	v_readfirstlane_b32 s12, v3
	v_readfirstlane_b32 s13, v2
	s_mul_i32 s14, s6, s12
	s_mul_hi_u32 s20, s6, s13
	s_mul_i32 s15, s7, s13
	s_add_i32 s14, s20, s14
	s_mul_i32 s21, s6, s13
	s_add_i32 s14, s14, s15
	s_mul_hi_u32 s20, s13, s21
	s_mul_hi_u32 s15, s13, s14
	s_mul_i32 s13, s13, s14
	s_add_u32 s13, s20, s13
	s_addc_u32 s15, 0, s15
	s_mul_hi_u32 s34, s12, s21
	s_mul_i32 s21, s12, s21
	s_add_u32 s13, s13, s21
	s_mul_hi_u32 s20, s12, s14
	s_addc_u32 s13, s15, s34
	s_addc_u32 s15, s20, 0
	s_mul_i32 s14, s12, s14
	s_add_u32 s13, s13, s14
	s_addc_u32 s14, 0, s15
	v_add_co_u32_e32 v2, vcc, s13, v2
	s_cmp_lg_u64 vcc, 0
	s_addc_u32 s12, s12, s14
	v_readfirstlane_b32 s14, v2
	s_mul_i32 s13, s6, s12
	s_mul_hi_u32 s15, s6, s14
	s_add_i32 s13, s15, s13
	s_mul_i32 s7, s7, s14
	s_add_i32 s13, s13, s7
	s_mul_i32 s6, s6, s14
	s_mul_hi_u32 s15, s12, s6
	s_mul_i32 s20, s12, s6
	s_mul_i32 s34, s14, s13
	s_mul_hi_u32 s6, s14, s6
	s_mul_hi_u32 s21, s14, s13
	s_add_u32 s6, s6, s34
	s_addc_u32 s14, 0, s21
	s_add_u32 s6, s6, s20
	s_mul_hi_u32 s7, s12, s13
	s_addc_u32 s6, s14, s15
	s_addc_u32 s7, s7, 0
	s_mul_i32 s13, s12, s13
	s_add_u32 s6, s6, s13
	s_addc_u32 s7, 0, s7
	v_add_co_u32_e32 v2, vcc, s6, v2
	s_cmp_lg_u64 vcc, 0
	s_addc_u32 s6, s12, s7
	v_readfirstlane_b32 s13, v2
	s_mul_i32 s12, s89, s6
	s_mul_hi_u32 s14, s89, s13
	s_add_u32 s12, s14, s12
	v_readlane_b32 s14, v54, 32
	v_readlane_b32 s20, v54, 32
	;; [unrolled: 1-line block ×4, first 2 shown]
	s_mul_hi_u32 s14, s15, s6
	s_mul_hi_u32 s15, s21, s13
	v_readlane_b32 s20, v54, 32
	s_mul_hi_u32 s7, s89, s6
	v_readlane_b32 s21, v54, 33
	s_addc_u32 s7, 0, s7
	s_mul_i32 s13, s21, s13
	s_add_u32 s12, s12, s13
	s_addc_u32 s7, s7, s15
	s_addc_u32 s12, s14, 0
	v_readlane_b32 s14, v54, 32
	v_readlane_b32 s15, v54, 33
	s_mul_i32 s6, s15, s6
	s_add_u32 s6, s7, s6
	s_addc_u32 s7, 0, s12
	s_mul_hi_u32 s12, s33, s6
	s_mul_i32 s6, s33, s6
	s_mul_i32 s7, s33, s7
	v_mov_b32_e32 v2, s6
	s_add_i32 s12, s12, s7
	v_sub_co_u32_e32 v2, vcc, s89, v2
	s_cmp_lg_u64 vcc, 0
	s_subb_u32 s6, s15, s12
	v_subrev_co_u32_e32 v3, vcc, s33, v2
	s_cmp_lg_u64 vcc, 0
	s_subb_u32 s7, s6, 0
	v_subrev_co_u32_e32 v4, vcc, s33, v3
	s_cmp_lg_u64 vcc, 0
	s_subb_u32 s12, s7, 0
	v_cmp_le_u32_e32 vcc, s33, v3
	s_cmp_eq_u32 s7, 0
	v_cndmask_b32_e64 v5, 0, -1, vcc
	s_cselect_b64 vcc, -1, 0
	v_cndmask_b32_e32 v5, -1, v5, vcc
	v_mov_b32_e32 v6, s7
	v_mov_b32_e32 v7, s12
	v_cmp_ne_u32_e32 vcc, 0, v5
	v_cndmask_b32_e32 v5, v6, v7, vcc
	v_cndmask_b32_e32 v4, v3, v4, vcc
	v_cmp_le_u32_e32 vcc, s33, v2
	s_cmp_eq_u32 s6, 0
	v_cndmask_b32_e64 v3, 0, -1, vcc
	s_cselect_b64 vcc, -1, 0
	v_cndmask_b32_e32 v3, -1, v3, vcc
	v_mov_b32_e32 v6, s6
	v_cmp_ne_u32_e32 vcc, 0, v3
	s_mov_b32 s13, s15
	v_cndmask_b32_e32 v3, v6, v5, vcc
	v_cndmask_b32_e32 v2, v2, v4, vcc
	s_cbranch_execnz .LBB192_300
.LBB192_299:                            ;   in Loop: Header=BB192_6 Depth=1
	v_cvt_f32_u32_e32 v2, s33
	s_sub_i32 s6, 0, s33
	v_rcp_iflag_f32_e32 v2, v2
	v_mul_f32_e32 v2, 0x4f7ffffe, v2
	v_cvt_u32_f32_e32 v2, v2
	v_mul_lo_u32 v3, s6, v2
	v_mul_hi_u32 v3, v2, v3
	v_add_u32_e32 v2, v2, v3
	v_mul_hi_u32 v2, s89, v2
	v_mul_lo_u32 v2, v2, s33
	v_sub_u32_e32 v2, s89, v2
	v_subrev_u32_e32 v3, s33, v2
	v_cmp_le_u32_e32 vcc, s33, v2
	v_cndmask_b32_e32 v2, v2, v3, vcc
	v_subrev_u32_e32 v3, s33, v2
	v_cmp_le_u32_e32 vcc, s33, v2
	v_cndmask_b32_e32 v14, v2, v3, vcc
	v_pk_mov_b32 v[2:3], v[14:15], v[14:15] op_sel:[0,1]
.LBB192_300:                            ;   in Loop: Header=BB192_6 Depth=1
	v_mov_b32_e32 v4, s13
	v_sub_co_u32_e32 v2, vcc, s89, v2
	v_subb_co_u32_e32 v3, vcc, v4, v3, vcc
	v_cmp_gt_u64_e32 vcc, v[2:3], v[0:1]
	s_mov_b64 s[6:7], 0
                                        ; implicit-def: $vgpr29
	s_and_saveexec_b64 s[12:13], vcc
	s_cbranch_execz .LBB192_309
; %bb.301:                              ;   in Loop: Header=BB192_6 Depth=1
	s_mov_b64 s[14:15], 0
	v_pk_mov_b32 v[4:5], v[12:13], v[12:13] op_sel:[0,1]
	v_pk_mov_b32 v[6:7], v[0:1], v[0:1] op_sel:[0,1]
                                        ; implicit-def: $sgpr20_sgpr21
	s_branch .LBB192_303
.LBB192_302:                            ;   in Loop: Header=BB192_303 Depth=2
	s_or_b64 exec, exec, s[6:7]
	s_waitcnt lgkmcnt(0)
	s_barrier
	ds_read_b64 v[28:29], v15 offset:3072
	v_mov_b32_e32 v8, s0
	v_add_co_u32_e64 v6, s[6:7], s33, v6
	v_addc_co_u32_e64 v7, s[6:7], v7, v8, s[6:7]
	s_waitcnt lgkmcnt(0)
	v_cmp_neq_f32_e32 vcc, 0, v28
	v_cmp_ge_u64_e64 s[6:7], v[6:7], v[2:3]
	s_or_b64 s[34:35], s[6:7], vcc
	v_mov_b32_e32 v8, s61
	v_add_co_u32_e64 v4, s[6:7], s60, v4
	v_addc_co_u32_e64 v5, s[6:7], v5, v8, s[6:7]
	s_and_b64 s[6:7], exec, s[34:35]
	s_or_b64 s[14:15], s[6:7], s[14:15]
	s_andn2_b64 s[6:7], s[20:21], exec
	s_and_b64 s[20:21], vcc, exec
	s_or_b64 s[20:21], s[6:7], s[20:21]
	s_barrier
	s_andn2_b64 exec, exec, s[14:15]
	s_cbranch_execz .LBB192_308
.LBB192_303:                            ;   Parent Loop BB192_6 Depth=1
                                        ; =>  This Inner Loop Header: Depth=2
	v_cmp_gt_u64_e32 vcc, s[56:57], v[6:7]
	s_waitcnt vmcnt(0)
	v_mov_b32_e32 v27, 0
	s_and_saveexec_b64 s[6:7], vcc
	s_cbranch_execz .LBB192_305
; %bb.304:                              ;   in Loop: Header=BB192_303 Depth=2
	global_load_dword v27, v[4:5], off
.LBB192_305:                            ;   in Loop: Header=BB192_303 Depth=2
	s_or_b64 exec, exec, s[6:7]
	s_and_saveexec_b64 s[6:7], vcc
	s_cbranch_execz .LBB192_302
; %bb.306:                              ;   in Loop: Header=BB192_303 Depth=2
	s_waitcnt vmcnt(0)
	v_cmp_lt_i32_e32 vcc, -1, v27
	v_cndmask_b32_e32 v8, -1, v42, vcc
	v_xor_b32_e32 v8, v8, v27
	v_cmp_o_f32_e32 vcc, v27, v27
	v_cndmask_b32_e32 v8, -1, v8, vcc
	v_and_b32_e32 v8, v8, v44
	v_cmp_eq_u32_e32 vcc, v8, v45
	s_and_b64 exec, exec, vcc
	s_cbranch_execz .LBB192_302
; %bb.307:                              ;   in Loop: Header=BB192_303 Depth=2
	ds_write_b64 v15, v[26:27] offset:3072
	s_branch .LBB192_302
.LBB192_308:                            ;   in Loop: Header=BB192_6 Depth=1
	s_or_b64 exec, exec, s[14:15]
	s_and_b64 s[6:7], s[20:21], exec
.LBB192_309:                            ;   in Loop: Header=BB192_6 Depth=1
	s_or_b64 exec, exec, s[12:13]
	s_mov_b64 s[38:39], 0
	s_mov_b64 s[14:15], -1
	s_mov_b64 s[20:21], 0
.LBB192_310:                            ;   in Loop: Header=BB192_6 Depth=1
	s_orn2_b64 s[6:7], s[6:7], exec
.LBB192_311:                            ;   in Loop: Header=BB192_6 Depth=1
	s_or_b64 exec, exec, s[4:5]
                                        ; implicit-def: $vgpr8
                                        ; implicit-def: $vgpr2_vgpr3
                                        ; implicit-def: $vgpr28
                                        ; implicit-def: $vgpr34
                                        ; implicit-def: $vgpr5
	s_and_saveexec_b64 s[34:35], s[6:7]
	s_cbranch_execz .LBB192_474
; %bb.312:                              ;   in Loop: Header=BB192_6 Depth=1
	v_mov_b32_e32 v2, 1
	s_xor_b64 s[4:5], s[2:3], -1
	s_mov_b64 s[6:7], 0
	v_mov_b32_e32 v3, 0
	v_mov_b32_e32 v8, 1
	s_and_saveexec_b64 s[2:3], s[4:5]
	s_cbranch_execz .LBB192_322
; %bb.313:                              ;   in Loop: Header=BB192_6 Depth=1
	v_cmp_ge_u64_e32 vcc, s[24:25], v[30:31]
                                        ; implicit-def: $sgpr12
                                        ; implicit-def: $sgpr4_sgpr5
	s_and_saveexec_b64 s[6:7], vcc
	s_xor_b64 s[6:7], exec, s[6:7]
	s_cbranch_execz .LBB192_319
; %bb.314:                              ;   in Loop: Header=BB192_6 Depth=1
	ds_read_b64 v[2:3], v15 offset:5120
	s_waitcnt lgkmcnt(0)
	v_cmp_ne_u64_e32 vcc, 0, v[2:3]
	s_cbranch_vccnz .LBB192_318
; %bb.315:                              ;   in Loop: Header=BB192_6 Depth=1
	s_mov_b64 s[4:5], exec
	v_readlane_b32 s12, v54, 8
	v_readlane_b32 s13, v54, 9
	s_and_b64 s[12:13], s[4:5], s[12:13]
	s_mov_b64 exec, s[12:13]
	s_cbranch_execz .LBB192_317
; %bb.316:                              ;   in Loop: Header=BB192_6 Depth=1
	v_pk_mov_b32 v[2:3], s[24:25], s[24:25] op_sel:[0,1]
	ds_write_b64 v15, v[2:3] offset:5128
.LBB192_317:                            ;   in Loop: Header=BB192_6 Depth=1
	s_or_b64 exec, exec, s[4:5]
	s_waitcnt lgkmcnt(0)
	s_barrier
.LBB192_318:                            ;   in Loop: Header=BB192_6 Depth=1
	v_or_b32_e32 v45, s82, v45
	v_or_b32_e32 v44, s82, v44
	s_mov_b64 s[4:5], 0
	s_mov_b32 s12, 5
.LBB192_319:                            ;   in Loop: Header=BB192_6 Depth=1
	s_or_saveexec_b64 s[6:7], s[6:7]
	v_mov_b32_e32 v8, s12
	s_xor_b64 exec, exec, s[6:7]
; %bb.320:                              ;   in Loop: Header=BB192_6 Depth=1
	v_mov_b32_e32 v2, s25
	v_subrev_co_u32_e32 v30, vcc, s24, v30
	v_subb_co_u32_e32 v31, vcc, v31, v2, vcc
	v_mov_b32_e32 v8, 0
	s_or_b64 s[4:5], s[4:5], exec
; %bb.321:                              ;   in Loop: Header=BB192_6 Depth=1
	s_or_b64 exec, exec, s[6:7]
	s_and_b64 s[6:7], s[4:5], exec
	v_pk_mov_b32 v[2:3], v[30:31], v[30:31] op_sel:[0,1]
.LBB192_322:                            ;   in Loop: Header=BB192_6 Depth=1
	s_or_b64 exec, exec, s[2:3]
	s_mov_b64 s[36:37], -1
                                        ; implicit-def: $sgpr2_sgpr3
                                        ; implicit-def: $sgpr4_sgpr5
                                        ; implicit-def: $sgpr12_sgpr13
	s_and_saveexec_b64 s[24:25], s[6:7]
	s_xor_b64 s[24:25], exec, s[24:25]
	s_cbranch_execz .LBB192_471
; %bb.323:                              ;   in Loop: Header=BB192_6 Depth=1
	s_cmp_eq_u64 s[22:23], 1
	s_cselect_b64 s[2:3], -1, 0
	v_cmp_eq_u64_e32 vcc, 1, v[2:3]
	s_and_b64 s[2:3], s[2:3], vcc
	s_mov_b64 s[12:13], -1
                                        ; implicit-def: $sgpr36_sgpr37
                                        ; implicit-def: $sgpr40_sgpr41
                                        ; implicit-def: $sgpr42_sgpr43
	s_and_saveexec_b64 s[4:5], s[2:3]
	s_cbranch_execz .LBB192_357
; %bb.324:                              ;   in Loop: Header=BB192_6 Depth=1
	ds_read_b64 v[4:5], v15 offset:5120
	s_waitcnt lgkmcnt(0)
	s_barrier
	v_readfirstlane_b32 s12, v4
	v_readfirstlane_b32 s13, v5
	s_mov_b64 s[6:7], exec
	v_readlane_b32 s36, v54, 26
	v_readlane_b32 s37, v54, 27
	s_and_b64 s[36:37], s[6:7], s[36:37]
	s_mov_b64 exec, s[36:37]
	s_cbranch_execz .LBB192_326
; %bb.325:                              ;   in Loop: Header=BB192_6 Depth=1
	ds_write_b32 v39, v15
.LBB192_326:                            ;   in Loop: Header=BB192_6 Depth=1
	s_or_b64 exec, exec, s[6:7]
	v_and_b32_e32 v4, s90, v45
	v_lshl_or_b32 v45, 2, s91, v4
	v_or_b32_e32 v44, s82, v44
	s_cmp_eq_u64 s[12:13], 0
	s_waitcnt lgkmcnt(0)
	s_barrier
	s_cbranch_scc1 .LBB192_340
; %bb.327:                              ;   in Loop: Header=BB192_6 Depth=1
	v_readlane_b32 s6, v54, 30
	s_add_u32 s40, s6, s12
	v_readlane_b32 s6, v54, 31
	s_addc_u32 s7, s6, s13
	s_mov_b32 s6, s83
	s_cmp_lg_u64 s[6:7], 0
	s_cbranch_scc0 .LBB192_384
; %bb.328:                              ;   in Loop: Header=BB192_6 Depth=1
	v_cvt_f32_u32_e32 v4, s33
	s_sub_u32 s6, 0, s33
	s_subb_u32 s36, 0, 0
	v_mac_f32_e32 v4, 0, v43
	v_rcp_f32_e32 v4, v4
	v_mul_f32_e32 v4, 0x5f7ffffc, v4
	v_mul_f32_e32 v5, 0x2f800000, v4
	v_trunc_f32_e32 v5, v5
	v_mac_f32_e32 v4, 0xcf800000, v5
	v_cvt_u32_f32_e32 v5, v5
	v_cvt_u32_f32_e32 v4, v4
	v_readfirstlane_b32 s37, v5
	v_readfirstlane_b32 s41, v4
	s_mul_i32 s42, s6, s37
	s_mul_hi_u32 s44, s6, s41
	s_mul_i32 s43, s36, s41
	s_add_i32 s42, s44, s42
	s_mul_i32 s45, s6, s41
	s_add_i32 s42, s42, s43
	s_mul_hi_u32 s44, s41, s45
	s_mul_hi_u32 s43, s41, s42
	s_mul_i32 s41, s41, s42
	s_add_u32 s41, s44, s41
	s_addc_u32 s43, 0, s43
	s_mul_hi_u32 s46, s37, s45
	s_mul_i32 s45, s37, s45
	s_add_u32 s41, s41, s45
	s_mul_hi_u32 s44, s37, s42
	s_addc_u32 s41, s43, s46
	s_addc_u32 s43, s44, 0
	s_mul_i32 s42, s37, s42
	s_add_u32 s41, s41, s42
	s_addc_u32 s42, 0, s43
	v_add_co_u32_e32 v4, vcc, s41, v4
	s_cmp_lg_u64 vcc, 0
	s_addc_u32 s37, s37, s42
	v_readfirstlane_b32 s42, v4
	s_mul_i32 s41, s6, s37
	s_mul_hi_u32 s43, s6, s42
	s_add_i32 s41, s43, s41
	s_mul_i32 s36, s36, s42
	s_add_i32 s41, s41, s36
	s_mul_i32 s6, s6, s42
	s_mul_hi_u32 s43, s37, s6
	s_mul_i32 s44, s37, s6
	s_mul_i32 s46, s42, s41
	s_mul_hi_u32 s6, s42, s6
	s_mul_hi_u32 s45, s42, s41
	s_add_u32 s6, s6, s46
	s_addc_u32 s42, 0, s45
	s_add_u32 s6, s6, s44
	s_mul_hi_u32 s36, s37, s41
	s_addc_u32 s6, s42, s43
	s_addc_u32 s36, s36, 0
	s_mul_i32 s41, s37, s41
	s_add_u32 s6, s6, s41
	s_addc_u32 s36, 0, s36
	v_add_co_u32_e32 v4, vcc, s6, v4
	s_cmp_lg_u64 vcc, 0
	s_addc_u32 s6, s37, s36
	v_readfirstlane_b32 s41, v4
	s_mul_i32 s37, s40, s6
	s_mul_hi_u32 s42, s40, s41
	s_mul_hi_u32 s36, s40, s6
	s_add_u32 s37, s42, s37
	s_addc_u32 s36, 0, s36
	s_mul_hi_u32 s43, s7, s41
	s_mul_i32 s41, s7, s41
	s_add_u32 s37, s37, s41
	s_mul_hi_u32 s42, s7, s6
	s_addc_u32 s36, s36, s43
	s_addc_u32 s37, s42, 0
	s_mul_i32 s6, s7, s6
	s_add_u32 s6, s36, s6
	s_addc_u32 s36, 0, s37
	s_mul_hi_u32 s37, s33, s6
	s_mul_i32 s6, s33, s6
	s_mul_i32 s36, s33, s36
	v_mov_b32_e32 v4, s6
	s_add_i32 s37, s37, s36
	v_sub_co_u32_e32 v4, vcc, s40, v4
	s_cmp_lg_u64 vcc, 0
	s_subb_u32 s6, s7, s37
	v_subrev_co_u32_e32 v5, vcc, s33, v4
	s_cmp_lg_u64 vcc, 0
	s_subb_u32 s36, s6, 0
	v_subrev_co_u32_e32 v6, vcc, s33, v5
	s_cmp_lg_u64 vcc, 0
	s_subb_u32 s37, s36, 0
	v_cmp_le_u32_e32 vcc, s33, v5
	s_cmp_eq_u32 s36, 0
	v_cndmask_b32_e64 v7, 0, -1, vcc
	s_cselect_b64 vcc, -1, 0
	v_cndmask_b32_e32 v7, -1, v7, vcc
	v_mov_b32_e32 v8, s36
	v_mov_b32_e32 v9, s37
	v_cmp_ne_u32_e32 vcc, 0, v7
	v_cndmask_b32_e32 v7, v8, v9, vcc
	v_cndmask_b32_e32 v6, v5, v6, vcc
	v_cmp_le_u32_e32 vcc, s33, v4
	s_cmp_eq_u32 s6, 0
	v_cndmask_b32_e64 v5, 0, -1, vcc
	s_cselect_b64 vcc, -1, 0
	v_cndmask_b32_e32 v5, -1, v5, vcc
	v_mov_b32_e32 v8, s6
	v_cmp_ne_u32_e32 vcc, 0, v5
	v_cndmask_b32_e32 v5, v8, v7, vcc
	v_cndmask_b32_e32 v4, v4, v6, vcc
	s_cbranch_execnz .LBB192_330
.LBB192_329:                            ;   in Loop: Header=BB192_6 Depth=1
	v_cvt_f32_u32_e32 v4, s33
	s_sub_i32 s6, 0, s33
	v_rcp_iflag_f32_e32 v4, v4
	v_mul_f32_e32 v4, 0x4f7ffffe, v4
	v_cvt_u32_f32_e32 v4, v4
	v_mul_lo_u32 v5, s6, v4
	v_mul_hi_u32 v5, v4, v5
	v_add_u32_e32 v4, v4, v5
	v_mul_hi_u32 v4, s40, v4
	v_mul_lo_u32 v4, v4, s33
	v_sub_u32_e32 v4, s40, v4
	v_subrev_u32_e32 v5, s33, v4
	v_cmp_le_u32_e32 vcc, s33, v4
	v_cndmask_b32_e32 v4, v4, v5, vcc
	v_subrev_u32_e32 v5, s33, v4
	v_cmp_le_u32_e32 vcc, s33, v4
	v_cndmask_b32_e32 v14, v4, v5, vcc
	v_pk_mov_b32 v[4:5], v[14:15], v[14:15] op_sel:[0,1]
.LBB192_330:                            ;   in Loop: Header=BB192_6 Depth=1
	v_mov_b32_e32 v6, s7
	v_sub_co_u32_e32 v4, vcc, s40, v4
	v_subb_co_u32_e32 v5, vcc, v6, v5, vcc
	v_cmp_gt_u64_e32 vcc, v[4:5], v[0:1]
	s_mov_b64 s[6:7], 0
                                        ; implicit-def: $vgpr29
	s_and_saveexec_b64 s[36:37], vcc
	s_cbranch_execz .LBB192_342
; %bb.331:                              ;   in Loop: Header=BB192_6 Depth=1
	s_mov_b64 s[40:41], 0
	v_mov_b32_e32 v8, v16
	v_pk_mov_b32 v[6:7], v[0:1], v[0:1] op_sel:[0,1]
                                        ; implicit-def: $sgpr42_sgpr43
	s_branch .LBB192_333
.LBB192_332:                            ;   in Loop: Header=BB192_333 Depth=2
	s_or_b64 exec, exec, s[6:7]
	s_waitcnt lgkmcnt(0)
	s_barrier
	ds_read_b64 v[28:29], v15 offset:3072
	v_mov_b32_e32 v9, s0
	v_add_co_u32_e64 v6, s[6:7], s33, v6
	v_addc_co_u32_e64 v7, s[6:7], v7, v9, s[6:7]
	s_waitcnt lgkmcnt(0)
	v_cmp_neq_f32_e32 vcc, 0, v28
	v_cmp_ge_u64_e64 s[6:7], v[6:7], v[4:5]
	s_or_b64 s[6:7], s[6:7], vcc
	s_and_b64 s[6:7], exec, s[6:7]
	s_or_b64 s[40:41], s[6:7], s[40:41]
	s_andn2_b64 s[6:7], s[42:43], exec
	s_and_b64 s[42:43], vcc, exec
	v_add_u32_e32 v8, s88, v8
	s_or_b64 s[42:43], s[6:7], s[42:43]
	s_barrier
	s_andn2_b64 exec, exec, s[40:41]
	s_cbranch_execz .LBB192_341
.LBB192_333:                            ;   Parent Loop BB192_6 Depth=1
                                        ; =>  This Inner Loop Header: Depth=2
	v_cmp_gt_u64_e32 vcc, s[12:13], v[6:7]
	s_waitcnt vmcnt(0)
	v_mov_b32_e32 v27, 0
	s_and_saveexec_b64 s[6:7], vcc
	s_cbranch_execz .LBB192_335
; %bb.334:                              ;   in Loop: Header=BB192_333 Depth=2
	ds_read_b32 v27, v8
.LBB192_335:                            ;   in Loop: Header=BB192_333 Depth=2
	s_or_b64 exec, exec, s[6:7]
	s_and_saveexec_b64 s[6:7], vcc
	s_cbranch_execz .LBB192_332
; %bb.336:                              ;   in Loop: Header=BB192_333 Depth=2
	s_waitcnt lgkmcnt(0)
	v_cmp_lt_i32_e32 vcc, -1, v27
	v_cndmask_b32_e32 v9, -1, v42, vcc
	v_xor_b32_e32 v9, v9, v27
	v_cmp_o_f32_e32 vcc, v27, v27
	v_cndmask_b32_e32 v9, -1, v9, vcc
	v_and_b32_e32 v9, v9, v44
	v_cmp_eq_u32_e32 vcc, v9, v45
	s_and_b64 exec, exec, vcc
	s_cbranch_execz .LBB192_332
; %bb.337:                              ;   in Loop: Header=BB192_333 Depth=2
	ds_write_b64 v15, v[26:27] offset:3072
	s_branch .LBB192_332
.LBB192_338:                            ;   in Loop: Header=BB192_6 Depth=1
                                        ; implicit-def: $vgpr2_vgpr3
	s_branch .LBB192_285
.LBB192_339:                            ;   in Loop: Header=BB192_6 Depth=1
                                        ; implicit-def: $vgpr2_vgpr3
	s_branch .LBB192_299
.LBB192_340:                            ;   in Loop: Header=BB192_6 Depth=1
	s_mov_b64 s[36:37], -1
	s_mov_b64 s[6:7], 0
                                        ; implicit-def: $sgpr40_sgpr41
                                        ; implicit-def: $vgpr29
	s_mov_b64 s[42:43], s[36:37]
	s_cbranch_execnz .LBB192_343
	s_branch .LBB192_356
.LBB192_341:                            ;   in Loop: Header=BB192_6 Depth=1
	s_or_b64 exec, exec, s[40:41]
	s_and_b64 s[6:7], s[42:43], exec
.LBB192_342:                            ;   in Loop: Header=BB192_6 Depth=1
	s_or_b64 exec, exec, s[36:37]
	s_mov_b64 s[36:37], 0
	s_mov_b64 s[40:41], -1
	s_mov_b64 s[42:43], s[36:37]
	s_branch .LBB192_356
.LBB192_343:                            ;   in Loop: Header=BB192_6 Depth=1
	v_readlane_b32 s42, v54, 32
	v_readlane_b32 s43, v54, 33
	s_mov_b32 s42, s83
	s_cmp_lg_u64 s[42:43], 0
	v_writelane_b32 v54, s42, 32
	v_writelane_b32 v54, s43, 33
	s_cbranch_scc0 .LBB192_385
; %bb.344:                              ;   in Loop: Header=BB192_6 Depth=1
	v_cvt_f32_u32_e32 v4, s33
	s_sub_u32 s6, 0, s33
	s_subb_u32 s7, 0, 0
	v_mac_f32_e32 v4, 0, v43
	v_rcp_f32_e32 v4, v4
	v_mul_f32_e32 v4, 0x5f7ffffc, v4
	v_mul_f32_e32 v5, 0x2f800000, v4
	v_trunc_f32_e32 v5, v5
	v_mac_f32_e32 v4, 0xcf800000, v5
	v_cvt_u32_f32_e32 v5, v5
	v_cvt_u32_f32_e32 v4, v4
	v_readfirstlane_b32 s12, v5
	v_readfirstlane_b32 s13, v4
	s_mul_i32 s36, s6, s12
	s_mul_hi_u32 s40, s6, s13
	s_mul_i32 s37, s7, s13
	s_add_i32 s36, s40, s36
	s_mul_i32 s41, s6, s13
	s_add_i32 s36, s36, s37
	s_mul_hi_u32 s40, s13, s41
	s_mul_hi_u32 s37, s13, s36
	s_mul_i32 s13, s13, s36
	s_add_u32 s13, s40, s13
	s_addc_u32 s37, 0, s37
	s_mul_hi_u32 s42, s12, s41
	s_mul_i32 s41, s12, s41
	s_add_u32 s13, s13, s41
	s_mul_hi_u32 s40, s12, s36
	s_addc_u32 s13, s37, s42
	s_addc_u32 s37, s40, 0
	s_mul_i32 s36, s12, s36
	s_add_u32 s13, s13, s36
	s_addc_u32 s36, 0, s37
	v_add_co_u32_e32 v4, vcc, s13, v4
	s_cmp_lg_u64 vcc, 0
	s_addc_u32 s12, s12, s36
	v_readfirstlane_b32 s36, v4
	s_mul_i32 s13, s6, s12
	s_mul_hi_u32 s37, s6, s36
	s_add_i32 s13, s37, s13
	s_mul_i32 s7, s7, s36
	s_add_i32 s13, s13, s7
	s_mul_i32 s6, s6, s36
	s_mul_hi_u32 s37, s12, s6
	s_mul_i32 s40, s12, s6
	s_mul_i32 s42, s36, s13
	s_mul_hi_u32 s6, s36, s6
	s_mul_hi_u32 s41, s36, s13
	s_add_u32 s6, s6, s42
	s_addc_u32 s36, 0, s41
	s_add_u32 s6, s6, s40
	s_mul_hi_u32 s7, s12, s13
	s_addc_u32 s6, s36, s37
	s_addc_u32 s7, s7, 0
	s_mul_i32 s13, s12, s13
	s_add_u32 s6, s6, s13
	s_addc_u32 s7, 0, s7
	v_add_co_u32_e32 v4, vcc, s6, v4
	s_cmp_lg_u64 vcc, 0
	s_addc_u32 s6, s12, s7
	v_readfirstlane_b32 s13, v4
	s_mul_i32 s12, s89, s6
	s_mul_hi_u32 s36, s89, s13
	s_mul_hi_u32 s7, s89, s6
	s_add_u32 s12, s36, s12
	s_addc_u32 s7, 0, s7
	s_mul_hi_u32 s37, s43, s13
	s_mul_i32 s13, s43, s13
	s_add_u32 s12, s12, s13
	s_mul_hi_u32 s36, s43, s6
	s_addc_u32 s7, s7, s37
	s_addc_u32 s12, s36, 0
	s_mul_i32 s6, s43, s6
	s_add_u32 s6, s7, s6
	s_addc_u32 s7, 0, s12
	s_mul_hi_u32 s12, s33, s6
	s_mul_i32 s6, s33, s6
	s_mul_i32 s7, s33, s7
	v_mov_b32_e32 v4, s6
	s_add_i32 s12, s12, s7
	v_sub_co_u32_e32 v4, vcc, s89, v4
	s_cmp_lg_u64 vcc, 0
	s_subb_u32 s6, s43, s12
	v_subrev_co_u32_e32 v5, vcc, s33, v4
	s_cmp_lg_u64 vcc, 0
	s_subb_u32 s7, s6, 0
	v_subrev_co_u32_e32 v6, vcc, s33, v5
	s_cmp_lg_u64 vcc, 0
	s_subb_u32 s12, s7, 0
	v_cmp_le_u32_e32 vcc, s33, v5
	s_cmp_eq_u32 s7, 0
	v_cndmask_b32_e64 v7, 0, -1, vcc
	s_cselect_b64 vcc, -1, 0
	v_cndmask_b32_e32 v7, -1, v7, vcc
	v_mov_b32_e32 v8, s7
	v_mov_b32_e32 v9, s12
	v_cmp_ne_u32_e32 vcc, 0, v7
	v_cndmask_b32_e32 v7, v8, v9, vcc
	v_cndmask_b32_e32 v6, v5, v6, vcc
	v_cmp_le_u32_e32 vcc, s33, v4
	s_cmp_eq_u32 s6, 0
	v_cndmask_b32_e64 v5, 0, -1, vcc
	s_cselect_b64 vcc, -1, 0
	v_cndmask_b32_e32 v5, -1, v5, vcc
	v_mov_b32_e32 v8, s6
	v_cmp_ne_u32_e32 vcc, 0, v5
	v_cndmask_b32_e32 v5, v8, v7, vcc
	v_cndmask_b32_e32 v4, v4, v6, vcc
	s_cbranch_execnz .LBB192_346
.LBB192_345:                            ;   in Loop: Header=BB192_6 Depth=1
	v_cvt_f32_u32_e32 v4, s33
	s_sub_i32 s6, 0, s33
	v_rcp_iflag_f32_e32 v4, v4
	v_mul_f32_e32 v4, 0x4f7ffffe, v4
	v_cvt_u32_f32_e32 v4, v4
	v_mul_lo_u32 v5, s6, v4
	v_mul_hi_u32 v5, v4, v5
	v_add_u32_e32 v4, v4, v5
	v_mul_hi_u32 v4, s89, v4
	v_mul_lo_u32 v4, v4, s33
	v_sub_u32_e32 v4, s89, v4
	v_subrev_u32_e32 v5, s33, v4
	v_cmp_le_u32_e32 vcc, s33, v4
	v_cndmask_b32_e32 v4, v4, v5, vcc
	v_subrev_u32_e32 v5, s33, v4
	v_cmp_le_u32_e32 vcc, s33, v4
	v_cndmask_b32_e32 v14, v4, v5, vcc
	v_pk_mov_b32 v[4:5], v[14:15], v[14:15] op_sel:[0,1]
.LBB192_346:                            ;   in Loop: Header=BB192_6 Depth=1
	v_readlane_b32 s6, v54, 32
	v_readlane_b32 s7, v54, 33
	v_mov_b32_e32 v6, s7
	v_sub_co_u32_e32 v4, vcc, s89, v4
	v_subb_co_u32_e32 v5, vcc, v6, v5, vcc
	v_cmp_gt_u64_e32 vcc, v[4:5], v[0:1]
	s_mov_b64 s[6:7], 0
                                        ; implicit-def: $vgpr29
	s_and_saveexec_b64 s[12:13], vcc
	s_cbranch_execz .LBB192_355
; %bb.347:                              ;   in Loop: Header=BB192_6 Depth=1
	s_mov_b64 s[36:37], 0
	v_pk_mov_b32 v[6:7], v[12:13], v[12:13] op_sel:[0,1]
	v_pk_mov_b32 v[8:9], v[0:1], v[0:1] op_sel:[0,1]
                                        ; implicit-def: $sgpr40_sgpr41
	s_branch .LBB192_349
.LBB192_348:                            ;   in Loop: Header=BB192_349 Depth=2
	s_or_b64 exec, exec, s[6:7]
	s_waitcnt lgkmcnt(0)
	s_barrier
	ds_read_b64 v[28:29], v15 offset:3072
	v_mov_b32_e32 v14, s0
	v_add_co_u32_e64 v8, s[6:7], s33, v8
	v_addc_co_u32_e64 v9, s[6:7], v9, v14, s[6:7]
	s_waitcnt lgkmcnt(0)
	v_cmp_neq_f32_e32 vcc, 0, v28
	v_cmp_ge_u64_e64 s[6:7], v[8:9], v[4:5]
	s_or_b64 s[42:43], s[6:7], vcc
	v_mov_b32_e32 v14, s61
	v_add_co_u32_e64 v6, s[6:7], s60, v6
	v_addc_co_u32_e64 v7, s[6:7], v7, v14, s[6:7]
	s_and_b64 s[6:7], exec, s[42:43]
	s_or_b64 s[36:37], s[6:7], s[36:37]
	s_andn2_b64 s[6:7], s[40:41], exec
	s_and_b64 s[40:41], vcc, exec
	s_or_b64 s[40:41], s[6:7], s[40:41]
	s_barrier
	s_andn2_b64 exec, exec, s[36:37]
	s_cbranch_execz .LBB192_354
.LBB192_349:                            ;   Parent Loop BB192_6 Depth=1
                                        ; =>  This Inner Loop Header: Depth=2
	v_cmp_gt_u64_e32 vcc, s[56:57], v[8:9]
	s_waitcnt vmcnt(0)
	v_mov_b32_e32 v27, 0
	s_and_saveexec_b64 s[6:7], vcc
	s_cbranch_execz .LBB192_351
; %bb.350:                              ;   in Loop: Header=BB192_349 Depth=2
	global_load_dword v27, v[6:7], off
.LBB192_351:                            ;   in Loop: Header=BB192_349 Depth=2
	s_or_b64 exec, exec, s[6:7]
	s_and_saveexec_b64 s[6:7], vcc
	s_cbranch_execz .LBB192_348
; %bb.352:                              ;   in Loop: Header=BB192_349 Depth=2
	s_waitcnt vmcnt(0)
	v_cmp_lt_i32_e32 vcc, -1, v27
	v_cndmask_b32_e32 v14, -1, v42, vcc
	v_xor_b32_e32 v14, v14, v27
	v_cmp_o_f32_e32 vcc, v27, v27
	v_cndmask_b32_e32 v14, -1, v14, vcc
	v_and_b32_e32 v14, v14, v44
	v_cmp_eq_u32_e32 vcc, v14, v45
	s_and_b64 exec, exec, vcc
	s_cbranch_execz .LBB192_348
; %bb.353:                              ;   in Loop: Header=BB192_349 Depth=2
	ds_write_b64 v15, v[26:27] offset:3072
	s_branch .LBB192_348
.LBB192_354:                            ;   in Loop: Header=BB192_6 Depth=1
	s_or_b64 exec, exec, s[36:37]
	s_and_b64 s[6:7], s[40:41], exec
.LBB192_355:                            ;   in Loop: Header=BB192_6 Depth=1
	s_or_b64 exec, exec, s[12:13]
	s_mov_b64 s[40:41], 0
	s_mov_b64 s[36:37], -1
	s_mov_b64 s[42:43], 0
.LBB192_356:                            ;   in Loop: Header=BB192_6 Depth=1
	s_orn2_b64 s[12:13], s[6:7], exec
.LBB192_357:                            ;   in Loop: Header=BB192_6 Depth=1
	s_or_b64 exec, exec, s[4:5]
	s_mov_b64 s[6:7], 0
                                        ; implicit-def: $vgpr8
	s_and_saveexec_b64 s[44:45], s[12:13]
	s_cbranch_execz .LBB192_470
; %bb.358:                              ;   in Loop: Header=BB192_6 Depth=1
	v_mov_b32_e32 v4, 1
	s_xor_b64 s[4:5], s[2:3], -1
	v_mov_b32_e32 v5, 0
	v_mov_b32_e32 v8, 1
	s_and_saveexec_b64 s[2:3], s[4:5]
	s_cbranch_execz .LBB192_368
; %bb.359:                              ;   in Loop: Header=BB192_6 Depth=1
	v_cmp_ge_u64_e32 vcc, s[22:23], v[2:3]
                                        ; implicit-def: $sgpr12
                                        ; implicit-def: $sgpr4_sgpr5
	s_and_saveexec_b64 s[6:7], vcc
	s_xor_b64 s[6:7], exec, s[6:7]
	s_cbranch_execz .LBB192_365
; %bb.360:                              ;   in Loop: Header=BB192_6 Depth=1
	ds_read_b64 v[4:5], v15 offset:5120
	s_waitcnt lgkmcnt(0)
	v_cmp_ne_u64_e32 vcc, 0, v[4:5]
	s_cbranch_vccnz .LBB192_364
; %bb.361:                              ;   in Loop: Header=BB192_6 Depth=1
	s_mov_b64 s[4:5], exec
	v_readlane_b32 s12, v54, 8
	v_readlane_b32 s13, v54, 9
	s_and_b64 s[12:13], s[4:5], s[12:13]
	s_mov_b64 exec, s[12:13]
	s_cbranch_execz .LBB192_363
; %bb.362:                              ;   in Loop: Header=BB192_6 Depth=1
	v_pk_mov_b32 v[4:5], s[22:23], s[22:23] op_sel:[0,1]
	ds_write_b64 v15, v[4:5] offset:5128
.LBB192_363:                            ;   in Loop: Header=BB192_6 Depth=1
	s_or_b64 exec, exec, s[4:5]
	s_waitcnt lgkmcnt(0)
	s_barrier
.LBB192_364:                            ;   in Loop: Header=BB192_6 Depth=1
	v_and_b32_e32 v4, s90, v45
	v_lshl_or_b32 v45, 2, s91, v4
	v_or_b32_e32 v44, s82, v44
	s_mov_b64 s[4:5], 0
	s_mov_b32 s12, 5
.LBB192_365:                            ;   in Loop: Header=BB192_6 Depth=1
	s_or_saveexec_b64 s[6:7], s[6:7]
	v_mov_b32_e32 v8, s12
	s_xor_b64 exec, exec, s[6:7]
; %bb.366:                              ;   in Loop: Header=BB192_6 Depth=1
	v_mov_b32_e32 v4, s23
	v_subrev_co_u32_e32 v2, vcc, s22, v2
	v_subb_co_u32_e32 v3, vcc, v3, v4, vcc
	v_mov_b32_e32 v8, 0
	s_or_b64 s[4:5], s[4:5], exec
; %bb.367:                              ;   in Loop: Header=BB192_6 Depth=1
	s_or_b64 exec, exec, s[6:7]
	s_and_b64 s[6:7], s[4:5], exec
	v_pk_mov_b32 v[4:5], v[2:3], v[2:3] op_sel:[0,1]
.LBB192_368:                            ;   in Loop: Header=BB192_6 Depth=1
	s_or_b64 exec, exec, s[2:3]
	s_mov_b64 s[2:3], -1
                                        ; implicit-def: $sgpr4_sgpr5
                                        ; implicit-def: $sgpr12_sgpr13
                                        ; implicit-def: $sgpr50_sgpr51
	s_and_saveexec_b64 s[22:23], s[6:7]
	s_cbranch_execz .LBB192_469
; %bb.369:                              ;   in Loop: Header=BB192_6 Depth=1
	s_cmp_eq_u64 s[18:19], 1
	s_cselect_b64 s[2:3], -1, 0
	v_cmp_eq_u64_e32 vcc, 1, v[4:5]
	s_and_b64 s[4:5], s[2:3], vcc
	s_mov_b64 s[12:13], -1
                                        ; implicit-def: $sgpr2_sgpr3
                                        ; implicit-def: $sgpr46_sgpr47
                                        ; implicit-def: $sgpr48_sgpr49
	s_and_saveexec_b64 s[50:51], s[4:5]
	s_cbranch_execz .LBB192_403
; %bb.370:                              ;   in Loop: Header=BB192_6 Depth=1
	ds_read_b64 v[2:3], v15 offset:5120
	s_waitcnt lgkmcnt(0)
	s_barrier
	v_readfirstlane_b32 s2, v2
	v_readfirstlane_b32 s3, v3
	s_mov_b64 s[6:7], exec
	v_readlane_b32 s12, v54, 26
	v_readlane_b32 s13, v54, 27
	s_and_b64 s[12:13], s[6:7], s[12:13]
	s_mov_b64 exec, s[12:13]
	s_cbranch_execz .LBB192_372
; %bb.371:                              ;   in Loop: Header=BB192_6 Depth=1
	ds_write_b32 v39, v15
.LBB192_372:                            ;   in Loop: Header=BB192_6 Depth=1
	s_or_b64 exec, exec, s[6:7]
	v_and_b32_e32 v2, s90, v45
	v_lshl_or_b32 v45, 1, s91, v2
	v_or_b32_e32 v44, s82, v44
	s_cmp_eq_u64 s[2:3], 0
	s_waitcnt lgkmcnt(0)
	s_barrier
	s_cbranch_scc1 .LBB192_386
; %bb.373:                              ;   in Loop: Header=BB192_6 Depth=1
	v_readlane_b32 s6, v54, 30
	s_add_u32 s46, s6, s2
	v_readlane_b32 s6, v54, 31
	s_addc_u32 s7, s6, s3
	s_mov_b32 s6, s83
	s_cmp_lg_u64 s[6:7], 0
	s_cbranch_scc0 .LBB192_421
; %bb.374:                              ;   in Loop: Header=BB192_6 Depth=1
	v_cvt_f32_u32_e32 v2, s33
	s_sub_u32 s6, 0, s33
	s_subb_u32 s12, 0, 0
	v_mac_f32_e32 v2, 0, v43
	v_rcp_f32_e32 v2, v2
	v_mul_f32_e32 v2, 0x5f7ffffc, v2
	v_mul_f32_e32 v3, 0x2f800000, v2
	v_trunc_f32_e32 v3, v3
	v_mac_f32_e32 v2, 0xcf800000, v3
	v_cvt_u32_f32_e32 v3, v3
	v_cvt_u32_f32_e32 v2, v2
	v_readfirstlane_b32 s13, v3
	v_readfirstlane_b32 s47, v2
	s_mul_i32 s48, s6, s13
	s_mul_hi_u32 s52, s6, s47
	s_mul_i32 s49, s12, s47
	s_add_i32 s48, s52, s48
	s_mul_i32 s53, s6, s47
	s_add_i32 s48, s48, s49
	s_mul_hi_u32 s52, s47, s53
	s_mul_hi_u32 s49, s47, s48
	s_mul_i32 s47, s47, s48
	s_add_u32 s47, s52, s47
	s_addc_u32 s49, 0, s49
	s_mul_hi_u32 s54, s13, s53
	s_mul_i32 s53, s13, s53
	s_add_u32 s47, s47, s53
	s_mul_hi_u32 s52, s13, s48
	s_addc_u32 s47, s49, s54
	s_addc_u32 s49, s52, 0
	s_mul_i32 s48, s13, s48
	s_add_u32 s47, s47, s48
	s_addc_u32 s48, 0, s49
	v_add_co_u32_e32 v2, vcc, s47, v2
	s_cmp_lg_u64 vcc, 0
	s_addc_u32 s13, s13, s48
	v_readfirstlane_b32 s48, v2
	s_mul_i32 s47, s6, s13
	s_mul_hi_u32 s49, s6, s48
	s_add_i32 s47, s49, s47
	s_mul_i32 s12, s12, s48
	s_add_i32 s47, s47, s12
	s_mul_i32 s6, s6, s48
	s_mul_hi_u32 s49, s13, s6
	s_mul_i32 s52, s13, s6
	s_mul_i32 s54, s48, s47
	s_mul_hi_u32 s6, s48, s6
	s_mul_hi_u32 s53, s48, s47
	s_add_u32 s6, s6, s54
	s_addc_u32 s48, 0, s53
	s_add_u32 s6, s6, s52
	s_mul_hi_u32 s12, s13, s47
	s_addc_u32 s6, s48, s49
	s_addc_u32 s12, s12, 0
	s_mul_i32 s47, s13, s47
	s_add_u32 s6, s6, s47
	s_addc_u32 s12, 0, s12
	v_add_co_u32_e32 v2, vcc, s6, v2
	s_cmp_lg_u64 vcc, 0
	s_addc_u32 s6, s13, s12
	v_readfirstlane_b32 s47, v2
	s_mul_i32 s13, s46, s6
	s_mul_hi_u32 s48, s46, s47
	s_mul_hi_u32 s12, s46, s6
	s_add_u32 s13, s48, s13
	s_addc_u32 s12, 0, s12
	s_mul_hi_u32 s49, s7, s47
	s_mul_i32 s47, s7, s47
	s_add_u32 s13, s13, s47
	s_mul_hi_u32 s48, s7, s6
	s_addc_u32 s12, s12, s49
	s_addc_u32 s13, s48, 0
	s_mul_i32 s6, s7, s6
	s_add_u32 s6, s12, s6
	s_addc_u32 s12, 0, s13
	s_mul_hi_u32 s13, s33, s6
	s_mul_i32 s6, s33, s6
	s_mul_i32 s12, s33, s12
	v_mov_b32_e32 v2, s6
	s_add_i32 s13, s13, s12
	v_sub_co_u32_e32 v2, vcc, s46, v2
	s_cmp_lg_u64 vcc, 0
	s_subb_u32 s6, s7, s13
	v_subrev_co_u32_e32 v3, vcc, s33, v2
	s_cmp_lg_u64 vcc, 0
	s_subb_u32 s12, s6, 0
	v_subrev_co_u32_e32 v6, vcc, s33, v3
	s_cmp_lg_u64 vcc, 0
	s_subb_u32 s13, s12, 0
	v_cmp_le_u32_e32 vcc, s33, v3
	s_cmp_eq_u32 s12, 0
	v_cndmask_b32_e64 v7, 0, -1, vcc
	s_cselect_b64 vcc, -1, 0
	v_cndmask_b32_e32 v7, -1, v7, vcc
	v_mov_b32_e32 v8, s12
	v_mov_b32_e32 v9, s13
	v_cmp_ne_u32_e32 vcc, 0, v7
	v_cndmask_b32_e32 v7, v8, v9, vcc
	v_cndmask_b32_e32 v6, v3, v6, vcc
	v_cmp_le_u32_e32 vcc, s33, v2
	s_cmp_eq_u32 s6, 0
	v_cndmask_b32_e64 v3, 0, -1, vcc
	s_cselect_b64 vcc, -1, 0
	v_cndmask_b32_e32 v3, -1, v3, vcc
	v_mov_b32_e32 v8, s6
	v_cmp_ne_u32_e32 vcc, 0, v3
	v_cndmask_b32_e32 v3, v8, v7, vcc
	v_cndmask_b32_e32 v2, v2, v6, vcc
	s_cbranch_execnz .LBB192_376
.LBB192_375:                            ;   in Loop: Header=BB192_6 Depth=1
	v_cvt_f32_u32_e32 v2, s33
	s_sub_i32 s6, 0, s33
	v_rcp_iflag_f32_e32 v2, v2
	v_mul_f32_e32 v2, 0x4f7ffffe, v2
	v_cvt_u32_f32_e32 v2, v2
	v_mul_lo_u32 v3, s6, v2
	v_mul_hi_u32 v3, v2, v3
	v_add_u32_e32 v2, v2, v3
	v_mul_hi_u32 v2, s46, v2
	v_mul_lo_u32 v2, v2, s33
	v_sub_u32_e32 v2, s46, v2
	v_subrev_u32_e32 v3, s33, v2
	v_cmp_le_u32_e32 vcc, s33, v2
	v_cndmask_b32_e32 v2, v2, v3, vcc
	v_subrev_u32_e32 v3, s33, v2
	v_cmp_le_u32_e32 vcc, s33, v2
	v_cndmask_b32_e32 v14, v2, v3, vcc
	v_pk_mov_b32 v[2:3], v[14:15], v[14:15] op_sel:[0,1]
.LBB192_376:                            ;   in Loop: Header=BB192_6 Depth=1
	v_mov_b32_e32 v6, s7
	v_sub_co_u32_e32 v2, vcc, s46, v2
	v_subb_co_u32_e32 v3, vcc, v6, v3, vcc
	v_cmp_gt_u64_e32 vcc, v[2:3], v[0:1]
	s_mov_b64 s[6:7], 0
                                        ; implicit-def: $vgpr29
	s_and_saveexec_b64 s[12:13], vcc
	s_cbranch_execz .LBB192_388
; %bb.377:                              ;   in Loop: Header=BB192_6 Depth=1
	s_mov_b64 s[46:47], 0
	v_mov_b32_e32 v8, v16
	v_pk_mov_b32 v[6:7], v[0:1], v[0:1] op_sel:[0,1]
                                        ; implicit-def: $sgpr48_sgpr49
	s_branch .LBB192_379
.LBB192_378:                            ;   in Loop: Header=BB192_379 Depth=2
	s_or_b64 exec, exec, s[6:7]
	s_waitcnt lgkmcnt(0)
	s_barrier
	ds_read_b64 v[28:29], v15 offset:3072
	v_mov_b32_e32 v9, s0
	v_add_co_u32_e64 v6, s[6:7], s33, v6
	v_addc_co_u32_e64 v7, s[6:7], v7, v9, s[6:7]
	s_waitcnt lgkmcnt(0)
	v_cmp_neq_f32_e32 vcc, 0, v28
	v_cmp_ge_u64_e64 s[6:7], v[6:7], v[2:3]
	s_or_b64 s[6:7], s[6:7], vcc
	s_and_b64 s[6:7], exec, s[6:7]
	s_or_b64 s[46:47], s[6:7], s[46:47]
	s_andn2_b64 s[6:7], s[48:49], exec
	s_and_b64 s[48:49], vcc, exec
	v_add_u32_e32 v8, s88, v8
	s_or_b64 s[48:49], s[6:7], s[48:49]
	s_barrier
	s_andn2_b64 exec, exec, s[46:47]
	s_cbranch_execz .LBB192_387
.LBB192_379:                            ;   Parent Loop BB192_6 Depth=1
                                        ; =>  This Inner Loop Header: Depth=2
	v_cmp_gt_u64_e32 vcc, s[2:3], v[6:7]
	s_waitcnt vmcnt(0)
	v_mov_b32_e32 v27, 0
	s_and_saveexec_b64 s[6:7], vcc
	s_cbranch_execz .LBB192_381
; %bb.380:                              ;   in Loop: Header=BB192_379 Depth=2
	ds_read_b32 v27, v8
.LBB192_381:                            ;   in Loop: Header=BB192_379 Depth=2
	s_or_b64 exec, exec, s[6:7]
	s_and_saveexec_b64 s[6:7], vcc
	s_cbranch_execz .LBB192_378
; %bb.382:                              ;   in Loop: Header=BB192_379 Depth=2
	s_waitcnt lgkmcnt(0)
	v_cmp_lt_i32_e32 vcc, -1, v27
	v_cndmask_b32_e32 v9, -1, v42, vcc
	v_xor_b32_e32 v9, v9, v27
	v_cmp_o_f32_e32 vcc, v27, v27
	v_cndmask_b32_e32 v9, -1, v9, vcc
	v_and_b32_e32 v9, v9, v44
	v_cmp_eq_u32_e32 vcc, v9, v45
	s_and_b64 exec, exec, vcc
	s_cbranch_execz .LBB192_378
; %bb.383:                              ;   in Loop: Header=BB192_379 Depth=2
	ds_write_b64 v15, v[26:27] offset:3072
	s_branch .LBB192_378
.LBB192_384:                            ;   in Loop: Header=BB192_6 Depth=1
                                        ; implicit-def: $vgpr4_vgpr5
	s_branch .LBB192_329
.LBB192_385:                            ;   in Loop: Header=BB192_6 Depth=1
                                        ; implicit-def: $vgpr4_vgpr5
	s_branch .LBB192_345
.LBB192_386:                            ;   in Loop: Header=BB192_6 Depth=1
	s_mov_b64 s[2:3], -1
	s_mov_b64 s[6:7], 0
                                        ; implicit-def: $sgpr46_sgpr47
                                        ; implicit-def: $vgpr29
	s_mov_b64 s[48:49], s[2:3]
	s_cbranch_execnz .LBB192_389
	s_branch .LBB192_402
.LBB192_387:                            ;   in Loop: Header=BB192_6 Depth=1
	s_or_b64 exec, exec, s[46:47]
	s_and_b64 s[6:7], s[48:49], exec
.LBB192_388:                            ;   in Loop: Header=BB192_6 Depth=1
	s_or_b64 exec, exec, s[12:13]
	s_mov_b64 s[2:3], 0
	s_mov_b64 s[46:47], -1
	s_mov_b64 s[48:49], s[2:3]
	s_branch .LBB192_402
.LBB192_389:                            ;   in Loop: Header=BB192_6 Depth=1
	v_readlane_b32 s48, v54, 32
	v_readlane_b32 s49, v54, 33
	s_mov_b32 s48, s83
	s_cmp_lg_u64 s[48:49], 0
	v_writelane_b32 v54, s48, 32
	v_writelane_b32 v54, s49, 33
	s_cbranch_scc0 .LBB192_422
; %bb.390:                              ;   in Loop: Header=BB192_6 Depth=1
	v_cvt_f32_u32_e32 v2, s33
	s_sub_u32 s2, 0, s33
	s_subb_u32 s3, 0, 0
	v_mac_f32_e32 v2, 0, v43
	v_rcp_f32_e32 v2, v2
	v_mul_f32_e32 v2, 0x5f7ffffc, v2
	v_mul_f32_e32 v3, 0x2f800000, v2
	v_trunc_f32_e32 v3, v3
	v_mac_f32_e32 v2, 0xcf800000, v3
	v_cvt_u32_f32_e32 v3, v3
	v_cvt_u32_f32_e32 v2, v2
	v_readfirstlane_b32 s6, v3
	v_readfirstlane_b32 s7, v2
	s_mul_i32 s12, s2, s6
	s_mul_hi_u32 s46, s2, s7
	s_mul_i32 s13, s3, s7
	s_add_i32 s12, s46, s12
	s_mul_i32 s47, s2, s7
	s_add_i32 s12, s12, s13
	s_mul_hi_u32 s46, s7, s47
	s_mul_hi_u32 s13, s7, s12
	s_mul_i32 s7, s7, s12
	s_add_u32 s7, s46, s7
	s_addc_u32 s13, 0, s13
	s_mul_hi_u32 s48, s6, s47
	s_mul_i32 s47, s6, s47
	s_add_u32 s7, s7, s47
	s_mul_hi_u32 s46, s6, s12
	s_addc_u32 s7, s13, s48
	s_addc_u32 s13, s46, 0
	s_mul_i32 s12, s6, s12
	s_add_u32 s7, s7, s12
	s_addc_u32 s12, 0, s13
	v_add_co_u32_e32 v2, vcc, s7, v2
	s_cmp_lg_u64 vcc, 0
	s_addc_u32 s6, s6, s12
	v_readfirstlane_b32 s12, v2
	s_mul_i32 s7, s2, s6
	s_mul_hi_u32 s13, s2, s12
	s_add_i32 s7, s13, s7
	s_mul_i32 s3, s3, s12
	s_add_i32 s7, s7, s3
	s_mul_i32 s2, s2, s12
	s_mul_hi_u32 s13, s6, s2
	s_mul_i32 s46, s6, s2
	s_mul_i32 s48, s12, s7
	s_mul_hi_u32 s2, s12, s2
	s_mul_hi_u32 s47, s12, s7
	s_add_u32 s2, s2, s48
	s_addc_u32 s12, 0, s47
	s_add_u32 s2, s2, s46
	s_mul_hi_u32 s3, s6, s7
	s_addc_u32 s2, s12, s13
	s_addc_u32 s3, s3, 0
	s_mul_i32 s7, s6, s7
	s_add_u32 s2, s2, s7
	s_addc_u32 s3, 0, s3
	v_add_co_u32_e32 v2, vcc, s2, v2
	s_cmp_lg_u64 vcc, 0
	s_addc_u32 s2, s6, s3
	v_readfirstlane_b32 s7, v2
	s_mul_i32 s6, s89, s2
	s_mul_hi_u32 s12, s89, s7
	s_mul_hi_u32 s3, s89, s2
	s_add_u32 s6, s12, s6
	s_addc_u32 s3, 0, s3
	s_mul_hi_u32 s13, s49, s7
	s_mul_i32 s7, s49, s7
	s_add_u32 s6, s6, s7
	s_mul_hi_u32 s12, s49, s2
	s_addc_u32 s3, s3, s13
	s_addc_u32 s6, s12, 0
	s_mul_i32 s2, s49, s2
	s_add_u32 s2, s3, s2
	s_addc_u32 s3, 0, s6
	s_mul_hi_u32 s6, s33, s2
	s_mul_i32 s2, s33, s2
	s_mul_i32 s3, s33, s3
	v_mov_b32_e32 v2, s2
	s_add_i32 s6, s6, s3
	v_sub_co_u32_e32 v2, vcc, s89, v2
	s_cmp_lg_u64 vcc, 0
	s_subb_u32 s2, s49, s6
	v_subrev_co_u32_e32 v3, vcc, s33, v2
	s_cmp_lg_u64 vcc, 0
	s_subb_u32 s3, s2, 0
	v_subrev_co_u32_e32 v6, vcc, s33, v3
	s_cmp_lg_u64 vcc, 0
	s_subb_u32 s6, s3, 0
	v_cmp_le_u32_e32 vcc, s33, v3
	s_cmp_eq_u32 s3, 0
	v_cndmask_b32_e64 v7, 0, -1, vcc
	s_cselect_b64 vcc, -1, 0
	v_cndmask_b32_e32 v7, -1, v7, vcc
	v_mov_b32_e32 v8, s3
	v_mov_b32_e32 v9, s6
	v_cmp_ne_u32_e32 vcc, 0, v7
	v_cndmask_b32_e32 v7, v8, v9, vcc
	v_cndmask_b32_e32 v6, v3, v6, vcc
	v_cmp_le_u32_e32 vcc, s33, v2
	s_cmp_eq_u32 s2, 0
	v_cndmask_b32_e64 v3, 0, -1, vcc
	s_cselect_b64 vcc, -1, 0
	v_cndmask_b32_e32 v3, -1, v3, vcc
	v_mov_b32_e32 v8, s2
	v_cmp_ne_u32_e32 vcc, 0, v3
	v_cndmask_b32_e32 v3, v8, v7, vcc
	v_cndmask_b32_e32 v2, v2, v6, vcc
	s_cbranch_execnz .LBB192_392
.LBB192_391:                            ;   in Loop: Header=BB192_6 Depth=1
	v_cvt_f32_u32_e32 v2, s33
	s_sub_i32 s2, 0, s33
	v_rcp_iflag_f32_e32 v2, v2
	v_mul_f32_e32 v2, 0x4f7ffffe, v2
	v_cvt_u32_f32_e32 v2, v2
	v_mul_lo_u32 v3, s2, v2
	v_mul_hi_u32 v3, v2, v3
	v_add_u32_e32 v2, v2, v3
	v_mul_hi_u32 v2, s89, v2
	v_mul_lo_u32 v2, v2, s33
	v_sub_u32_e32 v2, s89, v2
	v_subrev_u32_e32 v3, s33, v2
	v_cmp_le_u32_e32 vcc, s33, v2
	v_cndmask_b32_e32 v2, v2, v3, vcc
	v_subrev_u32_e32 v3, s33, v2
	v_cmp_le_u32_e32 vcc, s33, v2
	v_cndmask_b32_e32 v14, v2, v3, vcc
	v_pk_mov_b32 v[2:3], v[14:15], v[14:15] op_sel:[0,1]
.LBB192_392:                            ;   in Loop: Header=BB192_6 Depth=1
	v_readlane_b32 s2, v54, 32
	v_readlane_b32 s3, v54, 33
	v_mov_b32_e32 v6, s3
	v_sub_co_u32_e32 v2, vcc, s89, v2
	v_subb_co_u32_e32 v3, vcc, v6, v3, vcc
	v_cmp_gt_u64_e32 vcc, v[2:3], v[0:1]
	s_mov_b64 s[6:7], 0
                                        ; implicit-def: $vgpr29
	s_and_saveexec_b64 s[2:3], vcc
	s_cbranch_execz .LBB192_401
; %bb.393:                              ;   in Loop: Header=BB192_6 Depth=1
	s_mov_b64 s[12:13], 0
	v_pk_mov_b32 v[6:7], v[12:13], v[12:13] op_sel:[0,1]
	v_pk_mov_b32 v[8:9], v[0:1], v[0:1] op_sel:[0,1]
                                        ; implicit-def: $sgpr46_sgpr47
	s_branch .LBB192_395
.LBB192_394:                            ;   in Loop: Header=BB192_395 Depth=2
	s_or_b64 exec, exec, s[6:7]
	s_waitcnt lgkmcnt(0)
	s_barrier
	ds_read_b64 v[28:29], v15 offset:3072
	v_mov_b32_e32 v14, s0
	v_add_co_u32_e64 v8, s[6:7], s33, v8
	v_addc_co_u32_e64 v9, s[6:7], v9, v14, s[6:7]
	s_waitcnt lgkmcnt(0)
	v_cmp_neq_f32_e32 vcc, 0, v28
	v_cmp_ge_u64_e64 s[6:7], v[8:9], v[2:3]
	s_or_b64 s[48:49], s[6:7], vcc
	v_mov_b32_e32 v14, s61
	v_add_co_u32_e64 v6, s[6:7], s60, v6
	v_addc_co_u32_e64 v7, s[6:7], v7, v14, s[6:7]
	s_and_b64 s[6:7], exec, s[48:49]
	s_or_b64 s[12:13], s[6:7], s[12:13]
	s_andn2_b64 s[6:7], s[46:47], exec
	s_and_b64 s[46:47], vcc, exec
	s_or_b64 s[46:47], s[6:7], s[46:47]
	s_barrier
	s_andn2_b64 exec, exec, s[12:13]
	s_cbranch_execz .LBB192_400
.LBB192_395:                            ;   Parent Loop BB192_6 Depth=1
                                        ; =>  This Inner Loop Header: Depth=2
	v_cmp_gt_u64_e32 vcc, s[56:57], v[8:9]
	s_waitcnt vmcnt(0)
	v_mov_b32_e32 v27, 0
	s_and_saveexec_b64 s[6:7], vcc
	s_cbranch_execz .LBB192_397
; %bb.396:                              ;   in Loop: Header=BB192_395 Depth=2
	global_load_dword v27, v[6:7], off
.LBB192_397:                            ;   in Loop: Header=BB192_395 Depth=2
	s_or_b64 exec, exec, s[6:7]
	s_and_saveexec_b64 s[6:7], vcc
	s_cbranch_execz .LBB192_394
; %bb.398:                              ;   in Loop: Header=BB192_395 Depth=2
	s_waitcnt vmcnt(0)
	v_cmp_lt_i32_e32 vcc, -1, v27
	v_cndmask_b32_e32 v14, -1, v42, vcc
	v_xor_b32_e32 v14, v14, v27
	v_cmp_o_f32_e32 vcc, v27, v27
	v_cndmask_b32_e32 v14, -1, v14, vcc
	v_and_b32_e32 v14, v14, v44
	v_cmp_eq_u32_e32 vcc, v14, v45
	s_and_b64 exec, exec, vcc
	s_cbranch_execz .LBB192_394
; %bb.399:                              ;   in Loop: Header=BB192_395 Depth=2
	ds_write_b64 v15, v[26:27] offset:3072
	s_branch .LBB192_394
.LBB192_400:                            ;   in Loop: Header=BB192_6 Depth=1
	s_or_b64 exec, exec, s[12:13]
	s_and_b64 s[6:7], s[46:47], exec
.LBB192_401:                            ;   in Loop: Header=BB192_6 Depth=1
	s_or_b64 exec, exec, s[2:3]
	s_mov_b64 s[46:47], 0
	s_mov_b64 s[2:3], -1
	s_mov_b64 s[48:49], 0
.LBB192_402:                            ;   in Loop: Header=BB192_6 Depth=1
	s_orn2_b64 s[12:13], s[6:7], exec
.LBB192_403:                            ;   in Loop: Header=BB192_6 Depth=1
	s_or_b64 exec, exec, s[50:51]
	s_mov_b64 s[6:7], 0
                                        ; implicit-def: $vgpr8
	s_and_saveexec_b64 s[50:51], s[12:13]
	s_cbranch_execz .LBB192_468
; %bb.404:                              ;   in Loop: Header=BB192_6 Depth=1
	v_mov_b32_e32 v2, 1
	s_xor_b64 s[6:7], s[4:5], -1
	s_mov_b64 s[52:53], 0
	v_mov_b32_e32 v3, 0
	v_mov_b32_e32 v8, 1
	s_and_saveexec_b64 s[4:5], s[6:7]
	s_cbranch_execz .LBB192_414
; %bb.405:                              ;   in Loop: Header=BB192_6 Depth=1
	v_cmp_ge_u64_e32 vcc, s[18:19], v[4:5]
                                        ; implicit-def: $sgpr52
                                        ; implicit-def: $sgpr6_sgpr7
	s_and_saveexec_b64 s[12:13], vcc
	s_xor_b64 s[12:13], exec, s[12:13]
	s_cbranch_execz .LBB192_411
; %bb.406:                              ;   in Loop: Header=BB192_6 Depth=1
	ds_read_b64 v[2:3], v15 offset:5120
	s_waitcnt lgkmcnt(0)
	v_cmp_ne_u64_e32 vcc, 0, v[2:3]
	s_cbranch_vccnz .LBB192_410
; %bb.407:                              ;   in Loop: Header=BB192_6 Depth=1
	s_mov_b64 s[6:7], exec
	v_readlane_b32 s52, v54, 8
	v_readlane_b32 s53, v54, 9
	s_and_b64 s[52:53], s[6:7], s[52:53]
	s_mov_b64 exec, s[52:53]
	s_cbranch_execz .LBB192_409
; %bb.408:                              ;   in Loop: Header=BB192_6 Depth=1
	v_pk_mov_b32 v[2:3], s[18:19], s[18:19] op_sel:[0,1]
	ds_write_b64 v15, v[2:3] offset:5128
.LBB192_409:                            ;   in Loop: Header=BB192_6 Depth=1
	s_or_b64 exec, exec, s[6:7]
	s_waitcnt lgkmcnt(0)
	s_barrier
.LBB192_410:                            ;   in Loop: Header=BB192_6 Depth=1
	v_and_b32_e32 v2, s90, v45
	v_lshl_or_b32 v45, 1, s91, v2
	v_or_b32_e32 v44, s82, v44
	s_mov_b64 s[6:7], 0
	s_mov_b32 s52, 5
.LBB192_411:                            ;   in Loop: Header=BB192_6 Depth=1
	s_or_saveexec_b64 s[12:13], s[12:13]
	v_mov_b32_e32 v8, s52
	s_xor_b64 exec, exec, s[12:13]
; %bb.412:                              ;   in Loop: Header=BB192_6 Depth=1
	v_mov_b32_e32 v2, s19
	v_subrev_co_u32_e32 v4, vcc, s18, v4
	v_subb_co_u32_e32 v5, vcc, v5, v2, vcc
	v_mov_b32_e32 v8, 0
	s_or_b64 s[6:7], s[6:7], exec
; %bb.413:                              ;   in Loop: Header=BB192_6 Depth=1
	s_or_b64 exec, exec, s[12:13]
	s_and_b64 s[52:53], s[6:7], exec
	v_pk_mov_b32 v[2:3], v[4:5], v[4:5] op_sel:[0,1]
.LBB192_414:                            ;   in Loop: Header=BB192_6 Depth=1
	s_or_b64 exec, exec, s[4:5]
	s_mov_b64 s[4:5], -1
                                        ; implicit-def: $sgpr6_sgpr7
                                        ; implicit-def: $sgpr12_sgpr13
                                        ; implicit-def: $sgpr54_sgpr55
	s_and_saveexec_b64 s[18:19], s[52:53]
	s_cbranch_execz .LBB192_467
; %bb.415:                              ;   in Loop: Header=BB192_6 Depth=1
	s_cmp_eq_u64 s[16:17], 1
	s_cselect_b64 s[4:5], -1, 0
	v_cmp_eq_u64_e32 vcc, 1, v[2:3]
	s_and_b64 s[4:5], s[4:5], vcc
	s_mov_b64 s[72:73], -1
                                        ; implicit-def: $sgpr6_sgpr7
                                        ; implicit-def: $sgpr12_sgpr13
                                        ; implicit-def: $sgpr54_sgpr55
	s_and_saveexec_b64 s[52:53], s[4:5]
	s_cbranch_execz .LBB192_454
; %bb.416:                              ;   in Loop: Header=BB192_6 Depth=1
	ds_read_b64 v[4:5], v15 offset:5120
	s_waitcnt lgkmcnt(0)
	s_barrier
	v_readfirstlane_b32 s12, v4
	v_readfirstlane_b32 s13, v5
	s_mov_b64 s[6:7], exec
	v_readlane_b32 s54, v54, 26
	v_readlane_b32 s55, v54, 27
	s_and_b64 s[54:55], s[6:7], s[54:55]
	s_mov_b64 exec, s[54:55]
	s_cbranch_execz .LBB192_418
; %bb.417:                              ;   in Loop: Header=BB192_6 Depth=1
	ds_write_b32 v39, v15
.LBB192_418:                            ;   in Loop: Header=BB192_6 Depth=1
	s_or_b64 exec, exec, s[6:7]
	v_and_b32_e32 v45, s90, v45
	v_or_b32_e32 v44, s82, v44
	s_cmp_eq_u64 s[12:13], 0
	s_waitcnt lgkmcnt(0)
	s_barrier
	s_cbranch_scc1 .LBB192_423
; %bb.419:                              ;   in Loop: Header=BB192_6 Depth=1
	v_readlane_b32 s6, v54, 30
	s_add_u32 s72, s6, s12
	v_readlane_b32 s6, v54, 31
	s_addc_u32 s7, s6, s13
	s_mov_b32 s6, s83
	s_cmp_lg_u64 s[6:7], 0
	s_cbranch_scc0 .LBB192_424
; %bb.420:                              ;   in Loop: Header=BB192_6 Depth=1
	v_cvt_f32_u32_e32 v4, s33
	s_sub_u32 s6, 0, s33
	s_subb_u32 s54, 0, 0
	v_mac_f32_e32 v4, 0, v43
	v_rcp_f32_e32 v4, v4
	v_mul_f32_e32 v4, 0x5f7ffffc, v4
	v_mul_f32_e32 v5, 0x2f800000, v4
	v_trunc_f32_e32 v5, v5
	v_mac_f32_e32 v4, 0xcf800000, v5
	v_cvt_u32_f32_e32 v5, v5
	v_cvt_u32_f32_e32 v4, v4
	v_readfirstlane_b32 s55, v5
	v_readfirstlane_b32 s73, v4
	s_mul_i32 s78, s6, s55
	s_mul_hi_u32 s80, s6, s73
	s_mul_i32 s79, s54, s73
	s_add_i32 s78, s80, s78
	s_mul_i32 s81, s6, s73
	s_add_i32 s78, s78, s79
	s_mul_hi_u32 s80, s73, s81
	s_mul_hi_u32 s79, s73, s78
	s_mul_i32 s73, s73, s78
	s_add_u32 s73, s80, s73
	s_addc_u32 s79, 0, s79
	s_mul_hi_u32 s84, s55, s81
	s_mul_i32 s81, s55, s81
	s_add_u32 s73, s73, s81
	s_mul_hi_u32 s80, s55, s78
	s_addc_u32 s73, s79, s84
	s_addc_u32 s79, s80, 0
	s_mul_i32 s78, s55, s78
	s_add_u32 s73, s73, s78
	s_addc_u32 s78, 0, s79
	v_add_co_u32_e32 v4, vcc, s73, v4
	s_cmp_lg_u64 vcc, 0
	s_addc_u32 s55, s55, s78
	v_readfirstlane_b32 s78, v4
	s_mul_i32 s73, s6, s55
	s_mul_hi_u32 s79, s6, s78
	s_add_i32 s73, s79, s73
	s_mul_i32 s54, s54, s78
	s_add_i32 s73, s73, s54
	s_mul_i32 s6, s6, s78
	s_mul_hi_u32 s79, s55, s6
	s_mul_i32 s80, s55, s6
	s_mul_i32 s84, s78, s73
	s_mul_hi_u32 s6, s78, s6
	s_mul_hi_u32 s81, s78, s73
	s_add_u32 s6, s6, s84
	s_addc_u32 s78, 0, s81
	s_add_u32 s6, s6, s80
	s_mul_hi_u32 s54, s55, s73
	s_addc_u32 s6, s78, s79
	s_addc_u32 s54, s54, 0
	s_mul_i32 s73, s55, s73
	s_add_u32 s6, s6, s73
	s_addc_u32 s54, 0, s54
	v_add_co_u32_e32 v4, vcc, s6, v4
	s_cmp_lg_u64 vcc, 0
	s_addc_u32 s6, s55, s54
	v_readfirstlane_b32 s73, v4
	s_mul_i32 s55, s72, s6
	s_mul_hi_u32 s78, s72, s73
	s_mul_hi_u32 s54, s72, s6
	s_add_u32 s55, s78, s55
	s_addc_u32 s54, 0, s54
	s_mul_hi_u32 s79, s7, s73
	s_mul_i32 s73, s7, s73
	s_add_u32 s55, s55, s73
	s_mul_hi_u32 s78, s7, s6
	s_addc_u32 s54, s54, s79
	s_addc_u32 s55, s78, 0
	s_mul_i32 s6, s7, s6
	s_add_u32 s6, s54, s6
	s_addc_u32 s54, 0, s55
	s_mul_hi_u32 s55, s33, s6
	s_mul_i32 s6, s33, s6
	s_mul_i32 s54, s33, s54
	v_mov_b32_e32 v4, s6
	s_add_i32 s55, s55, s54
	v_sub_co_u32_e32 v4, vcc, s72, v4
	s_cmp_lg_u64 vcc, 0
	s_subb_u32 s6, s7, s55
	v_subrev_co_u32_e32 v5, vcc, s33, v4
	s_cmp_lg_u64 vcc, 0
	s_subb_u32 s54, s6, 0
	v_subrev_co_u32_e32 v6, vcc, s33, v5
	s_cmp_lg_u64 vcc, 0
	s_subb_u32 s55, s54, 0
	v_cmp_le_u32_e32 vcc, s33, v5
	s_cmp_eq_u32 s54, 0
	v_cndmask_b32_e64 v7, 0, -1, vcc
	s_cselect_b64 vcc, -1, 0
	v_cndmask_b32_e32 v7, -1, v7, vcc
	v_mov_b32_e32 v8, s54
	v_mov_b32_e32 v9, s55
	v_cmp_ne_u32_e32 vcc, 0, v7
	v_cndmask_b32_e32 v7, v8, v9, vcc
	v_cndmask_b32_e32 v6, v5, v6, vcc
	v_cmp_le_u32_e32 vcc, s33, v4
	s_cmp_eq_u32 s6, 0
	v_cndmask_b32_e64 v5, 0, -1, vcc
	s_cselect_b64 vcc, -1, 0
	v_cndmask_b32_e32 v5, -1, v5, vcc
	v_mov_b32_e32 v8, s6
	v_cmp_ne_u32_e32 vcc, 0, v5
	v_cndmask_b32_e32 v5, v8, v7, vcc
	v_cndmask_b32_e32 v4, v4, v6, vcc
	s_mov_b64 s[54:55], 0
	s_branch .LBB192_425
.LBB192_421:                            ;   in Loop: Header=BB192_6 Depth=1
                                        ; implicit-def: $vgpr2_vgpr3
	s_branch .LBB192_375
.LBB192_422:                            ;   in Loop: Header=BB192_6 Depth=1
                                        ; implicit-def: $vgpr2_vgpr3
	s_branch .LBB192_391
.LBB192_423:                            ;   in Loop: Header=BB192_6 Depth=1
	s_mov_b64 s[6:7], -1
	s_mov_b64 s[72:73], 0
                                        ; implicit-def: $sgpr12_sgpr13
                                        ; implicit-def: $vgpr29
	s_branch .LBB192_437
.LBB192_424:                            ;   in Loop: Header=BB192_6 Depth=1
	s_mov_b64 s[54:55], -1
                                        ; implicit-def: $vgpr4_vgpr5
.LBB192_425:                            ;   in Loop: Header=BB192_6 Depth=1
	s_andn2_b64 vcc, exec, s[54:55]
	s_cbranch_vccnz .LBB192_427
; %bb.426:                              ;   in Loop: Header=BB192_6 Depth=1
	v_cvt_f32_u32_e32 v4, s33
	s_sub_i32 s6, 0, s33
	v_rcp_iflag_f32_e32 v4, v4
	v_mul_f32_e32 v4, 0x4f7ffffe, v4
	v_cvt_u32_f32_e32 v4, v4
	v_mul_lo_u32 v5, s6, v4
	v_mul_hi_u32 v5, v4, v5
	v_add_u32_e32 v4, v4, v5
	v_mul_hi_u32 v4, s72, v4
	v_mul_lo_u32 v4, v4, s33
	v_sub_u32_e32 v4, s72, v4
	v_subrev_u32_e32 v5, s33, v4
	v_cmp_le_u32_e32 vcc, s33, v4
	v_cndmask_b32_e32 v4, v4, v5, vcc
	v_subrev_u32_e32 v5, s33, v4
	v_cmp_le_u32_e32 vcc, s33, v4
	v_cndmask_b32_e32 v14, v4, v5, vcc
	v_pk_mov_b32 v[4:5], v[14:15], v[14:15] op_sel:[0,1]
.LBB192_427:                            ;   in Loop: Header=BB192_6 Depth=1
	v_mov_b32_e32 v6, s7
	v_sub_co_u32_e32 v4, vcc, s72, v4
	v_subb_co_u32_e32 v5, vcc, v6, v5, vcc
	v_cmp_gt_u64_e32 vcc, v[4:5], v[0:1]
	s_mov_b64 s[72:73], 0
                                        ; implicit-def: $vgpr29
	s_and_saveexec_b64 s[54:55], vcc
	s_cbranch_execz .LBB192_436
; %bb.428:                              ;   in Loop: Header=BB192_6 Depth=1
	v_mov_b32_e32 v8, v16
	v_pk_mov_b32 v[6:7], v[0:1], v[0:1] op_sel:[0,1]
                                        ; implicit-def: $sgpr78_sgpr79
	s_branch .LBB192_430
.LBB192_429:                            ;   in Loop: Header=BB192_430 Depth=2
	s_or_b64 exec, exec, s[6:7]
	s_waitcnt lgkmcnt(0)
	s_barrier
	ds_read_b64 v[28:29], v15 offset:3072
	v_mov_b32_e32 v9, s0
	v_add_co_u32_e64 v6, s[6:7], s33, v6
	v_addc_co_u32_e64 v7, s[6:7], v7, v9, s[6:7]
	s_waitcnt lgkmcnt(0)
	v_cmp_neq_f32_e32 vcc, 0, v28
	v_cmp_ge_u64_e64 s[6:7], v[6:7], v[4:5]
	s_or_b64 s[6:7], s[6:7], vcc
	s_and_b64 s[6:7], exec, s[6:7]
	s_or_b64 s[72:73], s[6:7], s[72:73]
	s_andn2_b64 s[6:7], s[78:79], exec
	s_and_b64 s[78:79], vcc, exec
	v_add_u32_e32 v8, s88, v8
	s_or_b64 s[78:79], s[6:7], s[78:79]
	s_barrier
	s_andn2_b64 exec, exec, s[72:73]
	s_cbranch_execz .LBB192_435
.LBB192_430:                            ;   Parent Loop BB192_6 Depth=1
                                        ; =>  This Inner Loop Header: Depth=2
	v_cmp_gt_u64_e32 vcc, s[12:13], v[6:7]
	s_waitcnt vmcnt(0)
	v_mov_b32_e32 v27, 0
	s_and_saveexec_b64 s[6:7], vcc
	s_cbranch_execz .LBB192_432
; %bb.431:                              ;   in Loop: Header=BB192_430 Depth=2
	ds_read_b32 v27, v8
.LBB192_432:                            ;   in Loop: Header=BB192_430 Depth=2
	s_or_b64 exec, exec, s[6:7]
	s_and_saveexec_b64 s[6:7], vcc
	s_cbranch_execz .LBB192_429
; %bb.433:                              ;   in Loop: Header=BB192_430 Depth=2
	s_waitcnt lgkmcnt(0)
	v_cmp_lt_i32_e32 vcc, -1, v27
	v_cndmask_b32_e32 v9, -1, v42, vcc
	v_xor_b32_e32 v9, v9, v27
	v_cmp_o_f32_e32 vcc, v27, v27
	v_cndmask_b32_e32 v9, -1, v9, vcc
	v_and_b32_e32 v9, v9, v44
	v_cmp_eq_u32_e32 vcc, v9, v45
	s_and_b64 exec, exec, vcc
	s_cbranch_execz .LBB192_429
; %bb.434:                              ;   in Loop: Header=BB192_430 Depth=2
	ds_write_b64 v15, v[26:27] offset:3072
	s_branch .LBB192_429
.LBB192_435:                            ;   in Loop: Header=BB192_6 Depth=1
	s_or_b64 exec, exec, s[72:73]
	s_and_b64 s[72:73], s[78:79], exec
.LBB192_436:                            ;   in Loop: Header=BB192_6 Depth=1
	s_or_b64 exec, exec, s[54:55]
	s_mov_b64 s[6:7], 0
	s_mov_b64 s[12:13], -1
.LBB192_437:                            ;   in Loop: Header=BB192_6 Depth=1
	s_and_b64 vcc, exec, s[6:7]
	s_mov_b64 s[54:55], s[6:7]
	s_cbranch_vccz .LBB192_453
; %bb.438:                              ;   in Loop: Header=BB192_6 Depth=1
	v_readlane_b32 s68, v54, 32
	v_readlane_b32 s69, v54, 33
	s_mov_b32 s68, s83
	s_cmp_lg_u64 s[68:69], 0
	v_writelane_b32 v54, s68, 32
	v_writelane_b32 v54, s69, 33
	s_cbranch_scc0 .LBB192_440
; %bb.439:                              ;   in Loop: Header=BB192_6 Depth=1
	v_cvt_f32_u32_e32 v4, s33
	s_sub_u32 s6, 0, s33
	s_subb_u32 s7, 0, 0
	v_mac_f32_e32 v4, 0, v43
	v_rcp_f32_e32 v4, v4
	v_mul_f32_e32 v4, 0x5f7ffffc, v4
	v_mul_f32_e32 v5, 0x2f800000, v4
	v_trunc_f32_e32 v5, v5
	v_mac_f32_e32 v4, 0xcf800000, v5
	v_cvt_u32_f32_e32 v5, v5
	v_cvt_u32_f32_e32 v4, v4
	v_readfirstlane_b32 s12, v5
	v_readfirstlane_b32 s13, v4
	s_mul_i32 s54, s6, s12
	s_mul_hi_u32 s72, s6, s13
	s_mul_i32 s55, s7, s13
	s_add_i32 s54, s72, s54
	s_mul_i32 s73, s6, s13
	s_add_i32 s54, s54, s55
	s_mul_hi_u32 s72, s13, s73
	s_mul_hi_u32 s55, s13, s54
	s_mul_i32 s13, s13, s54
	s_add_u32 s13, s72, s13
	s_addc_u32 s55, 0, s55
	s_mul_hi_u32 s78, s12, s73
	s_mul_i32 s73, s12, s73
	s_add_u32 s13, s13, s73
	s_mul_hi_u32 s72, s12, s54
	s_addc_u32 s13, s55, s78
	s_addc_u32 s55, s72, 0
	s_mul_i32 s54, s12, s54
	s_add_u32 s13, s13, s54
	s_addc_u32 s54, 0, s55
	v_add_co_u32_e32 v4, vcc, s13, v4
	s_cmp_lg_u64 vcc, 0
	s_addc_u32 s12, s12, s54
	v_readfirstlane_b32 s54, v4
	s_mul_i32 s13, s6, s12
	s_mul_hi_u32 s55, s6, s54
	s_add_i32 s13, s55, s13
	s_mul_i32 s7, s7, s54
	s_add_i32 s13, s13, s7
	s_mul_i32 s6, s6, s54
	s_mul_hi_u32 s55, s12, s6
	s_mul_i32 s72, s12, s6
	s_mul_i32 s78, s54, s13
	s_mul_hi_u32 s6, s54, s6
	s_mul_hi_u32 s73, s54, s13
	s_add_u32 s6, s6, s78
	s_addc_u32 s54, 0, s73
	s_add_u32 s6, s6, s72
	s_mul_hi_u32 s7, s12, s13
	s_addc_u32 s6, s54, s55
	s_addc_u32 s7, s7, 0
	s_mul_i32 s13, s12, s13
	s_add_u32 s6, s6, s13
	s_addc_u32 s7, 0, s7
	v_add_co_u32_e32 v4, vcc, s6, v4
	s_cmp_lg_u64 vcc, 0
	s_addc_u32 s6, s12, s7
	v_readfirstlane_b32 s13, v4
	s_mul_i32 s12, s89, s6
	s_mul_hi_u32 s54, s89, s13
	s_mul_hi_u32 s7, s89, s6
	s_add_u32 s12, s54, s12
	s_addc_u32 s7, 0, s7
	s_mul_hi_u32 s55, s69, s13
	s_mul_i32 s13, s69, s13
	s_add_u32 s12, s12, s13
	s_mul_hi_u32 s54, s69, s6
	s_addc_u32 s7, s7, s55
	s_addc_u32 s12, s54, 0
	s_mul_i32 s6, s69, s6
	s_add_u32 s6, s7, s6
	s_addc_u32 s7, 0, s12
	s_mul_hi_u32 s12, s33, s6
	s_mul_i32 s6, s33, s6
	s_mul_i32 s7, s33, s7
	v_mov_b32_e32 v4, s6
	s_add_i32 s12, s12, s7
	v_sub_co_u32_e32 v4, vcc, s89, v4
	s_cmp_lg_u64 vcc, 0
	s_subb_u32 s6, s69, s12
	v_subrev_co_u32_e32 v5, vcc, s33, v4
	s_cmp_lg_u64 vcc, 0
	s_subb_u32 s7, s6, 0
	v_subrev_co_u32_e32 v6, vcc, s33, v5
	s_cmp_lg_u64 vcc, 0
	s_subb_u32 s12, s7, 0
	v_cmp_le_u32_e32 vcc, s33, v5
	s_cmp_eq_u32 s7, 0
	v_cndmask_b32_e64 v7, 0, -1, vcc
	s_cselect_b64 vcc, -1, 0
	v_cndmask_b32_e32 v7, -1, v7, vcc
	v_mov_b32_e32 v8, s7
	v_mov_b32_e32 v9, s12
	v_cmp_ne_u32_e32 vcc, 0, v7
	v_cndmask_b32_e32 v7, v8, v9, vcc
	v_cndmask_b32_e32 v6, v5, v6, vcc
	v_cmp_le_u32_e32 vcc, s33, v4
	s_cmp_eq_u32 s6, 0
	v_cndmask_b32_e64 v5, 0, -1, vcc
	s_cselect_b64 vcc, -1, 0
	v_cndmask_b32_e32 v5, -1, v5, vcc
	v_mov_b32_e32 v8, s6
	v_cmp_ne_u32_e32 vcc, 0, v5
	v_cndmask_b32_e32 v5, v8, v7, vcc
	v_cndmask_b32_e32 v4, v4, v6, vcc
	s_mov_b64 s[6:7], 0
	s_branch .LBB192_441
.LBB192_440:                            ;   in Loop: Header=BB192_6 Depth=1
	s_mov_b64 s[6:7], -1
                                        ; implicit-def: $vgpr4_vgpr5
.LBB192_441:                            ;   in Loop: Header=BB192_6 Depth=1
	s_andn2_b64 vcc, exec, s[6:7]
	s_cbranch_vccnz .LBB192_443
; %bb.442:                              ;   in Loop: Header=BB192_6 Depth=1
	v_cvt_f32_u32_e32 v4, s33
	s_sub_i32 s6, 0, s33
	v_rcp_iflag_f32_e32 v4, v4
	v_mul_f32_e32 v4, 0x4f7ffffe, v4
	v_cvt_u32_f32_e32 v4, v4
	v_mul_lo_u32 v5, s6, v4
	v_mul_hi_u32 v5, v4, v5
	v_add_u32_e32 v4, v4, v5
	v_mul_hi_u32 v4, s89, v4
	v_mul_lo_u32 v4, v4, s33
	v_sub_u32_e32 v4, s89, v4
	v_subrev_u32_e32 v5, s33, v4
	v_cmp_le_u32_e32 vcc, s33, v4
	v_cndmask_b32_e32 v4, v4, v5, vcc
	v_subrev_u32_e32 v5, s33, v4
	v_cmp_le_u32_e32 vcc, s33, v4
	v_cndmask_b32_e32 v14, v4, v5, vcc
	v_pk_mov_b32 v[4:5], v[14:15], v[14:15] op_sel:[0,1]
.LBB192_443:                            ;   in Loop: Header=BB192_6 Depth=1
	v_readlane_b32 s6, v54, 32
	v_readlane_b32 s7, v54, 33
	v_mov_b32_e32 v6, s7
	v_sub_co_u32_e32 v4, vcc, s89, v4
	v_subb_co_u32_e32 v5, vcc, v6, v5, vcc
	v_cmp_gt_u64_e32 vcc, v[4:5], v[0:1]
	s_mov_b64 s[72:73], 0
                                        ; implicit-def: $vgpr29
	s_and_saveexec_b64 s[12:13], vcc
	s_cbranch_execz .LBB192_452
; %bb.444:                              ;   in Loop: Header=BB192_6 Depth=1
	s_mov_b64 s[54:55], 0
	v_pk_mov_b32 v[6:7], v[12:13], v[12:13] op_sel:[0,1]
	v_pk_mov_b32 v[8:9], v[0:1], v[0:1] op_sel:[0,1]
                                        ; implicit-def: $sgpr72_sgpr73
	s_branch .LBB192_446
.LBB192_445:                            ;   in Loop: Header=BB192_446 Depth=2
	s_or_b64 exec, exec, s[6:7]
	s_waitcnt lgkmcnt(0)
	s_barrier
	ds_read_b64 v[28:29], v15 offset:3072
	v_mov_b32_e32 v14, s0
	v_add_co_u32_e64 v8, s[6:7], s33, v8
	v_addc_co_u32_e64 v9, s[6:7], v9, v14, s[6:7]
	s_waitcnt lgkmcnt(0)
	v_cmp_neq_f32_e32 vcc, 0, v28
	v_cmp_ge_u64_e64 s[6:7], v[8:9], v[4:5]
	s_or_b64 s[78:79], s[6:7], vcc
	v_mov_b32_e32 v14, s61
	v_add_co_u32_e64 v6, s[6:7], s60, v6
	v_addc_co_u32_e64 v7, s[6:7], v7, v14, s[6:7]
	s_and_b64 s[6:7], exec, s[78:79]
	s_or_b64 s[54:55], s[6:7], s[54:55]
	s_andn2_b64 s[6:7], s[72:73], exec
	s_and_b64 s[72:73], vcc, exec
	s_or_b64 s[72:73], s[6:7], s[72:73]
	s_barrier
	s_andn2_b64 exec, exec, s[54:55]
	s_cbranch_execz .LBB192_451
.LBB192_446:                            ;   Parent Loop BB192_6 Depth=1
                                        ; =>  This Inner Loop Header: Depth=2
	v_cmp_gt_u64_e32 vcc, s[56:57], v[8:9]
	s_waitcnt vmcnt(0)
	v_mov_b32_e32 v27, 0
	s_and_saveexec_b64 s[6:7], vcc
	s_cbranch_execz .LBB192_448
; %bb.447:                              ;   in Loop: Header=BB192_446 Depth=2
	global_load_dword v27, v[6:7], off
.LBB192_448:                            ;   in Loop: Header=BB192_446 Depth=2
	s_or_b64 exec, exec, s[6:7]
	s_and_saveexec_b64 s[6:7], vcc
	s_cbranch_execz .LBB192_445
; %bb.449:                              ;   in Loop: Header=BB192_446 Depth=2
	s_waitcnt vmcnt(0)
	v_cmp_lt_i32_e32 vcc, -1, v27
	v_cndmask_b32_e32 v14, -1, v42, vcc
	v_xor_b32_e32 v14, v14, v27
	v_cmp_o_f32_e32 vcc, v27, v27
	v_cndmask_b32_e32 v14, -1, v14, vcc
	v_and_b32_e32 v14, v14, v44
	v_cmp_eq_u32_e32 vcc, v14, v45
	s_and_b64 exec, exec, vcc
	s_cbranch_execz .LBB192_445
; %bb.450:                              ;   in Loop: Header=BB192_446 Depth=2
	ds_write_b64 v15, v[26:27] offset:3072
	s_branch .LBB192_445
.LBB192_451:                            ;   in Loop: Header=BB192_6 Depth=1
	s_or_b64 exec, exec, s[54:55]
	s_and_b64 s[72:73], s[72:73], exec
.LBB192_452:                            ;   in Loop: Header=BB192_6 Depth=1
	s_or_b64 exec, exec, s[12:13]
	s_mov_b64 s[12:13], 0
	s_mov_b64 s[6:7], -1
	s_mov_b64 s[54:55], 0
.LBB192_453:                            ;   in Loop: Header=BB192_6 Depth=1
	s_orn2_b64 s[72:73], s[72:73], exec
.LBB192_454:                            ;   in Loop: Header=BB192_6 Depth=1
	s_or_b64 exec, exec, s[52:53]
	s_mov_b64 s[78:79], 0
                                        ; implicit-def: $vgpr8
                                        ; implicit-def: $vgpr4_vgpr5
	s_and_saveexec_b64 s[52:53], s[72:73]
	s_cbranch_execz .LBB192_466
; %bb.455:                              ;   in Loop: Header=BB192_6 Depth=1
	v_mov_b32_e32 v4, 1
	s_xor_b64 s[72:73], s[4:5], -1
	v_mov_b32_e32 v8, 1
	v_mov_b32_e32 v5, 0
	s_and_saveexec_b64 s[4:5], s[72:73]
	s_cbranch_execz .LBB192_465
; %bb.456:                              ;   in Loop: Header=BB192_6 Depth=1
	v_cmp_ge_u64_e32 vcc, s[16:17], v[2:3]
                                        ; implicit-def: $sgpr78
	s_and_saveexec_b64 s[72:73], vcc
	s_xor_b64 s[72:73], exec, s[72:73]
	s_cbranch_execz .LBB192_462
; %bb.457:                              ;   in Loop: Header=BB192_6 Depth=1
	ds_read_b64 v[4:5], v15 offset:5120
	s_waitcnt lgkmcnt(0)
	v_cmp_ne_u64_e32 vcc, 0, v[4:5]
	s_cbranch_vccnz .LBB192_461
; %bb.458:                              ;   in Loop: Header=BB192_6 Depth=1
	v_readlane_b32 s68, v54, 8
	v_readlane_b32 s69, v54, 9
	s_and_saveexec_b64 s[78:79], s[68:69]
	s_cbranch_execz .LBB192_460
; %bb.459:                              ;   in Loop: Header=BB192_6 Depth=1
	v_pk_mov_b32 v[4:5], s[16:17], s[16:17] op_sel:[0,1]
	ds_write_b64 v15, v[4:5] offset:5128
.LBB192_460:                            ;   in Loop: Header=BB192_6 Depth=1
	s_or_b64 exec, exec, s[78:79]
	s_waitcnt lgkmcnt(0)
	s_barrier
.LBB192_461:                            ;   in Loop: Header=BB192_6 Depth=1
	v_and_b32_e32 v45, s90, v45
	v_or_b32_e32 v44, s82, v44
	s_mov_b32 s78, 5
.LBB192_462:                            ;   in Loop: Header=BB192_6 Depth=1
	s_or_saveexec_b64 s[72:73], s[72:73]
	v_mov_b32_e32 v8, s78
	s_xor_b64 exec, exec, s[72:73]
; %bb.463:                              ;   in Loop: Header=BB192_6 Depth=1
	v_mov_b32_e32 v4, s17
	v_subrev_co_u32_e32 v2, vcc, s16, v2
	v_subb_co_u32_e32 v3, vcc, v3, v4, vcc
	v_mov_b32_e32 v8, 5
; %bb.464:                              ;   in Loop: Header=BB192_6 Depth=1
	s_or_b64 exec, exec, s[72:73]
	v_pk_mov_b32 v[4:5], v[2:3], v[2:3] op_sel:[0,1]
.LBB192_465:                            ;   in Loop: Header=BB192_6 Depth=1
	s_or_b64 exec, exec, s[4:5]
	s_mov_b64 s[78:79], exec
.LBB192_466:                            ;   in Loop: Header=BB192_6 Depth=1
	s_or_b64 exec, exec, s[52:53]
	s_orn2_b64 s[4:5], s[78:79], exec
	v_pk_mov_b32 v[2:3], v[4:5], v[4:5] op_sel:[0,1]
.LBB192_467:                            ;   in Loop: Header=BB192_6 Depth=1
	s_or_b64 exec, exec, s[18:19]
	s_andn2_b64 s[2:3], s[2:3], exec
	s_and_b64 s[6:7], s[6:7], exec
	s_or_b64 s[2:3], s[2:3], s[6:7]
	s_andn2_b64 s[6:7], s[46:47], exec
	s_and_b64 s[12:13], s[12:13], exec
	s_or_b64 s[46:47], s[6:7], s[12:13]
	;; [unrolled: 3-line block ×3, first 2 shown]
	s_and_b64 s[6:7], s[4:5], exec
	v_pk_mov_b32 v[4:5], v[2:3], v[2:3] op_sel:[0,1]
.LBB192_468:                            ;   in Loop: Header=BB192_6 Depth=1
	s_or_b64 exec, exec, s[50:51]
	s_and_b64 s[50:51], s[2:3], exec
	s_and_b64 s[12:13], s[46:47], exec
	;; [unrolled: 1-line block ×3, first 2 shown]
	s_orn2_b64 s[2:3], s[6:7], exec
.LBB192_469:                            ;   in Loop: Header=BB192_6 Depth=1
	s_or_b64 exec, exec, s[22:23]
	s_andn2_b64 s[6:7], s[36:37], exec
	s_and_b64 s[16:17], s[50:51], exec
	s_or_b64 s[36:37], s[6:7], s[16:17]
	s_andn2_b64 s[6:7], s[40:41], exec
	s_and_b64 s[12:13], s[12:13], exec
	s_or_b64 s[40:41], s[6:7], s[12:13]
	;; [unrolled: 3-line block ×3, first 2 shown]
	s_and_b64 s[6:7], s[2:3], exec
	v_pk_mov_b32 v[2:3], v[4:5], v[4:5] op_sel:[0,1]
.LBB192_470:                            ;   in Loop: Header=BB192_6 Depth=1
	s_or_b64 exec, exec, s[44:45]
	s_and_b64 s[12:13], s[36:37], exec
	s_and_b64 s[4:5], s[40:41], exec
	;; [unrolled: 1-line block ×3, first 2 shown]
	s_orn2_b64 s[36:37], s[6:7], exec
.LBB192_471:                            ;   in Loop: Header=BB192_6 Depth=1
	s_or_b64 exec, exec, s[24:25]
	s_mov_b64 s[6:7], s[28:29]
	s_mov_b64 s[16:17], s[26:27]
	s_and_saveexec_b64 s[18:19], s[36:37]
; %bb.472:                              ;   in Loop: Header=BB192_6 Depth=1
	v_cmp_ne_u32_e64 s[6:7], 5, v8
	v_cmp_eq_u32_e32 vcc, 5, v8
	s_andn2_b64 s[16:17], s[26:27], exec
	s_and_b64 s[6:7], s[6:7], exec
	s_or_b64 s[16:17], s[16:17], s[6:7]
	s_andn2_b64 s[6:7], s[28:29], exec
	s_and_b64 s[22:23], vcc, exec
	s_andn2_b64 s[12:13], s[12:13], exec
	s_andn2_b64 s[4:5], s[4:5], exec
	;; [unrolled: 1-line block ×3, first 2 shown]
	s_or_b64 s[6:7], s[6:7], s[22:23]
; %bb.473:                              ;   in Loop: Header=BB192_6 Depth=1
	s_or_b64 exec, exec, s[18:19]
	s_andn2_b64 s[14:15], s[14:15], exec
	s_and_b64 s[12:13], s[12:13], exec
	s_or_b64 s[14:15], s[14:15], s[12:13]
	s_andn2_b64 s[12:13], s[38:39], exec
	s_and_b64 s[4:5], s[4:5], exec
	s_or_b64 s[38:39], s[12:13], s[4:5]
	;; [unrolled: 3-line block ×5, first 2 shown]
	v_mov_b32_e32 v28, v45
	v_mov_b32_e32 v34, v44
	;; [unrolled: 1-line block ×3, first 2 shown]
.LBB192_474:                            ;   in Loop: Header=BB192_6 Depth=1
	s_or_b64 exec, exec, s[34:35]
	s_mov_b64 s[36:37], s[20:21]
	s_mov_b64 s[34:35], s[20:21]
	s_and_saveexec_b64 s[2:3], s[28:29]
.LBB192_475:                            ;   in Loop: Header=BB192_6 Depth=1
	v_mov_b32_e32 v8, 0
	s_andn2_b64 s[20:21], s[20:21], exec
	s_andn2_b64 s[14:15], s[14:15], exec
	;; [unrolled: 1-line block ×5, first 2 shown]
	s_or_b64 s[26:27], s[26:27], exec
.LBB192_476:                            ;   in Loop: Header=BB192_6 Depth=1
	s_or_b64 exec, exec, s[2:3]
	s_andn2_b64 s[2:3], s[86:87], exec
	s_and_b64 s[6:7], s[20:21], exec
	s_or_b64 s[86:87], s[2:3], s[6:7]
	s_andn2_b64 s[2:3], s[10:11], exec
	s_and_b64 s[6:7], s[14:15], exec
	s_or_b64 s[10:11], s[2:3], s[6:7]
	;; [unrolled: 3-line block ×3, first 2 shown]
	v_readlane_b32 s2, v54, 50
	v_readlane_b32 s3, v54, 51
	s_andn2_b64 s[2:3], s[2:3], exec
	s_and_b64 s[6:7], s[36:37], exec
	s_or_b64 s[36:37], s[2:3], s[6:7]
	v_readlane_b32 s2, v54, 48
	v_readlane_b32 s3, v54, 49
	s_andn2_b64 s[2:3], s[2:3], exec
	s_and_b64 s[6:7], s[34:35], exec
	s_mov_b64 s[4:5], -1
	s_or_b64 s[28:29], s[2:3], s[6:7]
                                        ; implicit-def: $vgpr44
                                        ; implicit-def: $vgpr45
                                        ; implicit-def: $vgpr30_vgpr31
                                        ; implicit-def: $vgpr29
	s_and_saveexec_b64 s[2:3], s[26:27]
	s_xor_b64 s[2:3], exec, s[2:3]
	s_cbranch_execz .LBB192_5
; %bb.477:                              ;   in Loop: Header=BB192_6 Depth=1
	v_cmp_eq_u32_e32 vcc, 0, v8
	s_mov_b64 s[6:7], -1
	s_and_saveexec_b64 s[12:13], vcc
	s_cbranch_execz .LBB192_4
; %bb.478:                              ;   in Loop: Header=BB192_6 Depth=1
	v_readlane_b32 s4, v54, 46
	s_xor_b32 s4, s4, 1
	v_writelane_b32 v54, s4, 46
	v_readlane_b32 s4, v54, 45
	s_add_i32 s14, s4, -2
	s_cmp_eq_u32 s4, 0
	s_cselect_b64 s[4:5], -1, 0
	s_xor_b64 s[6:7], exec, -1
	s_orn2_b64 s[4:5], s[4:5], exec
	v_writelane_b32 v54, s14, 45
	s_branch .LBB192_4
.LBB192_479:
	s_or_b64 exec, exec, s[74:75]
	s_xor_b64 s[4:5], s[92:93], -1
	s_xor_b64 s[14:15], s[76:77], -1
	s_xor_b64 s[12:13], s[30:31], -1
	s_xor_b64 s[6:7], s[64:65], -1
	s_xor_b64 s[2:3], s[66:67], -1
	s_mov_b64 s[8:9], 0
	s_and_saveexec_b64 s[10:11], s[6:7]
	s_xor_b64 s[6:7], exec, s[10:11]
	s_cbranch_execnz .LBB192_484
; %bb.480:
	s_andn2_saveexec_b64 s[0:1], s[6:7]
	s_cbranch_execnz .LBB192_503
.LBB192_481:
	s_or_b64 exec, exec, s[0:1]
	s_and_saveexec_b64 s[0:1], s[8:9]
.LBB192_482:
	; divergent unreachable
.LBB192_483:
	s_endpgm
.LBB192_484:
	s_mov_b64 s[10:11], 0
	s_and_saveexec_b64 s[8:9], s[12:13]
	s_xor_b64 s[8:9], exec, s[8:9]
	s_cbranch_execz .LBB192_501
; %bb.485:
	s_mov_b64 s[12:13], 0
	s_and_saveexec_b64 s[10:11], s[14:15]
	s_xor_b64 s[10:11], exec, s[10:11]
	s_cbranch_execz .LBB192_499
; %bb.486:
	;; [unrolled: 5-line block ×3, first 2 shown]
	s_and_saveexec_b64 s[4:5], s[2:3]
	s_xor_b64 s[2:3], exec, s[4:5]
; %bb.488:
	v_bfrev_b32_e32 v2, 1
	v_cmp_lt_i32_e32 vcc, -1, v28
	v_cndmask_b32_e64 v2, v2, -1, vcc
	v_xor_b32_e32 v5, v2, v28
; %bb.489:
	s_or_b64 exec, exec, s[2:3]
	s_mov_b64 s[2:3], exec
	v_readlane_b32 s20, v54, 10
	v_readlane_b32 s21, v54, 11
	s_load_dwordx2 s[38:39], s[20:21], 0x0
	v_readlane_b32 s4, v54, 8
	v_readlane_b32 s5, v54, 9
	;; [unrolled: 1-line block ×3, first 2 shown]
	s_and_b64 s[4:5], s[2:3], s[4:5]
	v_readlane_b32 s41, v54, 17
	s_mov_b64 exec, s[4:5]
	s_cbranch_execz .LBB192_491
; %bb.490:
	v_mov_b32_e32 v2, 0
	v_mov_b32_e32 v3, v2
	ds_write_b64 v2, v[2:3] offset:5136
.LBB192_491:
	s_or_b64 exec, exec, s[2:3]
	v_mov_b32_e32 v21, 0
	s_waitcnt lgkmcnt(0)
	s_barrier
	s_mov_b64 s[2:3], exec
	v_readlane_b32 s4, v54, 24
	v_readlane_b32 s5, v54, 25
	s_and_b64 s[4:5], s[2:3], s[4:5]
	s_mov_b64 exec, s[4:5]
	s_cbranch_execz .LBB192_493
; %bb.492:
	global_load_dword v21, v[12:13], off
.LBB192_493:
	s_or_b64 exec, exec, s[2:3]
	v_readlane_b32 s4, v54, 4
	s_add_u32 s1, s56, 63
	v_readlane_b32 s2, v54, 12
	v_readlane_b32 s5, v54, 5
	;; [unrolled: 1-line block ×3, first 2 shown]
	s_addc_u32 s15, s57, 0
	s_and_b32 s14, s1, 0xffffffc0
	v_readlane_b32 s3, v54, 13
	s_mov_b32 s16, s2
	s_mul_i32 s1, s5, s2
	s_mul_hi_u32 s2, s4, s2
	v_readlane_b32 s19, v54, 1
	s_add_i32 s3, s2, s1
	s_mul_i32 s2, s4, s16
	s_mul_i32 s1, s19, s16
	s_mul_hi_u32 s4, s18, s16
	s_add_i32 s5, s4, s1
	s_mul_i32 s4, s18, s16
	s_lshl_b64 s[2:3], s[2:3], 2
	v_readlane_b32 s16, v54, 6
	v_readlane_b32 s17, v54, 7
	s_add_u32 s1, s16, s2
	s_addc_u32 s46, s17, s3
	s_load_dwordx2 s[16:17], s[20:21], 0x368
	s_load_dwordx2 s[18:19], s[20:21], 0x510
	v_bfrev_b32_e32 v19, 1
	v_cmp_lt_i32_e32 vcc, -1, v5
	v_cndmask_b32_e32 v2, -1, v19, vcc
	s_lshl_b64 s[2:3], s[4:5], 3
	v_readlane_b32 s4, v54, 2
	v_xor_b32_e32 v2, v2, v5
	v_cmp_o_f32_e32 vcc, v5, v5
	v_readlane_b32 s5, v54, 3
	s_add_u32 s47, s4, s2
	v_cndmask_b32_e32 v18, -1, v2, vcc
	s_addc_u32 s48, s5, s3
	v_cmp_gt_u64_e32 vcc, s[14:15], v[0:1]
	s_mov_b64 s[22:23], -1
	s_mov_b64 s[2:3], 0
	v_add_u32_e32 v20, s33, v0
	s_mov_b64 s[4:5], 0
	s_and_saveexec_b64 s[20:21], vcc
	s_cbranch_execnz .LBB192_504
; %bb.494:
	s_or_b64 exec, exec, s[20:21]
	s_and_saveexec_b64 s[20:21], s[22:23]
	s_cbranch_execnz .LBB192_521
.LBB192_495:
	s_or_b64 exec, exec, s[20:21]
	s_and_saveexec_b64 s[0:1], s[4:5]
	s_xor_b64 s[0:1], exec, s[0:1]
	s_cbranch_execnz .LBB192_543
.LBB192_496:
	s_or_b64 exec, exec, s[0:1]
	s_and_b64 s[14:15], s[2:3], exec
.LBB192_497:
	s_andn2_saveexec_b64 s[0:1], s[12:13]
	s_cbranch_execnz .LBB192_546
.LBB192_498:
	s_or_b64 exec, exec, s[0:1]
	s_and_b64 s[12:13], s[14:15], exec
.LBB192_499:
	s_andn2_saveexec_b64 s[0:1], s[10:11]
	s_cbranch_execnz .LBB192_545
.LBB192_500:
	s_or_b64 exec, exec, s[0:1]
	s_and_b64 s[10:11], s[12:13], exec
.LBB192_501:
	s_andn2_saveexec_b64 s[0:1], s[8:9]
	s_cbranch_execnz .LBB192_544
.LBB192_502:
	s_or_b64 exec, exec, s[0:1]
	s_and_b64 s[8:9], s[10:11], exec
	s_andn2_saveexec_b64 s[0:1], s[6:7]
	s_cbranch_execz .LBB192_481
.LBB192_503:
	s_or_b64 s[8:9], s[8:9], exec
	s_trap 2
	s_or_b64 exec, exec, s[0:1]
	s_and_saveexec_b64 s[0:1], s[8:9]
	s_cbranch_execnz .LBB192_482
	s_branch .LBB192_483
.LBB192_504:
	v_mad_u64_u32 v[2:3], s[4:5], s62, v20, 0
	v_mov_b32_e32 v4, v3
	v_mad_u64_u32 v[4:5], s[4:5], s63, v20, v[4:5]
	v_readlane_b32 s4, v54, 14
	v_mov_b32_e32 v3, v4
	v_readlane_b32 s5, v54, 15
	s_add_u32 s4, s38, s4
	v_lshlrev_b64 v[2:3], 2, v[2:3]
	s_addc_u32 s5, s39, s5
	v_mov_b32_e32 v4, s5
	v_add_co_u32_e32 v2, vcc, s4, v2
	v_addc_co_u32_e32 v3, vcc, v4, v3, vcc
	s_mov_b64 s[22:23], 0
	v_mov_b32_e32 v22, s0
	v_mov_b32_e32 v5, 0
	v_pk_mov_b32 v[14:15], v[0:1], v[0:1] op_sel:[0,1]
                                        ; implicit-def: $sgpr24_sgpr25
                                        ; implicit-def: $vgpr8_vgpr9
	s_branch .LBB192_506
.LBB192_505:                            ;   in Loop: Header=BB192_506 Depth=1
	s_or_b64 exec, exec, s[26:27]
	s_xor_b64 s[26:27], s[30:31], -1
	s_and_b64 s[4:5], exec, s[4:5]
	s_or_b64 s[22:23], s[4:5], s[22:23]
	s_andn2_b64 s[4:5], s[24:25], exec
	s_and_b64 s[24:25], s[26:27], exec
	s_or_b64 s[24:25], s[4:5], s[24:25]
	s_waitcnt vmcnt(0)
	v_mov_b32_e32 v21, v23
	v_pk_mov_b32 v[14:15], v[6:7], v[6:7] op_sel:[0,1]
	s_andn2_b64 exec, exec, s[22:23]
	s_cbranch_execz .LBB192_520
.LBB192_506:                            ; =>This Inner Loop Header: Depth=1
	v_add_co_u32_e32 v6, vcc, s33, v14
	v_addc_co_u32_e32 v7, vcc, v15, v22, vcc
	v_cmp_gt_u64_e32 vcc, s[56:57], v[6:7]
	v_mov_b32_e32 v23, 0
	s_and_saveexec_b64 s[4:5], vcc
	s_cbranch_execz .LBB192_508
; %bb.507:                              ;   in Loop: Header=BB192_506 Depth=1
	global_load_dword v23, v[2:3], off
.LBB192_508:                            ;   in Loop: Header=BB192_506 Depth=1
	s_or_b64 exec, exec, s[4:5]
	v_cmp_gt_u64_e32 vcc, s[56:57], v[14:15]
	s_mov_b64 s[26:27], 0
	s_and_saveexec_b64 s[4:5], vcc
	s_cbranch_execz .LBB192_510
; %bb.509:                              ;   in Loop: Header=BB192_506 Depth=1
	s_waitcnt vmcnt(0)
	v_cmp_lt_i32_e32 vcc, -1, v21
	v_cndmask_b32_e32 v4, -1, v19, vcc
	v_xor_b32_e32 v4, v4, v21
	v_cmp_o_f32_e32 vcc, v21, v21
	v_cndmask_b32_e32 v4, -1, v4, vcc
	v_cmp_gt_u32_e32 vcc, v4, v18
	v_cndmask_b32_e64 v16, 0, 1, vcc
	v_cmp_lt_u32_e32 vcc, v4, v18
	v_cndmask_b32_e64 v4, 0, 1, vcc
	v_cndmask_b32_e64 v4, v4, v16, s[40:41]
	v_and_b32_e32 v4, 1, v4
	v_cmp_eq_u32_e32 vcc, 1, v4
	s_and_b64 s[26:27], vcc, exec
.LBB192_510:                            ;   in Loop: Header=BB192_506 Depth=1
	s_or_b64 exec, exec, s[4:5]
	v_cndmask_b32_e64 v4, 0, 1, s[26:27]
	v_cmp_ne_u32_e32 vcc, 0, v4
	s_cmp_lg_u64 vcc, 0
	s_cselect_b64 s[4:5], -1, 0
	s_and_b64 s[4:5], s[94:95], s[4:5]
	s_and_saveexec_b64 s[28:29], s[4:5]
	s_cbranch_execz .LBB192_514
; %bb.511:                              ;   in Loop: Header=BB192_506 Depth=1
	s_mov_b64 s[34:35], exec
	v_mbcnt_lo_u32_b32 v4, s34, 0
	v_mbcnt_hi_u32_b32 v16, s35, v4
	s_bcnt1_i32_b64 s36, vcc
	v_cmp_eq_u32_e64 s[4:5], 0, v16
                                        ; implicit-def: $vgpr8_vgpr9
	s_and_saveexec_b64 s[30:31], s[4:5]
	s_cbranch_execz .LBB192_513
; %bb.512:                              ;   in Loop: Header=BB192_506 Depth=1
	s_bcnt1_i32_b64 s4, s[34:35]
	s_mul_i32 s4, s36, s4
	v_mov_b32_e32 v4, s4
	s_waitcnt lgkmcnt(0)
	ds_add_rtn_u64 v[8:9], v5, v[4:5] offset:5136
.LBB192_513:                            ;   in Loop: Header=BB192_506 Depth=1
	s_or_b64 exec, exec, s[30:31]
	s_waitcnt lgkmcnt(0)
	v_readfirstlane_b32 s4, v9
	v_readfirstlane_b32 s5, v8
	v_mov_b32_e32 v8, s5
	v_mov_b32_e32 v9, s4
	v_mad_u64_u32 v[8:9], s[4:5], s36, v16, v[8:9]
.LBB192_514:                            ;   in Loop: Header=BB192_506 Depth=1
	s_or_b64 exec, exec, s[28:29]
	s_waitcnt lgkmcnt(0)
	ds_bpermute_b32 v8, v36, v8
	ds_bpermute_b32 v9, v36, v9
	s_mov_b64 s[4:5], -1
	s_mov_b64 s[34:35], -1
                                        ; implicit-def: $sgpr30_sgpr31
	s_and_saveexec_b64 s[28:29], s[26:27]
	s_cbranch_execz .LBB192_518
; %bb.515:                              ;   in Loop: Header=BB192_506 Depth=1
	v_and_b32_e32 v16, vcc_lo, v10
	v_and_b32_e32 v4, vcc_hi, v11
	v_bcnt_u32_b32 v16, v16, 0
	v_bcnt_u32_b32 v4, v4, v16
	s_waitcnt lgkmcnt(0)
	v_add_co_u32_e32 v16, vcc, v8, v4
	v_addc_co_u32_e32 v17, vcc, 0, v9, vcc
	v_cmp_gt_u64_e32 vcc, s[58:59], v[16:17]
	s_mov_b64 s[26:27], 0
	s_and_saveexec_b64 s[30:31], vcc
	s_cbranch_execz .LBB192_517
; %bb.516:                              ;   in Loop: Header=BB192_506 Depth=1
	v_mul_lo_u32 v4, v17, s16
	v_mul_lo_u32 v26, v16, s17
	v_mad_u64_u32 v[24:25], s[34:35], v16, s16, 0
	v_add3_u32 v25, v25, v26, v4
	v_mul_lo_u32 v4, v17, s18
	v_mul_lo_u32 v26, v16, s19
	v_mad_u64_u32 v[16:17], s[34:35], v16, s18, 0
	v_lshlrev_b64 v[24:25], 2, v[24:25]
	v_add3_u32 v17, v17, v26, v4
	v_mov_b32_e32 v4, s46
	v_add_co_u32_e32 v24, vcc, s1, v24
	v_addc_co_u32_e32 v25, vcc, v4, v25, vcc
	v_lshlrev_b64 v[16:17], 3, v[16:17]
	v_mov_b32_e32 v4, s48
	v_add_co_u32_e32 v16, vcc, s47, v16
	s_mov_b64 s[26:27], exec
	v_addc_co_u32_e32 v17, vcc, v4, v17, vcc
	s_waitcnt vmcnt(0)
	global_store_dword v[24:25], v21, off
	global_store_dwordx2 v[16:17], v[14:15], off
.LBB192_517:                            ;   in Loop: Header=BB192_506 Depth=1
	s_or_b64 exec, exec, s[30:31]
	s_mov_b64 s[30:31], -1
	s_orn2_b64 s[34:35], s[26:27], exec
.LBB192_518:                            ;   in Loop: Header=BB192_506 Depth=1
	s_or_b64 exec, exec, s[28:29]
	s_and_saveexec_b64 s[26:27], s[34:35]
	s_cbranch_execz .LBB192_505
; %bb.519:                              ;   in Loop: Header=BB192_506 Depth=1
	v_mov_b32_e32 v4, s61
	v_add_co_u32_e32 v2, vcc, s60, v2
	v_addc_co_u32_e32 v3, vcc, v3, v4, vcc
	v_cmp_le_u64_e32 vcc, s[14:15], v[6:7]
	s_andn2_b64 s[30:31], s[30:31], exec
	s_orn2_b64 s[4:5], vcc, exec
	s_branch .LBB192_505
.LBB192_520:
	s_or_b64 exec, exec, s[22:23]
	s_mov_b64 s[4:5], exec
	s_orn2_b64 s[22:23], s[24:25], exec
	s_or_b64 exec, exec, s[20:21]
	s_and_saveexec_b64 s[20:21], s[22:23]
	s_cbranch_execz .LBB192_495
.LBB192_521:
	v_mov_b32_e32 v3, 0
	v_mov_b32_e32 v15, 0
	s_waitcnt lgkmcnt(0)
	s_barrier
	s_mov_b64 s[2:3], exec
	v_readlane_b32 s22, v54, 24
	v_readlane_b32 s23, v54, 25
	s_and_b64 s[22:23], s[2:3], s[22:23]
	s_mov_b64 exec, s[22:23]
	s_cbranch_execz .LBB192_523
; %bb.522:
	global_load_dword v15, v[12:13], off
.LBB192_523:
	s_or_b64 exec, exec, s[2:3]
	v_mad_u64_u32 v[4:5], s[2:3], s62, v20, 0
	v_mov_b32_e32 v2, v5
	v_mad_u64_u32 v[6:7], s[2:3], s63, v20, v[2:3]
	v_readlane_b32 s2, v54, 14
	v_mov_b32_e32 v5, v6
	v_readlane_b32 s3, v54, 15
	s_add_u32 s2, s38, s2
	v_lshlrev_b64 v[4:5], 2, v[4:5]
	s_addc_u32 s3, s39, s3
	v_mov_b32_e32 v2, s3
	v_add_co_u32_e32 v4, vcc, s2, v4
	v_addc_co_u32_e32 v5, vcc, v2, v5, vcc
	s_mov_b64 s[22:23], 0
	v_bfrev_b32_e32 v14, 1
                                        ; implicit-def: $sgpr24_sgpr25
                                        ; implicit-def: $sgpr26_sgpr27
                                        ; implicit-def: $sgpr28_sgpr29
                                        ; implicit-def: $vgpr6_vgpr7
	s_branch .LBB192_526
.LBB192_524:                            ;   in Loop: Header=BB192_526 Depth=1
	s_or_b64 exec, exec, s[36:37]
	s_andn2_b64 s[28:29], s[28:29], exec
	s_and_b64 s[34:35], s[40:41], exec
	s_andn2_b64 s[26:27], s[26:27], exec
	s_and_b64 s[2:3], s[2:3], exec
	s_or_b64 s[28:29], s[28:29], s[34:35]
	s_or_b64 s[26:27], s[26:27], s[2:3]
	v_pk_mov_b32 v[0:1], v[8:9], v[8:9] op_sel:[0,1]
	v_mov_b32_e32 v15, v2
.LBB192_525:                            ;   in Loop: Header=BB192_526 Depth=1
	s_or_b64 exec, exec, s[30:31]
	s_xor_b64 s[2:3], s[28:29], -1
	s_and_b64 s[30:31], exec, s[26:27]
	s_or_b64 s[22:23], s[30:31], s[22:23]
	s_andn2_b64 s[24:25], s[24:25], exec
	s_and_b64 s[2:3], s[2:3], exec
	s_or_b64 s[24:25], s[24:25], s[2:3]
	s_andn2_b64 exec, exec, s[22:23]
	s_cbranch_execz .LBB192_541
.LBB192_526:                            ; =>This Inner Loop Header: Depth=1
	v_cmp_gt_u64_e32 vcc, s[14:15], v[0:1]
	s_or_b64 s[28:29], s[28:29], exec
	s_or_b64 s[26:27], s[26:27], exec
	s_and_saveexec_b64 s[30:31], vcc
	s_cbranch_execz .LBB192_525
; %bb.527:                              ;   in Loop: Header=BB192_526 Depth=1
	v_mov_b32_e32 v2, s0
	v_add_co_u32_e32 v8, vcc, s33, v0
	v_addc_co_u32_e32 v9, vcc, v1, v2, vcc
	v_cmp_gt_u64_e32 vcc, s[56:57], v[8:9]
	v_mov_b32_e32 v16, 0
	s_and_saveexec_b64 s[2:3], vcc
	s_cbranch_execz .LBB192_529
; %bb.528:                              ;   in Loop: Header=BB192_526 Depth=1
	global_load_dword v16, v[4:5], off
.LBB192_529:                            ;   in Loop: Header=BB192_526 Depth=1
	s_or_b64 exec, exec, s[2:3]
	s_waitcnt vmcnt(0)
	v_cmp_lt_i32_e64 s[2:3], -1, v15
	v_cndmask_b32_e64 v2, -1, v14, s[2:3]
	v_xor_b32_e32 v2, v2, v15
	v_cmp_o_f32_e64 s[2:3], v15, v15
	v_cndmask_b32_e64 v2, -1, v2, s[2:3]
	v_cmp_gt_u64_e32 vcc, s[56:57], v[0:1]
	v_cmp_eq_u32_e64 s[2:3], v2, v18
	s_and_b64 s[36:37], vcc, s[2:3]
	v_cndmask_b32_e64 v2, 0, 1, s[36:37]
	v_cmp_ne_u32_e32 vcc, 0, v2
	s_cmp_lg_u64 vcc, 0
	s_cselect_b64 s[2:3], -1, 0
	s_and_b64 s[2:3], s[94:95], s[2:3]
	s_and_saveexec_b64 s[34:35], s[2:3]
	s_cbranch_execz .LBB192_533
; %bb.530:                              ;   in Loop: Header=BB192_526 Depth=1
	s_mov_b64 s[40:41], exec
	v_mbcnt_lo_u32_b32 v2, s40, 0
	v_mbcnt_hi_u32_b32 v12, s41, v2
	s_bcnt1_i32_b64 s42, vcc
	v_cmp_eq_u32_e64 s[2:3], 0, v12
                                        ; implicit-def: $vgpr6_vgpr7
	s_and_saveexec_b64 s[38:39], s[2:3]
	s_cbranch_execz .LBB192_532
; %bb.531:                              ;   in Loop: Header=BB192_526 Depth=1
	s_bcnt1_i32_b64 s2, s[40:41]
	s_mul_i32 s2, s42, s2
	v_mov_b32_e32 v2, s2
	ds_add_rtn_u64 v[6:7], v3, v[2:3] offset:5136
.LBB192_532:                            ;   in Loop: Header=BB192_526 Depth=1
	s_or_b64 exec, exec, s[38:39]
	s_waitcnt lgkmcnt(0)
	v_readfirstlane_b32 s2, v7
	v_readfirstlane_b32 s3, v6
	v_mov_b32_e32 v6, s3
	v_mov_b32_e32 v7, s2
	v_mad_u64_u32 v[6:7], s[2:3], s42, v12, v[6:7]
.LBB192_533:                            ;   in Loop: Header=BB192_526 Depth=1
	s_or_b64 exec, exec, s[34:35]
	ds_bpermute_b32 v6, v36, v6
	ds_bpermute_b32 v7, v36, v7
	s_cmp_eq_u64 vcc, 0
	s_cselect_b64 s[34:35], -1, 0
	s_mov_b64 s[38:39], -1
	s_mov_b64 s[40:41], -1
	s_waitcnt lgkmcnt(0)
	v_cmp_gt_u64_e64 s[2:3], s[58:59], v[6:7]
	s_or_b64 s[34:35], s[34:35], s[2:3]
	v_cndmask_b32_e64 v2, v15, v16, s[34:35]
	s_and_b64 s[42:43], s[36:37], s[34:35]
	s_mov_b64 s[2:3], -1
	s_and_saveexec_b64 s[36:37], s[42:43]
	s_cbranch_execz .LBB192_539
; %bb.534:                              ;   in Loop: Header=BB192_526 Depth=1
	v_and_b32_e32 v12, vcc_lo, v10
	v_and_b32_e32 v2, vcc_hi, v11
	v_bcnt_u32_b32 v12, v12, 0
	v_bcnt_u32_b32 v2, v2, v12
	v_mov_b32_e32 v13, s59
	v_sub_co_u32_e32 v12, vcc, s58, v6
	v_subb_co_u32_e32 v13, vcc, v13, v7, vcc
	v_cmp_le_u64_e64 s[38:39], v[12:13], v[2:3]
	v_cmp_gt_u64_e32 vcc, v[12:13], v[2:3]
	s_mov_b64 s[42:43], -1
	s_and_saveexec_b64 s[40:41], vcc
	s_cbranch_execz .LBB192_538
; %bb.535:                              ;   in Loop: Header=BB192_526 Depth=1
	v_add_co_u32_e32 v12, vcc, v6, v2
	v_addc_co_u32_e32 v13, vcc, 0, v7, vcc
	v_cmp_gt_u64_e32 vcc, s[58:59], v[12:13]
	s_mov_b64 s[44:45], s[38:39]
	s_and_saveexec_b64 s[42:43], vcc
	s_cbranch_execz .LBB192_537
; %bb.536:                              ;   in Loop: Header=BB192_526 Depth=1
	v_mul_lo_u32 v2, v13, s16
	v_mul_lo_u32 v17, v12, s17
	v_mad_u64_u32 v[20:21], s[44:45], v12, s16, 0
	v_add3_u32 v21, v21, v17, v2
	v_mul_lo_u32 v2, v13, s18
	v_mul_lo_u32 v17, v12, s19
	v_mad_u64_u32 v[12:13], s[44:45], v12, s18, 0
	v_lshlrev_b64 v[20:21], 2, v[20:21]
	v_add3_u32 v13, v13, v17, v2
	v_mov_b32_e32 v2, s46
	v_add_co_u32_e32 v20, vcc, s1, v20
	v_addc_co_u32_e32 v21, vcc, v2, v21, vcc
	v_lshlrev_b64 v[12:13], 3, v[12:13]
	v_mov_b32_e32 v2, s48
	v_add_co_u32_e32 v12, vcc, s47, v12
	v_addc_co_u32_e32 v13, vcc, v2, v13, vcc
	s_or_b64 s[44:45], s[38:39], exec
	global_store_dword v[20:21], v15, off
	global_store_dwordx2 v[12:13], v[0:1], off
.LBB192_537:                            ;   in Loop: Header=BB192_526 Depth=1
	s_or_b64 exec, exec, s[42:43]
	s_andn2_b64 s[38:39], s[38:39], exec
	s_and_b64 s[44:45], s[44:45], exec
	s_xor_b64 s[42:43], exec, -1
	s_or_b64 s[38:39], s[38:39], s[44:45]
.LBB192_538:                            ;   in Loop: Header=BB192_526 Depth=1
	s_or_b64 exec, exec, s[40:41]
	s_orn2_b64 s[40:41], s[42:43], exec
	s_or_b64 s[34:35], s[34:35], exec
	s_orn2_b64 s[38:39], s[38:39], exec
	v_mov_b32_e32 v2, v16
.LBB192_539:                            ;   in Loop: Header=BB192_526 Depth=1
	s_or_b64 exec, exec, s[36:37]
	s_and_saveexec_b64 s[36:37], s[38:39]
	s_cbranch_execz .LBB192_524
; %bb.540:                              ;   in Loop: Header=BB192_526 Depth=1
	s_xor_b64 s[2:3], s[34:35], -1
	v_mov_b32_e32 v0, s61
	v_add_co_u32_e32 v4, vcc, s60, v4
	v_addc_co_u32_e32 v5, vcc, v5, v0, vcc
	s_or_b64 s[40:41], s[40:41], exec
	s_orn2_b64 s[2:3], s[2:3], exec
	s_branch .LBB192_524
.LBB192_541:
	s_or_b64 exec, exec, s[22:23]
	s_mov_b64 s[0:1], 0
	s_and_saveexec_b64 s[2:3], s[24:25]
	s_xor_b64 s[2:3], exec, s[2:3]
	s_cbranch_execnz .LBB192_547
.LBB192_542:
	s_or_b64 exec, exec, s[2:3]
	s_and_b64 s[2:3], s[0:1], exec
	s_andn2_b64 s[4:5], s[4:5], exec
	s_or_b64 exec, exec, s[20:21]
	s_and_saveexec_b64 s[0:1], s[4:5]
	s_xor_b64 s[0:1], exec, s[0:1]
	s_cbranch_execz .LBB192_496
.LBB192_543:
	s_or_b64 s[2:3], s[2:3], exec
	s_trap 2
	s_branch .LBB192_496
.LBB192_544:
	s_or_b64 s[10:11], s[10:11], exec
	s_trap 2
	s_branch .LBB192_502
.LBB192_545:
	s_or_b64 s[12:13], s[12:13], exec
	s_trap 2
	s_branch .LBB192_500
.LBB192_546:
	s_trap 2
	s_or_b64 s[14:15], s[14:15], exec
	s_branch .LBB192_498
.LBB192_547:
	s_mov_b64 s[0:1], exec
	s_trap 2
	s_branch .LBB192_542
	.section	.rodata,"a",@progbits
	.p2align	6, 0x0
	.amdhsa_kernel _ZN2at6native6sbtopk10gatherTopKIfmLi1ELb0EEEvNS_4cuda6detail10TensorInfoIKT_T0_EES8_S8_bS8_S8_NS5_IS6_S8_EES8_NS5_IlS8_EES8_PS6_
		.amdhsa_group_segment_fixed_size 5152
		.amdhsa_private_segment_fixed_size 0
		.amdhsa_kernarg_size 1568
		.amdhsa_user_sgpr_count 6
		.amdhsa_user_sgpr_private_segment_buffer 1
		.amdhsa_user_sgpr_dispatch_ptr 0
		.amdhsa_user_sgpr_queue_ptr 0
		.amdhsa_user_sgpr_kernarg_segment_ptr 1
		.amdhsa_user_sgpr_dispatch_id 0
		.amdhsa_user_sgpr_flat_scratch_init 0
		.amdhsa_user_sgpr_kernarg_preload_length 0
		.amdhsa_user_sgpr_kernarg_preload_offset 0
		.amdhsa_user_sgpr_private_segment_size 0
		.amdhsa_uses_dynamic_stack 0
		.amdhsa_system_sgpr_private_segment_wavefront_offset 0
		.amdhsa_system_sgpr_workgroup_id_x 1
		.amdhsa_system_sgpr_workgroup_id_y 1
		.amdhsa_system_sgpr_workgroup_id_z 1
		.amdhsa_system_sgpr_workgroup_info 0
		.amdhsa_system_vgpr_workitem_id 0
		.amdhsa_next_free_vgpr 55
		.amdhsa_next_free_sgpr 96
		.amdhsa_accum_offset 56
		.amdhsa_reserve_vcc 1
		.amdhsa_reserve_flat_scratch 0
		.amdhsa_float_round_mode_32 0
		.amdhsa_float_round_mode_16_64 0
		.amdhsa_float_denorm_mode_32 3
		.amdhsa_float_denorm_mode_16_64 3
		.amdhsa_dx10_clamp 1
		.amdhsa_ieee_mode 1
		.amdhsa_fp16_overflow 0
		.amdhsa_tg_split 0
		.amdhsa_exception_fp_ieee_invalid_op 0
		.amdhsa_exception_fp_denorm_src 0
		.amdhsa_exception_fp_ieee_div_zero 0
		.amdhsa_exception_fp_ieee_overflow 0
		.amdhsa_exception_fp_ieee_underflow 0
		.amdhsa_exception_fp_ieee_inexact 0
		.amdhsa_exception_int_div_zero 0
	.end_amdhsa_kernel
	.section	.text._ZN2at6native6sbtopk10gatherTopKIfmLi1ELb0EEEvNS_4cuda6detail10TensorInfoIKT_T0_EES8_S8_bS8_S8_NS5_IS6_S8_EES8_NS5_IlS8_EES8_PS6_,"axG",@progbits,_ZN2at6native6sbtopk10gatherTopKIfmLi1ELb0EEEvNS_4cuda6detail10TensorInfoIKT_T0_EES8_S8_bS8_S8_NS5_IS6_S8_EES8_NS5_IlS8_EES8_PS6_,comdat
.Lfunc_end192:
	.size	_ZN2at6native6sbtopk10gatherTopKIfmLi1ELb0EEEvNS_4cuda6detail10TensorInfoIKT_T0_EES8_S8_bS8_S8_NS5_IS6_S8_EES8_NS5_IlS8_EES8_PS6_, .Lfunc_end192-_ZN2at6native6sbtopk10gatherTopKIfmLi1ELb0EEEvNS_4cuda6detail10TensorInfoIKT_T0_EES8_S8_bS8_S8_NS5_IS6_S8_EES8_NS5_IlS8_EES8_PS6_
                                        ; -- End function
	.section	.AMDGPU.csdata,"",@progbits
; Kernel info:
; codeLenInByte = 27052
; NumSgprs: 100
; NumVgprs: 55
; NumAgprs: 0
; TotalNumVgprs: 55
; ScratchSize: 0
; MemoryBound: 0
; FloatMode: 240
; IeeeMode: 1
; LDSByteSize: 5152 bytes/workgroup (compile time only)
; SGPRBlocks: 12
; VGPRBlocks: 6
; NumSGPRsForWavesPerEU: 100
; NumVGPRsForWavesPerEU: 55
; AccumOffset: 56
; Occupancy: 8
; WaveLimiterHint : 1
; COMPUTE_PGM_RSRC2:SCRATCH_EN: 0
; COMPUTE_PGM_RSRC2:USER_SGPR: 6
; COMPUTE_PGM_RSRC2:TRAP_HANDLER: 0
; COMPUTE_PGM_RSRC2:TGID_X_EN: 1
; COMPUTE_PGM_RSRC2:TGID_Y_EN: 1
; COMPUTE_PGM_RSRC2:TGID_Z_EN: 1
; COMPUTE_PGM_RSRC2:TIDIG_COMP_CNT: 0
; COMPUTE_PGM_RSRC3_GFX90A:ACCUM_OFFSET: 13
; COMPUTE_PGM_RSRC3_GFX90A:TG_SPLIT: 0
	.section	.text._ZN2at6native6mbtopk23computeBlockDigitCountsIfmjLi2EEEvNS_4cuda6detail10TensorInfoIKT_T0_EEjPjjS8_iijT1_PSB_Ps,"axG",@progbits,_ZN2at6native6mbtopk23computeBlockDigitCountsIfmjLi2EEEvNS_4cuda6detail10TensorInfoIKT_T0_EEjPjjS8_iijT1_PSB_Ps,comdat
	.protected	_ZN2at6native6mbtopk23computeBlockDigitCountsIfmjLi2EEEvNS_4cuda6detail10TensorInfoIKT_T0_EEjPjjS8_iijT1_PSB_Ps ; -- Begin function _ZN2at6native6mbtopk23computeBlockDigitCountsIfmjLi2EEEvNS_4cuda6detail10TensorInfoIKT_T0_EEjPjjS8_iijT1_PSB_Ps
	.globl	_ZN2at6native6mbtopk23computeBlockDigitCountsIfmjLi2EEEvNS_4cuda6detail10TensorInfoIKT_T0_EEjPjjS8_iijT1_PSB_Ps
	.p2align	8
	.type	_ZN2at6native6mbtopk23computeBlockDigitCountsIfmjLi2EEEvNS_4cuda6detail10TensorInfoIKT_T0_EEjPjjS8_iijT1_PSB_Ps,@function
_ZN2at6native6mbtopk23computeBlockDigitCountsIfmjLi2EEEvNS_4cuda6detail10TensorInfoIKT_T0_EEjPjjS8_iijT1_PSB_Ps: ; @_ZN2at6native6mbtopk23computeBlockDigitCountsIfmjLi2EEEvNS_4cuda6detail10TensorInfoIKT_T0_EEjPjjS8_iijT1_PSB_Ps
; %bb.0:
	s_load_dwordx4 s[12:15], s[4:5], 0x1c0
	s_load_dword s2, s[4:5], 0x1b0
	s_load_dwordx2 s[0:1], s[4:5], 0x1e0
	s_waitcnt lgkmcnt(0)
	v_cvt_f32_u32_e32 v1, s14
	s_sub_i32 s3, 0, s14
	s_mul_i32 s1, s1, s8
	s_add_i32 s1, s1, s7
	v_rcp_iflag_f32_e32 v1, v1
	s_mul_i32 s18, s1, s0
	s_add_i32 s18, s18, s6
	s_mov_b32 s7, 0
	v_mul_f32_e32 v1, 0x4f7ffffe, v1
	v_cvt_u32_f32_e32 v1, v1
	v_readfirstlane_b32 s0, v1
	s_mul_i32 s3, s3, s0
	s_mul_hi_u32 s1, s0, s3
	s_add_i32 s0, s0, s1
	s_mul_hi_u32 s0, s18, s0
	s_mul_i32 s1, s0, s14
	s_sub_i32 s1, s18, s1
	s_add_i32 s3, s0, 1
	s_sub_i32 s6, s1, s14
	s_cmp_ge_u32 s1, s14
	s_cselect_b32 s0, s3, s0
	s_cselect_b32 s1, s6, s1
	s_add_i32 s3, s0, 1
	s_cmp_ge_u32 s1, s14
	s_cselect_b32 s6, s3, s0
	s_cmp_ge_u32 s6, s2
	s_cbranch_scc1 .LBB193_25
; %bb.1:
	s_load_dwordx4 s[0:3], s[4:5], 0x1d0
	s_load_dwordx2 s[8:9], s[4:5], 0x10
	s_lshl_b64 s[10:11], s[6:7], 2
	s_waitcnt lgkmcnt(0)
	s_add_u32 s0, s0, s10
	v_pk_mov_b32 v[2:3], s[8:9], s[8:9] op_sel:[0,1]
	v_cmp_lt_u64_e32 vcc, s[6:7], v[2:3]
	s_addc_u32 s1, s1, s11
	s_mov_b64 s[10:11], 0
	s_cbranch_vccnz .LBB193_3
; %bb.2:
	v_cvt_f32_u32_e32 v1, s8
	s_sub_i32 s7, 0, s8
	v_rcp_iflag_f32_e32 v1, v1
	v_mul_f32_e32 v1, 0x4f7ffffe, v1
	v_cvt_u32_f32_e32 v1, v1
	v_readfirstlane_b32 s10, v1
	s_mul_i32 s7, s7, s10
	s_mul_hi_u32 s7, s10, s7
	s_add_i32 s10, s10, s7
	s_mul_hi_u32 s7, s6, s10
	s_mul_i32 s11, s7, s8
	s_sub_i32 s11, s6, s11
	s_add_i32 s10, s7, 1
	s_sub_i32 s16, s11, s8
	s_cmp_ge_u32 s11, s8
	s_cselect_b32 s7, s10, s7
	s_cselect_b32 s11, s16, s11
	s_add_i32 s10, s7, 1
	s_cmp_ge_u32 s11, s8
	s_cselect_b32 s10, s10, s7
.LBB193_3:
	s_movk_i32 s7, 0x100
	v_cmp_gt_u32_e32 vcc, s7, v0
	v_lshlrev_b32_e32 v1, 2, v0
	s_and_saveexec_b64 s[16:17], vcc
	s_cbranch_execz .LBB193_5
; %bb.4:
	v_mov_b32_e32 v2, 0
	ds_write_b32 v1, v2
.LBB193_5:
	s_or_b64 exec, exec, s[16:17]
	s_load_dword s16, s[4:5], 0x1a0
	s_mul_i32 s7, s6, s14
	s_sub_i32 s7, s18, s7
	s_add_i32 s11, s7, 1
	s_mul_i32 s7, s13, s7
	s_lshl_b32 s17, s7, 8
	s_waitcnt lgkmcnt(0)
	s_sub_i32 s7, s16, s17
	s_add_u32 s7, s7, 0xff
	s_addc_u32 s19, 0, 0
	v_mov_b32_e32 v2, s7
	v_alignbit_b32 v2, s19, v2, 8
	s_cmp_lt_u32 s11, s14
	v_readfirstlane_b32 s7, v2
	s_cselect_b32 s13, s13, s7
	s_cmp_lt_i32 s13, 1
	s_mov_b32 s7, 0
	s_barrier
	s_cbranch_scc1 .LBB193_21
; %bb.6:
	s_load_dwordx2 s[24:25], s[4:5], 0x0
	s_load_dwordx4 s[20:23], s[4:5], 0xd0
	s_load_dword s11, s[0:1], 0x0
	s_mul_i32 s0, s10, s9
	s_mul_hi_u32 s1, s10, s8
	s_add_i32 s1, s1, s0
	s_mul_i32 s0, s10, s8
	s_sub_u32 s0, s6, s0
	s_subb_u32 s1, 0, s1
	s_waitcnt lgkmcnt(0)
	s_mul_i32 s6, s0, s23
	s_mul_hi_u32 s8, s0, s22
	s_add_i32 s6, s8, s6
	s_mul_i32 s1, s1, s22
	s_add_i32 s1, s6, s1
	s_mul_i32 s6, s10, s21
	s_mul_hi_u32 s8, s10, s20
	s_add_i32 s9, s8, s6
	s_mul_i32 s8, s10, s20
	s_lshl_b64 s[8:9], s[8:9], 2
	s_mul_i32 s0, s0, s22
	s_add_u32 s6, s24, s8
	s_load_dwordx2 s[4:5], s[4:5], 0x1b8
	s_addc_u32 s8, s25, s9
	s_lshl_b64 s[0:1], s[0:1], 2
	s_add_u32 s9, s6, s0
	s_addc_u32 s10, s8, s1
	s_and_b32 s8, s12, 0xff
	s_cmp_eq_u32 s13, 1
	v_add_u32_e32 v2, s17, v0
	s_cbranch_scc1 .LBB193_16
; %bb.7:
	s_and_b32 s12, s13, 0x7ffffffe
	s_mov_b32 s14, 0
	v_mov_b32_e32 v3, 1
	v_bfrev_b32_e32 v4, 1
	v_mov_b32_e32 v5, v2
	s_branch .LBB193_9
.LBB193_8:                              ;   in Loop: Header=BB193_9 Depth=1
	s_or_b64 exec, exec, s[6:7]
	s_add_i32 s14, s14, 2
	s_cmp_eq_u32 s12, s14
	v_add_u32_e32 v5, 0x200, v5
	s_cbranch_scc1 .LBB193_15
.LBB193_9:                              ; =>This Inner Loop Header: Depth=1
	v_cmp_gt_u32_e64 s[0:1], s16, v5
	s_and_saveexec_b64 s[6:7], s[0:1]
	s_cbranch_execz .LBB193_12
; %bb.10:                               ;   in Loop: Header=BB193_9 Depth=1
	s_waitcnt lgkmcnt(0)
	v_mad_u64_u32 v[6:7], s[0:1], v5, s4, 0
	v_mov_b32_e32 v8, v7
	v_mad_u64_u32 v[8:9], s[0:1], v5, s5, v[8:9]
	v_mov_b32_e32 v7, v8
	v_lshlrev_b64 v[6:7], 2, v[6:7]
	v_mov_b32_e32 v8, s10
	v_add_co_u32_e64 v6, s[0:1], s9, v6
	v_addc_co_u32_e64 v7, s[0:1], v8, v7, s[0:1]
	global_load_dword v6, v[6:7], off
	s_waitcnt vmcnt(0)
	v_cmp_lt_i32_e64 s[0:1], -1, v6
	v_cndmask_b32_e64 v7, -1, v4, s[0:1]
	v_xor_b32_e32 v7, v7, v6
	v_cmp_o_f32_e64 s[0:1], v6, v6
	v_cndmask_b32_e64 v6, -1, v7, s[0:1]
	v_xor_b32_e32 v7, s11, v6
	v_and_b32_e32 v7, s15, v7
	v_cmp_eq_u32_e64 s[0:1], 0, v7
	s_and_b64 exec, exec, s[0:1]
	s_cbranch_execz .LBB193_12
; %bb.11:                               ;   in Loop: Header=BB193_9 Depth=1
	v_bfe_u32 v6, v6, s8, 8
	v_lshlrev_b32_e32 v6, 2, v6
	ds_add_u32 v6, v3
.LBB193_12:                             ;   in Loop: Header=BB193_9 Depth=1
	s_or_b64 exec, exec, s[6:7]
	v_add_u32_e32 v6, 0x100, v5
	v_cmp_gt_u32_e64 s[0:1], s16, v6
	s_and_saveexec_b64 s[6:7], s[0:1]
	s_cbranch_execz .LBB193_8
; %bb.13:                               ;   in Loop: Header=BB193_9 Depth=1
	s_waitcnt lgkmcnt(0)
	v_mad_u64_u32 v[8:9], s[0:1], v6, s4, 0
	v_mov_b32_e32 v10, v9
	v_mad_u64_u32 v[6:7], s[0:1], v6, s5, v[10:11]
	v_mov_b32_e32 v9, v6
	v_lshlrev_b64 v[6:7], 2, v[8:9]
	v_mov_b32_e32 v8, s10
	v_add_co_u32_e64 v6, s[0:1], s9, v6
	v_addc_co_u32_e64 v7, s[0:1], v8, v7, s[0:1]
	global_load_dword v6, v[6:7], off
	s_waitcnt vmcnt(0)
	v_cmp_lt_i32_e64 s[0:1], -1, v6
	v_cndmask_b32_e64 v7, -1, v4, s[0:1]
	v_xor_b32_e32 v7, v7, v6
	v_cmp_o_f32_e64 s[0:1], v6, v6
	v_cndmask_b32_e64 v6, -1, v7, s[0:1]
	v_xor_b32_e32 v7, s11, v6
	v_and_b32_e32 v7, s15, v7
	v_cmp_eq_u32_e64 s[0:1], 0, v7
	s_and_b64 exec, exec, s[0:1]
	s_cbranch_execz .LBB193_8
; %bb.14:                               ;   in Loop: Header=BB193_9 Depth=1
	v_bfe_u32 v6, v6, s8, 8
	v_lshlrev_b32_e32 v6, 2, v6
	ds_add_u32 v6, v3
	s_branch .LBB193_8
.LBB193_15:
	s_lshl_b32 s7, s12, 8
.LBB193_16:
	s_bitcmp0_b32 s13, 0
	s_cbranch_scc1 .LBB193_21
; %bb.17:
	v_add_u32_e32 v2, s7, v2
	v_cmp_gt_u32_e64 s[0:1], s16, v2
	s_and_saveexec_b64 s[6:7], s[0:1]
	s_cbranch_execz .LBB193_20
; %bb.18:
	s_waitcnt lgkmcnt(0)
	v_mad_u64_u32 v[4:5], s[0:1], v2, s4, 0
	v_mov_b32_e32 v6, v5
	v_mad_u64_u32 v[2:3], s[0:1], v2, s5, v[6:7]
	v_mov_b32_e32 v5, v2
	v_lshlrev_b64 v[2:3], 2, v[4:5]
	v_mov_b32_e32 v4, s10
	v_add_co_u32_e64 v2, s[0:1], s9, v2
	v_addc_co_u32_e64 v3, s[0:1], v4, v3, s[0:1]
	global_load_dword v2, v[2:3], off
	v_bfrev_b32_e32 v3, 1
	s_waitcnt vmcnt(0)
	v_cmp_lt_i32_e64 s[0:1], -1, v2
	v_cndmask_b32_e64 v3, -1, v3, s[0:1]
	v_xor_b32_e32 v3, v3, v2
	v_cmp_o_f32_e64 s[0:1], v2, v2
	v_cndmask_b32_e64 v2, -1, v3, s[0:1]
	v_xor_b32_e32 v3, s11, v2
	v_and_b32_e32 v3, s15, v3
	v_cmp_eq_u32_e64 s[0:1], 0, v3
	s_and_b64 exec, exec, s[0:1]
	s_cbranch_execz .LBB193_20
; %bb.19:
	v_bfe_u32 v2, v2, s8, 8
	v_lshlrev_b32_e32 v2, 2, v2
	v_mov_b32_e32 v3, 1
	ds_add_u32 v2, v3
.LBB193_20:
	s_or_b64 exec, exec, s[6:7]
.LBB193_21:
	v_mov_b32_e32 v2, 0
	s_waitcnt lgkmcnt(0)
	s_barrier
	s_and_saveexec_b64 s[0:1], vcc
	s_cbranch_execz .LBB193_23
; %bb.22:
	ds_read_b32 v2, v1
.LBB193_23:
	s_or_b64 exec, exec, s[0:1]
	s_and_saveexec_b64 s[0:1], vcc
	s_cbranch_execz .LBB193_25
; %bb.24:
	v_lshl_or_b32 v0, s18, 8, v0
	v_mov_b32_e32 v1, 0
	v_lshlrev_b64 v[0:1], 1, v[0:1]
	v_mov_b32_e32 v3, s3
	v_add_co_u32_e32 v0, vcc, s2, v0
	v_addc_co_u32_e32 v1, vcc, v3, v1, vcc
	s_waitcnt lgkmcnt(0)
	global_store_short v[0:1], v2, off
.LBB193_25:
	s_endpgm
	.section	.rodata,"a",@progbits
	.p2align	6, 0x0
	.amdhsa_kernel _ZN2at6native6mbtopk23computeBlockDigitCountsIfmjLi2EEEvNS_4cuda6detail10TensorInfoIKT_T0_EEjPjjS8_iijT1_PSB_Ps
		.amdhsa_group_segment_fixed_size 1024
		.amdhsa_private_segment_fixed_size 0
		.amdhsa_kernarg_size 736
		.amdhsa_user_sgpr_count 6
		.amdhsa_user_sgpr_private_segment_buffer 1
		.amdhsa_user_sgpr_dispatch_ptr 0
		.amdhsa_user_sgpr_queue_ptr 0
		.amdhsa_user_sgpr_kernarg_segment_ptr 1
		.amdhsa_user_sgpr_dispatch_id 0
		.amdhsa_user_sgpr_flat_scratch_init 0
		.amdhsa_user_sgpr_kernarg_preload_length 0
		.amdhsa_user_sgpr_kernarg_preload_offset 0
		.amdhsa_user_sgpr_private_segment_size 0
		.amdhsa_uses_dynamic_stack 0
		.amdhsa_system_sgpr_private_segment_wavefront_offset 0
		.amdhsa_system_sgpr_workgroup_id_x 1
		.amdhsa_system_sgpr_workgroup_id_y 1
		.amdhsa_system_sgpr_workgroup_id_z 1
		.amdhsa_system_sgpr_workgroup_info 0
		.amdhsa_system_vgpr_workitem_id 0
		.amdhsa_next_free_vgpr 12
		.amdhsa_next_free_sgpr 26
		.amdhsa_accum_offset 12
		.amdhsa_reserve_vcc 1
		.amdhsa_reserve_flat_scratch 0
		.amdhsa_float_round_mode_32 0
		.amdhsa_float_round_mode_16_64 0
		.amdhsa_float_denorm_mode_32 3
		.amdhsa_float_denorm_mode_16_64 3
		.amdhsa_dx10_clamp 1
		.amdhsa_ieee_mode 1
		.amdhsa_fp16_overflow 0
		.amdhsa_tg_split 0
		.amdhsa_exception_fp_ieee_invalid_op 0
		.amdhsa_exception_fp_denorm_src 0
		.amdhsa_exception_fp_ieee_div_zero 0
		.amdhsa_exception_fp_ieee_overflow 0
		.amdhsa_exception_fp_ieee_underflow 0
		.amdhsa_exception_fp_ieee_inexact 0
		.amdhsa_exception_int_div_zero 0
	.end_amdhsa_kernel
	.section	.text._ZN2at6native6mbtopk23computeBlockDigitCountsIfmjLi2EEEvNS_4cuda6detail10TensorInfoIKT_T0_EEjPjjS8_iijT1_PSB_Ps,"axG",@progbits,_ZN2at6native6mbtopk23computeBlockDigitCountsIfmjLi2EEEvNS_4cuda6detail10TensorInfoIKT_T0_EEjPjjS8_iijT1_PSB_Ps,comdat
.Lfunc_end193:
	.size	_ZN2at6native6mbtopk23computeBlockDigitCountsIfmjLi2EEEvNS_4cuda6detail10TensorInfoIKT_T0_EEjPjjS8_iijT1_PSB_Ps, .Lfunc_end193-_ZN2at6native6mbtopk23computeBlockDigitCountsIfmjLi2EEEvNS_4cuda6detail10TensorInfoIKT_T0_EEjPjjS8_iijT1_PSB_Ps
                                        ; -- End function
	.section	.AMDGPU.csdata,"",@progbits
; Kernel info:
; codeLenInByte = 1220
; NumSgprs: 30
; NumVgprs: 12
; NumAgprs: 0
; TotalNumVgprs: 12
; ScratchSize: 0
; MemoryBound: 0
; FloatMode: 240
; IeeeMode: 1
; LDSByteSize: 1024 bytes/workgroup (compile time only)
; SGPRBlocks: 3
; VGPRBlocks: 1
; NumSGPRsForWavesPerEU: 30
; NumVGPRsForWavesPerEU: 12
; AccumOffset: 12
; Occupancy: 8
; WaveLimiterHint : 1
; COMPUTE_PGM_RSRC2:SCRATCH_EN: 0
; COMPUTE_PGM_RSRC2:USER_SGPR: 6
; COMPUTE_PGM_RSRC2:TRAP_HANDLER: 0
; COMPUTE_PGM_RSRC2:TGID_X_EN: 1
; COMPUTE_PGM_RSRC2:TGID_Y_EN: 1
; COMPUTE_PGM_RSRC2:TGID_Z_EN: 1
; COMPUTE_PGM_RSRC2:TIDIG_COMP_CNT: 0
; COMPUTE_PGM_RSRC3_GFX90A:ACCUM_OFFSET: 2
; COMPUTE_PGM_RSRC3_GFX90A:TG_SPLIT: 0
	.section	.text._ZN2at6native6mbtopk10gatherTopKIfmLi2EEEvNS_4cuda6detail10TensorInfoIKT_T0_EES8_S8_bjS8_NS5_IS6_S8_EES8_NS5_IlS8_EES8_jjPS6_PjSD_j,"axG",@progbits,_ZN2at6native6mbtopk10gatherTopKIfmLi2EEEvNS_4cuda6detail10TensorInfoIKT_T0_EES8_S8_bjS8_NS5_IS6_S8_EES8_NS5_IlS8_EES8_jjPS6_PjSD_j,comdat
	.protected	_ZN2at6native6mbtopk10gatherTopKIfmLi2EEEvNS_4cuda6detail10TensorInfoIKT_T0_EES8_S8_bjS8_NS5_IS6_S8_EES8_NS5_IlS8_EES8_jjPS6_PjSD_j ; -- Begin function _ZN2at6native6mbtopk10gatherTopKIfmLi2EEEvNS_4cuda6detail10TensorInfoIKT_T0_EES8_S8_bjS8_NS5_IS6_S8_EES8_NS5_IlS8_EES8_jjPS6_PjSD_j
	.globl	_ZN2at6native6mbtopk10gatherTopKIfmLi2EEEvNS_4cuda6detail10TensorInfoIKT_T0_EES8_S8_bjS8_NS5_IS6_S8_EES8_NS5_IlS8_EES8_jjPS6_PjSD_j
	.p2align	8
	.type	_ZN2at6native6mbtopk10gatherTopKIfmLi2EEEvNS_4cuda6detail10TensorInfoIKT_T0_EES8_S8_bjS8_NS5_IS6_S8_EES8_NS5_IlS8_EES8_jjPS6_PjSD_j,@function
_ZN2at6native6mbtopk10gatherTopKIfmLi2EEEvNS_4cuda6detail10TensorInfoIKT_T0_EES8_S8_bjS8_NS5_IS6_S8_EES8_NS5_IlS8_EES8_jjPS6_PjSD_j: ; @_ZN2at6native6mbtopk10gatherTopKIfmLi2EEEvNS_4cuda6detail10TensorInfoIKT_T0_EES8_S8_bjS8_NS5_IS6_S8_EES8_NS5_IlS8_EES8_jjPS6_PjSD_j
; %bb.0:
	s_load_dwordx2 s[0:1], s[4:5], 0x538
	s_load_dword s2, s[4:5], 0x530
	s_waitcnt lgkmcnt(0)
	s_mul_i32 s1, s1, s8
	s_add_i32 s1, s1, s7
	s_mul_i32 s0, s1, s0
	s_add_i32 s0, s0, s6
	s_cmp_ge_u32 s0, s2
	s_cbranch_scc1 .LBB194_48
; %bb.1:
	s_load_dwordx2 s[34:35], s[4:5], 0x510
	s_load_dwordx2 s[38:39], s[4:5], 0x1d0
	s_load_dwordx4 s[8:11], s[4:5], 0x1a0
	s_load_dwordx2 s[36:37], s[4:5], 0x10
	s_mov_b32 s7, 0
	s_waitcnt lgkmcnt(0)
	v_cvt_f32_u32_e32 v1, s35
	s_sub_i32 s2, 0, s35
	s_lshl_b32 s1, s34, 8
	v_rcp_iflag_f32_e32 v1, v1
	v_mul_f32_e32 v1, 0x4f7ffffe, v1
	v_cvt_u32_f32_e32 v1, v1
	v_readfirstlane_b32 s3, v1
	s_mul_i32 s2, s2, s3
	s_mul_hi_u32 s2, s3, s2
	s_add_i32 s3, s3, s2
	s_mul_hi_u32 s2, s0, s3
	s_mul_i32 s3, s2, s35
	s_sub_i32 s3, s0, s3
	s_add_i32 s6, s2, 1
	s_sub_i32 s12, s3, s35
	s_cmp_ge_u32 s3, s35
	s_cselect_b32 s2, s6, s2
	s_cselect_b32 s3, s12, s3
	s_add_i32 s6, s2, 1
	s_cmp_ge_u32 s3, s35
	s_cselect_b32 s6, s6, s2
	s_mul_i32 s20, s6, s35
	s_sub_i32 s28, s0, s20
	s_add_i32 s0, s28, 1
	s_cmp_lt_u32 s0, s35
	s_mul_i32 s33, s28, s1
	s_cbranch_scc1 .LBB194_3
; %bb.2:
	s_sub_u32 s0, s8, s33
	s_subb_u32 s1, s9, 0
	s_add_u32 s0, s0, 0xff
	s_addc_u32 s1, s1, 0
	s_ashr_i32 s2, s1, 31
	s_lshr_b32 s2, s2, 24
	s_add_u32 s0, s0, s2
	s_addc_u32 s1, s1, 0
	v_mov_b32_e32 v1, s0
	v_alignbit_b32 v1, s1, v1, 8
	v_readfirstlane_b32 s34, v1
.LBB194_3:
	s_load_dwordx2 s[40:41], s[4:5], 0x378
	v_pk_mov_b32 v[2:3], s[36:37], s[36:37] op_sel:[0,1]
	v_cmp_lt_u64_e32 vcc, s[6:7], v[2:3]
	s_mov_b64 s[44:45], 0
	s_mov_b64 s[42:43], 0
	s_cbranch_vccnz .LBB194_5
; %bb.4:
	v_cvt_f32_u32_e32 v1, s36
	s_sub_i32 s0, 0, s36
	v_rcp_iflag_f32_e32 v1, v1
	v_mul_f32_e32 v1, 0x4f7ffffe, v1
	v_cvt_u32_f32_e32 v1, v1
	v_readfirstlane_b32 s1, v1
	s_mul_i32 s0, s0, s1
	s_mul_hi_u32 s0, s1, s0
	s_add_i32 s1, s1, s0
	s_mul_hi_u32 s0, s6, s1
	s_mul_i32 s2, s0, s36
	s_sub_i32 s2, s6, s2
	s_add_i32 s1, s0, 1
	s_sub_i32 s3, s2, s36
	s_cmp_ge_u32 s2, s36
	s_cselect_b32 s0, s1, s0
	s_cselect_b32 s2, s3, s2
	s_add_i32 s1, s0, 1
	s_cmp_ge_u32 s2, s36
	s_cselect_b32 s42, s1, s0
.LBB194_5:
	v_pk_mov_b32 v[2:3], s[38:39], s[38:39] op_sel:[0,1]
	v_cmp_lt_u64_e32 vcc, s[6:7], v[2:3]
	s_cbranch_vccnz .LBB194_7
; %bb.6:
	v_cvt_f32_u32_e32 v1, s38
	s_sub_i32 s0, 0, s38
	v_rcp_iflag_f32_e32 v1, v1
	v_mul_f32_e32 v1, 0x4f7ffffe, v1
	v_cvt_u32_f32_e32 v1, v1
	v_readfirstlane_b32 s1, v1
	s_mul_i32 s0, s0, s1
	s_mul_hi_u32 s0, s1, s0
	s_add_i32 s1, s1, s0
	s_mul_hi_u32 s0, s6, s1
	s_mul_i32 s2, s0, s38
	s_sub_i32 s2, s6, s2
	s_add_i32 s1, s0, 1
	s_sub_i32 s3, s2, s38
	s_cmp_ge_u32 s2, s38
	s_cselect_b32 s0, s1, s0
	s_cselect_b32 s2, s3, s2
	s_add_i32 s1, s0, 1
	s_cmp_ge_u32 s2, s38
	s_cselect_b32 s44, s1, s0
.LBB194_7:
	s_waitcnt lgkmcnt(0)
	v_pk_mov_b32 v[2:3], s[40:41], s[40:41] op_sel:[0,1]
	v_cmp_lt_u64_e32 vcc, s[6:7], v[2:3]
	s_mov_b64 s[46:47], 0
	s_cbranch_vccnz .LBB194_9
; %bb.8:
	v_cvt_f32_u32_e32 v1, s40
	s_sub_i32 s0, 0, s40
	v_rcp_iflag_f32_e32 v1, v1
	v_mul_f32_e32 v1, 0x4f7ffffe, v1
	v_cvt_u32_f32_e32 v1, v1
	v_readfirstlane_b32 s1, v1
	s_mul_i32 s0, s0, s1
	s_mul_hi_u32 s0, s1, s0
	s_add_i32 s1, s1, s0
	s_mul_hi_u32 s0, s6, s1
	s_mul_i32 s2, s0, s40
	s_sub_i32 s2, s6, s2
	s_add_i32 s1, s0, 1
	s_sub_i32 s3, s2, s40
	s_cmp_ge_u32 s2, s40
	s_cselect_b32 s0, s1, s0
	s_cselect_b32 s2, s3, s2
	s_add_i32 s1, s0, 1
	s_cmp_ge_u32 s2, s40
	s_cselect_b32 s46, s1, s0
.LBB194_9:
	s_load_dwordx4 s[12:15], s[4:5], 0x518
	s_load_dwordx2 s[48:49], s[4:5], 0x0
	s_lshl_b64 s[0:1], s[6:7], 2
	s_mov_b32 s21, 0
	v_cmp_eq_u32_e64 s[2:3], 0, v0
	s_waitcnt lgkmcnt(0)
	s_add_u32 s0, s12, s0
	s_addc_u32 s1, s13, s1
	s_load_dword s7, s[0:1], 0x0
	v_cmp_ne_u32_e64 s[0:1], 0, v0
	s_and_saveexec_b64 s[12:13], s[2:3]
	s_cbranch_execz .LBB194_25
; %bb.10:
	s_load_dwordx2 s[22:23], s[4:5], 0x528
	s_lshl_b64 s[24:25], s[20:21], 2
	s_add_u32 s16, s14, s24
	s_addc_u32 s17, s15, s25
	s_mov_b32 s20, 0
	s_waitcnt lgkmcnt(0)
	s_add_u32 s18, s22, s24
	s_addc_u32 s19, s23, s25
	s_mov_b32 s29, 0
	s_cmp_lt_u32 s35, 4
	s_cbranch_scc1 .LBB194_22
; %bb.11:
	s_mov_b32 s30, 0
.LBB194_12:                             ; =>This Inner Loop Header: Depth=1
	s_add_u32 s16, s14, s24
	s_addc_u32 s17, s15, s25
	s_load_dwordx4 s[16:19], s[16:17], 0x0
	s_add_u32 s26, s22, s24
	s_addc_u32 s27, s23, s25
	s_cmp_ge_u32 s30, s28
	s_cbranch_scc0 .LBB194_19
; %bb.13:                               ;   in Loop: Header=BB194_12 Depth=1
	s_add_i32 s31, s30, 1
	s_cmp_ge_u32 s31, s28
	s_cbranch_scc0 .LBB194_20
.LBB194_14:                             ;   in Loop: Header=BB194_12 Depth=1
	s_add_i32 s31, s31, 1
	s_cmp_ge_u32 s31, s28
	s_cbranch_scc0 .LBB194_21
.LBB194_15:                             ;   in Loop: Header=BB194_12 Depth=1
	s_add_i32 s31, s31, 1
	s_cmp_ge_u32 s31, s28
	s_cbranch_scc1 .LBB194_17
.LBB194_16:                             ;   in Loop: Header=BB194_12 Depth=1
	s_load_dword s26, s[26:27], 0xc
	s_waitcnt lgkmcnt(0)
	s_add_i32 s21, s21, s19
	s_add_i32 s20, s26, s20
.LBB194_17:                             ;   in Loop: Header=BB194_12 Depth=1
	s_waitcnt lgkmcnt(0)
	s_add_i32 s16, s16, s29
	s_add_i32 s16, s16, s17
	;; [unrolled: 1-line block ×4, first 2 shown]
	s_add_u32 s14, s14, 16
	s_addc_u32 s15, s15, 0
	s_add_u32 s22, s22, 16
	s_addc_u32 s23, s23, 0
	s_add_i32 s27, s31, 4
	s_add_u32 s18, s22, s24
	s_addc_u32 s19, s23, s25
	s_add_u32 s16, s14, s24
	s_addc_u32 s17, s15, s25
	s_add_i32 s26, s31, 1
	s_cmp_ge_u32 s27, s35
	s_cbranch_scc1 .LBB194_23
; %bb.18:                               ;   in Loop: Header=BB194_12 Depth=1
	s_mov_b32 s30, s26
	s_branch .LBB194_12
.LBB194_19:                             ;   in Loop: Header=BB194_12 Depth=1
	s_load_dword s31, s[26:27], 0x0
	s_waitcnt lgkmcnt(0)
	s_add_i32 s21, s16, s21
	s_add_i32 s20, s31, s20
	;; [unrolled: 1-line block ×3, first 2 shown]
	s_cmp_ge_u32 s31, s28
	s_cbranch_scc1 .LBB194_14
.LBB194_20:                             ;   in Loop: Header=BB194_12 Depth=1
	s_load_dword s43, s[26:27], 0x4
	s_waitcnt lgkmcnt(0)
	s_add_i32 s21, s21, s17
	s_add_i32 s20, s43, s20
	;; [unrolled: 1-line block ×3, first 2 shown]
	s_cmp_ge_u32 s31, s28
	s_cbranch_scc1 .LBB194_15
.LBB194_21:                             ;   in Loop: Header=BB194_12 Depth=1
	s_load_dword s43, s[26:27], 0x8
	s_waitcnt lgkmcnt(0)
	s_add_i32 s21, s21, s18
	s_add_i32 s20, s43, s20
	;; [unrolled: 1-line block ×3, first 2 shown]
	s_cmp_ge_u32 s31, s28
	s_cbranch_scc0 .LBB194_16
	s_branch .LBB194_17
.LBB194_22:
	s_mov_b32 s14, 0
	s_cmp_ge_u32 s14, s35
	s_cbranch_scc0 .LBB194_46
	s_branch .LBB194_24
.LBB194_23:
	s_add_i32 s14, s30, 4
	s_cmp_ge_u32 s14, s35
	s_cbranch_scc0 .LBB194_46
.LBB194_24:
	v_mov_b32_e32 v2, s20
	v_mov_b32_e32 v3, s29
	;; [unrolled: 1-line block ×4, first 2 shown]
	ds_write_b96 v1, v[2:4] offset:1056
.LBB194_25:
	s_or_b64 exec, exec, s[12:13]
	s_load_dwordx4 s[12:15], s[4:5], 0x1b8
	s_load_dwordx4 s[24:27], s[4:5], 0xd0
	;; [unrolled: 1-line block ×5, first 2 shown]
	s_cmp_eq_u32 s34, 0
	s_waitcnt lgkmcnt(0)
	s_barrier
	s_cbranch_scc1 .LBB194_48
; %bb.26:
	s_mul_i32 s35, s44, s39
	s_mul_hi_u32 s39, s44, s38
	s_add_i32 s39, s39, s35
	s_mul_i32 s35, s44, s38
	s_sub_u32 s35, s6, s35
	s_subb_u32 s38, 0, s39
	s_mul_i32 s31, s35, s31
	s_mul_hi_u32 s39, s35, s30
	s_mul_i32 s38, s38, s30
	s_mul_i32 s30, s35, s30
	;; [unrolled: 1-line block ×3, first 2 shown]
	s_mul_hi_u32 s35, s44, s28
	s_add_i32 s31, s39, s31
	s_add_i32 s29, s35, s29
	s_mul_i32 s35, s42, s37
	s_mul_hi_u32 s37, s42, s36
	s_add_i32 s31, s31, s38
	s_add_i32 s37, s37, s35
	s_mul_i32 s35, s42, s36
	s_sub_u32 s35, s6, s35
	s_subb_u32 s36, 0, s37
	s_mul_i32 s27, s35, s27
	s_mul_hi_u32 s37, s35, s26
	s_add_i32 s27, s37, s27
	s_mul_i32 s36, s36, s26
	s_mul_i32 s26, s35, s26
	;; [unrolled: 1-line block ×3, first 2 shown]
	s_mul_hi_u32 s35, s42, s24
	s_add_i32 s27, s27, s36
	s_add_i32 s25, s35, s25
	s_mul_i32 s35, s46, s41
	s_mul_hi_u32 s36, s46, s40
	s_add_i32 s36, s36, s35
	s_mul_i32 s35, s46, s40
	s_sub_u32 s6, s6, s35
	s_subb_u32 s35, 0, s36
	s_mul_i32 s23, s6, s23
	s_mul_hi_u32 s36, s6, s22
	s_mul_i32 s24, s42, s24
	s_add_i32 s23, s36, s23
	s_mul_i32 s35, s35, s22
	s_mul_i32 s36, s6, s22
	;; [unrolled: 1-line block ×3, first 2 shown]
	s_mul_hi_u32 s21, s46, s20
	s_add_i32 s37, s23, s35
	s_add_i32 s39, s21, s6
	s_mul_i32 s38, s46, s20
	s_lshl_b64 s[20:21], s[24:25], 2
	s_add_u32 s6, s48, s20
	s_addc_u32 s22, s49, s21
	s_lshl_b64 s[20:21], s[26:27], 2
	s_mul_i32 s28, s44, s28
	s_add_u32 s20, s6, s20
	s_addc_u32 s21, s22, s21
	s_lshl_b64 s[22:23], s[28:29], 2
	s_add_u32 s6, s14, s22
	s_addc_u32 s23, s15, s23
	s_lshl_b64 s[14:15], s[30:31], 2
	;; [unrolled: 3-line block ×4, first 2 shown]
	s_add_u32 s24, s6, s14
	v_mov_b32_e32 v1, 0
	s_addc_u32 s25, s18, s15
	ds_read_b96 v[2:4], v1 offset:1056
	s_cmp_gt_i32 s7, -1
	s_cselect_b32 s6, 0x80000000, -1
	v_cmp_o_f32_e64 s[14:15], s7, s7
	s_xor_b32 s18, s6, s7
	s_and_b64 s[6:7], s[14:15], exec
	s_load_dword s6, s[4:5], 0x1b0
	s_load_dwordx2 s[14:15], s[4:5], 0x508
	s_waitcnt lgkmcnt(0)
	v_add_u32_e32 v2, v2, v3
	v_lshrrev_b32_e32 v3, 5, v0
	v_add_lshl_u32 v5, v3, v0, 2
	v_lshlrev_b32_e32 v3, 2, v0
	v_lshrrev_b32_e32 v6, 3, v0
	v_add_lshl_u32 v8, v6, v3, 2
	v_add_u32_e32 v3, -1, v0
	v_lshrrev_b32_e32 v6, 5, v3
	v_add_lshl_u32 v9, v6, v3, 2
	v_mbcnt_lo_u32_b32 v3, -1, 0
	s_cselect_b32 s26, s18, -1
	s_bitcmp1_b32 s6, 0
	v_mbcnt_hi_u32_b32 v11, -1, v3
	s_cselect_b64 s[4:5], -1, 0
	v_cmp_gt_u32_e64 s[6:7], 64, v0
	v_add_u32_e32 v0, s33, v0
	v_bfrev_b32_e32 v10, 1
	v_and_b32_e32 v12, 15, v11
	v_bfe_i32 v13, v11, 4, 1
	v_add_u32_e32 v14, -1, v11
	v_and_b32_e32 v15, 64, v11
                                        ; implicit-def: $vgpr16
	s_branch .LBB194_29
.LBB194_27:                             ;   in Loop: Header=BB194_29 Depth=1
	s_or_b64 exec, exec, s[18:19]
	v_add_u32_e32 v2, v3, v2
.LBB194_28:                             ;   in Loop: Header=BB194_29 Depth=1
	s_add_i32 s34, s34, -1
	v_add_u32_e32 v4, v17, v4
	s_cmp_lg_u32 s34, 0
	v_add_u32_e32 v0, 0x100, v0
	s_cbranch_scc0 .LBB194_48
.LBB194_29:                             ; =>This Inner Loop Header: Depth=1
	v_cmp_gt_u64_e32 vcc, s[8:9], v[0:1]
	v_mov_b32_e32 v3, v1
	v_mov_b32_e32 v6, v1
	s_and_saveexec_b64 s[18:19], vcc
	s_cbranch_execz .LBB194_31
; %bb.30:                               ;   in Loop: Header=BB194_29 Depth=1
	v_mad_u64_u32 v[6:7], s[28:29], v0, s12, 0
	v_mov_b32_e32 v16, v7
	v_mad_u64_u32 v[16:17], s[28:29], v0, s13, v[16:17]
	v_mov_b32_e32 v7, v16
	v_lshlrev_b64 v[6:7], 2, v[6:7]
	v_mov_b32_e32 v3, s21
	v_add_co_u32_e32 v6, vcc, s20, v6
	v_addc_co_u32_e32 v7, vcc, v3, v7, vcc
	global_load_dword v16, v[6:7], off
	s_waitcnt vmcnt(0)
	v_cmp_lt_i32_e32 vcc, -1, v16
	v_cndmask_b32_e32 v3, -1, v10, vcc
	v_xor_b32_e32 v3, v3, v16
	v_cmp_o_f32_e32 vcc, v16, v16
	v_cndmask_b32_e32 v6, -1, v3, vcc
	v_cmp_lt_u32_e32 vcc, s26, v6
	v_cndmask_b32_e64 v3, 0, 1, vcc
	v_cmp_gt_u32_e32 vcc, s26, v6
	v_cndmask_b32_e64 v7, 0, 1, vcc
	v_cndmask_b32_e64 v3, v7, v3, s[4:5]
	v_cmp_eq_u32_e32 vcc, s26, v6
	v_and_b32_e32 v3, 1, v3
	v_cndmask_b32_e64 v6, 0, 1, vcc
.LBB194_31:                             ;   in Loop: Header=BB194_29 Depth=1
	s_or_b64 exec, exec, s[18:19]
	ds_write_b32 v5, v3
	s_waitcnt lgkmcnt(0)
	s_barrier
	s_and_saveexec_b64 s[18:19], s[6:7]
	s_cbranch_execz .LBB194_33
; %bb.32:                               ;   in Loop: Header=BB194_29 Depth=1
	ds_read2_b32 v[18:19], v8 offset1:1
	ds_read2_b32 v[20:21], v8 offset0:2 offset1:3
	v_cmp_ne_u32_e32 vcc, 0, v12
	; wave barrier
	s_waitcnt lgkmcnt(1)
	v_add_u32_e32 v7, v19, v18
	s_waitcnt lgkmcnt(0)
	v_add3_u32 v7, v7, v20, v21
	s_nop 1
	v_mov_b32_dpp v17, v7 row_shr:1 row_mask:0xf bank_mask:0xf
	v_cndmask_b32_e32 v17, 0, v17, vcc
	v_add_u32_e32 v7, v17, v7
	v_cmp_lt_u32_e32 vcc, 1, v12
	s_nop 0
	v_mov_b32_dpp v17, v7 row_shr:2 row_mask:0xf bank_mask:0xf
	v_cndmask_b32_e32 v17, 0, v17, vcc
	v_add_u32_e32 v7, v7, v17
	v_cmp_lt_u32_e32 vcc, 3, v12
	;; [unrolled: 5-line block ×4, first 2 shown]
	s_nop 0
	v_mov_b32_dpp v17, v7 row_bcast:15 row_mask:0xf bank_mask:0xf
	v_and_b32_e32 v17, v13, v17
	v_add_u32_e32 v7, v7, v17
	s_nop 1
	v_mov_b32_dpp v17, v7 row_bcast:31 row_mask:0xf bank_mask:0xf
	v_cndmask_b32_e32 v17, 0, v17, vcc
	v_cmp_lt_i32_e32 vcc, v14, v15
	v_add_u32_e32 v7, v7, v17
	v_cndmask_b32_e32 v17, v14, v11, vcc
	v_lshlrev_b32_e32 v17, 2, v17
	ds_bpermute_b32 v7, v17, v7
	s_waitcnt lgkmcnt(0)
	v_add_u32_e32 v7, v7, v18
	v_cndmask_b32_e64 v7, v7, v3, s[2:3]
	ds_write_b32 v8, v7
	; wave barrier
	ds_read2_b32 v[18:19], v8 offset0:1 offset1:2
	ds_read_b32 v17, v8 offset:12
	s_waitcnt lgkmcnt(1)
	v_add_u32_e32 v7, v18, v7
	v_add_u32_e32 v18, v19, v7
	ds_write2_b32 v8, v7, v18 offset0:1 offset1:2
	s_waitcnt lgkmcnt(1)
	v_add_u32_e32 v7, v17, v18
	ds_write_b32 v8, v7 offset:12
.LBB194_33:                             ;   in Loop: Header=BB194_29 Depth=1
	s_or_b64 exec, exec, s[18:19]
	v_mov_b32_e32 v7, 0
	s_waitcnt lgkmcnt(0)
	s_barrier
	s_and_saveexec_b64 s[18:19], s[0:1]
	s_cbranch_execz .LBB194_35
; %bb.34:                               ;   in Loop: Header=BB194_29 Depth=1
	ds_read_b32 v7, v9
.LBB194_35:                             ;   in Loop: Header=BB194_29 Depth=1
	s_or_b64 exec, exec, s[18:19]
	ds_read_b32 v17, v1 offset:1048
	v_cmp_ne_u32_e32 vcc, 0, v3
	s_waitcnt lgkmcnt(0)
	s_barrier
	s_and_saveexec_b64 s[18:19], vcc
	s_cbranch_execz .LBB194_37
; %bb.36:                               ;   in Loop: Header=BB194_29 Depth=1
	v_add_u32_e32 v3, v7, v4
	v_mad_u64_u32 v[18:19], s[28:29], v3, s16, 0
	v_mov_b32_e32 v20, v19
	v_mad_u64_u32 v[20:21], s[28:29], v3, s17, v[20:21]
	v_mov_b32_e32 v19, v20
	v_lshlrev_b64 v[18:19], 2, v[18:19]
	v_mov_b32_e32 v7, s23
	v_add_co_u32_e32 v18, vcc, s22, v18
	v_addc_co_u32_e32 v19, vcc, v7, v19, vcc
	global_store_dword v[18:19], v16, off
	v_mad_u64_u32 v[18:19], s[28:29], v3, s14, 0
	v_mov_b32_e32 v20, v19
	v_mad_u64_u32 v[20:21], s[28:29], v3, s15, v[20:21]
	v_mov_b32_e32 v19, v20
	v_lshlrev_b64 v[18:19], 3, v[18:19]
	v_mov_b32_e32 v3, s25
	v_add_co_u32_e32 v18, vcc, s24, v18
	v_addc_co_u32_e32 v19, vcc, v3, v19, vcc
	global_store_dwordx2 v[18:19], v[0:1], off
.LBB194_37:                             ;   in Loop: Header=BB194_29 Depth=1
	s_or_b64 exec, exec, s[18:19]
	v_mov_b32_e32 v3, v1
	v_cmp_le_u64_e32 vcc, s[10:11], v[2:3]
	s_cbranch_vccnz .LBB194_28
; %bb.38:                               ;   in Loop: Header=BB194_29 Depth=1
	ds_write_b32 v5, v6
	s_waitcnt lgkmcnt(0)
	s_barrier
	s_and_saveexec_b64 s[18:19], s[6:7]
	s_cbranch_execz .LBB194_40
; %bb.39:                               ;   in Loop: Header=BB194_29 Depth=1
	ds_read2_b32 v[18:19], v8 offset1:1
	ds_read2_b32 v[20:21], v8 offset0:2 offset1:3
	v_cmp_ne_u32_e32 vcc, 0, v12
	; wave barrier
	s_waitcnt lgkmcnt(1)
	v_add_u32_e32 v3, v19, v18
	s_waitcnt lgkmcnt(0)
	v_add3_u32 v3, v3, v20, v21
	s_nop 1
	v_mov_b32_dpp v7, v3 row_shr:1 row_mask:0xf bank_mask:0xf
	v_cndmask_b32_e32 v7, 0, v7, vcc
	v_add_u32_e32 v3, v7, v3
	v_cmp_lt_u32_e32 vcc, 1, v12
	s_nop 0
	v_mov_b32_dpp v7, v3 row_shr:2 row_mask:0xf bank_mask:0xf
	v_cndmask_b32_e32 v7, 0, v7, vcc
	v_add_u32_e32 v3, v3, v7
	v_cmp_lt_u32_e32 vcc, 3, v12
	s_nop 0
	v_mov_b32_dpp v7, v3 row_shr:4 row_mask:0xf bank_mask:0xf
	v_cndmask_b32_e32 v7, 0, v7, vcc
	v_add_u32_e32 v3, v3, v7
	v_cmp_lt_u32_e32 vcc, 7, v12
	s_nop 0
	v_mov_b32_dpp v7, v3 row_shr:8 row_mask:0xf bank_mask:0xf
	v_cndmask_b32_e32 v7, 0, v7, vcc
	v_add_u32_e32 v3, v3, v7
	v_cmp_lt_u32_e32 vcc, 31, v11
	s_nop 0
	v_mov_b32_dpp v7, v3 row_bcast:15 row_mask:0xf bank_mask:0xf
	v_and_b32_e32 v7, v13, v7
	v_add_u32_e32 v3, v3, v7
	s_nop 1
	v_mov_b32_dpp v7, v3 row_bcast:31 row_mask:0xf bank_mask:0xf
	v_cndmask_b32_e32 v7, 0, v7, vcc
	v_cmp_lt_i32_e32 vcc, v14, v15
	v_add_u32_e32 v3, v3, v7
	v_cndmask_b32_e32 v7, v14, v11, vcc
	v_lshlrev_b32_e32 v7, 2, v7
	ds_bpermute_b32 v3, v7, v3
	s_waitcnt lgkmcnt(0)
	v_add_u32_e32 v3, v3, v18
	v_cndmask_b32_e64 v3, v3, v6, s[2:3]
	ds_write_b32 v8, v3
	; wave barrier
	ds_read2_b32 v[18:19], v8 offset0:1 offset1:2
	ds_read_b32 v7, v8 offset:12
	s_waitcnt lgkmcnt(1)
	v_add_u32_e32 v3, v18, v3
	v_add_u32_e32 v18, v19, v3
	ds_write2_b32 v8, v3, v18 offset0:1 offset1:2
	s_waitcnt lgkmcnt(1)
	v_add_u32_e32 v3, v7, v18
	ds_write_b32 v8, v3 offset:12
.LBB194_40:                             ;   in Loop: Header=BB194_29 Depth=1
	s_or_b64 exec, exec, s[18:19]
	v_mov_b32_e32 v7, 0
	s_waitcnt lgkmcnt(0)
	s_barrier
	s_and_saveexec_b64 s[18:19], s[0:1]
	s_cbranch_execz .LBB194_42
; %bb.41:                               ;   in Loop: Header=BB194_29 Depth=1
	ds_read_b32 v7, v9
.LBB194_42:                             ;   in Loop: Header=BB194_29 Depth=1
	s_or_b64 exec, exec, s[18:19]
	ds_read_b32 v3, v1 offset:1048
	v_cmp_ne_u32_e32 vcc, 0, v6
	s_waitcnt lgkmcnt(0)
	s_barrier
	s_and_saveexec_b64 s[18:19], vcc
	s_cbranch_execz .LBB194_27
; %bb.43:                               ;   in Loop: Header=BB194_29 Depth=1
	v_add_u32_e32 v6, v7, v2
	v_mov_b32_e32 v7, v1
	v_cmp_gt_u64_e32 vcc, s[10:11], v[6:7]
	s_and_b64 exec, exec, vcc
	s_cbranch_execz .LBB194_27
; %bb.44:                               ;   in Loop: Header=BB194_29 Depth=1
	v_mad_u64_u32 v[18:19], s[28:29], v6, s16, 0
	v_mov_b32_e32 v20, v19
	v_mad_u64_u32 v[20:21], s[28:29], v6, s17, v[20:21]
	v_mov_b32_e32 v19, v20
	v_lshlrev_b64 v[18:19], 2, v[18:19]
	v_mov_b32_e32 v7, s23
	v_add_co_u32_e32 v18, vcc, s22, v18
	v_addc_co_u32_e32 v19, vcc, v7, v19, vcc
	global_store_dword v[18:19], v16, off
	v_mad_u64_u32 v[18:19], s[28:29], v6, s14, 0
	v_mov_b32_e32 v20, v19
	v_mad_u64_u32 v[6:7], s[28:29], v6, s15, v[20:21]
	v_mov_b32_e32 v19, v6
	v_lshlrev_b64 v[6:7], 3, v[18:19]
	v_mov_b32_e32 v18, s25
	v_add_co_u32_e32 v6, vcc, s24, v6
	v_addc_co_u32_e32 v7, vcc, v18, v7, vcc
	global_store_dwordx2 v[6:7], v[0:1], off
	s_branch .LBB194_27
.LBB194_45:                             ;   in Loop: Header=BB194_46 Depth=1
	s_add_u32 s16, s16, 4
	s_addc_u32 s17, s17, 0
	s_waitcnt lgkmcnt(0)
	s_add_i32 s29, s15, s29
	s_add_u32 s18, s18, 4
	s_addc_u32 s19, s19, 0
	s_add_i32 s14, s14, 1
	s_cmp_lt_u32 s14, s35
	s_cbranch_scc0 .LBB194_24
.LBB194_46:                             ; =>This Inner Loop Header: Depth=1
	s_load_dword s15, s[16:17], 0x0
	s_cmp_ge_u32 s14, s28
	s_cbranch_scc1 .LBB194_45
; %bb.47:                               ;   in Loop: Header=BB194_46 Depth=1
	s_load_dword s22, s[18:19], 0x0
	s_waitcnt lgkmcnt(0)
	s_add_i32 s21, s15, s21
	s_add_i32 s20, s22, s20
	s_branch .LBB194_45
.LBB194_48:
	s_endpgm
	.section	.rodata,"a",@progbits
	.p2align	6, 0x0
	.amdhsa_kernel _ZN2at6native6mbtopk10gatherTopKIfmLi2EEEvNS_4cuda6detail10TensorInfoIKT_T0_EES8_S8_bjS8_NS5_IS6_S8_EES8_NS5_IlS8_EES8_jjPS6_PjSD_j
		.amdhsa_group_segment_fixed_size 1068
		.amdhsa_private_segment_fixed_size 0
		.amdhsa_kernarg_size 1592
		.amdhsa_user_sgpr_count 6
		.amdhsa_user_sgpr_private_segment_buffer 1
		.amdhsa_user_sgpr_dispatch_ptr 0
		.amdhsa_user_sgpr_queue_ptr 0
		.amdhsa_user_sgpr_kernarg_segment_ptr 1
		.amdhsa_user_sgpr_dispatch_id 0
		.amdhsa_user_sgpr_flat_scratch_init 0
		.amdhsa_user_sgpr_kernarg_preload_length 0
		.amdhsa_user_sgpr_kernarg_preload_offset 0
		.amdhsa_user_sgpr_private_segment_size 0
		.amdhsa_uses_dynamic_stack 0
		.amdhsa_system_sgpr_private_segment_wavefront_offset 0
		.amdhsa_system_sgpr_workgroup_id_x 1
		.amdhsa_system_sgpr_workgroup_id_y 1
		.amdhsa_system_sgpr_workgroup_id_z 1
		.amdhsa_system_sgpr_workgroup_info 0
		.amdhsa_system_vgpr_workitem_id 0
		.amdhsa_next_free_vgpr 22
		.amdhsa_next_free_sgpr 50
		.amdhsa_accum_offset 24
		.amdhsa_reserve_vcc 1
		.amdhsa_reserve_flat_scratch 0
		.amdhsa_float_round_mode_32 0
		.amdhsa_float_round_mode_16_64 0
		.amdhsa_float_denorm_mode_32 3
		.amdhsa_float_denorm_mode_16_64 3
		.amdhsa_dx10_clamp 1
		.amdhsa_ieee_mode 1
		.amdhsa_fp16_overflow 0
		.amdhsa_tg_split 0
		.amdhsa_exception_fp_ieee_invalid_op 0
		.amdhsa_exception_fp_denorm_src 0
		.amdhsa_exception_fp_ieee_div_zero 0
		.amdhsa_exception_fp_ieee_overflow 0
		.amdhsa_exception_fp_ieee_underflow 0
		.amdhsa_exception_fp_ieee_inexact 0
		.amdhsa_exception_int_div_zero 0
	.end_amdhsa_kernel
	.section	.text._ZN2at6native6mbtopk10gatherTopKIfmLi2EEEvNS_4cuda6detail10TensorInfoIKT_T0_EES8_S8_bjS8_NS5_IS6_S8_EES8_NS5_IlS8_EES8_jjPS6_PjSD_j,"axG",@progbits,_ZN2at6native6mbtopk10gatherTopKIfmLi2EEEvNS_4cuda6detail10TensorInfoIKT_T0_EES8_S8_bjS8_NS5_IS6_S8_EES8_NS5_IlS8_EES8_jjPS6_PjSD_j,comdat
.Lfunc_end194:
	.size	_ZN2at6native6mbtopk10gatherTopKIfmLi2EEEvNS_4cuda6detail10TensorInfoIKT_T0_EES8_S8_bjS8_NS5_IS6_S8_EES8_NS5_IlS8_EES8_jjPS6_PjSD_j, .Lfunc_end194-_ZN2at6native6mbtopk10gatherTopKIfmLi2EEEvNS_4cuda6detail10TensorInfoIKT_T0_EES8_S8_bjS8_NS5_IS6_S8_EES8_NS5_IlS8_EES8_jjPS6_PjSD_j
                                        ; -- End function
	.section	.AMDGPU.csdata,"",@progbits
; Kernel info:
; codeLenInByte = 2740
; NumSgprs: 54
; NumVgprs: 22
; NumAgprs: 0
; TotalNumVgprs: 22
; ScratchSize: 0
; MemoryBound: 0
; FloatMode: 240
; IeeeMode: 1
; LDSByteSize: 1068 bytes/workgroup (compile time only)
; SGPRBlocks: 6
; VGPRBlocks: 2
; NumSGPRsForWavesPerEU: 54
; NumVGPRsForWavesPerEU: 22
; AccumOffset: 24
; Occupancy: 8
; WaveLimiterHint : 1
; COMPUTE_PGM_RSRC2:SCRATCH_EN: 0
; COMPUTE_PGM_RSRC2:USER_SGPR: 6
; COMPUTE_PGM_RSRC2:TRAP_HANDLER: 0
; COMPUTE_PGM_RSRC2:TGID_X_EN: 1
; COMPUTE_PGM_RSRC2:TGID_Y_EN: 1
; COMPUTE_PGM_RSRC2:TGID_Z_EN: 1
; COMPUTE_PGM_RSRC2:TIDIG_COMP_CNT: 0
; COMPUTE_PGM_RSRC3_GFX90A:ACCUM_OFFSET: 5
; COMPUTE_PGM_RSRC3_GFX90A:TG_SPLIT: 0
	.section	.text._ZN2at6native6sbtopk10gatherTopKIfmLi2ELb0EEEvNS_4cuda6detail10TensorInfoIKT_T0_EES8_S8_bS8_S8_NS5_IS6_S8_EES8_NS5_IlS8_EES8_PS6_,"axG",@progbits,_ZN2at6native6sbtopk10gatherTopKIfmLi2ELb0EEEvNS_4cuda6detail10TensorInfoIKT_T0_EES8_S8_bS8_S8_NS5_IS6_S8_EES8_NS5_IlS8_EES8_PS6_,comdat
	.protected	_ZN2at6native6sbtopk10gatherTopKIfmLi2ELb0EEEvNS_4cuda6detail10TensorInfoIKT_T0_EES8_S8_bS8_S8_NS5_IS6_S8_EES8_NS5_IlS8_EES8_PS6_ ; -- Begin function _ZN2at6native6sbtopk10gatherTopKIfmLi2ELb0EEEvNS_4cuda6detail10TensorInfoIKT_T0_EES8_S8_bS8_S8_NS5_IS6_S8_EES8_NS5_IlS8_EES8_PS6_
	.globl	_ZN2at6native6sbtopk10gatherTopKIfmLi2ELb0EEEvNS_4cuda6detail10TensorInfoIKT_T0_EES8_S8_bS8_S8_NS5_IS6_S8_EES8_NS5_IlS8_EES8_PS6_
	.p2align	8
	.type	_ZN2at6native6sbtopk10gatherTopKIfmLi2ELb0EEEvNS_4cuda6detail10TensorInfoIKT_T0_EES8_S8_bS8_S8_NS5_IS6_S8_EES8_NS5_IlS8_EES8_PS6_,@function
_ZN2at6native6sbtopk10gatherTopKIfmLi2ELb0EEEvNS_4cuda6detail10TensorInfoIKT_T0_EES8_S8_bS8_S8_NS5_IS6_S8_EES8_NS5_IlS8_EES8_PS6_: ; @_ZN2at6native6sbtopk10gatherTopKIfmLi2ELb0EEEvNS_4cuda6detail10TensorInfoIKT_T0_EES8_S8_bS8_S8_NS5_IS6_S8_EES8_NS5_IlS8_EES8_PS6_
; %bb.0:
	s_load_dwordx4 s[56:59], s[4:5], 0x1b8
	s_load_dwordx2 s[10:11], s[4:5], 0x520
	s_add_u32 s20, s4, 0x520
	s_addc_u32 s21, s5, 0
	s_mov_b32 s23, 0
	s_waitcnt lgkmcnt(0)
	v_mov_b32_e32 v2, s56
	s_mul_i32 s0, s11, s8
	s_add_i32 s0, s0, s7
	s_mul_i32 s0, s0, s10
	v_mov_b32_e32 v3, s57
	s_add_i32 s22, s0, s6
	v_cmp_ge_u64_e32 vcc, s[22:23], v[2:3]
	s_cbranch_vccnz .LBB195_489
; %bb.1:
	s_load_dwordx2 s[8:9], s[4:5], 0x10
	s_load_dwordx2 s[16:17], s[4:5], 0x380
	;; [unrolled: 1-line block ×3, first 2 shown]
	s_mov_b64 s[0:1], 0
                                        ; implicit-def: $vgpr48 : SGPR spill to VGPR lane
	s_mov_b64 s[12:13], 0
	s_waitcnt lgkmcnt(0)
	v_pk_mov_b32 v[2:3], s[8:9], s[8:9] op_sel:[0,1]
	v_cmp_lt_u64_e32 vcc, s[22:23], v[2:3]
	v_writelane_b32 v48, s0, 0
	v_writelane_b32 v48, s1, 1
	s_cbranch_vccnz .LBB195_3
; %bb.2:
	v_cvt_f32_u32_e32 v1, s8
	s_sub_i32 s0, 0, s8
	v_rcp_iflag_f32_e32 v1, v1
	v_mul_f32_e32 v1, 0x4f7ffffe, v1
	v_cvt_u32_f32_e32 v1, v1
	v_readfirstlane_b32 s1, v1
	s_mul_i32 s0, s0, s1
	s_mul_hi_u32 s0, s1, s0
	s_add_i32 s1, s1, s0
	s_mul_hi_u32 s0, s22, s1
	s_mul_i32 s2, s0, s8
	s_sub_i32 s2, s22, s2
	s_add_i32 s1, s0, 1
	s_sub_i32 s3, s2, s8
	s_cmp_ge_u32 s2, s8
	s_cselect_b32 s0, s1, s0
	s_cselect_b32 s2, s3, s2
	s_add_i32 s1, s0, 1
	s_cmp_ge_u32 s2, s8
	s_cselect_b32 s12, s1, s0
.LBB195_3:
	v_pk_mov_b32 v[2:3], s[14:15], s[14:15] op_sel:[0,1]
	v_cmp_lt_u64_e32 vcc, s[22:23], v[2:3]
	s_cbranch_vccnz .LBB195_5
; %bb.4:
	v_cvt_f32_u32_e32 v1, s14
	s_sub_i32 s0, 0, s14
	v_rcp_iflag_f32_e32 v1, v1
	v_mul_f32_e32 v1, 0x4f7ffffe, v1
	v_cvt_u32_f32_e32 v1, v1
	v_readfirstlane_b32 s1, v1
	s_mul_i32 s0, s0, s1
	s_mul_hi_u32 s0, s1, s0
	s_add_i32 s1, s1, s0
	s_mul_hi_u32 s0, s22, s1
	s_mul_i32 s2, s0, s14
	s_sub_i32 s2, s22, s2
	s_add_i32 s1, s0, 1
	s_sub_i32 s3, s2, s14
	s_cmp_ge_u32 s2, s14
	s_cselect_b32 s0, s1, s0
	s_cselect_b32 s2, s3, s2
	s_add_i32 s1, s0, 1
	s_cmp_ge_u32 s2, s14
	s_cselect_b32 s0, s1, s0
	v_writelane_b32 v48, s0, 0
	v_writelane_b32 v48, s1, 1
.LBB195_5:
	v_writelane_b32 v48, s14, 2
	v_writelane_b32 v48, s15, 3
	s_load_dwordx2 s[14:15], s[4:5], 0x0
	v_pk_mov_b32 v[2:3], s[16:17], s[16:17] op_sel:[0,1]
	v_cmp_lt_u64_e32 vcc, s[22:23], v[2:3]
	s_mov_b64 s[0:1], 0
	v_writelane_b32 v48, s0, 4
	v_writelane_b32 v48, s1, 5
	s_cbranch_vccnz .LBB195_7
; %bb.6:
	v_cvt_f32_u32_e32 v1, s16
	s_sub_i32 s0, 0, s16
	v_rcp_iflag_f32_e32 v1, v1
	v_mul_f32_e32 v1, 0x4f7ffffe, v1
	v_cvt_u32_f32_e32 v1, v1
	v_readfirstlane_b32 s1, v1
	s_mul_i32 s0, s0, s1
	s_mul_hi_u32 s0, s1, s0
	s_add_i32 s1, s1, s0
	s_mul_hi_u32 s0, s22, s1
	s_mul_i32 s2, s0, s16
	s_sub_i32 s2, s22, s2
	s_add_i32 s1, s0, 1
	s_sub_i32 s3, s2, s16
	s_cmp_ge_u32 s2, s16
	s_cselect_b32 s0, s1, s0
	s_cselect_b32 s2, s3, s2
	s_add_i32 s1, s0, 1
	s_cmp_ge_u32 s2, s16
	s_cselect_b32 s0, s1, s0
	v_writelane_b32 v48, s0, 4
	v_writelane_b32 v48, s1, 5
.LBB195_7:
	s_load_dwordx2 s[0:1], s[4:5], 0x370
	v_writelane_b32 v48, s16, 6
	v_writelane_b32 v48, s17, 7
	s_mov_b32 s85, 0
	v_cmp_eq_u32_e64 s[18:19], 0, v0
	s_waitcnt lgkmcnt(0)
	v_writelane_b32 v48, s0, 8
	v_writelane_b32 v48, s1, 9
	s_load_dwordx2 s[0:1], s[4:5], 0x1c8
	s_waitcnt lgkmcnt(0)
	v_writelane_b32 v48, s0, 10
	v_writelane_b32 v48, s1, 11
	s_load_dwordx4 s[0:3], s[4:5], 0xd0
	s_load_dwordx4 s[60:63], s[4:5], 0x1a0
	s_mov_b64 s[16:17], exec
	v_writelane_b32 v48, s18, 12
	v_writelane_b32 v48, s19, 13
	s_and_b64 s[18:19], s[16:17], s[18:19]
	s_mov_b64 exec, s[18:19]
	s_cbranch_execz .LBB195_9
; %bb.8:
	v_mov_b32_e32 v2, 0
	s_waitcnt lgkmcnt(0)
	v_mov_b32_e32 v4, s60
	v_mov_b32_e32 v5, s61
	;; [unrolled: 1-line block ×3, first 2 shown]
	ds_write_b32 v2, v2 offset:5144
	ds_write_b128 v2, v[2:5] offset:5120
.LBB195_9:
	s_or_b64 exec, exec, s[16:17]
	s_mul_i32 s7, s12, s9
	s_mul_hi_u32 s9, s12, s8
	s_add_i32 s9, s9, s7
	s_mul_i32 s7, s12, s8
	s_mov_b32 s8, s22
	v_writelane_b32 v48, s8, 14
	s_sub_u32 s7, s22, s7
	v_writelane_b32 v48, s9, 15
	s_subb_u32 s8, 0, s9
	s_waitcnt lgkmcnt(0)
	s_mul_i32 s3, s7, s3
	s_mul_hi_u32 s9, s7, s2
	s_mul_i32 s8, s8, s2
	s_mul_i32 s2, s7, s2
	;; [unrolled: 1-line block ×3, first 2 shown]
	s_mul_hi_u32 s7, s12, s0
	s_load_dwordx4 s[16:19], s[4:5], 0x298
	s_add_i32 s3, s9, s3
	s_add_i32 s1, s7, s1
	s_mul_i32 s0, s12, s0
	s_add_i32 s3, s3, s8
	s_load_dword s8, s[4:5], 0x1b0
	s_lshl_b64 s[0:1], s[0:1], 2
	s_add_u32 s7, s14, s0
	s_addc_u32 s9, s15, s1
	s_lshl_b64 s[0:1], s[2:3], 2
	s_waitcnt lgkmcnt(0)
	v_writelane_b32 v48, s16, 16
	s_add_u32 s33, s7, s0
	v_writelane_b32 v48, s17, 17
	s_addc_u32 s86, s9, s1
	v_writelane_b32 v48, s18, 18
	s_bitcmp1_b32 s8, 0
	v_writelane_b32 v48, s19, 19
	s_cselect_b64 s[0:1], -1, 0
	v_writelane_b32 v48, s0, 20
	v_mbcnt_lo_u32_b32 v1, -1, 0
	v_writelane_b32 v48, s1, 21
	s_xor_b64 s[0:1], s[0:1], -1
	v_mbcnt_hi_u32_b32 v29, -1, v1
	v_writelane_b32 v48, s0, 22
	v_cmp_gt_u32_e32 vcc, 64, v0
	v_cmp_gt_i32_e64 s[2:3], 4, v29
	v_writelane_b32 v48, s1, 23
	s_and_b64 s[2:3], vcc, s[2:3]
	v_mov_b32_e32 v2, 0x300
	v_writelane_b32 v48, s2, 24
	v_mov_b32_e32 v3, 0
	v_mov_b32_e32 v15, 0
	v_writelane_b32 v48, s3, 25
	v_cmp_gt_u64_e64 s[2:3], s[60:61], v[2:3]
	v_writelane_b32 v48, s2, 26
	v_mov_b32_e32 v1, v15
	v_writelane_b32 v48, s3, 27
	v_cmp_gt_u64_e64 s[2:3], s[60:61], v[0:1]
	v_writelane_b32 v48, s2, 28
	v_writelane_b32 v48, s3, 29
	v_mad_u64_u32 v[2:3], s[2:3], v0, s58, 0
	v_mov_b32_e32 v4, v3
	v_mad_u64_u32 v[4:5], s[2:3], v0, s59, v[4:5]
	v_cmp_gt_u32_e64 s[2:3], 2, v0
	v_writelane_b32 v48, s2, 30
	s_barrier
	v_writelane_b32 v48, s3, 31
	s_load_dword s2, s[20:21], 0xc
	v_mov_b32_e32 v3, v4
	v_lshlrev_b64 v[2:3], 2, v[2:3]
	v_add_co_u32_e32 v12, vcc, s33, v2
	s_waitcnt lgkmcnt(0)
	s_and_b32 s87, s2, 0xffff
	s_bfe_u32 s3, s2, 0xa0006
	v_cmp_gt_u16_e64 s[8:9], s2, 63
	v_writelane_b32 v48, s8, 32
	s_add_u32 s2, s87, -1
	v_writelane_b32 v48, s9, 33
	s_addc_u32 s7, 0, -1
	v_writelane_b32 v48, s2, 34
	s_add_u32 s2, s2, s60
	s_addc_u32 s93, s7, s61
	s_cmp_lt_u32 s6, s10
	v_writelane_b32 v48, s2, 35
	s_cselect_b32 s2, 12, 18
	s_add_u32 s6, s20, s2
	v_writelane_b32 v48, s7, 36
	s_addc_u32 s7, s21, 0
	v_writelane_b32 v48, s6, 37
	v_writelane_b32 v48, s7, 38
	s_add_i32 s2, s3, -1
	s_bfe_u32 s6, s87, 0x30006
	s_cmp_gt_u32 s2, 6
	s_cselect_b64 s[8:9], -1, 0
	v_writelane_b32 v48, s8, 39
	s_and_b32 s94, s3, 0x3f8
	v_writelane_b32 v48, s9, 40
	s_cmp_lg_u32 s6, 0
	v_writelane_b32 v48, s6, 41
	s_cselect_b64 s[2:3], -1, 0
	v_writelane_b32 v48, s2, 42
	v_writelane_b32 v48, s3, 43
	;; [unrolled: 1-line block ×4, first 2 shown]
	s_load_dwordx4 s[4:7], s[4:5], 0x440
	v_lshrrev_b32_e32 v2, 4, v0
	v_mov_b32_e32 v30, s86
	v_and_b32_e32 v31, 60, v2
	v_lshlrev_b32_e32 v2, 2, v29
	s_waitcnt lgkmcnt(0)
	v_writelane_b32 v48, s4, 46
	v_addc_co_u32_e32 v13, vcc, v30, v3, vcc
	v_and_b32_e32 v28, 0x100, v2
	v_lshlrev_b64 v[2:3], v29, -1
	v_writelane_b32 v48, s5, 47
	v_lshlrev_b32_e32 v16, 2, v0
	v_not_b32_e32 v10, v2
	v_mov_b32_e32 v2, 0xc00
	v_writelane_b32 v48, s6, 48
	v_cmp_eq_u32_e64 s[0:1], 0, v29
	v_mov_b32_e32 v17, v15
	v_add_u32_e32 v32, 0xc00, v16
	v_not_b32_e32 v11, v3
	s_mov_b32 s88, s85
	v_lshlrev_b32_e32 v33, 4, v0
	v_lshl_or_b32 v34, v29, 3, v2
	s_lshl_b32 s95, s87, 2
	s_mov_b32 s89, 30
	s_mov_b64 s[64:65], 0
	v_pk_mov_b32 v[22:23], s[62:63], s[62:63] op_sel:[0,1]
	v_mov_b32_e32 v18, 1.0
	v_bfrev_b32_e32 v35, 1
	v_mov_b32_e32 v36, 0x4f800000
	v_writelane_b32 v48, s7, 49
	v_mov_b32_e32 v21, 0
	s_mov_b32 s2, 0
	v_mov_b32_e32 v38, 0
	v_mov_b32_e32 v37, 0
                                        ; implicit-def: $sgpr68_sgpr69
                                        ; implicit-def: $sgpr70_sgpr71
                                        ; implicit-def: $sgpr78_sgpr79
                                        ; implicit-def: $sgpr30_sgpr31
                                        ; implicit-def: $sgpr76_sgpr77
                                        ; implicit-def: $sgpr72_sgpr73
                                        ; implicit-def: $sgpr74_sgpr75
                                        ; implicit-def: $sgpr66_sgpr67
                                        ; implicit-def: $sgpr80_sgpr81
	v_writelane_b32 v48, s2, 50
                                        ; implicit-def: $sgpr82_sgpr83
	s_branch .LBB195_12
.LBB195_10:                             ;   in Loop: Header=BB195_12 Depth=1
	s_or_b64 exec, exec, s[8:9]
	s_andn2_b64 s[8:9], s[82:83], exec
	s_and_b64 s[6:7], s[6:7], exec
	s_or_b64 s[82:83], s[8:9], s[6:7]
	s_andn2_b64 s[80:81], s[80:81], exec
	s_andn2_b64 s[66:67], s[66:67], exec
	;; [unrolled: 1-line block ×4, first 2 shown]
	s_orn2_b64 s[4:5], s[4:5], exec
	v_mov_b32_e32 v37, v24
	v_mov_b32_e32 v38, v20
	v_pk_mov_b32 v[22:23], v[2:3], v[2:3] op_sel:[0,1]
	v_mov_b32_e32 v21, v5
.LBB195_11:                             ;   in Loop: Header=BB195_12 Depth=1
	s_or_b64 exec, exec, s[2:3]
	s_and_b64 s[2:3], exec, s[4:5]
	s_or_b64 s[64:65], s[2:3], s[64:65]
	s_andn2_b64 s[2:3], s[76:77], exec
	s_and_b64 s[4:5], s[82:83], exec
	s_or_b64 s[76:77], s[2:3], s[4:5]
	s_andn2_b64 s[2:3], s[30:31], exec
	s_and_b64 s[4:5], s[80:81], exec
	;; [unrolled: 3-line block ×5, first 2 shown]
	s_or_b64 s[68:69], s[2:3], s[4:5]
	s_andn2_b64 exec, exec, s[64:65]
	s_cbranch_execz .LBB195_485
.LBB195_12:                             ; =>This Loop Header: Depth=1
                                        ;     Child Loop BB195_20 Depth 2
                                        ;     Child Loop BB195_35 Depth 2
	;; [unrolled: 1-line block ×24, first 2 shown]
	ds_read_b128 v[2:5], v15 offset:5120
	s_waitcnt lgkmcnt(0)
	v_readfirstlane_b32 s9, v3
	v_readfirstlane_b32 s8, v2
	s_cmp_lg_u64 s[8:9], 0
	s_cbranch_scc1 .LBB195_42
; %bb.13:                               ;   in Loop: Header=BB195_12 Depth=1
	v_readlane_b32 s2, v48, 26
	v_readlane_b32 s3, v48, 27
	s_and_b64 vcc, exec, s[2:3]
	s_cbranch_vccz .LBB195_28
; %bb.14:                               ;   in Loop: Header=BB195_12 Depth=1
	s_mov_b64 s[2:3], 0x301
	v_cmp_gt_u64_e32 vcc, s[2:3], v[4:5]
	s_mov_b64 s[8:9], 0
	s_mov_b64 s[2:3], 0
	s_cbranch_vccz .LBB195_29
; %bb.15:                               ;   in Loop: Header=BB195_12 Depth=1
	v_mov_b32_e32 v4, 0
	s_mov_b64 s[2:3], exec
	v_readlane_b32 s4, v48, 28
	v_readlane_b32 s5, v48, 29
	s_and_b64 s[4:5], s[2:3], s[4:5]
	s_mov_b64 exec, s[4:5]
	s_cbranch_execz .LBB195_17
; %bb.16:                               ;   in Loop: Header=BB195_12 Depth=1
	global_load_dword v4, v[12:13], off
.LBB195_17:                             ;   in Loop: Header=BB195_12 Depth=1
	s_or_b64 exec, exec, s[2:3]
	s_mov_b64 s[2:3], exec
	v_readlane_b32 s4, v48, 28
	v_readlane_b32 s5, v48, 29
	s_and_b64 s[4:5], s[2:3], s[4:5]
	s_mov_b64 exec, s[4:5]
	s_cbranch_execz .LBB195_101
; %bb.18:                               ;   in Loop: Header=BB195_12 Depth=1
	v_readlane_b32 s4, v48, 37
	v_readlane_b32 s5, v48, 38
	v_pk_mov_b32 v[2:3], v[0:1], v[0:1] op_sel:[0,1]
	s_nop 3
	global_load_ushort v5, v15, s[4:5]
	s_mov_b64 s[4:5], 0
	s_branch .LBB195_20
.LBB195_19:                             ;   in Loop: Header=BB195_20 Depth=2
	s_or_b64 exec, exec, s[6:7]
	s_waitcnt vmcnt(0)
	v_mov_b32_e32 v4, v6
	s_andn2_b64 exec, exec, s[4:5]
	s_cbranch_execz .LBB195_101
.LBB195_20:                             ;   Parent Loop BB195_12 Depth=1
                                        ; =>  This Inner Loop Header: Depth=2
	s_waitcnt vmcnt(0)
	v_add_co_u32_sdwa v2, vcc, v2, v5 dst_sel:DWORD dst_unused:UNUSED_PAD src0_sel:DWORD src1_sel:WORD_0
	v_addc_co_u32_e32 v3, vcc, 0, v3, vcc
	v_cmp_gt_u64_e64 s[6:7], s[60:61], v[2:3]
	v_cmp_le_u64_e32 vcc, s[60:61], v[2:3]
	s_waitcnt lgkmcnt(0)
	v_mov_b32_e32 v7, 0
	v_mov_b32_e32 v6, 0
	s_and_saveexec_b64 s[10:11], s[6:7]
	s_cbranch_execz .LBB195_22
; %bb.21:                               ;   in Loop: Header=BB195_20 Depth=2
	v_mul_lo_u32 v6, v3, s58
	v_mul_lo_u32 v14, v2, s59
	v_mad_u64_u32 v[8:9], s[6:7], v2, s58, 0
	v_add3_u32 v9, v9, v14, v6
	v_lshlrev_b64 v[8:9], 2, v[8:9]
	v_add_co_u32_e64 v8, s[6:7], s33, v8
	v_addc_co_u32_e64 v9, s[6:7], v30, v9, s[6:7]
	global_load_dword v6, v[8:9], off
.LBB195_22:                             ;   in Loop: Header=BB195_20 Depth=2
	s_or_b64 exec, exec, s[10:11]
	v_cmp_lt_i32_e64 s[6:7], -1, v4
	v_cndmask_b32_e64 v8, -1, v35, s[6:7]
	v_xor_b32_e32 v8, v8, v4
	v_cmp_o_f32_e64 s[6:7], v4, v4
	v_cndmask_b32_e64 v8, -1, v8, s[6:7]
	v_and_b32_e32 v8, v8, v37
	v_cmp_eq_u32_e64 s[14:15], v8, v38
	s_cmp_lg_u64 s[14:15], 0
	s_cselect_b64 s[6:7], -1, 0
	s_and_b64 s[6:7], s[0:1], s[6:7]
	s_and_saveexec_b64 s[10:11], s[6:7]
	s_cbranch_execz .LBB195_26
; %bb.23:                               ;   in Loop: Header=BB195_20 Depth=2
	s_mov_b64 s[16:17], exec
	v_mbcnt_lo_u32_b32 v7, s16, 0
	v_mbcnt_hi_u32_b32 v7, s17, v7
	s_bcnt1_i32_b64 s18, s[14:15]
	v_cmp_eq_u32_e64 s[6:7], 0, v7
                                        ; implicit-def: $vgpr8
	s_and_saveexec_b64 s[12:13], s[6:7]
	s_cbranch_execz .LBB195_25
; %bb.24:                               ;   in Loop: Header=BB195_20 Depth=2
	s_bcnt1_i32_b64 s6, s[16:17]
	s_mul_i32 s6, s18, s6
	v_mov_b32_e32 v8, s6
	ds_add_rtn_u32 v8, v15, v8 offset:5144
.LBB195_25:                             ;   in Loop: Header=BB195_20 Depth=2
	s_or_b64 exec, exec, s[12:13]
	s_waitcnt lgkmcnt(0)
	v_readfirstlane_b32 s6, v8
	v_mov_b32_e32 v8, s6
	v_mad_u32_u24 v7, s18, v7, v8
.LBB195_26:                             ;   in Loop: Header=BB195_20 Depth=2
	s_or_b64 exec, exec, s[10:11]
	ds_bpermute_b32 v7, v28, v7
	s_and_b64 s[6:7], exec, vcc
	s_or_b64 s[4:5], s[6:7], s[4:5]
	s_and_saveexec_b64 s[6:7], s[14:15]
	s_cbranch_execz .LBB195_19
; %bb.27:                               ;   in Loop: Header=BB195_20 Depth=2
	v_and_b32_e32 v9, s14, v10
	v_and_b32_e32 v8, s15, v11
	v_bcnt_u32_b32 v9, v9, 0
	v_bcnt_u32_b32 v8, v8, v9
	v_lshlrev_b32_e32 v8, 2, v8
	s_waitcnt lgkmcnt(0)
	v_lshl_add_u32 v7, v7, 2, v8
	ds_write_b32 v7, v4
	s_branch .LBB195_19
.LBB195_28:                             ;   in Loop: Header=BB195_12 Depth=1
	s_mov_b64 s[8:9], -1
	s_mov_b64 s[2:3], 0
.LBB195_29:                             ;   in Loop: Header=BB195_12 Depth=1
	s_and_b64 vcc, exec, s[8:9]
	s_cbranch_vccz .LBB195_40
.LBB195_30:                             ;   in Loop: Header=BB195_12 Depth=1
	s_waitcnt vmcnt(0)
	v_mov_b32_e32 v4, 0
	s_mov_b64 s[2:3], exec
	v_readlane_b32 s4, v48, 28
	v_readlane_b32 s5, v48, 29
	s_and_b64 s[4:5], s[2:3], s[4:5]
	s_mov_b64 exec, s[4:5]
	s_cbranch_execz .LBB195_32
; %bb.31:                               ;   in Loop: Header=BB195_12 Depth=1
	global_load_dword v4, v[12:13], off
.LBB195_32:                             ;   in Loop: Header=BB195_12 Depth=1
	s_or_b64 exec, exec, s[2:3]
	s_mov_b64 s[2:3], exec
	v_readlane_b32 s4, v48, 28
	v_readlane_b32 s5, v48, 29
	s_and_b64 s[4:5], s[2:3], s[4:5]
	s_mov_b64 exec, s[4:5]
	s_cbranch_execz .LBB195_37
; %bb.33:                               ;   in Loop: Header=BB195_12 Depth=1
	v_readlane_b32 s4, v48, 37
	v_readlane_b32 s5, v48, 38
	v_mov_b32_e32 v5, v16
	s_nop 3
	global_load_ushort v2, v15, s[4:5]
	s_mov_b64 s[4:5], 0
	s_waitcnt vmcnt(0)
	v_and_b32_e32 v6, 0xffff, v2
	v_lshlrev_b32_e32 v7, 2, v6
	v_pk_mov_b32 v[2:3], v[0:1], v[0:1] op_sel:[0,1]
	s_branch .LBB195_35
.LBB195_34:                             ;   in Loop: Header=BB195_35 Depth=2
	s_or_b64 exec, exec, s[8:9]
	s_and_b64 s[6:7], exec, vcc
	s_or_b64 s[4:5], s[6:7], s[4:5]
	ds_write_b32 v5, v4
	v_add_u32_e32 v5, v5, v7
	s_waitcnt vmcnt(0)
	v_mov_b32_e32 v4, v8
	s_andn2_b64 exec, exec, s[4:5]
	s_cbranch_execz .LBB195_37
.LBB195_35:                             ;   Parent Loop BB195_12 Depth=1
                                        ; =>  This Inner Loop Header: Depth=2
	v_add_co_u32_e32 v2, vcc, v2, v6
	v_addc_co_u32_e32 v3, vcc, 0, v3, vcc
	v_cmp_gt_u64_e64 s[6:7], s[60:61], v[2:3]
	v_cmp_le_u64_e32 vcc, s[60:61], v[2:3]
	v_mov_b32_e32 v8, 0
	s_and_saveexec_b64 s[8:9], s[6:7]
	s_cbranch_execz .LBB195_34
; %bb.36:                               ;   in Loop: Header=BB195_35 Depth=2
	v_mul_lo_u32 v14, v3, s58
	v_mul_lo_u32 v19, v2, s59
	v_mad_u64_u32 v[8:9], s[6:7], v2, s58, 0
	v_add3_u32 v9, v9, v19, v14
	v_lshlrev_b64 v[8:9], 2, v[8:9]
	v_mov_b32_e32 v14, s86
	v_add_co_u32_e64 v8, s[6:7], s33, v8
	v_addc_co_u32_e64 v9, s[6:7], v14, v9, s[6:7]
	global_load_dword v8, v[8:9], off
	s_branch .LBB195_34
.LBB195_37:                             ;   in Loop: Header=BB195_12 Depth=1
	s_or_b64 exec, exec, s[2:3]
	s_waitcnt lgkmcnt(0)
	s_barrier
	s_mov_b64 s[2:3], exec
	v_readlane_b32 s4, v48, 12
	v_readlane_b32 s5, v48, 13
	s_and_b64 s[4:5], s[2:3], s[4:5]
	s_mov_b64 exec, s[4:5]
	s_cbranch_execz .LBB195_39
; %bb.38:                               ;   in Loop: Header=BB195_12 Depth=1
	v_pk_mov_b32 v[2:3], s[60:61], s[60:61] op_sel:[0,1]
	ds_write_b64 v15, v[2:3] offset:5120
.LBB195_39:                             ;   in Loop: Header=BB195_12 Depth=1
	s_or_b64 exec, exec, s[2:3]
	s_mov_b64 s[2:3], -1
	s_waitcnt lgkmcnt(0)
	s_barrier
                                        ; implicit-def: $sgpr8_sgpr9
.LBB195_40:                             ;   in Loop: Header=BB195_12 Depth=1
	s_and_b64 vcc, exec, s[2:3]
	s_cbranch_vccz .LBB195_42
; %bb.41:                               ;   in Loop: Header=BB195_12 Depth=1
	ds_read_b64 v[2:3], v15 offset:5120
	s_waitcnt lgkmcnt(0)
	v_readfirstlane_b32 s8, v2
.LBB195_42:                             ;   in Loop: Header=BB195_12 Depth=1
	s_cmp_lt_i32 s8, 1
	s_cbranch_scc0 .LBB195_57
; %bb.43:                               ;   in Loop: Header=BB195_12 Depth=1
	v_readlane_b32 s2, v48, 37
	v_readlane_b32 s3, v48, 38
	s_nop 4
	global_load_ushort v19, v15, s[2:3]
	s_mov_b32 s2, s85
	s_waitcnt vmcnt(0)
	v_readfirstlane_b32 s3, v19
	s_and_b32 s3, 0xffff, s3
	s_lshl_b32 s9, s3, 2
	s_mov_b32 s3, s61
	s_cmp_lg_u64 s[2:3], 0
	s_cbranch_scc0 .LBB195_77
; %bb.44:                               ;   in Loop: Header=BB195_12 Depth=1
	v_cvt_f32_u32_e32 v2, s9
	s_sub_u32 s2, 0, s9
	s_subb_u32 s3, 0, 0
	v_mac_f32_e32 v2, 0, v36
	v_rcp_f32_e32 v2, v2
	v_mul_f32_e32 v2, 0x5f7ffffc, v2
	v_mul_f32_e32 v3, 0x2f800000, v2
	v_trunc_f32_e32 v3, v3
	v_mac_f32_e32 v2, 0xcf800000, v3
	v_cvt_u32_f32_e32 v3, v3
	v_cvt_u32_f32_e32 v2, v2
	v_readfirstlane_b32 s4, v3
	v_readfirstlane_b32 s5, v2
	s_mul_i32 s6, s2, s4
	s_mul_hi_u32 s10, s2, s5
	s_mul_i32 s7, s3, s5
	s_add_i32 s6, s10, s6
	s_mul_i32 s11, s2, s5
	s_add_i32 s6, s6, s7
	s_mul_hi_u32 s10, s5, s11
	s_mul_hi_u32 s7, s5, s6
	s_mul_i32 s5, s5, s6
	s_add_u32 s5, s10, s5
	s_addc_u32 s7, 0, s7
	s_mul_hi_u32 s12, s4, s11
	s_mul_i32 s11, s4, s11
	s_add_u32 s5, s5, s11
	s_mul_hi_u32 s10, s4, s6
	s_addc_u32 s5, s7, s12
	s_addc_u32 s7, s10, 0
	s_mul_i32 s6, s4, s6
	s_add_u32 s5, s5, s6
	s_addc_u32 s6, 0, s7
	v_add_co_u32_e32 v2, vcc, s5, v2
	s_cmp_lg_u64 vcc, 0
	s_addc_u32 s4, s4, s6
	v_readfirstlane_b32 s6, v2
	s_mul_i32 s5, s2, s4
	s_mul_hi_u32 s7, s2, s6
	s_add_i32 s5, s7, s5
	s_mul_i32 s3, s3, s6
	s_add_i32 s5, s5, s3
	s_mul_i32 s2, s2, s6
	s_mul_hi_u32 s7, s4, s2
	s_mul_i32 s10, s4, s2
	s_mul_i32 s12, s6, s5
	s_mul_hi_u32 s2, s6, s2
	s_mul_hi_u32 s11, s6, s5
	s_add_u32 s2, s2, s12
	s_addc_u32 s6, 0, s11
	s_add_u32 s2, s2, s10
	s_mul_hi_u32 s3, s4, s5
	s_addc_u32 s2, s6, s7
	s_addc_u32 s3, s3, 0
	s_mul_i32 s5, s4, s5
	s_add_u32 s2, s2, s5
	s_addc_u32 s3, 0, s3
	v_add_co_u32_e32 v2, vcc, s2, v2
	s_cmp_lg_u64 vcc, 0
	s_addc_u32 s2, s4, s3
	v_readfirstlane_b32 s5, v2
	s_mul_i32 s4, s60, s2
	s_mul_hi_u32 s6, s60, s5
	s_mul_hi_u32 s3, s60, s2
	s_add_u32 s4, s6, s4
	s_addc_u32 s3, 0, s3
	s_mul_hi_u32 s7, s61, s5
	s_mul_i32 s5, s61, s5
	s_add_u32 s4, s4, s5
	s_mul_hi_u32 s6, s61, s2
	s_addc_u32 s3, s3, s7
	s_addc_u32 s4, s6, 0
	s_mul_i32 s2, s61, s2
	s_add_u32 s2, s3, s2
	s_addc_u32 s3, 0, s4
	s_mul_hi_u32 s4, s9, s2
	s_mul_i32 s2, s9, s2
	s_mul_i32 s3, s9, s3
	v_mov_b32_e32 v2, s2
	s_add_i32 s4, s4, s3
	v_sub_co_u32_e32 v2, vcc, s60, v2
	s_cmp_lg_u64 vcc, 0
	s_subb_u32 s2, s61, s4
	v_subrev_co_u32_e32 v3, vcc, s9, v2
	s_cmp_lg_u64 vcc, 0
	s_subb_u32 s3, s2, 0
	v_subrev_co_u32_e32 v4, vcc, s9, v3
	s_cmp_lg_u64 vcc, 0
	s_subb_u32 s4, s3, 0
	v_cmp_le_u32_e32 vcc, s9, v3
	s_cmp_eq_u32 s3, 0
	v_cndmask_b32_e64 v5, 0, -1, vcc
	s_cselect_b64 vcc, -1, 0
	v_cndmask_b32_e32 v5, -1, v5, vcc
	v_mov_b32_e32 v6, s3
	v_mov_b32_e32 v7, s4
	v_cmp_ne_u32_e32 vcc, 0, v5
	v_cndmask_b32_e32 v5, v6, v7, vcc
	v_cndmask_b32_e32 v4, v3, v4, vcc
	v_cmp_le_u32_e32 vcc, s9, v2
	s_cmp_eq_u32 s2, 0
	v_cndmask_b32_e64 v3, 0, -1, vcc
	s_cselect_b64 vcc, -1, 0
	v_cndmask_b32_e32 v3, -1, v3, vcc
	v_mov_b32_e32 v6, s2
	v_cmp_ne_u32_e32 vcc, 0, v3
	v_cndmask_b32_e32 v3, v6, v5, vcc
	v_cndmask_b32_e32 v2, v2, v4, vcc
	s_cbranch_execnz .LBB195_46
.LBB195_45:                             ;   in Loop: Header=BB195_12 Depth=1
	v_cvt_f32_u32_e32 v2, s9
	s_sub_i32 s2, 0, s9
	v_rcp_iflag_f32_e32 v2, v2
	v_mul_f32_e32 v2, 0x4f7ffffe, v2
	v_cvt_u32_f32_e32 v2, v2
	v_mul_lo_u32 v3, s2, v2
	v_mul_hi_u32 v3, v2, v3
	v_add_u32_e32 v2, v2, v3
	v_mul_hi_u32 v2, s60, v2
	v_mul_lo_u32 v2, v2, s9
	v_sub_u32_e32 v2, s60, v2
	v_subrev_u32_e32 v3, s9, v2
	v_cmp_le_u32_e32 vcc, s9, v2
	v_cndmask_b32_e32 v2, v2, v3, vcc
	v_subrev_u32_e32 v3, s9, v2
	v_cmp_le_u32_e32 vcc, s9, v2
	v_cndmask_b32_e32 v14, v2, v3, vcc
	v_pk_mov_b32 v[2:3], v[14:15], v[14:15] op_sel:[0,1]
.LBB195_46:                             ;   in Loop: Header=BB195_12 Depth=1
	v_mov_b32_e32 v4, s61
	v_sub_co_u32_e32 v24, vcc, s60, v2
	v_subb_co_u32_e32 v25, vcc, v4, v3, vcc
	v_pk_mov_b32 v[2:3], 0, 0
	v_cmp_gt_u64_e32 vcc, v[24:25], v[16:17]
	s_mov_b64 s[54:55], 0
	v_pk_mov_b32 v[4:5], v[2:3], v[2:3] op_sel:[0,1]
	v_pk_mov_b32 v[6:7], v[2:3], v[2:3] op_sel:[0,1]
	;; [unrolled: 1-line block ×3, first 2 shown]
	s_and_saveexec_b64 s[10:11], vcc
	s_cbranch_execz .LBB195_50
; %bb.47:                               ;   in Loop: Header=BB195_12 Depth=1
	s_and_b32 s84, s89, 0xfe
	s_mov_b64 s[56:57], 0
	s_mov_b64 s[90:91], 0
	;; [unrolled: 1-line block ×4, first 2 shown]
	v_pk_mov_b32 v[26:27], v[16:17], v[16:17] op_sel:[0,1]
.LBB195_48:                             ;   Parent Loop BB195_12 Depth=1
                                        ; =>  This Inner Loop Header: Depth=2
	v_mul_lo_u32 v4, v27, s58
	v_mul_lo_u32 v5, v26, s59
	v_mad_u64_u32 v[2:3], s[4:5], v26, s58, 0
	v_add3_u32 v3, v3, v5, v4
	v_lshlrev_b64 v[2:3], 2, v[2:3]
	v_mov_b32_e32 v6, s86
	v_add_co_u32_e64 v2, s[6:7], s33, v2
	s_lshl_b64 s[4:5], s[58:59], 2
	v_addc_co_u32_e64 v3, s[6:7], v6, v3, s[6:7]
	v_mov_b32_e32 v4, s5
	global_load_dword v5, v[2:3], off
	v_add_co_u32_e64 v2, s[6:7], s4, v2
	v_addc_co_u32_e64 v3, s[6:7], v3, v4, s[6:7]
	global_load_dword v6, v[2:3], off
	v_add_co_u32_e64 v2, s[6:7], s4, v2
	v_addc_co_u32_e64 v3, s[6:7], v3, v4, s[6:7]
	;; [unrolled: 3-line block ×3, first 2 shown]
	global_load_dword v2, v[2:3], off
	v_add_co_u32_e32 v26, vcc, s9, v26
	v_addc_co_u32_e32 v27, vcc, 0, v27, vcc
	v_cmp_ge_u64_e32 vcc, v[26:27], v[24:25]
	s_waitcnt vmcnt(3)
	v_cmp_lt_i32_e64 s[6:7], -1, v5
	v_cndmask_b32_e64 v3, -1, v35, s[6:7]
	v_xor_b32_e32 v3, v3, v5
	s_waitcnt vmcnt(2)
	v_cmp_lt_i32_e64 s[6:7], -1, v6
	v_cndmask_b32_e64 v4, -1, v35, s[6:7]
	v_cmp_o_f32_e64 s[6:7], v5, v5
	v_cndmask_b32_e64 v3, -1, v3, s[6:7]
	v_xor_b32_e32 v4, v4, v6
	s_waitcnt vmcnt(1)
	v_cmp_lt_i32_e64 s[6:7], -1, v7
	v_cndmask_b32_e64 v5, -1, v35, s[6:7]
	v_cmp_o_f32_e64 s[6:7], v6, v6
	v_cndmask_b32_e64 v4, -1, v4, s[6:7]
	v_xor_b32_e32 v5, v5, v7
	s_waitcnt vmcnt(0)
	v_cmp_lt_i32_e64 s[6:7], -1, v2
	v_cndmask_b32_e64 v6, -1, v35, s[6:7]
	v_and_b32_e32 v8, v3, v37
	v_bfe_u32 v3, v3, s84, 2
	v_cmp_o_f32_e64 s[6:7], v7, v7
	v_cndmask_b32_e64 v5, -1, v5, s[6:7]
	v_xor_b32_e32 v6, v6, v2
	v_cmp_eq_u32_e64 s[14:15], v8, v38
	v_and_b32_e32 v7, v4, v37
	v_bfe_u32 v4, v4, s84, 2
	v_cmp_eq_u32_e64 s[6:7], 0, v3
	v_cmp_o_f32_e64 s[16:17], v2, v2
	v_cmp_eq_u32_e64 s[34:35], 1, v3
	v_cmp_eq_u32_e64 s[36:37], 2, v3
	v_cmp_eq_u32_e64 s[18:19], 3, v3
	v_cndmask_b32_e64 v2, -1, v6, s[16:17]
	v_cmp_eq_u32_e64 s[16:17], v7, v38
	v_and_b32_e32 v3, v5, v37
	v_bfe_u32 v5, v5, s84, 2
	v_cmp_eq_u32_e64 s[26:27], 0, v4
	s_and_b64 s[4:5], s[14:15], s[6:7]
	v_cmp_eq_u32_e64 s[38:39], 1, v4
	v_cmp_eq_u32_e64 s[40:41], 2, v4
	;; [unrolled: 1-line block ×3, first 2 shown]
	v_cndmask_b32_e64 v4, 0, 1, s[4:5]
	v_cmp_eq_u32_e64 s[22:23], v3, v38
	v_and_b32_e32 v3, v2, v37
	v_bfe_u32 v2, v2, s84, 2
	v_cmp_eq_u32_e64 s[6:7], 0, v5
	s_and_b64 s[4:5], s[16:17], s[26:27]
	v_cmp_ne_u32_e64 s[46:47], 0, v4
	v_cndmask_b32_e64 v4, 0, 1, s[4:5]
	v_cmp_eq_u32_e64 s[26:27], v3, v38
	v_cmp_eq_u32_e64 s[48:49], 0, v2
	s_and_b64 s[4:5], s[22:23], s[6:7]
	v_cmp_eq_u32_e64 s[50:51], 1, v2
	v_cmp_eq_u32_e64 s[52:53], 2, v2
	;; [unrolled: 1-line block ×3, first 2 shown]
	v_cndmask_b32_e64 v2, 0, 1, s[4:5]
	s_and_b64 s[4:5], s[26:27], s[48:49]
	v_cmp_ne_u32_e64 s[6:7], 0, v2
	v_cndmask_b32_e64 v2, 0, 1, s[4:5]
	s_bcnt1_i32_b64 s92, s[46:47]
	v_cmp_ne_u32_e64 s[46:47], 0, v4
	s_bcnt1_i32_b64 s4, s[6:7]
	v_cmp_ne_u32_e64 s[6:7], 0, v2
	s_bcnt1_i32_b64 s46, s[46:47]
	s_bcnt1_i32_b64 s5, s[6:7]
	s_add_u32 s6, s92, s12
	s_addc_u32 s7, 0, s13
	s_add_u32 s6, s6, s46
	s_addc_u32 s7, s7, 0
	;; [unrolled: 2-line block ×4, first 2 shown]
	s_and_b64 s[4:5], s[14:15], s[34:35]
	v_cmp_eq_u32_e64 s[42:43], 1, v5
	v_cndmask_b32_e64 v4, 0, 1, s[4:5]
	s_and_b64 s[4:5], s[16:17], s[38:39]
	v_cmp_eq_u32_e64 s[44:45], 2, v5
	v_cmp_eq_u32_e64 s[24:25], 3, v5
	v_cndmask_b32_e64 v5, 0, 1, s[4:5]
	s_and_b64 s[4:5], s[22:23], s[42:43]
	v_cndmask_b32_e64 v6, 0, 1, s[4:5]
	s_and_b64 s[4:5], s[26:27], s[50:51]
	v_cndmask_b32_e64 v7, 0, 1, s[4:5]
	v_cmp_ne_u32_e64 s[6:7], 0, v4
	v_cmp_ne_u32_e64 s[34:35], 0, v5
	v_cmp_ne_u32_e64 s[38:39], 0, v6
	v_cmp_ne_u32_e64 s[42:43], 0, v7
	s_bcnt1_i32_b64 s4, s[6:7]
	s_bcnt1_i32_b64 s5, s[34:35]
	;; [unrolled: 1-line block ×4, first 2 shown]
	s_add_u32 s2, s4, s2
	s_addc_u32 s3, 0, s3
	s_add_u32 s2, s2, s5
	s_addc_u32 s3, s3, 0
	;; [unrolled: 2-line block ×4, first 2 shown]
	s_and_b64 s[4:5], s[14:15], s[36:37]
	v_cndmask_b32_e64 v6, 0, 1, s[4:5]
	s_and_b64 s[4:5], s[16:17], s[40:41]
	v_cndmask_b32_e64 v7, 0, 1, s[4:5]
	;; [unrolled: 2-line block ×4, first 2 shown]
	v_cmp_ne_u32_e64 s[6:7], 0, v6
	v_cmp_ne_u32_e64 s[34:35], 0, v7
	;; [unrolled: 1-line block ×4, first 2 shown]
	s_bcnt1_i32_b64 s4, s[6:7]
	s_bcnt1_i32_b64 s5, s[34:35]
	;; [unrolled: 1-line block ×4, first 2 shown]
	s_add_u32 s4, s4, s90
	s_addc_u32 s34, 0, s91
	s_add_u32 s4, s4, s5
	s_addc_u32 s5, s34, 0
	;; [unrolled: 2-line block ×4, first 2 shown]
	s_and_b64 s[4:5], s[14:15], s[18:19]
	v_cndmask_b32_e64 v8, 0, 1, s[4:5]
	s_and_b64 s[4:5], s[16:17], s[20:21]
	v_cndmask_b32_e64 v9, 0, 1, s[4:5]
	;; [unrolled: 2-line block ×4, first 2 shown]
	v_cmp_ne_u32_e64 s[6:7], 0, v8
	v_cmp_ne_u32_e64 s[14:15], 0, v9
	;; [unrolled: 1-line block ×4, first 2 shown]
	s_bcnt1_i32_b64 s4, s[6:7]
	s_bcnt1_i32_b64 s5, s[14:15]
	;; [unrolled: 1-line block ×4, first 2 shown]
	s_add_u32 s4, s4, s56
	s_addc_u32 s14, 0, s57
	s_add_u32 s4, s4, s5
	s_addc_u32 s5, s14, 0
	s_add_u32 s4, s4, s6
	s_addc_u32 s5, s5, 0
	s_add_u32 s56, s4, s7
	s_addc_u32 s57, s5, 0
	v_pk_mov_b32 v[2:3], s[12:13], s[12:13] op_sel:[0,1]
	v_pk_mov_b32 v[4:5], s[2:3], s[2:3] op_sel:[0,1]
	;; [unrolled: 1-line block ×3, first 2 shown]
	s_or_b64 s[54:55], vcc, s[54:55]
	v_pk_mov_b32 v[8:9], s[56:57], s[56:57] op_sel:[0,1]
	s_andn2_b64 exec, exec, s[54:55]
	s_cbranch_execnz .LBB195_48
; %bb.49:                               ;   in Loop: Header=BB195_12 Depth=1
	s_or_b64 exec, exec, s[54:55]
.LBB195_50:                             ;   in Loop: Header=BB195_12 Depth=1
	s_or_b64 exec, exec, s[10:11]
	v_add_co_u32_e32 v24, vcc, v24, v0
	v_addc_co_u32_e32 v25, vcc, 0, v25, vcc
	v_cmp_gt_u64_e32 vcc, s[60:61], v[24:25]
	v_mov_b32_e32 v14, 0
	s_and_saveexec_b64 s[2:3], vcc
	s_cbranch_execz .LBB195_52
; %bb.51:                               ;   in Loop: Header=BB195_12 Depth=1
	v_mul_lo_u32 v14, v25, s58
	v_mul_lo_u32 v20, v24, s59
	v_mad_u64_u32 v[26:27], s[4:5], v24, s58, 0
	v_add3_u32 v27, v27, v20, v14
	v_lshlrev_b64 v[26:27], 2, v[26:27]
	v_mov_b32_e32 v14, s86
	v_add_co_u32_e64 v26, s[6:7], s33, v26
	v_addc_co_u32_e64 v27, s[6:7], v14, v27, s[6:7]
	global_load_dword v14, v[26:27], off
.LBB195_52:                             ;   in Loop: Header=BB195_12 Depth=1
	s_or_b64 exec, exec, s[2:3]
	s_and_saveexec_b64 s[2:3], vcc
	s_cbranch_execz .LBB195_59
; %bb.53:                               ;   in Loop: Header=BB195_12 Depth=1
	s_and_b32 s9, s89, 0xfe
	s_mov_b64 s[4:5], 0
	s_branch .LBB195_55
.LBB195_54:                             ;   in Loop: Header=BB195_55 Depth=2
	s_or_b64 exec, exec, s[10:11]
	s_and_b64 s[6:7], exec, vcc
	s_waitcnt vmcnt(0)
	v_cmp_lt_i32_e32 vcc, -1, v14
	v_cndmask_b32_e32 v26, -1, v35, vcc
	v_xor_b32_e32 v26, v26, v14
	v_cmp_o_f32_e32 vcc, v14, v14
	v_cndmask_b32_e32 v14, -1, v26, vcc
	v_and_b32_e32 v26, v14, v37
	v_bfe_u32 v14, v14, s9, 2
	s_or_b64 s[4:5], s[6:7], s[4:5]
	v_cmp_eq_u32_e32 vcc, v26, v38
	v_cmp_eq_u32_e64 s[6:7], 0, v14
	s_and_b64 s[6:7], vcc, s[6:7]
	v_cndmask_b32_e64 v26, 0, 1, s[6:7]
	v_cmp_ne_u32_e64 s[6:7], 0, v26
	s_bcnt1_i32_b64 s6, s[6:7]
	v_add_co_u32_e64 v2, s[6:7], s6, v2
	v_addc_co_u32_e64 v3, s[6:7], 0, v3, s[6:7]
	v_cmp_eq_u32_e64 s[6:7], 1, v14
	s_and_b64 s[6:7], vcc, s[6:7]
	v_cndmask_b32_e64 v26, 0, 1, s[6:7]
	v_cmp_ne_u32_e64 s[6:7], 0, v26
	s_bcnt1_i32_b64 s6, s[6:7]
	v_add_co_u32_e64 v4, s[6:7], s6, v4
	v_addc_co_u32_e64 v5, s[6:7], 0, v5, s[6:7]
	;; [unrolled: 7-line block ×3, first 2 shown]
	v_cmp_eq_u32_e64 s[6:7], 3, v14
	s_and_b64 s[6:7], vcc, s[6:7]
	v_cndmask_b32_e64 v14, 0, 1, s[6:7]
	v_cmp_ne_u32_e32 vcc, 0, v14
	s_bcnt1_i32_b64 s6, vcc
	v_add_co_u32_e32 v8, vcc, s6, v8
	v_addc_co_u32_e32 v9, vcc, 0, v9, vcc
	v_mov_b32_e32 v14, v20
	s_andn2_b64 exec, exec, s[4:5]
	s_cbranch_execz .LBB195_58
.LBB195_55:                             ;   Parent Loop BB195_12 Depth=1
                                        ; =>  This Inner Loop Header: Depth=2
	v_add_co_u32_sdwa v24, vcc, v24, v19 dst_sel:DWORD dst_unused:UNUSED_PAD src0_sel:DWORD src1_sel:WORD_0
	v_addc_co_u32_e32 v25, vcc, 0, v25, vcc
	v_cmp_gt_u64_e64 s[6:7], s[60:61], v[24:25]
	v_cmp_le_u64_e32 vcc, s[60:61], v[24:25]
	v_mov_b32_e32 v20, 0
	s_and_saveexec_b64 s[10:11], s[6:7]
	s_cbranch_execz .LBB195_54
; %bb.56:                               ;   in Loop: Header=BB195_55 Depth=2
	v_mul_lo_u32 v20, v25, s58
	v_mul_lo_u32 v39, v24, s59
	v_mad_u64_u32 v[26:27], s[6:7], v24, s58, 0
	v_add3_u32 v27, v27, v39, v20
	v_lshlrev_b64 v[26:27], 2, v[26:27]
	v_mov_b32_e32 v20, s86
	v_add_co_u32_e64 v26, s[6:7], s33, v26
	v_addc_co_u32_e64 v27, s[6:7], v20, v27, s[6:7]
	global_load_dword v20, v[26:27], off
	s_branch .LBB195_54
.LBB195_57:                             ;   in Loop: Header=BB195_12 Depth=1
                                        ; implicit-def: $vgpr8_vgpr9
                                        ; implicit-def: $vgpr4_vgpr5
	s_cbranch_execnz .LBB195_60
	s_branch .LBB195_69
.LBB195_58:                             ;   in Loop: Header=BB195_12 Depth=1
	s_or_b64 exec, exec, s[4:5]
.LBB195_59:                             ;   in Loop: Header=BB195_12 Depth=1
	s_or_b64 exec, exec, s[2:3]
	s_branch .LBB195_69
.LBB195_60:                             ;   in Loop: Header=BB195_12 Depth=1
	v_readlane_b32 s2, v48, 37
	v_readlane_b32 s3, v48, 38
	s_nop 4
	global_load_ushort v8, v15, s[2:3]
	s_waitcnt vmcnt(0)
	v_readfirstlane_b32 s2, v8
	s_and_b32 s2, 0xffff, s2
	s_lshl_b32 s9, s2, 2
	v_cvt_f32_u32_e32 v2, s9
	s_sub_i32 s4, 0, s9
	s_mov_b64 s[2:3], 0
	v_and_b32_e32 v19, 0xffff, v8
	v_rcp_iflag_f32_e32 v6, v2
	v_pk_mov_b32 v[2:3], 0, 0
	v_pk_mov_b32 v[4:5], v[2:3], v[2:3] op_sel:[0,1]
	v_mul_f32_e32 v6, 0x4f7ffffe, v6
	v_cvt_u32_f32_e32 v9, v6
	v_pk_mov_b32 v[6:7], v[2:3], v[2:3] op_sel:[0,1]
	v_readfirstlane_b32 s5, v9
	s_mul_i32 s4, s4, s5
	s_mul_hi_u32 s4, s5, s4
	s_add_i32 s5, s5, s4
	s_mul_hi_u32 s4, s8, s5
	s_mul_i32 s4, s4, s9
	s_sub_i32 s4, s8, s4
	s_sub_i32 s5, s4, s9
	s_cmp_ge_u32 s4, s9
	s_cselect_b32 s4, s5, s4
	s_sub_i32 s5, s4, s9
	s_cmp_ge_u32 s4, s9
	s_cselect_b32 s4, s5, s4
	s_sub_i32 s84, s8, s4
	v_cmp_gt_u32_e32 vcc, s84, v16
	v_pk_mov_b32 v[8:9], v[2:3], v[2:3] op_sel:[0,1]
	s_and_saveexec_b64 s[10:11], vcc
	s_cbranch_execz .LBB195_64
; %bb.61:                               ;   in Loop: Header=BB195_12 Depth=1
	s_and_b32 s92, s89, 0xfe
	v_lshlrev_b32_e32 v14, 4, v19
	v_mov_b32_e32 v20, v33
	s_mov_b64 s[12:13], 0
	s_mov_b64 s[56:57], 0
	;; [unrolled: 1-line block ×4, first 2 shown]
	v_pk_mov_b32 v[24:25], v[16:17], v[16:17] op_sel:[0,1]
.LBB195_62:                             ;   Parent Loop BB195_12 Depth=1
                                        ; =>  This Inner Loop Header: Depth=2
	ds_read_b128 v[2:5], v20
	v_add_co_u32_e32 v24, vcc, s9, v24
	v_addc_co_u32_e32 v25, vcc, 0, v25, vcc
	s_waitcnt lgkmcnt(0)
	v_cmp_lt_i32_e64 s[6:7], -1, v2
	v_cndmask_b32_e64 v6, -1, v35, s[6:7]
	v_cmp_lt_i32_e64 s[6:7], -1, v3
	v_cndmask_b32_e64 v7, -1, v35, s[6:7]
	;; [unrolled: 2-line block ×4, first 2 shown]
	v_xor_b32_e32 v7, v7, v3
	v_cmp_o_f32_e64 s[6:7], v3, v3
	v_xor_b32_e32 v3, v8, v4
	v_cmp_o_f32_e64 s[14:15], v4, v4
	v_xor_b32_e32 v4, v9, v5
	v_cmp_o_f32_e64 s[16:17], v5, v5
	v_xor_b32_e32 v5, v6, v2
	v_cmp_o_f32_e64 s[18:19], v2, v2
	v_cndmask_b32_e64 v2, -1, v5, s[18:19]
	v_cndmask_b32_e64 v5, -1, v7, s[6:7]
	v_and_b32_e32 v6, v2, v37
	v_bfe_u32 v2, v2, s92, 2
	v_cndmask_b32_e64 v3, -1, v3, s[14:15]
	v_and_b32_e32 v7, v5, v37
	v_bfe_u32 v5, v5, s92, 2
	v_cmp_eq_u32_e64 s[20:21], v6, v38
	v_cmp_eq_u32_e64 s[6:7], 0, v2
	v_cndmask_b32_e64 v4, -1, v4, s[16:17]
	v_and_b32_e32 v8, v3, v37
	v_bfe_u32 v3, v3, s92, 2
	v_cmp_eq_u32_e64 s[18:19], v7, v38
	v_cmp_eq_u32_e64 s[34:35], 0, v5
	s_and_b64 s[6:7], s[20:21], s[6:7]
	v_and_b32_e32 v9, v4, v37
	v_bfe_u32 v4, v4, s92, 2
	v_cmp_eq_u32_e64 s[16:17], v8, v38
	v_cmp_eq_u32_e64 s[36:37], 0, v3
	;; [unrolled: 1-line block ×5, first 2 shown]
	v_cndmask_b32_e64 v2, 0, 1, s[6:7]
	s_and_b64 s[6:7], s[18:19], s[34:35]
	v_cmp_eq_u32_e64 s[14:15], v9, v38
	v_cmp_eq_u32_e64 s[38:39], 0, v4
	;; [unrolled: 1-line block ×5, first 2 shown]
	v_cndmask_b32_e64 v3, 0, 1, s[6:7]
	s_and_b64 s[6:7], s[16:17], s[36:37]
	v_cmp_eq_u32_e64 s[46:47], 1, v4
	v_cmp_eq_u32_e64 s[54:55], 2, v4
	;; [unrolled: 1-line block ×3, first 2 shown]
	v_cndmask_b32_e64 v4, 0, 1, s[6:7]
	s_and_b64 s[6:7], s[14:15], s[38:39]
	v_cmp_eq_u32_e64 s[42:43], 1, v5
	v_cmp_eq_u32_e64 s[50:51], 2, v5
	;; [unrolled: 1-line block ×3, first 2 shown]
	v_cndmask_b32_e64 v5, 0, 1, s[6:7]
	v_cmp_ne_u32_e64 s[6:7], 0, v2
	v_cmp_ne_u32_e64 s[34:35], 0, v3
	v_cmp_ne_u32_e64 s[36:37], 0, v4
	v_cmp_ne_u32_e64 s[38:39], 0, v5
	s_bcnt1_i32_b64 s6, s[6:7]
	s_bcnt1_i32_b64 s7, s[34:35]
	s_bcnt1_i32_b64 s34, s[36:37]
	s_bcnt1_i32_b64 s35, s[38:39]
	s_add_u32 s4, s6, s4
	s_addc_u32 s5, 0, s5
	s_add_u32 s4, s4, s7
	s_addc_u32 s5, s5, 0
	s_add_u32 s4, s4, s34
	s_addc_u32 s5, s5, 0
	s_add_u32 s4, s4, s35
	s_addc_u32 s5, s5, 0
	s_and_b64 s[6:7], s[20:21], s[40:41]
	v_cndmask_b32_e64 v4, 0, 1, s[6:7]
	s_and_b64 s[6:7], s[18:19], s[42:43]
	v_cndmask_b32_e64 v5, 0, 1, s[6:7]
	s_and_b64 s[6:7], s[16:17], s[44:45]
	v_cndmask_b32_e64 v6, 0, 1, s[6:7]
	s_and_b64 s[6:7], s[14:15], s[46:47]
	v_cndmask_b32_e64 v7, 0, 1, s[6:7]
	v_cmp_ne_u32_e64 s[6:7], 0, v4
	v_cmp_ne_u32_e64 s[34:35], 0, v5
	v_cmp_ne_u32_e64 s[36:37], 0, v6
	v_cmp_ne_u32_e64 s[38:39], 0, v7
	s_bcnt1_i32_b64 s6, s[6:7]
	s_bcnt1_i32_b64 s7, s[34:35]
	s_bcnt1_i32_b64 s34, s[36:37]
	s_bcnt1_i32_b64 s35, s[38:39]
	s_add_u32 s6, s6, s90
	s_addc_u32 s36, 0, s91
	s_add_u32 s6, s6, s7
	s_addc_u32 s7, s36, 0
	s_add_u32 s6, s6, s34
	s_addc_u32 s7, s7, 0
	s_add_u32 s90, s6, s35
	s_addc_u32 s91, s7, 0
	s_and_b64 s[6:7], s[20:21], s[48:49]
	v_cndmask_b32_e64 v6, 0, 1, s[6:7]
	s_and_b64 s[6:7], s[18:19], s[50:51]
	v_cndmask_b32_e64 v7, 0, 1, s[6:7]
	s_and_b64 s[6:7], s[16:17], s[52:53]
	v_cndmask_b32_e64 v8, 0, 1, s[6:7]
	s_and_b64 s[6:7], s[14:15], s[54:55]
	v_cndmask_b32_e64 v9, 0, 1, s[6:7]
	v_cmp_ne_u32_e64 s[6:7], 0, v6
	v_cmp_ne_u32_e64 s[34:35], 0, v7
	v_cmp_ne_u32_e64 s[36:37], 0, v8
	v_cmp_ne_u32_e64 s[38:39], 0, v9
	s_bcnt1_i32_b64 s6, s[6:7]
	s_bcnt1_i32_b64 s7, s[34:35]
	s_bcnt1_i32_b64 s34, s[36:37]
	s_bcnt1_i32_b64 s35, s[38:39]
	s_add_u32 s6, s6, s56
	s_addc_u32 s36, 0, s57
	s_add_u32 s6, s6, s7
	s_addc_u32 s7, s36, 0
	s_add_u32 s6, s6, s34
	s_addc_u32 s7, s7, 0
	s_add_u32 s56, s6, s35
	s_addc_u32 s57, s7, 0
	s_and_b64 s[6:7], s[20:21], s[28:29]
	v_cndmask_b32_e64 v8, 0, 1, s[6:7]
	s_and_b64 s[6:7], s[18:19], s[26:27]
	v_cndmask_b32_e64 v9, 0, 1, s[6:7]
	s_and_b64 s[6:7], s[16:17], s[24:25]
	v_cndmask_b32_e64 v26, 0, 1, s[6:7]
	s_and_b64 s[6:7], s[14:15], s[22:23]
	v_cndmask_b32_e64 v27, 0, 1, s[6:7]
	v_cmp_ne_u32_e64 s[6:7], 0, v8
	v_cmp_ne_u32_e64 s[14:15], 0, v9
	;; [unrolled: 1-line block ×4, first 2 shown]
	s_bcnt1_i32_b64 s6, s[6:7]
	s_bcnt1_i32_b64 s7, s[14:15]
	;; [unrolled: 1-line block ×4, first 2 shown]
	s_add_u32 s6, s6, s12
	s_addc_u32 s12, 0, s13
	s_add_u32 s6, s6, s7
	s_addc_u32 s7, s12, 0
	;; [unrolled: 2-line block ×3, first 2 shown]
	s_add_u32 s12, s6, s15
	v_cmp_le_u64_e32 vcc, s[84:85], v[24:25]
	s_addc_u32 s13, s7, 0
	v_add_u32_e32 v20, v20, v14
	v_pk_mov_b32 v[2:3], s[4:5], s[4:5] op_sel:[0,1]
	v_pk_mov_b32 v[4:5], s[90:91], s[90:91] op_sel:[0,1]
	;; [unrolled: 1-line block ×3, first 2 shown]
	s_or_b64 s[2:3], vcc, s[2:3]
	v_pk_mov_b32 v[8:9], s[12:13], s[12:13] op_sel:[0,1]
	s_andn2_b64 exec, exec, s[2:3]
	s_cbranch_execnz .LBB195_62
; %bb.63:                               ;   in Loop: Header=BB195_12 Depth=1
	s_or_b64 exec, exec, s[2:3]
.LBB195_64:                             ;   in Loop: Header=BB195_12 Depth=1
	s_or_b64 exec, exec, s[10:11]
	v_add_u32_e32 v14, s84, v0
	v_cmp_gt_u32_e32 vcc, s8, v14
	s_and_saveexec_b64 s[2:3], vcc
	s_cbranch_execz .LBB195_68
; %bb.65:                               ;   in Loop: Header=BB195_12 Depth=1
	s_and_b32 s84, s8, 0x7fffffff
	s_and_b32 s8, s89, 0xfe
	v_lshlrev_b32_e32 v20, 2, v14
	s_mov_b64 s[4:5], 0
	v_pk_mov_b32 v[24:25], v[14:15], v[14:15] op_sel:[0,1]
.LBB195_66:                             ;   Parent Loop BB195_12 Depth=1
                                        ; =>  This Inner Loop Header: Depth=2
	ds_read_b32 v14, v20
	v_add_co_u32_e32 v24, vcc, v24, v19
	v_addc_co_u32_e32 v25, vcc, 0, v25, vcc
	s_waitcnt lgkmcnt(0)
	v_cmp_lt_i32_e64 s[6:7], -1, v14
	v_cndmask_b32_e64 v26, -1, v35, s[6:7]
	v_xor_b32_e32 v26, v26, v14
	v_cmp_o_f32_e64 s[6:7], v14, v14
	v_cndmask_b32_e64 v14, -1, v26, s[6:7]
	v_and_b32_e32 v26, v14, v37
	v_bfe_u32 v14, v14, s8, 2
	v_cmp_eq_u32_e64 s[6:7], v26, v38
	v_cmp_eq_u32_e64 s[14:15], 0, v14
	;; [unrolled: 1-line block ×3, first 2 shown]
	s_and_b64 s[10:11], s[6:7], s[14:15]
	v_cmp_eq_u32_e64 s[18:19], 2, v14
	v_cmp_eq_u32_e64 s[20:21], 3, v14
	v_cndmask_b32_e64 v14, 0, 1, s[10:11]
	s_and_b64 s[10:11], s[6:7], s[16:17]
	v_cndmask_b32_e64 v26, 0, 1, s[10:11]
	s_and_b64 s[10:11], s[6:7], s[18:19]
	s_and_b64 s[6:7], s[6:7], s[20:21]
	v_cndmask_b32_e64 v27, 0, 1, s[10:11]
	v_cndmask_b32_e64 v39, 0, 1, s[6:7]
	v_cmp_ne_u32_e64 s[6:7], 0, v14
	v_cmp_ne_u32_e64 s[14:15], 0, v26
	;; [unrolled: 1-line block ×4, first 2 shown]
	v_cmp_le_u64_e32 vcc, s[84:85], v[24:25]
	s_bcnt1_i32_b64 s6, s[6:7]
	s_bcnt1_i32_b64 s7, s[14:15]
	s_bcnt1_i32_b64 s10, s[16:17]
	s_bcnt1_i32_b64 s11, s[18:19]
	s_or_b64 s[4:5], vcc, s[4:5]
	v_add_co_u32_e32 v2, vcc, s6, v2
	v_addc_co_u32_e32 v3, vcc, 0, v3, vcc
	v_add_co_u32_e32 v4, vcc, s7, v4
	v_addc_co_u32_e32 v5, vcc, 0, v5, vcc
	v_add_co_u32_e32 v6, vcc, s10, v6
	v_addc_co_u32_e32 v7, vcc, 0, v7, vcc
	v_add_co_u32_e32 v8, vcc, s11, v8
	v_add_u32_e32 v20, s9, v20
	v_addc_co_u32_e32 v9, vcc, 0, v9, vcc
	s_andn2_b64 exec, exec, s[4:5]
	s_cbranch_execnz .LBB195_66
; %bb.67:                               ;   in Loop: Header=BB195_12 Depth=1
	s_or_b64 exec, exec, s[4:5]
.LBB195_68:                             ;   in Loop: Header=BB195_12 Depth=1
	s_or_b64 exec, exec, s[2:3]
.LBB195_69:                             ;   in Loop: Header=BB195_12 Depth=1
	v_readlane_b32 s2, v48, 50
	s_lshl_b32 s4, s2, 6
	s_and_saveexec_b64 s[2:3], s[0:1]
	s_cbranch_execz .LBB195_71
; %bb.70:                               ;   in Loop: Header=BB195_12 Depth=1
	s_waitcnt vmcnt(0)
	v_or_b32_e32 v14, s4, v31
	v_lshlrev_b32_e32 v14, 3, v14
	ds_write_b128 v14, v[2:5] offset:3072
	ds_write_b128 v14, v[6:9] offset:3088
.LBB195_71:                             ;   in Loop: Header=BB195_12 Depth=1
	s_or_b64 exec, exec, s[2:3]
	s_waitcnt lgkmcnt(0)
	s_barrier
	s_mov_b64 s[2:3], exec
	v_readlane_b32 s6, v48, 24
	v_readlane_b32 s7, v48, 25
	s_and_b64 s[6:7], s[2:3], s[6:7]
	s_mov_b64 exec, s[6:7]
	s_cbranch_execz .LBB195_83
; %bb.72:                               ;   in Loop: Header=BB195_12 Depth=1
	v_readlane_b32 s6, v48, 32
	v_readlane_b32 s7, v48, 33
	s_andn2_b64 vcc, exec, s[6:7]
	v_pk_mov_b32 v[2:3], 0, 0
	s_cbranch_vccnz .LBB195_82
; %bb.73:                               ;   in Loop: Header=BB195_12 Depth=1
	v_readlane_b32 s6, v48, 39
	v_readlane_b32 s7, v48, 40
	s_andn2_b64 vcc, exec, s[6:7]
	s_cbranch_vccnz .LBB195_78
; %bb.74:                               ;   in Loop: Header=BB195_12 Depth=1
	v_readlane_b32 s5, v48, 50
	s_waitcnt vmcnt(0)
	v_lshl_add_u32 v4, s5, 9, v34
	s_mov_b32 s5, 0
	v_pk_mov_b32 v[2:3], 0, 0
.LBB195_75:                             ;   Parent Loop BB195_12 Depth=1
                                        ; =>  This Inner Loop Header: Depth=2
	ds_read2_b64 v[6:9], v4 offset1:4
	ds_read2_b64 v[24:27], v4 offset0:8 offset1:12
	ds_read2_b64 v[40:43], v4 offset0:16 offset1:20
	;; [unrolled: 1-line block ×3, first 2 shown]
	s_add_i32 s5, s5, 8
	s_waitcnt lgkmcnt(3)
	v_add_co_u32_e32 v2, vcc, v6, v2
	v_addc_co_u32_e32 v3, vcc, v7, v3, vcc
	v_add_co_u32_e32 v2, vcc, v8, v2
	v_addc_co_u32_e32 v3, vcc, v9, v3, vcc
	s_waitcnt lgkmcnt(2)
	v_add_co_u32_e32 v2, vcc, v24, v2
	v_addc_co_u32_e32 v3, vcc, v25, v3, vcc
	v_add_co_u32_e32 v2, vcc, v26, v2
	v_addc_co_u32_e32 v3, vcc, v27, v3, vcc
	;; [unrolled: 5-line block ×3, first 2 shown]
	s_waitcnt lgkmcnt(0)
	v_add_co_u32_e32 v2, vcc, v44, v2
	v_addc_co_u32_e32 v3, vcc, v45, v3, vcc
	v_add_co_u32_e32 v2, vcc, v46, v2
	v_add_u32_e32 v4, 0x100, v4
	s_cmp_eq_u32 s94, s5
	v_addc_co_u32_e32 v3, vcc, v47, v3, vcc
	s_cbranch_scc0 .LBB195_75
; %bb.76:                               ;   in Loop: Header=BB195_12 Depth=1
	s_mov_b32 s5, s94
	s_branch .LBB195_79
.LBB195_77:                             ;   in Loop: Header=BB195_12 Depth=1
                                        ; implicit-def: $vgpr2_vgpr3
	s_branch .LBB195_45
.LBB195_78:                             ;   in Loop: Header=BB195_12 Depth=1
	s_mov_b32 s5, 0
	v_pk_mov_b32 v[2:3], 0, 0
.LBB195_79:                             ;   in Loop: Header=BB195_12 Depth=1
	v_readlane_b32 s6, v48, 42
	v_readlane_b32 s7, v48, 43
	s_andn2_b64 vcc, exec, s[6:7]
	s_cbranch_vccnz .LBB195_82
; %bb.80:                               ;   in Loop: Header=BB195_12 Depth=1
	v_readlane_b32 s6, v48, 50
	s_lshl_b32 s6, s6, 9
	s_lshl_b32 s5, s5, 5
	s_add_i32 s6, s6, s5
	s_waitcnt vmcnt(0)
	v_add_u32_e32 v4, s6, v34
	v_readlane_b32 s5, v48, 41
.LBB195_81:                             ;   Parent Loop BB195_12 Depth=1
                                        ; =>  This Inner Loop Header: Depth=2
	ds_read_b64 v[6:7], v4
	s_add_i32 s5, s5, -1
	v_add_u32_e32 v4, 32, v4
	s_cmp_lg_u32 s5, 0
	s_waitcnt lgkmcnt(0)
	v_add_co_u32_e32 v2, vcc, v6, v2
	v_addc_co_u32_e32 v3, vcc, v7, v3, vcc
	s_cbranch_scc1 .LBB195_81
.LBB195_82:                             ;   in Loop: Header=BB195_12 Depth=1
	s_waitcnt vmcnt(0)
	v_add_lshl_u32 v4, s4, v29, 3
	ds_write_b64 v4, v[2:3] offset:3072
.LBB195_83:                             ;   in Loop: Header=BB195_12 Depth=1
	s_or_b64 exec, exec, s[2:3]
	s_lshl_b32 s2, s4, 3
	v_mov_b32_e32 v6, s2
	s_waitcnt lgkmcnt(0)
	s_barrier
	s_waitcnt vmcnt(0)
	ds_read_b128 v[2:5], v6 offset:3072
	ds_read_b128 v[6:9], v6 offset:3088
	s_and_b32 s49, s89, 0xfe
	v_readlane_b32 s2, v48, 22
	s_lshl_b32 s84, 3, s49
	v_readlane_b32 s3, v48, 23
	s_waitcnt lgkmcnt(1)
	v_readfirstlane_b32 s17, v3
	v_readfirstlane_b32 s16, v2
	;; [unrolled: 1-line block ×4, first 2 shown]
	s_waitcnt lgkmcnt(0)
	v_readfirstlane_b32 s23, v7
	v_readfirstlane_b32 s22, v6
	;; [unrolled: 1-line block ×4, first 2 shown]
	s_not_b32 s48, s84
	s_andn2_b64 vcc, exec, s[2:3]
	v_cmp_eq_u64_e64 s[14:15], 1, v[22:23]
	s_cbranch_vccnz .LBB195_99
; %bb.84:                               ;   in Loop: Header=BB195_12 Depth=1
	s_cmp_eq_u64 s[16:17], 1
	s_cselect_b64 s[2:3], -1, 0
	s_and_b64 s[8:9], s[2:3], s[14:15]
	s_mov_b64 s[2:3], -1
	v_mov_b32_e32 v20, v38
	v_mov_b32_e32 v24, v37
	v_mov_b32_e32 v5, v21
                                        ; implicit-def: $sgpr20_sgpr21
                                        ; implicit-def: $sgpr36_sgpr37
                                        ; implicit-def: $sgpr34_sgpr35
	s_and_saveexec_b64 s[10:11], s[8:9]
	s_cbranch_execz .LBB195_121
; %bb.85:                               ;   in Loop: Header=BB195_12 Depth=1
	ds_read_b64 v[2:3], v15 offset:5120
	s_waitcnt lgkmcnt(0)
	s_barrier
	v_readfirstlane_b32 s2, v2
	v_readfirstlane_b32 s3, v3
	s_mov_b64 s[4:5], exec
	v_readlane_b32 s6, v48, 30
	v_readlane_b32 s7, v48, 31
	s_and_b64 s[6:7], s[4:5], s[6:7]
	s_mov_b64 exec, s[6:7]
	s_cbranch_execz .LBB195_87
; %bb.86:                               ;   in Loop: Header=BB195_12 Depth=1
	ds_write_b32 v32, v15
.LBB195_87:                             ;   in Loop: Header=BB195_12 Depth=1
	s_or_b64 exec, exec, s[4:5]
	v_and_b32_e32 v20, s48, v38
	v_or_b32_e32 v24, s84, v37
	s_cmp_eq_u64 s[2:3], 0
	s_waitcnt lgkmcnt(0)
	s_barrier
	s_cbranch_scc1 .LBB195_104
; %bb.88:                               ;   in Loop: Header=BB195_12 Depth=1
	v_readlane_b32 s4, v48, 34
	s_add_u32 s12, s4, s2
	v_readlane_b32 s4, v48, 36
	s_addc_u32 s5, s4, s3
	s_mov_b32 s4, s85
	s_cmp_lg_u64 s[4:5], 0
	s_cbranch_scc0 .LBB195_148
; %bb.89:                               ;   in Loop: Header=BB195_12 Depth=1
	v_cvt_f32_u32_e32 v2, s87
	s_sub_u32 s4, 0, s87
	s_subb_u32 s6, 0, 0
	v_mac_f32_e32 v2, 0, v36
	v_rcp_f32_e32 v2, v2
	v_mul_f32_e32 v2, 0x5f7ffffc, v2
	v_mul_f32_e32 v3, 0x2f800000, v2
	v_trunc_f32_e32 v3, v3
	v_mac_f32_e32 v2, 0xcf800000, v3
	v_cvt_u32_f32_e32 v3, v3
	v_cvt_u32_f32_e32 v2, v2
	v_readfirstlane_b32 s7, v3
	v_readfirstlane_b32 s13, v2
	s_mul_i32 s20, s4, s7
	s_mul_hi_u32 s26, s4, s13
	s_mul_i32 s21, s6, s13
	s_add_i32 s20, s26, s20
	s_mul_i32 s27, s4, s13
	s_add_i32 s20, s20, s21
	s_mul_hi_u32 s26, s13, s27
	s_mul_hi_u32 s21, s13, s20
	s_mul_i32 s13, s13, s20
	s_add_u32 s13, s26, s13
	s_addc_u32 s21, 0, s21
	s_mul_hi_u32 s28, s7, s27
	s_mul_i32 s27, s7, s27
	s_add_u32 s13, s13, s27
	s_mul_hi_u32 s26, s7, s20
	s_addc_u32 s13, s21, s28
	s_addc_u32 s21, s26, 0
	s_mul_i32 s20, s7, s20
	s_add_u32 s13, s13, s20
	s_addc_u32 s20, 0, s21
	v_add_co_u32_e32 v2, vcc, s13, v2
	s_cmp_lg_u64 vcc, 0
	s_addc_u32 s7, s7, s20
	v_readfirstlane_b32 s20, v2
	s_mul_i32 s13, s4, s7
	s_mul_hi_u32 s21, s4, s20
	s_add_i32 s13, s21, s13
	s_mul_i32 s6, s6, s20
	s_add_i32 s13, s13, s6
	s_mul_i32 s4, s4, s20
	s_mul_hi_u32 s21, s7, s4
	s_mul_i32 s26, s7, s4
	s_mul_i32 s28, s20, s13
	s_mul_hi_u32 s4, s20, s4
	s_mul_hi_u32 s27, s20, s13
	s_add_u32 s4, s4, s28
	s_addc_u32 s20, 0, s27
	s_add_u32 s4, s4, s26
	s_mul_hi_u32 s6, s7, s13
	s_addc_u32 s4, s20, s21
	s_addc_u32 s6, s6, 0
	s_mul_i32 s13, s7, s13
	s_add_u32 s4, s4, s13
	s_addc_u32 s6, 0, s6
	v_add_co_u32_e32 v2, vcc, s4, v2
	s_cmp_lg_u64 vcc, 0
	s_addc_u32 s4, s7, s6
	v_readfirstlane_b32 s13, v2
	s_mul_i32 s7, s12, s4
	s_mul_hi_u32 s20, s12, s13
	s_mul_hi_u32 s6, s12, s4
	s_add_u32 s7, s20, s7
	s_addc_u32 s6, 0, s6
	s_mul_hi_u32 s21, s5, s13
	s_mul_i32 s13, s5, s13
	s_add_u32 s7, s7, s13
	s_mul_hi_u32 s20, s5, s4
	s_addc_u32 s6, s6, s21
	s_addc_u32 s7, s20, 0
	s_mul_i32 s4, s5, s4
	s_add_u32 s4, s6, s4
	s_addc_u32 s6, 0, s7
	s_mul_hi_u32 s7, s87, s4
	s_mul_i32 s4, s87, s4
	s_mul_i32 s6, s87, s6
	v_mov_b32_e32 v2, s4
	s_add_i32 s7, s7, s6
	v_sub_co_u32_e32 v2, vcc, s12, v2
	s_cmp_lg_u64 vcc, 0
	s_subb_u32 s4, s5, s7
	v_subrev_co_u32_e32 v3, vcc, s87, v2
	s_cmp_lg_u64 vcc, 0
	s_subb_u32 s6, s4, 0
	v_subrev_co_u32_e32 v4, vcc, s87, v3
	s_cmp_lg_u64 vcc, 0
	s_subb_u32 s7, s6, 0
	v_cmp_le_u32_e32 vcc, s87, v3
	s_cmp_eq_u32 s6, 0
	v_cndmask_b32_e64 v5, 0, -1, vcc
	s_cselect_b64 vcc, -1, 0
	v_cndmask_b32_e32 v5, -1, v5, vcc
	v_mov_b32_e32 v6, s6
	v_mov_b32_e32 v7, s7
	v_cmp_ne_u32_e32 vcc, 0, v5
	v_cndmask_b32_e32 v5, v6, v7, vcc
	v_cndmask_b32_e32 v4, v3, v4, vcc
	v_cmp_le_u32_e32 vcc, s87, v2
	s_cmp_eq_u32 s4, 0
	v_cndmask_b32_e64 v3, 0, -1, vcc
	s_cselect_b64 vcc, -1, 0
	v_cndmask_b32_e32 v3, -1, v3, vcc
	v_mov_b32_e32 v6, s4
	v_cmp_ne_u32_e32 vcc, 0, v3
	v_cndmask_b32_e32 v3, v6, v5, vcc
	v_cndmask_b32_e32 v2, v2, v4, vcc
	s_cbranch_execnz .LBB195_91
.LBB195_90:                             ;   in Loop: Header=BB195_12 Depth=1
	v_cvt_f32_u32_e32 v2, s87
	s_sub_i32 s4, 0, s87
	v_rcp_iflag_f32_e32 v2, v2
	v_mul_f32_e32 v2, 0x4f7ffffe, v2
	v_cvt_u32_f32_e32 v2, v2
	v_mul_lo_u32 v3, s4, v2
	v_mul_hi_u32 v3, v2, v3
	v_add_u32_e32 v2, v2, v3
	v_mul_hi_u32 v2, s12, v2
	v_mul_lo_u32 v2, v2, s87
	v_sub_u32_e32 v2, s12, v2
	v_subrev_u32_e32 v3, s87, v2
	v_cmp_le_u32_e32 vcc, s87, v2
	v_cndmask_b32_e32 v2, v2, v3, vcc
	v_subrev_u32_e32 v3, s87, v2
	v_cmp_le_u32_e32 vcc, s87, v2
	v_cndmask_b32_e32 v14, v2, v3, vcc
	v_pk_mov_b32 v[2:3], v[14:15], v[14:15] op_sel:[0,1]
.LBB195_91:                             ;   in Loop: Header=BB195_12 Depth=1
	v_mov_b32_e32 v4, s5
	v_sub_co_u32_e32 v2, vcc, s12, v2
	v_subb_co_u32_e32 v3, vcc, v4, v3, vcc
	v_cmp_gt_u64_e32 vcc, v[2:3], v[0:1]
	s_mov_b64 s[4:5], 0
                                        ; implicit-def: $vgpr5
	s_and_saveexec_b64 s[12:13], vcc
	s_cbranch_execz .LBB195_106
; %bb.92:                               ;   in Loop: Header=BB195_12 Depth=1
	v_mov_b32_e32 v8, v16
	v_pk_mov_b32 v[6:7], v[0:1], v[0:1] op_sel:[0,1]
                                        ; implicit-def: $sgpr20_sgpr21
	s_branch .LBB195_94
.LBB195_93:                             ;   in Loop: Header=BB195_94 Depth=2
	s_or_b64 exec, exec, s[6:7]
	s_waitcnt lgkmcnt(0)
	s_barrier
	ds_read_b64 v[4:5], v15 offset:3072
	v_add_co_u32_e64 v6, s[6:7], s87, v6
	v_add_u32_e32 v8, s95, v8
	s_waitcnt lgkmcnt(0)
	v_cmp_neq_f32_e32 vcc, 0, v4
	v_mov_b32_e32 v4, s88
	v_addc_co_u32_e64 v7, s[6:7], v7, v4, s[6:7]
	v_cmp_ge_u64_e64 s[6:7], v[6:7], v[2:3]
	s_or_b64 s[6:7], s[6:7], vcc
	s_and_b64 s[6:7], exec, s[6:7]
	s_or_b64 s[4:5], s[6:7], s[4:5]
	s_andn2_b64 s[6:7], s[20:21], exec
	s_and_b64 s[20:21], vcc, exec
	s_or_b64 s[20:21], s[6:7], s[20:21]
	s_barrier
	s_andn2_b64 exec, exec, s[4:5]
	s_cbranch_execz .LBB195_105
.LBB195_94:                             ;   Parent Loop BB195_12 Depth=1
                                        ; =>  This Inner Loop Header: Depth=2
	v_cmp_gt_u64_e32 vcc, s[2:3], v[6:7]
	v_mov_b32_e32 v19, 0
	s_and_saveexec_b64 s[6:7], vcc
	s_cbranch_execz .LBB195_96
; %bb.95:                               ;   in Loop: Header=BB195_94 Depth=2
	ds_read_b32 v19, v8
.LBB195_96:                             ;   in Loop: Header=BB195_94 Depth=2
	s_or_b64 exec, exec, s[6:7]
	s_and_saveexec_b64 s[6:7], vcc
	s_cbranch_execz .LBB195_93
; %bb.97:                               ;   in Loop: Header=BB195_94 Depth=2
	s_waitcnt lgkmcnt(0)
	v_cmp_lt_i32_e32 vcc, -1, v19
	v_cndmask_b32_e32 v4, -1, v35, vcc
	v_xor_b32_e32 v4, v4, v19
	v_cmp_o_f32_e32 vcc, v19, v19
	v_cndmask_b32_e32 v4, -1, v4, vcc
	v_and_b32_e32 v4, v4, v24
	v_cmp_eq_u32_e32 vcc, v4, v20
	s_and_b64 exec, exec, vcc
	s_cbranch_execz .LBB195_93
; %bb.98:                               ;   in Loop: Header=BB195_94 Depth=2
	ds_write_b64 v15, v[18:19] offset:3072
	s_branch .LBB195_93
.LBB195_99:                             ;   in Loop: Header=BB195_12 Depth=1
	s_mov_b64 s[28:29], 0
	s_mov_b64 s[26:27], 0
                                        ; implicit-def: $sgpr34_sgpr35
                                        ; implicit-def: $sgpr36_sgpr37
                                        ; implicit-def: $sgpr20_sgpr21
                                        ; implicit-def: $vgpr8
                                        ; implicit-def: $vgpr2_vgpr3
                                        ; implicit-def: $vgpr20
                                        ; implicit-def: $vgpr24
                                        ; implicit-def: $vgpr5
	s_cbranch_execnz .LBB195_285
.LBB195_100:                            ;   in Loop: Header=BB195_12 Depth=1
	s_mov_b64 s[14:15], s[20:21]
	s_mov_b64 s[38:39], s[20:21]
	s_and_saveexec_b64 s[2:3], s[28:29]
	s_cbranch_execnz .LBB195_481
	s_branch .LBB195_482
.LBB195_101:                            ;   in Loop: Header=BB195_12 Depth=1
	s_or_b64 exec, exec, s[2:3]
	s_waitcnt lgkmcnt(0)
	s_barrier
	s_mov_b64 s[2:3], exec
	v_readlane_b32 s4, v48, 12
	v_readlane_b32 s5, v48, 13
	s_and_b64 s[4:5], s[2:3], s[4:5]
	s_mov_b64 exec, s[4:5]
	s_cbranch_execz .LBB195_103
; %bb.102:                              ;   in Loop: Header=BB195_12 Depth=1
	ds_read_b32 v2, v15 offset:5144
	s_waitcnt lgkmcnt(0)
	v_ashrrev_i32_e32 v3, 31, v2
	ds_write_b64 v15, v[2:3] offset:5120
.LBB195_103:                            ;   in Loop: Header=BB195_12 Depth=1
	s_or_b64 exec, exec, s[2:3]
	s_waitcnt lgkmcnt(0)
	s_barrier
	s_mov_b64 s[2:3], -1
	s_and_b64 vcc, exec, s[8:9]
	s_cbranch_vccnz .LBB195_30
	s_branch .LBB195_40
.LBB195_104:                            ;   in Loop: Header=BB195_12 Depth=1
	s_mov_b64 s[20:21], -1
	s_mov_b64 s[4:5], 0
                                        ; implicit-def: $sgpr34_sgpr35
                                        ; implicit-def: $vgpr5
	s_mov_b64 s[36:37], s[20:21]
	s_cbranch_execnz .LBB195_107
	s_branch .LBB195_120
.LBB195_105:                            ;   in Loop: Header=BB195_12 Depth=1
	s_or_b64 exec, exec, s[4:5]
	s_and_b64 s[4:5], s[20:21], exec
.LBB195_106:                            ;   in Loop: Header=BB195_12 Depth=1
	s_or_b64 exec, exec, s[12:13]
	s_mov_b64 s[34:35], -1
	s_mov_b64 s[20:21], 0
	s_mov_b64 s[36:37], s[20:21]
	s_branch .LBB195_120
.LBB195_107:                            ;   in Loop: Header=BB195_12 Depth=1
	s_mov_b32 s92, s85
	s_cmp_lg_u64 s[92:93], 0
	s_cbranch_scc0 .LBB195_149
; %bb.108:                              ;   in Loop: Header=BB195_12 Depth=1
	v_cvt_f32_u32_e32 v2, s87
	s_sub_u32 s2, 0, s87
	s_subb_u32 s3, 0, 0
	v_mac_f32_e32 v2, 0, v36
	v_rcp_f32_e32 v2, v2
	v_mul_f32_e32 v2, 0x5f7ffffc, v2
	v_mul_f32_e32 v3, 0x2f800000, v2
	v_trunc_f32_e32 v3, v3
	v_mac_f32_e32 v2, 0xcf800000, v3
	v_cvt_u32_f32_e32 v3, v3
	v_cvt_u32_f32_e32 v2, v2
	v_readfirstlane_b32 s4, v3
	v_readfirstlane_b32 s5, v2
	s_mul_i32 s6, s2, s4
	s_mul_hi_u32 s12, s2, s5
	s_mul_i32 s7, s3, s5
	s_add_i32 s6, s12, s6
	s_mul_i32 s13, s2, s5
	s_add_i32 s6, s6, s7
	s_mul_hi_u32 s12, s5, s13
	s_mul_hi_u32 s7, s5, s6
	s_mul_i32 s5, s5, s6
	s_add_u32 s5, s12, s5
	s_addc_u32 s7, 0, s7
	s_mul_hi_u32 s20, s4, s13
	s_mul_i32 s13, s4, s13
	s_add_u32 s5, s5, s13
	s_mul_hi_u32 s12, s4, s6
	s_addc_u32 s5, s7, s20
	s_addc_u32 s7, s12, 0
	s_mul_i32 s6, s4, s6
	s_add_u32 s5, s5, s6
	s_addc_u32 s6, 0, s7
	v_add_co_u32_e32 v2, vcc, s5, v2
	s_cmp_lg_u64 vcc, 0
	s_addc_u32 s4, s4, s6
	v_readfirstlane_b32 s6, v2
	s_mul_i32 s5, s2, s4
	s_mul_hi_u32 s7, s2, s6
	s_add_i32 s5, s7, s5
	s_mul_i32 s3, s3, s6
	s_add_i32 s5, s5, s3
	s_mul_i32 s2, s2, s6
	s_mul_hi_u32 s7, s4, s2
	s_mul_i32 s12, s4, s2
	s_mul_i32 s20, s6, s5
	s_mul_hi_u32 s2, s6, s2
	s_mul_hi_u32 s13, s6, s5
	s_add_u32 s2, s2, s20
	s_addc_u32 s6, 0, s13
	s_add_u32 s2, s2, s12
	s_mul_hi_u32 s3, s4, s5
	s_addc_u32 s2, s6, s7
	s_addc_u32 s3, s3, 0
	s_mul_i32 s5, s4, s5
	s_add_u32 s2, s2, s5
	s_addc_u32 s3, 0, s3
	v_add_co_u32_e32 v2, vcc, s2, v2
	s_cmp_lg_u64 vcc, 0
	s_addc_u32 s2, s4, s3
	v_readlane_b32 s12, v48, 35
	v_readfirstlane_b32 s5, v2
	s_mul_i32 s4, s12, s2
	s_mul_hi_u32 s6, s12, s5
	s_mul_hi_u32 s3, s12, s2
	s_add_u32 s4, s6, s4
	s_addc_u32 s3, 0, s3
	s_mul_hi_u32 s7, s93, s5
	s_mul_i32 s5, s93, s5
	s_add_u32 s4, s4, s5
	s_mul_hi_u32 s6, s93, s2
	s_addc_u32 s3, s3, s7
	s_addc_u32 s4, s6, 0
	s_mul_i32 s2, s93, s2
	s_add_u32 s2, s3, s2
	s_addc_u32 s3, 0, s4
	s_mul_hi_u32 s4, s87, s2
	s_mul_i32 s2, s87, s2
	s_mul_i32 s3, s87, s3
	v_mov_b32_e32 v2, s2
	s_add_i32 s4, s4, s3
	v_sub_co_u32_e32 v2, vcc, s12, v2
	s_cmp_lg_u64 vcc, 0
	s_subb_u32 s2, s93, s4
	v_subrev_co_u32_e32 v3, vcc, s87, v2
	s_cmp_lg_u64 vcc, 0
	s_subb_u32 s3, s2, 0
	v_subrev_co_u32_e32 v4, vcc, s87, v3
	s_cmp_lg_u64 vcc, 0
	s_subb_u32 s4, s3, 0
	v_cmp_le_u32_e32 vcc, s87, v3
	s_cmp_eq_u32 s3, 0
	v_cndmask_b32_e64 v5, 0, -1, vcc
	s_cselect_b64 vcc, -1, 0
	v_cndmask_b32_e32 v5, -1, v5, vcc
	v_mov_b32_e32 v6, s3
	v_mov_b32_e32 v7, s4
	v_cmp_ne_u32_e32 vcc, 0, v5
	v_cndmask_b32_e32 v5, v6, v7, vcc
	v_cndmask_b32_e32 v4, v3, v4, vcc
	v_cmp_le_u32_e32 vcc, s87, v2
	s_cmp_eq_u32 s2, 0
	v_cndmask_b32_e64 v3, 0, -1, vcc
	s_cselect_b64 vcc, -1, 0
	v_cndmask_b32_e32 v3, -1, v3, vcc
	v_mov_b32_e32 v6, s2
	v_cmp_ne_u32_e32 vcc, 0, v3
	v_cndmask_b32_e32 v3, v6, v5, vcc
	v_cndmask_b32_e32 v2, v2, v4, vcc
	s_cbranch_execnz .LBB195_110
.LBB195_109:                            ;   in Loop: Header=BB195_12 Depth=1
	v_cvt_f32_u32_e32 v2, s87
	s_sub_i32 s2, 0, s87
	v_rcp_iflag_f32_e32 v2, v2
	v_mul_f32_e32 v2, 0x4f7ffffe, v2
	v_cvt_u32_f32_e32 v2, v2
	v_mul_lo_u32 v3, s2, v2
	v_mul_hi_u32 v3, v2, v3
	v_add_u32_e32 v2, v2, v3
	v_readlane_b32 s2, v48, 35
	v_mul_hi_u32 v2, s2, v2
	v_mul_lo_u32 v2, v2, s87
	v_sub_u32_e32 v2, s2, v2
	v_subrev_u32_e32 v3, s87, v2
	v_cmp_le_u32_e32 vcc, s87, v2
	v_cndmask_b32_e32 v2, v2, v3, vcc
	v_subrev_u32_e32 v3, s87, v2
	v_cmp_le_u32_e32 vcc, s87, v2
	v_cndmask_b32_e32 v14, v2, v3, vcc
	v_pk_mov_b32 v[2:3], v[14:15], v[14:15] op_sel:[0,1]
.LBB195_110:                            ;   in Loop: Header=BB195_12 Depth=1
	v_readlane_b32 s2, v48, 35
	v_mov_b32_e32 v4, s93
	v_sub_co_u32_e32 v2, vcc, s2, v2
	v_subb_co_u32_e32 v3, vcc, v4, v3, vcc
	v_cmp_gt_u64_e32 vcc, v[2:3], v[0:1]
	s_mov_b64 s[4:5], 0
                                        ; implicit-def: $vgpr5
	s_and_saveexec_b64 s[2:3], vcc
	s_cbranch_execz .LBB195_119
; %bb.111:                              ;   in Loop: Header=BB195_12 Depth=1
	v_pk_mov_b32 v[6:7], v[0:1], v[0:1] op_sel:[0,1]
                                        ; implicit-def: $sgpr12_sgpr13
	s_branch .LBB195_113
.LBB195_112:                            ;   in Loop: Header=BB195_113 Depth=2
	s_or_b64 exec, exec, s[6:7]
	s_waitcnt lgkmcnt(0)
	s_barrier
	ds_read_b64 v[4:5], v15 offset:3072
	v_add_co_u32_e64 v6, s[6:7], s87, v6
	s_waitcnt lgkmcnt(0)
	s_barrier
	v_cmp_neq_f32_e32 vcc, 0, v4
	v_mov_b32_e32 v4, s88
	v_addc_co_u32_e64 v7, s[6:7], v7, v4, s[6:7]
	v_cmp_ge_u64_e64 s[6:7], v[6:7], v[2:3]
	s_or_b64 s[6:7], s[6:7], vcc
	s_and_b64 s[6:7], exec, s[6:7]
	s_or_b64 s[4:5], s[6:7], s[4:5]
	s_andn2_b64 s[6:7], s[12:13], exec
	s_and_b64 s[12:13], vcc, exec
	s_or_b64 s[12:13], s[6:7], s[12:13]
	s_andn2_b64 exec, exec, s[4:5]
	s_cbranch_execz .LBB195_118
.LBB195_113:                            ;   Parent Loop BB195_12 Depth=1
                                        ; =>  This Inner Loop Header: Depth=2
	v_cmp_gt_u64_e32 vcc, s[60:61], v[6:7]
	s_waitcnt vmcnt(0)
	v_mov_b32_e32 v19, 0
	s_and_saveexec_b64 s[20:21], vcc
	s_cbranch_execz .LBB195_115
; %bb.114:                              ;   in Loop: Header=BB195_113 Depth=2
	v_mul_lo_u32 v8, v7, s58
	v_mul_lo_u32 v9, v6, s59
	v_mad_u64_u32 v[4:5], s[6:7], v6, s58, 0
	v_add3_u32 v5, v5, v9, v8
	v_lshlrev_b64 v[4:5], 2, v[4:5]
	v_mov_b32_e32 v8, s86
	v_add_co_u32_e64 v4, s[6:7], s33, v4
	v_addc_co_u32_e64 v5, s[6:7], v8, v5, s[6:7]
	global_load_dword v19, v[4:5], off
.LBB195_115:                            ;   in Loop: Header=BB195_113 Depth=2
	s_or_b64 exec, exec, s[20:21]
	s_and_saveexec_b64 s[6:7], vcc
	s_cbranch_execz .LBB195_112
; %bb.116:                              ;   in Loop: Header=BB195_113 Depth=2
	s_waitcnt vmcnt(0)
	v_cmp_lt_i32_e32 vcc, -1, v19
	v_cndmask_b32_e32 v4, -1, v35, vcc
	v_xor_b32_e32 v4, v4, v19
	v_cmp_o_f32_e32 vcc, v19, v19
	v_cndmask_b32_e32 v4, -1, v4, vcc
	v_and_b32_e32 v4, v4, v24
	v_cmp_eq_u32_e32 vcc, v4, v20
	s_and_b64 exec, exec, vcc
	s_cbranch_execz .LBB195_112
; %bb.117:                              ;   in Loop: Header=BB195_113 Depth=2
	ds_write_b64 v15, v[18:19] offset:3072
	s_branch .LBB195_112
.LBB195_118:                            ;   in Loop: Header=BB195_12 Depth=1
	s_or_b64 exec, exec, s[4:5]
	s_and_b64 s[4:5], s[12:13], exec
.LBB195_119:                            ;   in Loop: Header=BB195_12 Depth=1
	s_or_b64 exec, exec, s[2:3]
	s_mov_b64 s[36:37], -1
	s_mov_b64 s[20:21], 0
	s_mov_b64 s[34:35], 0
.LBB195_120:                            ;   in Loop: Header=BB195_12 Depth=1
	s_orn2_b64 s[2:3], s[4:5], exec
.LBB195_121:                            ;   in Loop: Header=BB195_12 Depth=1
	s_or_b64 exec, exec, s[10:11]
	s_mov_b64 s[38:39], 0
	s_mov_b64 s[28:29], 0
	;; [unrolled: 1-line block ×3, first 2 shown]
                                        ; implicit-def: $vgpr8
                                        ; implicit-def: $vgpr2_vgpr3
	s_and_saveexec_b64 s[40:41], s[2:3]
	s_cbranch_execz .LBB195_284
; %bb.122:                              ;   in Loop: Header=BB195_12 Depth=1
	v_mov_b32_e32 v2, 1
	s_xor_b64 s[4:5], s[8:9], -1
	s_mov_b64 s[6:7], 0
	v_mov_b32_e32 v3, 0
	v_mov_b32_e32 v8, 1
	s_and_saveexec_b64 s[2:3], s[4:5]
	s_cbranch_execz .LBB195_132
; %bb.123:                              ;   in Loop: Header=BB195_12 Depth=1
	v_cmp_ge_u64_e32 vcc, s[16:17], v[22:23]
                                        ; implicit-def: $sgpr8
                                        ; implicit-def: $sgpr4_sgpr5
	s_and_saveexec_b64 s[6:7], vcc
	s_xor_b64 s[6:7], exec, s[6:7]
	s_cbranch_execz .LBB195_129
; %bb.124:                              ;   in Loop: Header=BB195_12 Depth=1
	ds_read_b64 v[2:3], v15 offset:5120
	s_waitcnt lgkmcnt(0)
	v_cmp_ne_u64_e32 vcc, 0, v[2:3]
	s_cbranch_vccnz .LBB195_128
; %bb.125:                              ;   in Loop: Header=BB195_12 Depth=1
	s_mov_b64 s[4:5], exec
	v_readlane_b32 s8, v48, 12
	v_readlane_b32 s9, v48, 13
	s_and_b64 s[8:9], s[4:5], s[8:9]
	s_mov_b64 exec, s[8:9]
	s_cbranch_execz .LBB195_127
; %bb.126:                              ;   in Loop: Header=BB195_12 Depth=1
	v_pk_mov_b32 v[2:3], s[16:17], s[16:17] op_sel:[0,1]
	ds_write_b64 v15, v[2:3] offset:5128
.LBB195_127:                            ;   in Loop: Header=BB195_12 Depth=1
	s_or_b64 exec, exec, s[4:5]
	s_waitcnt lgkmcnt(0)
	s_barrier
.LBB195_128:                            ;   in Loop: Header=BB195_12 Depth=1
	v_and_b32_e32 v20, s48, v20
	v_or_b32_e32 v24, s84, v24
	s_mov_b64 s[4:5], 0
	s_mov_b32 s8, 8
.LBB195_129:                            ;   in Loop: Header=BB195_12 Depth=1
	s_or_saveexec_b64 s[6:7], s[6:7]
	v_mov_b32_e32 v8, s8
	v_pk_mov_b32 v[2:3], v[22:23], v[22:23] op_sel:[0,1]
	s_xor_b64 exec, exec, s[6:7]
; %bb.130:                              ;   in Loop: Header=BB195_12 Depth=1
	v_mov_b32_e32 v3, s17
	v_subrev_co_u32_e32 v2, vcc, s16, v22
	v_subb_co_u32_e32 v3, vcc, v23, v3, vcc
	v_mov_b32_e32 v8, 0
	s_or_b64 s[4:5], s[4:5], exec
; %bb.131:                              ;   in Loop: Header=BB195_12 Depth=1
	s_or_b64 exec, exec, s[6:7]
	s_and_b64 s[6:7], s[4:5], exec
.LBB195_132:                            ;   in Loop: Header=BB195_12 Depth=1
	s_or_b64 exec, exec, s[2:3]
	s_mov_b64 s[12:13], -1
                                        ; implicit-def: $sgpr2_sgpr3
                                        ; implicit-def: $sgpr4_sgpr5
                                        ; implicit-def: $sgpr8_sgpr9
	s_and_saveexec_b64 s[10:11], s[6:7]
	s_xor_b64 s[26:27], exec, s[10:11]
	s_cbranch_execz .LBB195_281
; %bb.133:                              ;   in Loop: Header=BB195_12 Depth=1
	s_cmp_eq_u64 s[18:19], 1
	s_cselect_b64 s[2:3], -1, 0
	v_cmp_eq_u64_e32 vcc, 1, v[2:3]
	s_and_b64 s[8:9], s[2:3], vcc
	s_mov_b64 s[2:3], -1
                                        ; implicit-def: $sgpr28_sgpr29
                                        ; implicit-def: $sgpr44_sgpr45
                                        ; implicit-def: $sgpr42_sgpr43
	s_and_saveexec_b64 s[10:11], s[8:9]
	s_cbranch_execz .LBB195_167
; %bb.134:                              ;   in Loop: Header=BB195_12 Depth=1
	ds_read_b64 v[4:5], v15 offset:5120
	s_waitcnt lgkmcnt(0)
	s_barrier
	v_readfirstlane_b32 s2, v4
	v_readfirstlane_b32 s3, v5
	s_mov_b64 s[4:5], exec
	v_readlane_b32 s6, v48, 30
	v_readlane_b32 s7, v48, 31
	s_and_b64 s[6:7], s[4:5], s[6:7]
	s_mov_b64 exec, s[6:7]
	s_cbranch_execz .LBB195_136
; %bb.135:                              ;   in Loop: Header=BB195_12 Depth=1
	ds_write_b32 v32, v15
.LBB195_136:                            ;   in Loop: Header=BB195_12 Depth=1
	s_or_b64 exec, exec, s[4:5]
	v_and_b32_e32 v4, s48, v20
	v_lshl_or_b32 v20, 1, s49, v4
	v_or_b32_e32 v24, s84, v24
	s_cmp_eq_u64 s[2:3], 0
	s_waitcnt lgkmcnt(0)
	s_barrier
	s_cbranch_scc1 .LBB195_150
; %bb.137:                              ;   in Loop: Header=BB195_12 Depth=1
	v_readlane_b32 s4, v48, 34
	s_add_u32 s12, s4, s2
	v_readlane_b32 s4, v48, 36
	s_addc_u32 s5, s4, s3
	s_mov_b32 s4, s85
	s_cmp_lg_u64 s[4:5], 0
	s_cbranch_scc0 .LBB195_194
; %bb.138:                              ;   in Loop: Header=BB195_12 Depth=1
	v_cvt_f32_u32_e32 v4, s87
	s_sub_u32 s4, 0, s87
	s_subb_u32 s6, 0, 0
	v_mac_f32_e32 v4, 0, v36
	v_rcp_f32_e32 v4, v4
	v_mul_f32_e32 v4, 0x5f7ffffc, v4
	v_mul_f32_e32 v5, 0x2f800000, v4
	v_trunc_f32_e32 v5, v5
	v_mac_f32_e32 v4, 0xcf800000, v5
	v_cvt_u32_f32_e32 v5, v5
	v_cvt_u32_f32_e32 v4, v4
	v_readfirstlane_b32 s7, v5
	v_readfirstlane_b32 s13, v4
	s_mul_i32 s28, s4, s7
	s_mul_hi_u32 s42, s4, s13
	s_mul_i32 s29, s6, s13
	s_add_i32 s28, s42, s28
	s_mul_i32 s43, s4, s13
	s_add_i32 s28, s28, s29
	s_mul_hi_u32 s42, s13, s43
	s_mul_hi_u32 s29, s13, s28
	s_mul_i32 s13, s13, s28
	s_add_u32 s13, s42, s13
	s_addc_u32 s29, 0, s29
	s_mul_hi_u32 s44, s7, s43
	s_mul_i32 s43, s7, s43
	s_add_u32 s13, s13, s43
	s_mul_hi_u32 s42, s7, s28
	s_addc_u32 s13, s29, s44
	s_addc_u32 s29, s42, 0
	s_mul_i32 s28, s7, s28
	s_add_u32 s13, s13, s28
	s_addc_u32 s28, 0, s29
	v_add_co_u32_e32 v4, vcc, s13, v4
	s_cmp_lg_u64 vcc, 0
	s_addc_u32 s7, s7, s28
	v_readfirstlane_b32 s28, v4
	s_mul_i32 s13, s4, s7
	s_mul_hi_u32 s29, s4, s28
	s_add_i32 s13, s29, s13
	s_mul_i32 s6, s6, s28
	s_add_i32 s13, s13, s6
	s_mul_i32 s4, s4, s28
	s_mul_hi_u32 s29, s7, s4
	s_mul_i32 s42, s7, s4
	s_mul_i32 s44, s28, s13
	s_mul_hi_u32 s4, s28, s4
	s_mul_hi_u32 s43, s28, s13
	s_add_u32 s4, s4, s44
	s_addc_u32 s28, 0, s43
	s_add_u32 s4, s4, s42
	s_mul_hi_u32 s6, s7, s13
	s_addc_u32 s4, s28, s29
	s_addc_u32 s6, s6, 0
	s_mul_i32 s13, s7, s13
	s_add_u32 s4, s4, s13
	s_addc_u32 s6, 0, s6
	v_add_co_u32_e32 v4, vcc, s4, v4
	s_cmp_lg_u64 vcc, 0
	s_addc_u32 s4, s7, s6
	v_readfirstlane_b32 s13, v4
	s_mul_i32 s7, s12, s4
	s_mul_hi_u32 s28, s12, s13
	s_mul_hi_u32 s6, s12, s4
	s_add_u32 s7, s28, s7
	s_addc_u32 s6, 0, s6
	s_mul_hi_u32 s29, s5, s13
	s_mul_i32 s13, s5, s13
	s_add_u32 s7, s7, s13
	s_mul_hi_u32 s28, s5, s4
	s_addc_u32 s6, s6, s29
	s_addc_u32 s7, s28, 0
	s_mul_i32 s4, s5, s4
	s_add_u32 s4, s6, s4
	s_addc_u32 s6, 0, s7
	s_mul_hi_u32 s7, s87, s4
	s_mul_i32 s4, s87, s4
	s_mul_i32 s6, s87, s6
	v_mov_b32_e32 v4, s4
	s_add_i32 s7, s7, s6
	v_sub_co_u32_e32 v4, vcc, s12, v4
	s_cmp_lg_u64 vcc, 0
	s_subb_u32 s4, s5, s7
	v_subrev_co_u32_e32 v5, vcc, s87, v4
	s_cmp_lg_u64 vcc, 0
	s_subb_u32 s6, s4, 0
	v_subrev_co_u32_e32 v6, vcc, s87, v5
	s_cmp_lg_u64 vcc, 0
	s_subb_u32 s7, s6, 0
	v_cmp_le_u32_e32 vcc, s87, v5
	s_cmp_eq_u32 s6, 0
	v_cndmask_b32_e64 v7, 0, -1, vcc
	s_cselect_b64 vcc, -1, 0
	v_cndmask_b32_e32 v7, -1, v7, vcc
	v_mov_b32_e32 v8, s6
	v_mov_b32_e32 v9, s7
	v_cmp_ne_u32_e32 vcc, 0, v7
	v_cndmask_b32_e32 v7, v8, v9, vcc
	v_cndmask_b32_e32 v6, v5, v6, vcc
	v_cmp_le_u32_e32 vcc, s87, v4
	s_cmp_eq_u32 s4, 0
	v_cndmask_b32_e64 v5, 0, -1, vcc
	s_cselect_b64 vcc, -1, 0
	v_cndmask_b32_e32 v5, -1, v5, vcc
	v_mov_b32_e32 v8, s4
	v_cmp_ne_u32_e32 vcc, 0, v5
	v_cndmask_b32_e32 v5, v8, v7, vcc
	v_cndmask_b32_e32 v4, v4, v6, vcc
	s_cbranch_execnz .LBB195_140
.LBB195_139:                            ;   in Loop: Header=BB195_12 Depth=1
	v_cvt_f32_u32_e32 v4, s87
	s_sub_i32 s4, 0, s87
	v_rcp_iflag_f32_e32 v4, v4
	v_mul_f32_e32 v4, 0x4f7ffffe, v4
	v_cvt_u32_f32_e32 v4, v4
	v_mul_lo_u32 v5, s4, v4
	v_mul_hi_u32 v5, v4, v5
	v_add_u32_e32 v4, v4, v5
	v_mul_hi_u32 v4, s12, v4
	v_mul_lo_u32 v4, v4, s87
	v_sub_u32_e32 v4, s12, v4
	v_subrev_u32_e32 v5, s87, v4
	v_cmp_le_u32_e32 vcc, s87, v4
	v_cndmask_b32_e32 v4, v4, v5, vcc
	v_subrev_u32_e32 v5, s87, v4
	v_cmp_le_u32_e32 vcc, s87, v4
	v_cndmask_b32_e32 v14, v4, v5, vcc
	v_pk_mov_b32 v[4:5], v[14:15], v[14:15] op_sel:[0,1]
.LBB195_140:                            ;   in Loop: Header=BB195_12 Depth=1
	v_mov_b32_e32 v7, s5
	v_sub_co_u32_e32 v6, vcc, s12, v4
	v_subb_co_u32_e32 v7, vcc, v7, v5, vcc
	v_cmp_gt_u64_e32 vcc, v[6:7], v[0:1]
	s_mov_b64 s[4:5], 0
                                        ; implicit-def: $vgpr5
	s_and_saveexec_b64 s[12:13], vcc
	s_cbranch_execz .LBB195_152
; %bb.141:                              ;   in Loop: Header=BB195_12 Depth=1
	v_mov_b32_e32 v14, v16
	v_pk_mov_b32 v[8:9], v[0:1], v[0:1] op_sel:[0,1]
                                        ; implicit-def: $sgpr28_sgpr29
	s_branch .LBB195_143
.LBB195_142:                            ;   in Loop: Header=BB195_143 Depth=2
	s_or_b64 exec, exec, s[6:7]
	s_waitcnt lgkmcnt(0)
	s_barrier
	ds_read_b64 v[4:5], v15 offset:3072
	v_add_co_u32_e64 v8, s[6:7], s87, v8
	v_add_u32_e32 v14, s95, v14
	s_waitcnt lgkmcnt(0)
	v_cmp_neq_f32_e32 vcc, 0, v4
	v_mov_b32_e32 v4, s88
	v_addc_co_u32_e64 v9, s[6:7], v9, v4, s[6:7]
	v_cmp_ge_u64_e64 s[6:7], v[8:9], v[6:7]
	s_or_b64 s[6:7], s[6:7], vcc
	s_and_b64 s[6:7], exec, s[6:7]
	s_or_b64 s[4:5], s[6:7], s[4:5]
	s_andn2_b64 s[6:7], s[28:29], exec
	s_and_b64 s[28:29], vcc, exec
	s_or_b64 s[28:29], s[6:7], s[28:29]
	s_barrier
	s_andn2_b64 exec, exec, s[4:5]
	s_cbranch_execz .LBB195_151
.LBB195_143:                            ;   Parent Loop BB195_12 Depth=1
                                        ; =>  This Inner Loop Header: Depth=2
	v_cmp_gt_u64_e32 vcc, s[2:3], v[8:9]
	s_waitcnt vmcnt(0)
	v_mov_b32_e32 v19, 0
	s_and_saveexec_b64 s[6:7], vcc
	s_cbranch_execz .LBB195_145
; %bb.144:                              ;   in Loop: Header=BB195_143 Depth=2
	ds_read_b32 v19, v14
.LBB195_145:                            ;   in Loop: Header=BB195_143 Depth=2
	s_or_b64 exec, exec, s[6:7]
	s_and_saveexec_b64 s[6:7], vcc
	s_cbranch_execz .LBB195_142
; %bb.146:                              ;   in Loop: Header=BB195_143 Depth=2
	s_waitcnt lgkmcnt(0)
	v_cmp_lt_i32_e32 vcc, -1, v19
	v_cndmask_b32_e32 v4, -1, v35, vcc
	v_xor_b32_e32 v4, v4, v19
	v_cmp_o_f32_e32 vcc, v19, v19
	v_cndmask_b32_e32 v4, -1, v4, vcc
	v_and_b32_e32 v4, v4, v24
	v_cmp_eq_u32_e32 vcc, v4, v20
	s_and_b64 exec, exec, vcc
	s_cbranch_execz .LBB195_142
; %bb.147:                              ;   in Loop: Header=BB195_143 Depth=2
	ds_write_b64 v15, v[18:19] offset:3072
	s_branch .LBB195_142
.LBB195_148:                            ;   in Loop: Header=BB195_12 Depth=1
                                        ; implicit-def: $vgpr2_vgpr3
	s_branch .LBB195_90
.LBB195_149:                            ;   in Loop: Header=BB195_12 Depth=1
                                        ; implicit-def: $vgpr2_vgpr3
	s_branch .LBB195_109
.LBB195_150:                            ;   in Loop: Header=BB195_12 Depth=1
	s_mov_b64 s[28:29], -1
	s_mov_b64 s[4:5], 0
                                        ; implicit-def: $sgpr42_sgpr43
                                        ; implicit-def: $vgpr5
	s_mov_b64 s[44:45], s[28:29]
	s_cbranch_execnz .LBB195_153
	s_branch .LBB195_166
.LBB195_151:                            ;   in Loop: Header=BB195_12 Depth=1
	s_or_b64 exec, exec, s[4:5]
	s_and_b64 s[4:5], s[28:29], exec
.LBB195_152:                            ;   in Loop: Header=BB195_12 Depth=1
	s_or_b64 exec, exec, s[12:13]
	s_mov_b64 s[42:43], -1
	s_mov_b64 s[28:29], 0
	s_mov_b64 s[44:45], s[28:29]
	s_branch .LBB195_166
.LBB195_153:                            ;   in Loop: Header=BB195_12 Depth=1
	s_mov_b32 s92, s85
	s_cmp_lg_u64 s[92:93], 0
	s_cbranch_scc0 .LBB195_195
; %bb.154:                              ;   in Loop: Header=BB195_12 Depth=1
	v_cvt_f32_u32_e32 v4, s87
	s_sub_u32 s2, 0, s87
	s_subb_u32 s3, 0, 0
	v_mac_f32_e32 v4, 0, v36
	v_rcp_f32_e32 v4, v4
	v_mul_f32_e32 v4, 0x5f7ffffc, v4
	v_mul_f32_e32 v5, 0x2f800000, v4
	v_trunc_f32_e32 v5, v5
	v_mac_f32_e32 v4, 0xcf800000, v5
	v_cvt_u32_f32_e32 v5, v5
	v_cvt_u32_f32_e32 v4, v4
	v_readfirstlane_b32 s4, v5
	v_readfirstlane_b32 s5, v4
	s_mul_i32 s6, s2, s4
	s_mul_hi_u32 s12, s2, s5
	s_mul_i32 s7, s3, s5
	s_add_i32 s6, s12, s6
	s_mul_i32 s13, s2, s5
	s_add_i32 s6, s6, s7
	s_mul_hi_u32 s12, s5, s13
	s_mul_hi_u32 s7, s5, s6
	s_mul_i32 s5, s5, s6
	s_add_u32 s5, s12, s5
	s_addc_u32 s7, 0, s7
	s_mul_hi_u32 s28, s4, s13
	s_mul_i32 s13, s4, s13
	s_add_u32 s5, s5, s13
	s_mul_hi_u32 s12, s4, s6
	s_addc_u32 s5, s7, s28
	s_addc_u32 s7, s12, 0
	s_mul_i32 s6, s4, s6
	s_add_u32 s5, s5, s6
	s_addc_u32 s6, 0, s7
	v_add_co_u32_e32 v4, vcc, s5, v4
	s_cmp_lg_u64 vcc, 0
	s_addc_u32 s4, s4, s6
	v_readfirstlane_b32 s6, v4
	s_mul_i32 s5, s2, s4
	s_mul_hi_u32 s7, s2, s6
	s_add_i32 s5, s7, s5
	s_mul_i32 s3, s3, s6
	s_add_i32 s5, s5, s3
	s_mul_i32 s2, s2, s6
	s_mul_hi_u32 s7, s4, s2
	s_mul_i32 s12, s4, s2
	s_mul_i32 s28, s6, s5
	s_mul_hi_u32 s2, s6, s2
	s_mul_hi_u32 s13, s6, s5
	s_add_u32 s2, s2, s28
	s_addc_u32 s6, 0, s13
	s_add_u32 s2, s2, s12
	s_mul_hi_u32 s3, s4, s5
	s_addc_u32 s2, s6, s7
	s_addc_u32 s3, s3, 0
	s_mul_i32 s5, s4, s5
	s_add_u32 s2, s2, s5
	s_addc_u32 s3, 0, s3
	v_add_co_u32_e32 v4, vcc, s2, v4
	s_cmp_lg_u64 vcc, 0
	s_addc_u32 s2, s4, s3
	v_readlane_b32 s12, v48, 35
	v_readfirstlane_b32 s5, v4
	s_mul_i32 s4, s12, s2
	s_mul_hi_u32 s6, s12, s5
	s_mul_hi_u32 s3, s12, s2
	s_add_u32 s4, s6, s4
	s_addc_u32 s3, 0, s3
	s_mul_hi_u32 s7, s93, s5
	s_mul_i32 s5, s93, s5
	s_add_u32 s4, s4, s5
	s_mul_hi_u32 s6, s93, s2
	s_addc_u32 s3, s3, s7
	s_addc_u32 s4, s6, 0
	s_mul_i32 s2, s93, s2
	s_add_u32 s2, s3, s2
	s_addc_u32 s3, 0, s4
	s_mul_hi_u32 s4, s87, s2
	s_mul_i32 s2, s87, s2
	s_mul_i32 s3, s87, s3
	v_mov_b32_e32 v4, s2
	s_add_i32 s4, s4, s3
	v_sub_co_u32_e32 v4, vcc, s12, v4
	s_cmp_lg_u64 vcc, 0
	s_subb_u32 s2, s93, s4
	v_subrev_co_u32_e32 v5, vcc, s87, v4
	s_cmp_lg_u64 vcc, 0
	s_subb_u32 s3, s2, 0
	v_subrev_co_u32_e32 v6, vcc, s87, v5
	s_cmp_lg_u64 vcc, 0
	s_subb_u32 s4, s3, 0
	v_cmp_le_u32_e32 vcc, s87, v5
	s_cmp_eq_u32 s3, 0
	v_cndmask_b32_e64 v7, 0, -1, vcc
	s_cselect_b64 vcc, -1, 0
	v_cndmask_b32_e32 v7, -1, v7, vcc
	v_mov_b32_e32 v8, s3
	v_mov_b32_e32 v9, s4
	v_cmp_ne_u32_e32 vcc, 0, v7
	v_cndmask_b32_e32 v7, v8, v9, vcc
	v_cndmask_b32_e32 v6, v5, v6, vcc
	v_cmp_le_u32_e32 vcc, s87, v4
	s_cmp_eq_u32 s2, 0
	v_cndmask_b32_e64 v5, 0, -1, vcc
	s_cselect_b64 vcc, -1, 0
	v_cndmask_b32_e32 v5, -1, v5, vcc
	v_mov_b32_e32 v8, s2
	v_cmp_ne_u32_e32 vcc, 0, v5
	v_cndmask_b32_e32 v5, v8, v7, vcc
	v_cndmask_b32_e32 v4, v4, v6, vcc
	s_cbranch_execnz .LBB195_156
.LBB195_155:                            ;   in Loop: Header=BB195_12 Depth=1
	v_cvt_f32_u32_e32 v4, s87
	s_sub_i32 s2, 0, s87
	v_rcp_iflag_f32_e32 v4, v4
	v_mul_f32_e32 v4, 0x4f7ffffe, v4
	v_cvt_u32_f32_e32 v4, v4
	v_mul_lo_u32 v5, s2, v4
	v_mul_hi_u32 v5, v4, v5
	v_add_u32_e32 v4, v4, v5
	v_readlane_b32 s2, v48, 35
	v_mul_hi_u32 v4, s2, v4
	v_mul_lo_u32 v4, v4, s87
	v_sub_u32_e32 v4, s2, v4
	v_subrev_u32_e32 v5, s87, v4
	v_cmp_le_u32_e32 vcc, s87, v4
	v_cndmask_b32_e32 v4, v4, v5, vcc
	v_subrev_u32_e32 v5, s87, v4
	v_cmp_le_u32_e32 vcc, s87, v4
	v_cndmask_b32_e32 v14, v4, v5, vcc
	v_pk_mov_b32 v[4:5], v[14:15], v[14:15] op_sel:[0,1]
.LBB195_156:                            ;   in Loop: Header=BB195_12 Depth=1
	v_readlane_b32 s2, v48, 35
	v_mov_b32_e32 v7, s93
	v_sub_co_u32_e32 v6, vcc, s2, v4
	v_subb_co_u32_e32 v7, vcc, v7, v5, vcc
	v_cmp_gt_u64_e32 vcc, v[6:7], v[0:1]
	s_mov_b64 s[4:5], 0
                                        ; implicit-def: $vgpr5
	s_and_saveexec_b64 s[2:3], vcc
	s_cbranch_execz .LBB195_165
; %bb.157:                              ;   in Loop: Header=BB195_12 Depth=1
	v_pk_mov_b32 v[8:9], v[0:1], v[0:1] op_sel:[0,1]
                                        ; implicit-def: $sgpr12_sgpr13
	s_branch .LBB195_159
.LBB195_158:                            ;   in Loop: Header=BB195_159 Depth=2
	s_or_b64 exec, exec, s[6:7]
	s_waitcnt lgkmcnt(0)
	s_barrier
	ds_read_b64 v[4:5], v15 offset:3072
	v_add_co_u32_e64 v8, s[6:7], s87, v8
	s_waitcnt lgkmcnt(0)
	s_barrier
	v_cmp_neq_f32_e32 vcc, 0, v4
	v_mov_b32_e32 v4, s88
	v_addc_co_u32_e64 v9, s[6:7], v9, v4, s[6:7]
	v_cmp_ge_u64_e64 s[6:7], v[8:9], v[6:7]
	s_or_b64 s[6:7], s[6:7], vcc
	s_and_b64 s[6:7], exec, s[6:7]
	s_or_b64 s[4:5], s[6:7], s[4:5]
	s_andn2_b64 s[6:7], s[12:13], exec
	s_and_b64 s[12:13], vcc, exec
	s_or_b64 s[12:13], s[6:7], s[12:13]
	s_andn2_b64 exec, exec, s[4:5]
	s_cbranch_execz .LBB195_164
.LBB195_159:                            ;   Parent Loop BB195_12 Depth=1
                                        ; =>  This Inner Loop Header: Depth=2
	v_cmp_gt_u64_e32 vcc, s[60:61], v[8:9]
	s_waitcnt vmcnt(0)
	v_mov_b32_e32 v19, 0
	s_and_saveexec_b64 s[28:29], vcc
	s_cbranch_execz .LBB195_161
; %bb.160:                              ;   in Loop: Header=BB195_159 Depth=2
	v_mul_lo_u32 v14, v9, s58
	v_mul_lo_u32 v19, v8, s59
	v_mad_u64_u32 v[4:5], s[6:7], v8, s58, 0
	v_add3_u32 v5, v5, v19, v14
	v_lshlrev_b64 v[4:5], 2, v[4:5]
	v_mov_b32_e32 v14, s86
	v_add_co_u32_e64 v4, s[6:7], s33, v4
	v_addc_co_u32_e64 v5, s[6:7], v14, v5, s[6:7]
	global_load_dword v19, v[4:5], off
.LBB195_161:                            ;   in Loop: Header=BB195_159 Depth=2
	s_or_b64 exec, exec, s[28:29]
	s_and_saveexec_b64 s[6:7], vcc
	s_cbranch_execz .LBB195_158
; %bb.162:                              ;   in Loop: Header=BB195_159 Depth=2
	s_waitcnt vmcnt(0)
	v_cmp_lt_i32_e32 vcc, -1, v19
	v_cndmask_b32_e32 v4, -1, v35, vcc
	v_xor_b32_e32 v4, v4, v19
	v_cmp_o_f32_e32 vcc, v19, v19
	v_cndmask_b32_e32 v4, -1, v4, vcc
	v_and_b32_e32 v4, v4, v24
	v_cmp_eq_u32_e32 vcc, v4, v20
	s_and_b64 exec, exec, vcc
	s_cbranch_execz .LBB195_158
; %bb.163:                              ;   in Loop: Header=BB195_159 Depth=2
	ds_write_b64 v15, v[18:19] offset:3072
	s_branch .LBB195_158
.LBB195_164:                            ;   in Loop: Header=BB195_12 Depth=1
	s_or_b64 exec, exec, s[4:5]
	s_and_b64 s[4:5], s[12:13], exec
.LBB195_165:                            ;   in Loop: Header=BB195_12 Depth=1
	s_or_b64 exec, exec, s[2:3]
	s_mov_b64 s[44:45], -1
	s_mov_b64 s[28:29], 0
	s_mov_b64 s[42:43], 0
.LBB195_166:                            ;   in Loop: Header=BB195_12 Depth=1
	s_orn2_b64 s[2:3], s[4:5], exec
.LBB195_167:                            ;   in Loop: Header=BB195_12 Depth=1
	s_or_b64 exec, exec, s[10:11]
	s_mov_b64 s[6:7], 0
                                        ; implicit-def: $vgpr8
	s_and_saveexec_b64 s[46:47], s[2:3]
	s_cbranch_execz .LBB195_280
; %bb.168:                              ;   in Loop: Header=BB195_12 Depth=1
	v_mov_b32_e32 v6, 1
	s_xor_b64 s[4:5], s[8:9], -1
	s_mov_b64 s[10:11], 0
	v_mov_b32_e32 v7, 0
	v_mov_b32_e32 v8, 1
	s_and_saveexec_b64 s[2:3], s[4:5]
	s_cbranch_execz .LBB195_178
; %bb.169:                              ;   in Loop: Header=BB195_12 Depth=1
	v_cmp_ge_u64_e32 vcc, s[18:19], v[2:3]
                                        ; implicit-def: $sgpr8
                                        ; implicit-def: $sgpr4_sgpr5
	s_and_saveexec_b64 s[6:7], vcc
	s_xor_b64 s[6:7], exec, s[6:7]
	s_cbranch_execz .LBB195_175
; %bb.170:                              ;   in Loop: Header=BB195_12 Depth=1
	ds_read_b64 v[6:7], v15 offset:5120
	s_waitcnt lgkmcnt(0)
	v_cmp_ne_u64_e32 vcc, 0, v[6:7]
	s_cbranch_vccnz .LBB195_174
; %bb.171:                              ;   in Loop: Header=BB195_12 Depth=1
	s_mov_b64 s[4:5], exec
	v_readlane_b32 s8, v48, 12
	v_readlane_b32 s9, v48, 13
	s_and_b64 s[8:9], s[4:5], s[8:9]
	s_mov_b64 exec, s[8:9]
	s_cbranch_execz .LBB195_173
; %bb.172:                              ;   in Loop: Header=BB195_12 Depth=1
	v_pk_mov_b32 v[6:7], s[18:19], s[18:19] op_sel:[0,1]
	ds_write_b64 v15, v[6:7] offset:5128
.LBB195_173:                            ;   in Loop: Header=BB195_12 Depth=1
	s_or_b64 exec, exec, s[4:5]
	s_waitcnt lgkmcnt(0)
	s_barrier
.LBB195_174:                            ;   in Loop: Header=BB195_12 Depth=1
	v_and_b32_e32 v4, s48, v20
	v_lshl_or_b32 v20, 1, s49, v4
	v_or_b32_e32 v24, s84, v24
	s_mov_b64 s[4:5], 0
	s_mov_b32 s8, 8
.LBB195_175:                            ;   in Loop: Header=BB195_12 Depth=1
	s_or_saveexec_b64 s[6:7], s[6:7]
	v_mov_b32_e32 v8, s8
	s_xor_b64 exec, exec, s[6:7]
; %bb.176:                              ;   in Loop: Header=BB195_12 Depth=1
	v_mov_b32_e32 v4, s19
	v_subrev_co_u32_e32 v2, vcc, s18, v2
	v_subb_co_u32_e32 v3, vcc, v3, v4, vcc
	v_mov_b32_e32 v8, 0
	s_or_b64 s[4:5], s[4:5], exec
; %bb.177:                              ;   in Loop: Header=BB195_12 Depth=1
	s_or_b64 exec, exec, s[6:7]
	s_and_b64 s[10:11], s[4:5], exec
	v_pk_mov_b32 v[6:7], v[2:3], v[2:3] op_sel:[0,1]
.LBB195_178:                            ;   in Loop: Header=BB195_12 Depth=1
	s_or_b64 exec, exec, s[2:3]
	s_mov_b64 s[2:3], -1
                                        ; implicit-def: $sgpr4_sgpr5
                                        ; implicit-def: $sgpr6_sgpr7
                                        ; implicit-def: $sgpr8_sgpr9
	s_and_saveexec_b64 s[50:51], s[10:11]
	s_cbranch_execz .LBB195_279
; %bb.179:                              ;   in Loop: Header=BB195_12 Depth=1
	s_cmp_eq_u64 s[22:23], 1
	s_cselect_b64 s[2:3], -1, 0
	v_cmp_eq_u64_e32 vcc, 1, v[6:7]
	s_and_b64 s[10:11], s[2:3], vcc
	s_mov_b64 s[4:5], -1
                                        ; implicit-def: $sgpr8_sgpr9
                                        ; implicit-def: $sgpr52_sgpr53
                                        ; implicit-def: $vcc
	s_and_saveexec_b64 s[54:55], s[10:11]
	s_cbranch_execz .LBB195_213
; %bb.180:                              ;   in Loop: Header=BB195_12 Depth=1
	ds_read_b64 v[2:3], v15 offset:5120
	s_waitcnt lgkmcnt(0)
	s_barrier
	v_readfirstlane_b32 s2, v2
	v_readfirstlane_b32 s3, v3
	s_mov_b64 s[4:5], exec
	v_readlane_b32 s6, v48, 30
	v_readlane_b32 s7, v48, 31
	s_and_b64 s[6:7], s[4:5], s[6:7]
	s_mov_b64 exec, s[6:7]
	s_cbranch_execz .LBB195_182
; %bb.181:                              ;   in Loop: Header=BB195_12 Depth=1
	ds_write_b32 v32, v15
.LBB195_182:                            ;   in Loop: Header=BB195_12 Depth=1
	s_or_b64 exec, exec, s[4:5]
	v_and_b32_e32 v2, s48, v20
	v_lshl_or_b32 v20, 2, s49, v2
	v_or_b32_e32 v24, s84, v24
	s_cmp_eq_u64 s[2:3], 0
	s_waitcnt lgkmcnt(0)
	s_barrier
	s_cbranch_scc1 .LBB195_196
; %bb.183:                              ;   in Loop: Header=BB195_12 Depth=1
	v_readlane_b32 s4, v48, 34
	s_add_u32 s8, s4, s2
	v_readlane_b32 s4, v48, 36
	s_addc_u32 s5, s4, s3
	s_mov_b32 s4, s85
	s_cmp_lg_u64 s[4:5], 0
	s_cbranch_scc0 .LBB195_231
; %bb.184:                              ;   in Loop: Header=BB195_12 Depth=1
	v_cvt_f32_u32_e32 v2, s87
	s_sub_u32 s4, 0, s87
	s_subb_u32 s6, 0, 0
	v_mac_f32_e32 v2, 0, v36
	v_rcp_f32_e32 v2, v2
	v_mul_f32_e32 v2, 0x5f7ffffc, v2
	v_mul_f32_e32 v3, 0x2f800000, v2
	v_trunc_f32_e32 v3, v3
	v_mac_f32_e32 v2, 0xcf800000, v3
	v_cvt_u32_f32_e32 v3, v3
	v_cvt_u32_f32_e32 v2, v2
	v_readfirstlane_b32 s7, v3
	v_readfirstlane_b32 s9, v2
	s_mul_i32 s12, s4, s7
	s_mul_hi_u32 s52, s4, s9
	s_mul_i32 s13, s6, s9
	s_add_i32 s12, s52, s12
	s_mul_i32 s53, s4, s9
	s_add_i32 s12, s12, s13
	s_mul_hi_u32 s52, s9, s53
	s_mul_hi_u32 s13, s9, s12
	s_mul_i32 s9, s9, s12
	s_add_u32 s9, s52, s9
	s_addc_u32 s13, 0, s13
	s_mul_hi_u32 s56, s7, s53
	s_mul_i32 s53, s7, s53
	s_add_u32 s9, s9, s53
	s_mul_hi_u32 s52, s7, s12
	s_addc_u32 s9, s13, s56
	s_addc_u32 s13, s52, 0
	s_mul_i32 s12, s7, s12
	s_add_u32 s9, s9, s12
	s_addc_u32 s12, 0, s13
	v_add_co_u32_e32 v2, vcc, s9, v2
	s_cmp_lg_u64 vcc, 0
	s_addc_u32 s7, s7, s12
	v_readfirstlane_b32 s12, v2
	s_mul_i32 s9, s4, s7
	s_mul_hi_u32 s13, s4, s12
	s_add_i32 s9, s13, s9
	s_mul_i32 s6, s6, s12
	s_add_i32 s9, s9, s6
	s_mul_i32 s4, s4, s12
	s_mul_hi_u32 s13, s7, s4
	s_mul_i32 s52, s7, s4
	s_mul_i32 s56, s12, s9
	s_mul_hi_u32 s4, s12, s4
	s_mul_hi_u32 s53, s12, s9
	s_add_u32 s4, s4, s56
	s_addc_u32 s12, 0, s53
	s_add_u32 s4, s4, s52
	s_mul_hi_u32 s6, s7, s9
	s_addc_u32 s4, s12, s13
	s_addc_u32 s6, s6, 0
	s_mul_i32 s9, s7, s9
	s_add_u32 s4, s4, s9
	s_addc_u32 s6, 0, s6
	v_add_co_u32_e32 v2, vcc, s4, v2
	s_cmp_lg_u64 vcc, 0
	s_addc_u32 s4, s7, s6
	v_readfirstlane_b32 s9, v2
	s_mul_i32 s7, s8, s4
	s_mul_hi_u32 s12, s8, s9
	s_mul_hi_u32 s6, s8, s4
	s_add_u32 s7, s12, s7
	s_addc_u32 s6, 0, s6
	s_mul_hi_u32 s13, s5, s9
	s_mul_i32 s9, s5, s9
	s_add_u32 s7, s7, s9
	s_mul_hi_u32 s12, s5, s4
	s_addc_u32 s6, s6, s13
	s_addc_u32 s7, s12, 0
	s_mul_i32 s4, s5, s4
	s_add_u32 s4, s6, s4
	s_addc_u32 s6, 0, s7
	s_mul_hi_u32 s7, s87, s4
	s_mul_i32 s4, s87, s4
	s_mul_i32 s6, s87, s6
	v_mov_b32_e32 v2, s4
	s_add_i32 s7, s7, s6
	v_sub_co_u32_e32 v2, vcc, s8, v2
	s_cmp_lg_u64 vcc, 0
	s_subb_u32 s4, s5, s7
	v_subrev_co_u32_e32 v3, vcc, s87, v2
	s_cmp_lg_u64 vcc, 0
	s_subb_u32 s6, s4, 0
	v_subrev_co_u32_e32 v4, vcc, s87, v3
	s_cmp_lg_u64 vcc, 0
	s_subb_u32 s7, s6, 0
	v_cmp_le_u32_e32 vcc, s87, v3
	s_cmp_eq_u32 s6, 0
	v_cndmask_b32_e64 v5, 0, -1, vcc
	s_cselect_b64 vcc, -1, 0
	v_cndmask_b32_e32 v5, -1, v5, vcc
	v_mov_b32_e32 v8, s6
	v_mov_b32_e32 v9, s7
	v_cmp_ne_u32_e32 vcc, 0, v5
	v_cndmask_b32_e32 v5, v8, v9, vcc
	v_cndmask_b32_e32 v4, v3, v4, vcc
	v_cmp_le_u32_e32 vcc, s87, v2
	s_cmp_eq_u32 s4, 0
	v_cndmask_b32_e64 v3, 0, -1, vcc
	s_cselect_b64 vcc, -1, 0
	v_cndmask_b32_e32 v3, -1, v3, vcc
	v_mov_b32_e32 v8, s4
	v_cmp_ne_u32_e32 vcc, 0, v3
	v_cndmask_b32_e32 v3, v8, v5, vcc
	v_cndmask_b32_e32 v2, v2, v4, vcc
	s_cbranch_execnz .LBB195_186
.LBB195_185:                            ;   in Loop: Header=BB195_12 Depth=1
	v_cvt_f32_u32_e32 v2, s87
	s_sub_i32 s4, 0, s87
	v_rcp_iflag_f32_e32 v2, v2
	v_mul_f32_e32 v2, 0x4f7ffffe, v2
	v_cvt_u32_f32_e32 v2, v2
	v_mul_lo_u32 v3, s4, v2
	v_mul_hi_u32 v3, v2, v3
	v_add_u32_e32 v2, v2, v3
	v_mul_hi_u32 v2, s8, v2
	v_mul_lo_u32 v2, v2, s87
	v_sub_u32_e32 v2, s8, v2
	v_subrev_u32_e32 v3, s87, v2
	v_cmp_le_u32_e32 vcc, s87, v2
	v_cndmask_b32_e32 v2, v2, v3, vcc
	v_subrev_u32_e32 v3, s87, v2
	v_cmp_le_u32_e32 vcc, s87, v2
	v_cndmask_b32_e32 v14, v2, v3, vcc
	v_pk_mov_b32 v[2:3], v[14:15], v[14:15] op_sel:[0,1]
.LBB195_186:                            ;   in Loop: Header=BB195_12 Depth=1
	v_mov_b32_e32 v4, s5
	v_sub_co_u32_e32 v2, vcc, s8, v2
	v_subb_co_u32_e32 v3, vcc, v4, v3, vcc
	v_cmp_gt_u64_e32 vcc, v[2:3], v[0:1]
	s_mov_b64 s[4:5], 0
                                        ; implicit-def: $vgpr5
	s_and_saveexec_b64 s[8:9], vcc
	s_cbranch_execz .LBB195_198
; %bb.187:                              ;   in Loop: Header=BB195_12 Depth=1
	v_mov_b32_e32 v14, v16
	v_pk_mov_b32 v[8:9], v[0:1], v[0:1] op_sel:[0,1]
                                        ; implicit-def: $sgpr12_sgpr13
	s_branch .LBB195_189
.LBB195_188:                            ;   in Loop: Header=BB195_189 Depth=2
	s_or_b64 exec, exec, s[6:7]
	s_waitcnt lgkmcnt(0)
	s_barrier
	ds_read_b64 v[4:5], v15 offset:3072
	v_add_co_u32_e64 v8, s[6:7], s87, v8
	v_add_u32_e32 v14, s95, v14
	s_waitcnt lgkmcnt(0)
	v_cmp_neq_f32_e32 vcc, 0, v4
	v_mov_b32_e32 v4, s88
	v_addc_co_u32_e64 v9, s[6:7], v9, v4, s[6:7]
	v_cmp_ge_u64_e64 s[6:7], v[8:9], v[2:3]
	s_or_b64 s[6:7], s[6:7], vcc
	s_and_b64 s[6:7], exec, s[6:7]
	s_or_b64 s[4:5], s[6:7], s[4:5]
	s_andn2_b64 s[6:7], s[12:13], exec
	s_and_b64 s[12:13], vcc, exec
	s_or_b64 s[12:13], s[6:7], s[12:13]
	s_barrier
	s_andn2_b64 exec, exec, s[4:5]
	s_cbranch_execz .LBB195_197
.LBB195_189:                            ;   Parent Loop BB195_12 Depth=1
                                        ; =>  This Inner Loop Header: Depth=2
	v_cmp_gt_u64_e32 vcc, s[2:3], v[8:9]
	s_waitcnt vmcnt(0)
	v_mov_b32_e32 v19, 0
	s_and_saveexec_b64 s[6:7], vcc
	s_cbranch_execz .LBB195_191
; %bb.190:                              ;   in Loop: Header=BB195_189 Depth=2
	ds_read_b32 v19, v14
.LBB195_191:                            ;   in Loop: Header=BB195_189 Depth=2
	s_or_b64 exec, exec, s[6:7]
	s_and_saveexec_b64 s[6:7], vcc
	s_cbranch_execz .LBB195_188
; %bb.192:                              ;   in Loop: Header=BB195_189 Depth=2
	s_waitcnt lgkmcnt(0)
	v_cmp_lt_i32_e32 vcc, -1, v19
	v_cndmask_b32_e32 v4, -1, v35, vcc
	v_xor_b32_e32 v4, v4, v19
	v_cmp_o_f32_e32 vcc, v19, v19
	v_cndmask_b32_e32 v4, -1, v4, vcc
	v_and_b32_e32 v4, v4, v24
	v_cmp_eq_u32_e32 vcc, v4, v20
	s_and_b64 exec, exec, vcc
	s_cbranch_execz .LBB195_188
; %bb.193:                              ;   in Loop: Header=BB195_189 Depth=2
	ds_write_b64 v15, v[18:19] offset:3072
	s_branch .LBB195_188
.LBB195_194:                            ;   in Loop: Header=BB195_12 Depth=1
                                        ; implicit-def: $vgpr4_vgpr5
	s_branch .LBB195_139
.LBB195_195:                            ;   in Loop: Header=BB195_12 Depth=1
                                        ; implicit-def: $vgpr4_vgpr5
	s_branch .LBB195_155
.LBB195_196:                            ;   in Loop: Header=BB195_12 Depth=1
	s_mov_b64 s[8:9], -1
	s_mov_b64 s[4:5], 0
                                        ; implicit-def: $sgpr2_sgpr3
                                        ; implicit-def: $vgpr5
	s_mov_b64 s[52:53], s[8:9]
	s_cbranch_execnz .LBB195_199
	s_branch .LBB195_212
.LBB195_197:                            ;   in Loop: Header=BB195_12 Depth=1
	s_or_b64 exec, exec, s[4:5]
	s_and_b64 s[4:5], s[12:13], exec
.LBB195_198:                            ;   in Loop: Header=BB195_12 Depth=1
	s_or_b64 exec, exec, s[8:9]
	s_mov_b64 s[2:3], -1
	s_mov_b64 s[8:9], 0
	s_mov_b64 s[52:53], s[8:9]
	s_branch .LBB195_212
.LBB195_199:                            ;   in Loop: Header=BB195_12 Depth=1
	s_mov_b32 s92, s85
	s_cmp_lg_u64 s[92:93], 0
	s_cbranch_scc0 .LBB195_232
; %bb.200:                              ;   in Loop: Header=BB195_12 Depth=1
	v_cvt_f32_u32_e32 v2, s87
	s_sub_u32 s2, 0, s87
	s_subb_u32 s3, 0, 0
	v_mac_f32_e32 v2, 0, v36
	v_rcp_f32_e32 v2, v2
	v_mul_f32_e32 v2, 0x5f7ffffc, v2
	v_mul_f32_e32 v3, 0x2f800000, v2
	v_trunc_f32_e32 v3, v3
	v_mac_f32_e32 v2, 0xcf800000, v3
	v_cvt_u32_f32_e32 v3, v3
	v_cvt_u32_f32_e32 v2, v2
	v_readfirstlane_b32 s4, v3
	v_readfirstlane_b32 s5, v2
	s_mul_i32 s6, s2, s4
	s_mul_hi_u32 s8, s2, s5
	s_mul_i32 s7, s3, s5
	s_add_i32 s6, s8, s6
	s_mul_i32 s9, s2, s5
	s_add_i32 s6, s6, s7
	s_mul_hi_u32 s8, s5, s9
	s_mul_hi_u32 s7, s5, s6
	s_mul_i32 s5, s5, s6
	s_add_u32 s5, s8, s5
	s_addc_u32 s7, 0, s7
	s_mul_hi_u32 s12, s4, s9
	s_mul_i32 s9, s4, s9
	s_add_u32 s5, s5, s9
	s_mul_hi_u32 s8, s4, s6
	s_addc_u32 s5, s7, s12
	s_addc_u32 s7, s8, 0
	s_mul_i32 s6, s4, s6
	s_add_u32 s5, s5, s6
	s_addc_u32 s6, 0, s7
	v_add_co_u32_e32 v2, vcc, s5, v2
	s_cmp_lg_u64 vcc, 0
	s_addc_u32 s4, s4, s6
	v_readfirstlane_b32 s6, v2
	s_mul_i32 s5, s2, s4
	s_mul_hi_u32 s7, s2, s6
	s_add_i32 s5, s7, s5
	s_mul_i32 s3, s3, s6
	s_add_i32 s5, s5, s3
	s_mul_i32 s2, s2, s6
	s_mul_hi_u32 s7, s4, s2
	s_mul_i32 s8, s4, s2
	s_mul_i32 s12, s6, s5
	s_mul_hi_u32 s2, s6, s2
	s_mul_hi_u32 s9, s6, s5
	s_add_u32 s2, s2, s12
	s_addc_u32 s6, 0, s9
	s_add_u32 s2, s2, s8
	s_mul_hi_u32 s3, s4, s5
	s_addc_u32 s2, s6, s7
	s_addc_u32 s3, s3, 0
	s_mul_i32 s5, s4, s5
	s_add_u32 s2, s2, s5
	s_addc_u32 s3, 0, s3
	v_add_co_u32_e32 v2, vcc, s2, v2
	s_cmp_lg_u64 vcc, 0
	s_addc_u32 s2, s4, s3
	v_readlane_b32 s8, v48, 35
	v_readfirstlane_b32 s5, v2
	s_mul_i32 s4, s8, s2
	s_mul_hi_u32 s6, s8, s5
	s_mul_hi_u32 s3, s8, s2
	s_add_u32 s4, s6, s4
	s_addc_u32 s3, 0, s3
	s_mul_hi_u32 s7, s93, s5
	s_mul_i32 s5, s93, s5
	s_add_u32 s4, s4, s5
	s_mul_hi_u32 s6, s93, s2
	s_addc_u32 s3, s3, s7
	s_addc_u32 s4, s6, 0
	s_mul_i32 s2, s93, s2
	s_add_u32 s2, s3, s2
	s_addc_u32 s3, 0, s4
	s_mul_hi_u32 s4, s87, s2
	s_mul_i32 s2, s87, s2
	s_mul_i32 s3, s87, s3
	v_mov_b32_e32 v2, s2
	s_add_i32 s4, s4, s3
	v_sub_co_u32_e32 v2, vcc, s8, v2
	s_cmp_lg_u64 vcc, 0
	s_subb_u32 s2, s93, s4
	v_subrev_co_u32_e32 v3, vcc, s87, v2
	s_cmp_lg_u64 vcc, 0
	s_subb_u32 s3, s2, 0
	v_subrev_co_u32_e32 v4, vcc, s87, v3
	s_cmp_lg_u64 vcc, 0
	s_subb_u32 s4, s3, 0
	v_cmp_le_u32_e32 vcc, s87, v3
	s_cmp_eq_u32 s3, 0
	v_cndmask_b32_e64 v5, 0, -1, vcc
	s_cselect_b64 vcc, -1, 0
	v_cndmask_b32_e32 v5, -1, v5, vcc
	v_mov_b32_e32 v8, s3
	v_mov_b32_e32 v9, s4
	v_cmp_ne_u32_e32 vcc, 0, v5
	v_cndmask_b32_e32 v5, v8, v9, vcc
	v_cndmask_b32_e32 v4, v3, v4, vcc
	v_cmp_le_u32_e32 vcc, s87, v2
	s_cmp_eq_u32 s2, 0
	v_cndmask_b32_e64 v3, 0, -1, vcc
	s_cselect_b64 vcc, -1, 0
	v_cndmask_b32_e32 v3, -1, v3, vcc
	v_mov_b32_e32 v8, s2
	v_cmp_ne_u32_e32 vcc, 0, v3
	v_cndmask_b32_e32 v3, v8, v5, vcc
	v_cndmask_b32_e32 v2, v2, v4, vcc
	s_cbranch_execnz .LBB195_202
.LBB195_201:                            ;   in Loop: Header=BB195_12 Depth=1
	v_cvt_f32_u32_e32 v2, s87
	s_sub_i32 s2, 0, s87
	v_rcp_iflag_f32_e32 v2, v2
	v_mul_f32_e32 v2, 0x4f7ffffe, v2
	v_cvt_u32_f32_e32 v2, v2
	v_mul_lo_u32 v3, s2, v2
	v_mul_hi_u32 v3, v2, v3
	v_add_u32_e32 v2, v2, v3
	v_readlane_b32 s2, v48, 35
	v_mul_hi_u32 v2, s2, v2
	v_mul_lo_u32 v2, v2, s87
	v_sub_u32_e32 v2, s2, v2
	v_subrev_u32_e32 v3, s87, v2
	v_cmp_le_u32_e32 vcc, s87, v2
	v_cndmask_b32_e32 v2, v2, v3, vcc
	v_subrev_u32_e32 v3, s87, v2
	v_cmp_le_u32_e32 vcc, s87, v2
	v_cndmask_b32_e32 v14, v2, v3, vcc
	v_pk_mov_b32 v[2:3], v[14:15], v[14:15] op_sel:[0,1]
.LBB195_202:                            ;   in Loop: Header=BB195_12 Depth=1
	v_readlane_b32 s2, v48, 35
	v_mov_b32_e32 v4, s93
	v_sub_co_u32_e32 v2, vcc, s2, v2
	v_subb_co_u32_e32 v3, vcc, v4, v3, vcc
	v_cmp_gt_u64_e32 vcc, v[2:3], v[0:1]
	s_mov_b64 s[4:5], 0
                                        ; implicit-def: $vgpr5
	s_and_saveexec_b64 s[2:3], vcc
	s_cbranch_execz .LBB195_211
; %bb.203:                              ;   in Loop: Header=BB195_12 Depth=1
	v_pk_mov_b32 v[8:9], v[0:1], v[0:1] op_sel:[0,1]
                                        ; implicit-def: $sgpr8_sgpr9
	s_branch .LBB195_205
.LBB195_204:                            ;   in Loop: Header=BB195_205 Depth=2
	s_or_b64 exec, exec, s[6:7]
	s_waitcnt lgkmcnt(0)
	s_barrier
	ds_read_b64 v[4:5], v15 offset:3072
	v_add_co_u32_e64 v8, s[6:7], s87, v8
	s_waitcnt lgkmcnt(0)
	s_barrier
	v_cmp_neq_f32_e32 vcc, 0, v4
	v_mov_b32_e32 v4, s88
	v_addc_co_u32_e64 v9, s[6:7], v9, v4, s[6:7]
	v_cmp_ge_u64_e64 s[6:7], v[8:9], v[2:3]
	s_or_b64 s[6:7], s[6:7], vcc
	s_and_b64 s[6:7], exec, s[6:7]
	s_or_b64 s[4:5], s[6:7], s[4:5]
	s_andn2_b64 s[6:7], s[8:9], exec
	s_and_b64 s[8:9], vcc, exec
	s_or_b64 s[8:9], s[6:7], s[8:9]
	s_andn2_b64 exec, exec, s[4:5]
	s_cbranch_execz .LBB195_210
.LBB195_205:                            ;   Parent Loop BB195_12 Depth=1
                                        ; =>  This Inner Loop Header: Depth=2
	v_cmp_gt_u64_e32 vcc, s[60:61], v[8:9]
	s_waitcnt vmcnt(0)
	v_mov_b32_e32 v19, 0
	s_and_saveexec_b64 s[12:13], vcc
	s_cbranch_execz .LBB195_207
; %bb.206:                              ;   in Loop: Header=BB195_205 Depth=2
	v_mul_lo_u32 v14, v9, s58
	v_mul_lo_u32 v19, v8, s59
	v_mad_u64_u32 v[4:5], s[6:7], v8, s58, 0
	v_add3_u32 v5, v5, v19, v14
	v_lshlrev_b64 v[4:5], 2, v[4:5]
	v_mov_b32_e32 v14, s86
	v_add_co_u32_e64 v4, s[6:7], s33, v4
	v_addc_co_u32_e64 v5, s[6:7], v14, v5, s[6:7]
	global_load_dword v19, v[4:5], off
.LBB195_207:                            ;   in Loop: Header=BB195_205 Depth=2
	s_or_b64 exec, exec, s[12:13]
	s_and_saveexec_b64 s[6:7], vcc
	s_cbranch_execz .LBB195_204
; %bb.208:                              ;   in Loop: Header=BB195_205 Depth=2
	s_waitcnt vmcnt(0)
	v_cmp_lt_i32_e32 vcc, -1, v19
	v_cndmask_b32_e32 v4, -1, v35, vcc
	v_xor_b32_e32 v4, v4, v19
	v_cmp_o_f32_e32 vcc, v19, v19
	v_cndmask_b32_e32 v4, -1, v4, vcc
	v_and_b32_e32 v4, v4, v24
	v_cmp_eq_u32_e32 vcc, v4, v20
	s_and_b64 exec, exec, vcc
	s_cbranch_execz .LBB195_204
; %bb.209:                              ;   in Loop: Header=BB195_205 Depth=2
	ds_write_b64 v15, v[18:19] offset:3072
	s_branch .LBB195_204
.LBB195_210:                            ;   in Loop: Header=BB195_12 Depth=1
	s_or_b64 exec, exec, s[4:5]
	s_and_b64 s[4:5], s[8:9], exec
.LBB195_211:                            ;   in Loop: Header=BB195_12 Depth=1
	s_or_b64 exec, exec, s[2:3]
	s_mov_b64 s[52:53], -1
	s_mov_b64 s[8:9], 0
	s_mov_b64 s[2:3], 0
.LBB195_212:                            ;   in Loop: Header=BB195_12 Depth=1
	s_orn2_b64 s[4:5], s[4:5], exec
	s_mov_b64 vcc, s[2:3]
.LBB195_213:                            ;   in Loop: Header=BB195_12 Depth=1
	s_or_b64 exec, exec, s[54:55]
	s_mov_b64 s[2:3], 0
                                        ; implicit-def: $vgpr8
	s_and_saveexec_b64 s[54:55], s[4:5]
	s_cbranch_execz .LBB195_278
; %bb.214:                              ;   in Loop: Header=BB195_12 Depth=1
	v_mov_b32_e32 v2, 1
	s_xor_b64 s[4:5], s[10:11], -1
	s_mov_b64 s[56:57], 0
	v_mov_b32_e32 v3, 0
	v_mov_b32_e32 v8, 1
	s_and_saveexec_b64 s[2:3], s[4:5]
	s_cbranch_execz .LBB195_224
; %bb.215:                              ;   in Loop: Header=BB195_12 Depth=1
	s_mov_b64 s[90:91], vcc
	v_cmp_ge_u64_e32 vcc, s[22:23], v[6:7]
                                        ; implicit-def: $sgpr10
                                        ; implicit-def: $sgpr4_sgpr5
	s_and_saveexec_b64 s[6:7], vcc
	s_xor_b64 s[6:7], exec, s[6:7]
	s_cbranch_execz .LBB195_221
; %bb.216:                              ;   in Loop: Header=BB195_12 Depth=1
	ds_read_b64 v[2:3], v15 offset:5120
	s_waitcnt lgkmcnt(0)
	v_cmp_ne_u64_e32 vcc, 0, v[2:3]
	s_cbranch_vccnz .LBB195_220
; %bb.217:                              ;   in Loop: Header=BB195_12 Depth=1
	s_mov_b64 s[4:5], exec
	v_readlane_b32 s10, v48, 12
	v_readlane_b32 s11, v48, 13
	s_and_b64 s[10:11], s[4:5], s[10:11]
	s_mov_b64 exec, s[10:11]
	s_cbranch_execz .LBB195_219
; %bb.218:                              ;   in Loop: Header=BB195_12 Depth=1
	v_pk_mov_b32 v[2:3], s[22:23], s[22:23] op_sel:[0,1]
	ds_write_b64 v15, v[2:3] offset:5128
.LBB195_219:                            ;   in Loop: Header=BB195_12 Depth=1
	s_or_b64 exec, exec, s[4:5]
	s_waitcnt lgkmcnt(0)
	s_barrier
.LBB195_220:                            ;   in Loop: Header=BB195_12 Depth=1
	v_and_b32_e32 v2, s48, v20
	v_lshl_or_b32 v20, 2, s49, v2
	v_or_b32_e32 v24, s84, v24
	s_mov_b64 s[4:5], 0
	s_mov_b32 s10, 8
.LBB195_221:                            ;   in Loop: Header=BB195_12 Depth=1
	s_or_saveexec_b64 s[6:7], s[6:7]
	v_mov_b32_e32 v8, s10
	s_xor_b64 exec, exec, s[6:7]
; %bb.222:                              ;   in Loop: Header=BB195_12 Depth=1
	v_mov_b32_e32 v2, s23
	v_subrev_co_u32_e32 v6, vcc, s22, v6
	v_subb_co_u32_e32 v7, vcc, v7, v2, vcc
	v_mov_b32_e32 v8, 0
	s_or_b64 s[4:5], s[4:5], exec
; %bb.223:                              ;   in Loop: Header=BB195_12 Depth=1
	s_or_b64 exec, exec, s[6:7]
	s_and_b64 s[56:57], s[4:5], exec
	v_pk_mov_b32 v[2:3], v[6:7], v[6:7] op_sel:[0,1]
	s_mov_b64 vcc, s[90:91]
.LBB195_224:                            ;   in Loop: Header=BB195_12 Depth=1
	s_or_b64 exec, exec, s[2:3]
	s_mov_b64 s[12:13], -1
                                        ; implicit-def: $sgpr2_sgpr3
                                        ; implicit-def: $sgpr6_sgpr7
                                        ; implicit-def: $sgpr4_sgpr5
	s_and_saveexec_b64 s[10:11], s[56:57]
	s_cbranch_execz .LBB195_277
; %bb.225:                              ;   in Loop: Header=BB195_12 Depth=1
	v_writelane_b32 v48, vcc_lo, 51
	s_cmp_eq_u64 s[24:25], 1
	v_writelane_b32 v48, vcc_hi, 52
	s_cselect_b64 s[2:3], -1, 0
	v_cmp_eq_u64_e32 vcc, 1, v[2:3]
	s_mov_b64 s[56:57], -1
	s_and_b64 s[12:13], s[2:3], vcc
                                        ; implicit-def: $sgpr2_sgpr3
                                        ; implicit-def: $sgpr6_sgpr7
                                        ; implicit-def: $sgpr4_sgpr5
	s_mov_b64 s[90:91], exec
	v_writelane_b32 v48, s12, 53
	v_writelane_b32 v48, s13, 54
	s_and_b64 s[12:13], s[90:91], s[12:13]
	s_mov_b64 exec, s[12:13]
	s_cbranch_execz .LBB195_264
; %bb.226:                              ;   in Loop: Header=BB195_12 Depth=1
	ds_read_b64 v[4:5], v15 offset:5120
	s_waitcnt lgkmcnt(0)
	s_barrier
	v_readfirstlane_b32 s2, v4
	v_readfirstlane_b32 s3, v5
	s_mov_b64 s[4:5], exec
	v_readlane_b32 s6, v48, 30
	v_readlane_b32 s7, v48, 31
	s_and_b64 s[6:7], s[4:5], s[6:7]
	s_mov_b64 exec, s[6:7]
	s_cbranch_execz .LBB195_228
; %bb.227:                              ;   in Loop: Header=BB195_12 Depth=1
	ds_write_b32 v32, v15
.LBB195_228:                            ;   in Loop: Header=BB195_12 Depth=1
	s_or_b64 exec, exec, s[4:5]
	v_or_b32_e32 v20, s84, v20
	v_or_b32_e32 v24, s84, v24
	s_cmp_eq_u64 s[2:3], 0
	v_writelane_b32 v48, s90, 55
	s_waitcnt lgkmcnt(0)
	s_barrier
	v_writelane_b32 v48, s91, 56
	s_cbranch_scc1 .LBB195_233
; %bb.229:                              ;   in Loop: Header=BB195_12 Depth=1
	v_readlane_b32 s4, v48, 34
	s_add_u32 s12, s4, s2
	v_readlane_b32 s4, v48, 36
	s_addc_u32 s5, s4, s3
	s_mov_b32 s4, s85
	s_cmp_lg_u64 s[4:5], 0
	s_cbranch_scc0 .LBB195_234
; %bb.230:                              ;   in Loop: Header=BB195_12 Depth=1
	v_cvt_f32_u32_e32 v4, s87
	s_sub_u32 s4, 0, s87
	s_subb_u32 s6, 0, 0
	v_mac_f32_e32 v4, 0, v36
	v_rcp_f32_e32 v4, v4
	v_mul_f32_e32 v4, 0x5f7ffffc, v4
	v_mul_f32_e32 v5, 0x2f800000, v4
	v_trunc_f32_e32 v5, v5
	v_mac_f32_e32 v4, 0xcf800000, v5
	v_cvt_u32_f32_e32 v5, v5
	v_cvt_u32_f32_e32 v4, v4
	v_readfirstlane_b32 s7, v5
	v_readfirstlane_b32 s13, v4
	s_mul_i32 s56, s4, s7
	s_mul_hi_u32 s90, s4, s13
	s_mul_i32 s57, s6, s13
	s_add_i32 s56, s90, s56
	s_mul_i32 s91, s4, s13
	s_add_i32 s56, s56, s57
	s_mul_hi_u32 s90, s13, s91
	s_mul_hi_u32 s57, s13, s56
	s_mul_i32 s13, s13, s56
	s_add_u32 s13, s90, s13
	s_addc_u32 s57, 0, s57
	s_mul_hi_u32 s92, s7, s91
	s_mul_i32 s91, s7, s91
	s_add_u32 s13, s13, s91
	s_mul_hi_u32 s90, s7, s56
	s_addc_u32 s13, s57, s92
	s_addc_u32 s57, s90, 0
	s_mul_i32 s56, s7, s56
	s_add_u32 s13, s13, s56
	s_addc_u32 s56, 0, s57
	v_add_co_u32_e32 v4, vcc, s13, v4
	s_cmp_lg_u64 vcc, 0
	s_addc_u32 s7, s7, s56
	v_readfirstlane_b32 s56, v4
	s_mul_i32 s13, s4, s7
	s_mul_hi_u32 s57, s4, s56
	s_add_i32 s13, s57, s13
	s_mul_i32 s6, s6, s56
	s_add_i32 s13, s13, s6
	s_mul_i32 s4, s4, s56
	s_mul_hi_u32 s57, s7, s4
	s_mul_i32 s90, s7, s4
	s_mul_i32 s92, s56, s13
	s_mul_hi_u32 s4, s56, s4
	s_mul_hi_u32 s91, s56, s13
	s_add_u32 s4, s4, s92
	s_addc_u32 s56, 0, s91
	s_add_u32 s4, s4, s90
	s_mul_hi_u32 s6, s7, s13
	s_addc_u32 s4, s56, s57
	s_addc_u32 s6, s6, 0
	s_mul_i32 s13, s7, s13
	s_add_u32 s4, s4, s13
	s_addc_u32 s6, 0, s6
	v_add_co_u32_e32 v4, vcc, s4, v4
	s_cmp_lg_u64 vcc, 0
	s_addc_u32 s4, s7, s6
	v_readfirstlane_b32 s13, v4
	s_mul_i32 s7, s12, s4
	s_mul_hi_u32 s56, s12, s13
	s_mul_hi_u32 s6, s12, s4
	s_add_u32 s7, s56, s7
	s_addc_u32 s6, 0, s6
	s_mul_hi_u32 s57, s5, s13
	s_mul_i32 s13, s5, s13
	s_add_u32 s7, s7, s13
	s_mul_hi_u32 s56, s5, s4
	s_addc_u32 s6, s6, s57
	s_addc_u32 s7, s56, 0
	s_mul_i32 s4, s5, s4
	s_add_u32 s4, s6, s4
	s_addc_u32 s6, 0, s7
	s_mul_hi_u32 s7, s87, s4
	s_mul_i32 s4, s87, s4
	s_mul_i32 s6, s87, s6
	v_mov_b32_e32 v4, s4
	s_add_i32 s7, s7, s6
	v_sub_co_u32_e32 v4, vcc, s12, v4
	s_cmp_lg_u64 vcc, 0
	s_subb_u32 s4, s5, s7
	v_subrev_co_u32_e32 v5, vcc, s87, v4
	s_cmp_lg_u64 vcc, 0
	s_subb_u32 s6, s4, 0
	v_subrev_co_u32_e32 v6, vcc, s87, v5
	s_cmp_lg_u64 vcc, 0
	s_subb_u32 s7, s6, 0
	v_cmp_le_u32_e32 vcc, s87, v5
	s_cmp_eq_u32 s6, 0
	v_cndmask_b32_e64 v7, 0, -1, vcc
	s_cselect_b64 vcc, -1, 0
	v_cndmask_b32_e32 v7, -1, v7, vcc
	v_mov_b32_e32 v8, s6
	v_mov_b32_e32 v9, s7
	v_cmp_ne_u32_e32 vcc, 0, v7
	v_cndmask_b32_e32 v7, v8, v9, vcc
	v_cndmask_b32_e32 v6, v5, v6, vcc
	v_cmp_le_u32_e32 vcc, s87, v4
	s_cmp_eq_u32 s4, 0
	v_cndmask_b32_e64 v5, 0, -1, vcc
	s_cselect_b64 vcc, -1, 0
	v_cndmask_b32_e32 v5, -1, v5, vcc
	v_mov_b32_e32 v8, s4
	v_cmp_ne_u32_e32 vcc, 0, v5
	v_cndmask_b32_e32 v5, v8, v7, vcc
	v_cndmask_b32_e32 v4, v4, v6, vcc
	s_mov_b64 s[6:7], 0
	s_branch .LBB195_235
.LBB195_231:                            ;   in Loop: Header=BB195_12 Depth=1
                                        ; implicit-def: $vgpr2_vgpr3
	s_branch .LBB195_185
.LBB195_232:                            ;   in Loop: Header=BB195_12 Depth=1
                                        ; implicit-def: $vgpr2_vgpr3
	s_branch .LBB195_201
.LBB195_233:                            ;   in Loop: Header=BB195_12 Depth=1
	s_mov_b64 s[2:3], -1
	s_mov_b64 s[12:13], 0
                                        ; implicit-def: $sgpr4_sgpr5
                                        ; implicit-def: $vgpr5
	s_branch .LBB195_247
.LBB195_234:                            ;   in Loop: Header=BB195_12 Depth=1
	s_mov_b64 s[6:7], -1
                                        ; implicit-def: $vgpr4_vgpr5
.LBB195_235:                            ;   in Loop: Header=BB195_12 Depth=1
	s_andn2_b64 vcc, exec, s[6:7]
	s_cbranch_vccnz .LBB195_237
; %bb.236:                              ;   in Loop: Header=BB195_12 Depth=1
	v_cvt_f32_u32_e32 v4, s87
	s_sub_i32 s4, 0, s87
	v_rcp_iflag_f32_e32 v4, v4
	v_mul_f32_e32 v4, 0x4f7ffffe, v4
	v_cvt_u32_f32_e32 v4, v4
	v_mul_lo_u32 v5, s4, v4
	v_mul_hi_u32 v5, v4, v5
	v_add_u32_e32 v4, v4, v5
	v_mul_hi_u32 v4, s12, v4
	v_mul_lo_u32 v4, v4, s87
	v_sub_u32_e32 v4, s12, v4
	v_subrev_u32_e32 v5, s87, v4
	v_cmp_le_u32_e32 vcc, s87, v4
	v_cndmask_b32_e32 v4, v4, v5, vcc
	v_subrev_u32_e32 v5, s87, v4
	v_cmp_le_u32_e32 vcc, s87, v4
	v_cndmask_b32_e32 v14, v4, v5, vcc
	v_pk_mov_b32 v[4:5], v[14:15], v[14:15] op_sel:[0,1]
.LBB195_237:                            ;   in Loop: Header=BB195_12 Depth=1
	v_mov_b32_e32 v7, s5
	v_sub_co_u32_e32 v6, vcc, s12, v4
	v_subb_co_u32_e32 v7, vcc, v7, v5, vcc
	v_cmp_gt_u64_e32 vcc, v[6:7], v[0:1]
	s_mov_b64 s[12:13], 0
                                        ; implicit-def: $vgpr5
	s_and_saveexec_b64 s[4:5], vcc
	s_cbranch_execz .LBB195_246
; %bb.238:                              ;   in Loop: Header=BB195_12 Depth=1
	v_mov_b32_e32 v14, v16
	v_pk_mov_b32 v[8:9], v[0:1], v[0:1] op_sel:[0,1]
                                        ; implicit-def: $sgpr56_sgpr57
	s_branch .LBB195_240
.LBB195_239:                            ;   in Loop: Header=BB195_240 Depth=2
	s_or_b64 exec, exec, s[6:7]
	s_waitcnt lgkmcnt(0)
	s_barrier
	ds_read_b64 v[4:5], v15 offset:3072
	v_add_co_u32_e64 v8, s[6:7], s87, v8
	v_add_u32_e32 v14, s95, v14
	s_waitcnt lgkmcnt(0)
	v_cmp_neq_f32_e32 vcc, 0, v4
	v_mov_b32_e32 v4, s88
	v_addc_co_u32_e64 v9, s[6:7], v9, v4, s[6:7]
	v_cmp_ge_u64_e64 s[6:7], v[8:9], v[6:7]
	s_or_b64 s[6:7], s[6:7], vcc
	s_and_b64 s[6:7], exec, s[6:7]
	s_or_b64 s[12:13], s[6:7], s[12:13]
	s_andn2_b64 s[6:7], s[56:57], exec
	s_and_b64 s[56:57], vcc, exec
	s_or_b64 s[56:57], s[6:7], s[56:57]
	s_barrier
	s_andn2_b64 exec, exec, s[12:13]
	s_cbranch_execz .LBB195_245
.LBB195_240:                            ;   Parent Loop BB195_12 Depth=1
                                        ; =>  This Inner Loop Header: Depth=2
	v_cmp_gt_u64_e32 vcc, s[2:3], v[8:9]
	s_waitcnt vmcnt(0)
	v_mov_b32_e32 v19, 0
	s_and_saveexec_b64 s[6:7], vcc
	s_cbranch_execz .LBB195_242
; %bb.241:                              ;   in Loop: Header=BB195_240 Depth=2
	ds_read_b32 v19, v14
.LBB195_242:                            ;   in Loop: Header=BB195_240 Depth=2
	s_or_b64 exec, exec, s[6:7]
	s_and_saveexec_b64 s[6:7], vcc
	s_cbranch_execz .LBB195_239
; %bb.243:                              ;   in Loop: Header=BB195_240 Depth=2
	s_waitcnt lgkmcnt(0)
	v_cmp_lt_i32_e32 vcc, -1, v19
	v_cndmask_b32_e32 v4, -1, v35, vcc
	v_xor_b32_e32 v4, v4, v19
	v_cmp_o_f32_e32 vcc, v19, v19
	v_cndmask_b32_e32 v4, -1, v4, vcc
	v_and_b32_e32 v4, v4, v24
	v_cmp_eq_u32_e32 vcc, v4, v20
	s_and_b64 exec, exec, vcc
	s_cbranch_execz .LBB195_239
; %bb.244:                              ;   in Loop: Header=BB195_240 Depth=2
	ds_write_b64 v15, v[18:19] offset:3072
	s_branch .LBB195_239
.LBB195_245:                            ;   in Loop: Header=BB195_12 Depth=1
	s_or_b64 exec, exec, s[12:13]
	s_and_b64 s[12:13], s[56:57], exec
.LBB195_246:                            ;   in Loop: Header=BB195_12 Depth=1
	s_or_b64 exec, exec, s[4:5]
	s_mov_b64 s[4:5], -1
	s_mov_b64 s[2:3], 0
.LBB195_247:                            ;   in Loop: Header=BB195_12 Depth=1
	s_and_b64 vcc, exec, s[2:3]
	s_mov_b64 s[6:7], s[2:3]
	s_cbranch_vccz .LBB195_263
; %bb.248:                              ;   in Loop: Header=BB195_12 Depth=1
	s_mov_b32 s92, s85
	s_cmp_lg_u64 s[92:93], 0
	s_cbranch_scc0 .LBB195_250
; %bb.249:                              ;   in Loop: Header=BB195_12 Depth=1
	v_cvt_f32_u32_e32 v4, s87
	s_sub_u32 s2, 0, s87
	s_subb_u32 s3, 0, 0
	v_mac_f32_e32 v4, 0, v36
	v_rcp_f32_e32 v4, v4
	v_mul_f32_e32 v4, 0x5f7ffffc, v4
	v_mul_f32_e32 v5, 0x2f800000, v4
	v_trunc_f32_e32 v5, v5
	v_mac_f32_e32 v4, 0xcf800000, v5
	v_cvt_u32_f32_e32 v5, v5
	v_cvt_u32_f32_e32 v4, v4
	v_readfirstlane_b32 s4, v5
	v_readfirstlane_b32 s5, v4
	s_mul_i32 s6, s2, s4
	s_mul_hi_u32 s12, s2, s5
	s_mul_i32 s7, s3, s5
	s_add_i32 s6, s12, s6
	s_mul_i32 s13, s2, s5
	s_add_i32 s6, s6, s7
	s_mul_hi_u32 s12, s5, s13
	s_mul_hi_u32 s7, s5, s6
	s_mul_i32 s5, s5, s6
	s_add_u32 s5, s12, s5
	s_addc_u32 s7, 0, s7
	s_mul_hi_u32 s56, s4, s13
	s_mul_i32 s13, s4, s13
	s_add_u32 s5, s5, s13
	s_mul_hi_u32 s12, s4, s6
	s_addc_u32 s5, s7, s56
	s_addc_u32 s7, s12, 0
	s_mul_i32 s6, s4, s6
	s_add_u32 s5, s5, s6
	s_addc_u32 s6, 0, s7
	v_add_co_u32_e32 v4, vcc, s5, v4
	s_cmp_lg_u64 vcc, 0
	s_addc_u32 s4, s4, s6
	v_readfirstlane_b32 s6, v4
	s_mul_i32 s5, s2, s4
	s_mul_hi_u32 s7, s2, s6
	s_add_i32 s5, s7, s5
	s_mul_i32 s3, s3, s6
	s_add_i32 s5, s5, s3
	s_mul_i32 s2, s2, s6
	s_mul_hi_u32 s7, s4, s2
	s_mul_i32 s12, s4, s2
	s_mul_i32 s56, s6, s5
	s_mul_hi_u32 s2, s6, s2
	s_mul_hi_u32 s13, s6, s5
	s_add_u32 s2, s2, s56
	s_addc_u32 s6, 0, s13
	s_add_u32 s2, s2, s12
	s_mul_hi_u32 s3, s4, s5
	s_addc_u32 s2, s6, s7
	s_addc_u32 s3, s3, 0
	s_mul_i32 s5, s4, s5
	s_add_u32 s2, s2, s5
	s_addc_u32 s3, 0, s3
	v_add_co_u32_e32 v4, vcc, s2, v4
	s_cmp_lg_u64 vcc, 0
	s_addc_u32 s2, s4, s3
	v_readlane_b32 s12, v48, 35
	v_readfirstlane_b32 s5, v4
	s_mul_i32 s4, s12, s2
	s_mul_hi_u32 s6, s12, s5
	s_mul_hi_u32 s3, s12, s2
	s_add_u32 s4, s6, s4
	s_addc_u32 s3, 0, s3
	s_mul_hi_u32 s7, s93, s5
	s_mul_i32 s5, s93, s5
	s_add_u32 s4, s4, s5
	s_mul_hi_u32 s6, s93, s2
	s_addc_u32 s3, s3, s7
	s_addc_u32 s4, s6, 0
	s_mul_i32 s2, s93, s2
	s_add_u32 s2, s3, s2
	s_addc_u32 s3, 0, s4
	s_mul_hi_u32 s4, s87, s2
	s_mul_i32 s2, s87, s2
	s_mul_i32 s3, s87, s3
	v_mov_b32_e32 v4, s2
	s_add_i32 s4, s4, s3
	v_sub_co_u32_e32 v4, vcc, s12, v4
	s_cmp_lg_u64 vcc, 0
	s_subb_u32 s2, s93, s4
	v_subrev_co_u32_e32 v5, vcc, s87, v4
	s_cmp_lg_u64 vcc, 0
	s_subb_u32 s3, s2, 0
	v_subrev_co_u32_e32 v6, vcc, s87, v5
	s_cmp_lg_u64 vcc, 0
	s_subb_u32 s4, s3, 0
	v_cmp_le_u32_e32 vcc, s87, v5
	s_cmp_eq_u32 s3, 0
	v_cndmask_b32_e64 v7, 0, -1, vcc
	s_cselect_b64 vcc, -1, 0
	v_cndmask_b32_e32 v7, -1, v7, vcc
	v_mov_b32_e32 v8, s3
	v_mov_b32_e32 v9, s4
	v_cmp_ne_u32_e32 vcc, 0, v7
	v_cndmask_b32_e32 v7, v8, v9, vcc
	v_cndmask_b32_e32 v6, v5, v6, vcc
	v_cmp_le_u32_e32 vcc, s87, v4
	s_cmp_eq_u32 s2, 0
	v_cndmask_b32_e64 v5, 0, -1, vcc
	s_cselect_b64 vcc, -1, 0
	v_cndmask_b32_e32 v5, -1, v5, vcc
	v_mov_b32_e32 v8, s2
	v_cmp_ne_u32_e32 vcc, 0, v5
	v_cndmask_b32_e32 v5, v8, v7, vcc
	v_cndmask_b32_e32 v4, v4, v6, vcc
	s_mov_b64 s[2:3], 0
	s_branch .LBB195_251
.LBB195_250:                            ;   in Loop: Header=BB195_12 Depth=1
	s_mov_b64 s[2:3], -1
                                        ; implicit-def: $vgpr4_vgpr5
.LBB195_251:                            ;   in Loop: Header=BB195_12 Depth=1
	s_andn2_b64 vcc, exec, s[2:3]
	s_cbranch_vccnz .LBB195_253
; %bb.252:                              ;   in Loop: Header=BB195_12 Depth=1
	v_cvt_f32_u32_e32 v4, s87
	s_sub_i32 s2, 0, s87
	v_rcp_iflag_f32_e32 v4, v4
	v_mul_f32_e32 v4, 0x4f7ffffe, v4
	v_cvt_u32_f32_e32 v4, v4
	v_mul_lo_u32 v5, s2, v4
	v_mul_hi_u32 v5, v4, v5
	v_add_u32_e32 v4, v4, v5
	v_readlane_b32 s2, v48, 35
	v_mul_hi_u32 v4, s2, v4
	v_mul_lo_u32 v4, v4, s87
	v_sub_u32_e32 v4, s2, v4
	v_subrev_u32_e32 v5, s87, v4
	v_cmp_le_u32_e32 vcc, s87, v4
	v_cndmask_b32_e32 v4, v4, v5, vcc
	v_subrev_u32_e32 v5, s87, v4
	v_cmp_le_u32_e32 vcc, s87, v4
	v_cndmask_b32_e32 v14, v4, v5, vcc
	v_pk_mov_b32 v[4:5], v[14:15], v[14:15] op_sel:[0,1]
.LBB195_253:                            ;   in Loop: Header=BB195_12 Depth=1
	v_readlane_b32 s2, v48, 35
	v_mov_b32_e32 v7, s93
	v_sub_co_u32_e32 v6, vcc, s2, v4
	v_subb_co_u32_e32 v7, vcc, v7, v5, vcc
	v_cmp_gt_u64_e32 vcc, v[6:7], v[0:1]
	s_mov_b64 s[12:13], 0
                                        ; implicit-def: $vgpr5
	s_and_saveexec_b64 s[2:3], vcc
	s_cbranch_execz .LBB195_262
; %bb.254:                              ;   in Loop: Header=BB195_12 Depth=1
	s_mov_b64 s[4:5], 0
	v_pk_mov_b32 v[8:9], v[0:1], v[0:1] op_sel:[0,1]
                                        ; implicit-def: $sgpr12_sgpr13
	s_branch .LBB195_256
.LBB195_255:                            ;   in Loop: Header=BB195_256 Depth=2
	s_or_b64 exec, exec, s[6:7]
	s_waitcnt lgkmcnt(0)
	s_barrier
	ds_read_b64 v[4:5], v15 offset:3072
	v_add_co_u32_e64 v8, s[6:7], s87, v8
	s_waitcnt lgkmcnt(0)
	s_barrier
	v_cmp_neq_f32_e32 vcc, 0, v4
	v_mov_b32_e32 v4, s88
	v_addc_co_u32_e64 v9, s[6:7], v9, v4, s[6:7]
	v_cmp_ge_u64_e64 s[6:7], v[8:9], v[6:7]
	s_or_b64 s[6:7], s[6:7], vcc
	s_and_b64 s[6:7], exec, s[6:7]
	s_or_b64 s[4:5], s[6:7], s[4:5]
	s_andn2_b64 s[6:7], s[12:13], exec
	s_and_b64 s[12:13], vcc, exec
	s_or_b64 s[12:13], s[6:7], s[12:13]
	s_andn2_b64 exec, exec, s[4:5]
	s_cbranch_execz .LBB195_261
.LBB195_256:                            ;   Parent Loop BB195_12 Depth=1
                                        ; =>  This Inner Loop Header: Depth=2
	v_cmp_gt_u64_e32 vcc, s[60:61], v[8:9]
	s_waitcnt vmcnt(0)
	v_mov_b32_e32 v19, 0
	s_and_saveexec_b64 s[56:57], vcc
	s_cbranch_execz .LBB195_258
; %bb.257:                              ;   in Loop: Header=BB195_256 Depth=2
	v_mul_lo_u32 v14, v9, s58
	v_mul_lo_u32 v19, v8, s59
	v_mad_u64_u32 v[4:5], s[6:7], v8, s58, 0
	v_add3_u32 v5, v5, v19, v14
	v_lshlrev_b64 v[4:5], 2, v[4:5]
	v_mov_b32_e32 v14, s86
	v_add_co_u32_e64 v4, s[6:7], s33, v4
	v_addc_co_u32_e64 v5, s[6:7], v14, v5, s[6:7]
	global_load_dword v19, v[4:5], off
.LBB195_258:                            ;   in Loop: Header=BB195_256 Depth=2
	s_or_b64 exec, exec, s[56:57]
	s_and_saveexec_b64 s[6:7], vcc
	s_cbranch_execz .LBB195_255
; %bb.259:                              ;   in Loop: Header=BB195_256 Depth=2
	s_waitcnt vmcnt(0)
	v_cmp_lt_i32_e32 vcc, -1, v19
	v_cndmask_b32_e32 v4, -1, v35, vcc
	v_xor_b32_e32 v4, v4, v19
	v_cmp_o_f32_e32 vcc, v19, v19
	v_cndmask_b32_e32 v4, -1, v4, vcc
	v_and_b32_e32 v4, v4, v24
	v_cmp_eq_u32_e32 vcc, v4, v20
	s_and_b64 exec, exec, vcc
	s_cbranch_execz .LBB195_255
; %bb.260:                              ;   in Loop: Header=BB195_256 Depth=2
	ds_write_b64 v15, v[18:19] offset:3072
	s_branch .LBB195_255
.LBB195_261:                            ;   in Loop: Header=BB195_12 Depth=1
	s_or_b64 exec, exec, s[4:5]
	s_and_b64 s[12:13], s[12:13], exec
.LBB195_262:                            ;   in Loop: Header=BB195_12 Depth=1
	s_or_b64 exec, exec, s[2:3]
	s_mov_b64 s[6:7], -1
	s_mov_b64 s[2:3], 0
	s_mov_b64 s[4:5], 0
.LBB195_263:                            ;   in Loop: Header=BB195_12 Depth=1
	v_readlane_b32 s90, v48, 55
	s_orn2_b64 s[56:57], s[12:13], exec
	v_readlane_b32 s91, v48, 56
.LBB195_264:                            ;   in Loop: Header=BB195_12 Depth=1
	s_or_b64 exec, exec, s[90:91]
	s_mov_b64 s[90:91], 0
                                        ; implicit-def: $vgpr8
                                        ; implicit-def: $vgpr6_vgpr7
	s_and_saveexec_b64 s[12:13], s[56:57]
	v_readlane_b32 vcc_lo, v48, 51
	v_readlane_b32 vcc_hi, v48, 52
	s_cbranch_execz .LBB195_276
; %bb.265:                              ;   in Loop: Header=BB195_12 Depth=1
	v_readlane_b32 s56, v48, 53
	v_readlane_b32 s57, v48, 54
	v_mov_b32_e32 v6, 1
	s_xor_b64 s[90:91], s[56:57], -1
	v_mov_b32_e32 v8, 1
	v_mov_b32_e32 v7, 0
	s_and_saveexec_b64 s[56:57], s[90:91]
	s_cbranch_execz .LBB195_275
; %bb.266:                              ;   in Loop: Header=BB195_12 Depth=1
	v_cmp_ge_u64_e32 vcc, s[24:25], v[2:3]
                                        ; implicit-def: $sgpr92
	s_and_saveexec_b64 s[90:91], vcc
	s_xor_b64 s[90:91], exec, s[90:91]
	s_cbranch_execz .LBB195_272
; %bb.267:                              ;   in Loop: Header=BB195_12 Depth=1
	ds_read_b64 v[6:7], v15 offset:5120
	s_waitcnt lgkmcnt(0)
	v_cmp_ne_u64_e32 vcc, 0, v[6:7]
	s_cbranch_vccnz .LBB195_271
; %bb.268:                              ;   in Loop: Header=BB195_12 Depth=1
	v_writelane_b32 v48, s10, 57
	v_writelane_b32 v48, s11, 58
	s_mov_b64 s[10:11], exec
	v_writelane_b32 v48, s10, 59
	v_writelane_b32 v48, s11, 60
	v_readlane_b32 vcc_lo, v48, 12
	v_readlane_b32 s10, v48, 59
	v_readlane_b32 vcc_hi, v48, 13
	v_readlane_b32 s11, v48, 60
	s_and_b64 vcc, s[10:11], vcc
	s_mov_b64 exec, vcc
	s_cbranch_execz .LBB195_270
; %bb.269:                              ;   in Loop: Header=BB195_12 Depth=1
	v_pk_mov_b32 v[6:7], s[24:25], s[24:25] op_sel:[0,1]
	ds_write_b64 v15, v[6:7] offset:5128
.LBB195_270:                            ;   in Loop: Header=BB195_12 Depth=1
	v_readlane_b32 vcc_lo, v48, 59
	v_readlane_b32 vcc_hi, v48, 60
	s_or_b64 exec, exec, vcc
	v_readlane_b32 s10, v48, 57
	v_readlane_b32 s11, v48, 58
	s_waitcnt lgkmcnt(0)
	s_barrier
.LBB195_271:                            ;   in Loop: Header=BB195_12 Depth=1
	v_or_b32_e32 v20, s84, v20
	v_or_b32_e32 v24, s84, v24
	s_mov_b32 s92, 8
.LBB195_272:                            ;   in Loop: Header=BB195_12 Depth=1
	s_or_saveexec_b64 s[90:91], s[90:91]
	v_mov_b32_e32 v8, s92
	s_xor_b64 exec, exec, s[90:91]
; %bb.273:                              ;   in Loop: Header=BB195_12 Depth=1
	v_mov_b32_e32 v4, s25
	v_subrev_co_u32_e32 v2, vcc, s24, v2
	v_subb_co_u32_e32 v3, vcc, v3, v4, vcc
	v_mov_b32_e32 v8, 8
; %bb.274:                              ;   in Loop: Header=BB195_12 Depth=1
	s_or_b64 exec, exec, s[90:91]
	v_readlane_b32 vcc_lo, v48, 51
	v_pk_mov_b32 v[6:7], v[2:3], v[2:3] op_sel:[0,1]
	v_readlane_b32 vcc_hi, v48, 52
.LBB195_275:                            ;   in Loop: Header=BB195_12 Depth=1
	s_or_b64 exec, exec, s[56:57]
	s_mov_b64 s[90:91], exec
.LBB195_276:                            ;   in Loop: Header=BB195_12 Depth=1
	s_or_b64 exec, exec, s[12:13]
	s_orn2_b64 s[12:13], s[90:91], exec
	v_pk_mov_b32 v[2:3], v[6:7], v[6:7] op_sel:[0,1]
.LBB195_277:                            ;   in Loop: Header=BB195_12 Depth=1
	s_or_b64 exec, exec, s[10:11]
	s_andn2_b64 s[8:9], s[8:9], exec
	s_and_b64 s[2:3], s[2:3], exec
	s_or_b64 s[8:9], s[8:9], s[2:3]
	s_andn2_b64 s[2:3], s[52:53], exec
	s_and_b64 s[6:7], s[6:7], exec
	s_or_b64 s[52:53], s[2:3], s[6:7]
	s_andn2_b64 s[2:3], vcc, exec
	s_and_b64 s[4:5], s[4:5], exec
	s_or_b64 vcc, s[2:3], s[4:5]
	s_and_b64 s[2:3], s[12:13], exec
	v_pk_mov_b32 v[6:7], v[2:3], v[2:3] op_sel:[0,1]
.LBB195_278:                            ;   in Loop: Header=BB195_12 Depth=1
	s_or_b64 exec, exec, s[54:55]
	s_and_b64 s[8:9], s[8:9], exec
	s_and_b64 s[6:7], s[52:53], exec
	s_and_b64 s[4:5], vcc, exec
	s_orn2_b64 s[2:3], s[2:3], exec
.LBB195_279:                            ;   in Loop: Header=BB195_12 Depth=1
	s_or_b64 exec, exec, s[50:51]
	s_andn2_b64 s[10:11], s[28:29], exec
	s_and_b64 s[8:9], s[8:9], exec
	s_or_b64 s[28:29], s[10:11], s[8:9]
	s_andn2_b64 s[8:9], s[44:45], exec
	s_and_b64 s[6:7], s[6:7], exec
	s_or_b64 s[44:45], s[8:9], s[6:7]
	;; [unrolled: 3-line block ×3, first 2 shown]
	s_and_b64 s[6:7], s[2:3], exec
	v_pk_mov_b32 v[2:3], v[6:7], v[6:7] op_sel:[0,1]
.LBB195_280:                            ;   in Loop: Header=BB195_12 Depth=1
	s_or_b64 exec, exec, s[46:47]
	s_and_b64 s[8:9], s[28:29], exec
	s_and_b64 s[4:5], s[44:45], exec
	;; [unrolled: 1-line block ×3, first 2 shown]
	s_orn2_b64 s[12:13], s[6:7], exec
.LBB195_281:                            ;   in Loop: Header=BB195_12 Depth=1
	s_or_b64 exec, exec, s[26:27]
	s_mov_b64 s[6:7], 0
	s_mov_b64 s[10:11], 0
	s_and_saveexec_b64 s[26:27], s[12:13]
	s_xor_b64 s[12:13], exec, s[26:27]
; %bb.282:                              ;   in Loop: Header=BB195_12 Depth=1
	v_cmp_eq_u32_e32 vcc, 8, v8
	v_cmp_ne_u32_e64 s[6:7], 8, v8
	s_andn2_b64 s[8:9], s[8:9], exec
	s_andn2_b64 s[4:5], s[4:5], exec
	;; [unrolled: 1-line block ×3, first 2 shown]
	s_and_b64 s[10:11], s[6:7], exec
	s_and_b64 s[6:7], vcc, exec
; %bb.283:                              ;   in Loop: Header=BB195_12 Depth=1
	s_or_b64 exec, exec, s[12:13]
	s_andn2_b64 s[12:13], s[20:21], exec
	s_and_b64 s[8:9], s[8:9], exec
	s_or_b64 s[20:21], s[12:13], s[8:9]
	s_andn2_b64 s[8:9], s[36:37], exec
	s_and_b64 s[4:5], s[4:5], exec
	s_or_b64 s[36:37], s[8:9], s[4:5]
	;; [unrolled: 3-line block ×3, first 2 shown]
	s_and_b64 s[26:27], s[10:11], exec
	s_and_b64 s[28:29], s[6:7], exec
.LBB195_284:                            ;   in Loop: Header=BB195_12 Depth=1
	s_or_b64 exec, exec, s[40:41]
	s_and_b64 vcc, exec, s[38:39]
	s_cbranch_vccz .LBB195_100
.LBB195_285:                            ;   in Loop: Header=BB195_12 Depth=1
	s_cmp_eq_u64 s[24:25], 1
	s_cselect_b64 s[2:3], -1, 0
	s_and_b64 s[8:9], s[2:3], s[14:15]
	s_mov_b64 s[2:3], -1
                                        ; implicit-def: $sgpr14_sgpr15
                                        ; implicit-def: $sgpr38_sgpr39
                                        ; implicit-def: $sgpr20_sgpr21
	s_and_saveexec_b64 s[10:11], s[8:9]
	s_cbranch_execz .LBB195_317
; %bb.286:                              ;   in Loop: Header=BB195_12 Depth=1
	ds_read_b64 v[2:3], v15 offset:5120
	s_waitcnt lgkmcnt(0)
	s_barrier
	v_readfirstlane_b32 s2, v2
	v_readfirstlane_b32 s3, v3
	s_mov_b64 s[4:5], exec
	v_readlane_b32 s6, v48, 30
	v_readlane_b32 s7, v48, 31
	s_and_b64 s[6:7], s[4:5], s[6:7]
	s_mov_b64 exec, s[6:7]
	s_cbranch_execz .LBB195_288
; %bb.287:                              ;   in Loop: Header=BB195_12 Depth=1
	ds_write_b32 v32, v15
.LBB195_288:                            ;   in Loop: Header=BB195_12 Depth=1
	s_or_b64 exec, exec, s[4:5]
	v_or_b32_e32 v38, s84, v38
	v_or_b32_e32 v37, s84, v37
	s_cmp_eq_u64 s[2:3], 0
	s_waitcnt lgkmcnt(0)
	s_barrier
	s_cbranch_scc1 .LBB195_300
; %bb.289:                              ;   in Loop: Header=BB195_12 Depth=1
	v_readlane_b32 s4, v48, 34
	s_add_u32 s12, s4, s2
	v_readlane_b32 s4, v48, 36
	s_addc_u32 s5, s4, s3
	s_mov_b32 s4, s85
	s_cmp_lg_u64 s[4:5], 0
	s_cbranch_scc0 .LBB195_344
; %bb.290:                              ;   in Loop: Header=BB195_12 Depth=1
	v_cvt_f32_u32_e32 v2, s87
	s_sub_u32 s4, 0, s87
	s_subb_u32 s6, 0, 0
	v_mac_f32_e32 v2, 0, v36
	v_rcp_f32_e32 v2, v2
	v_mul_f32_e32 v2, 0x5f7ffffc, v2
	v_mul_f32_e32 v3, 0x2f800000, v2
	v_trunc_f32_e32 v3, v3
	v_mac_f32_e32 v2, 0xcf800000, v3
	v_cvt_u32_f32_e32 v3, v3
	v_cvt_u32_f32_e32 v2, v2
	v_readfirstlane_b32 s7, v3
	v_readfirstlane_b32 s13, v2
	s_mul_i32 s14, s4, s7
	s_mul_hi_u32 s20, s4, s13
	s_mul_i32 s15, s6, s13
	s_add_i32 s14, s20, s14
	s_mul_i32 s21, s4, s13
	s_add_i32 s14, s14, s15
	s_mul_hi_u32 s20, s13, s21
	s_mul_hi_u32 s15, s13, s14
	s_mul_i32 s13, s13, s14
	s_add_u32 s13, s20, s13
	s_addc_u32 s15, 0, s15
	s_mul_hi_u32 s34, s7, s21
	s_mul_i32 s21, s7, s21
	s_add_u32 s13, s13, s21
	s_mul_hi_u32 s20, s7, s14
	s_addc_u32 s13, s15, s34
	s_addc_u32 s15, s20, 0
	s_mul_i32 s14, s7, s14
	s_add_u32 s13, s13, s14
	s_addc_u32 s14, 0, s15
	v_add_co_u32_e32 v2, vcc, s13, v2
	s_cmp_lg_u64 vcc, 0
	s_addc_u32 s7, s7, s14
	v_readfirstlane_b32 s14, v2
	s_mul_i32 s13, s4, s7
	s_mul_hi_u32 s15, s4, s14
	s_add_i32 s13, s15, s13
	s_mul_i32 s6, s6, s14
	s_add_i32 s13, s13, s6
	s_mul_i32 s4, s4, s14
	s_mul_hi_u32 s15, s7, s4
	s_mul_i32 s20, s7, s4
	s_mul_i32 s34, s14, s13
	s_mul_hi_u32 s4, s14, s4
	s_mul_hi_u32 s21, s14, s13
	s_add_u32 s4, s4, s34
	s_addc_u32 s14, 0, s21
	s_add_u32 s4, s4, s20
	s_mul_hi_u32 s6, s7, s13
	s_addc_u32 s4, s14, s15
	s_addc_u32 s6, s6, 0
	s_mul_i32 s13, s7, s13
	s_add_u32 s4, s4, s13
	s_addc_u32 s6, 0, s6
	v_add_co_u32_e32 v2, vcc, s4, v2
	s_cmp_lg_u64 vcc, 0
	s_addc_u32 s4, s7, s6
	v_readfirstlane_b32 s13, v2
	s_mul_i32 s7, s12, s4
	s_mul_hi_u32 s14, s12, s13
	s_mul_hi_u32 s6, s12, s4
	s_add_u32 s7, s14, s7
	s_addc_u32 s6, 0, s6
	s_mul_hi_u32 s15, s5, s13
	s_mul_i32 s13, s5, s13
	s_add_u32 s7, s7, s13
	s_mul_hi_u32 s14, s5, s4
	s_addc_u32 s6, s6, s15
	s_addc_u32 s7, s14, 0
	s_mul_i32 s4, s5, s4
	s_add_u32 s4, s6, s4
	s_addc_u32 s6, 0, s7
	s_mul_hi_u32 s7, s87, s4
	s_mul_i32 s4, s87, s4
	s_mul_i32 s6, s87, s6
	v_mov_b32_e32 v2, s4
	s_add_i32 s7, s7, s6
	v_sub_co_u32_e32 v2, vcc, s12, v2
	s_cmp_lg_u64 vcc, 0
	s_subb_u32 s4, s5, s7
	v_subrev_co_u32_e32 v3, vcc, s87, v2
	s_cmp_lg_u64 vcc, 0
	s_subb_u32 s6, s4, 0
	v_subrev_co_u32_e32 v4, vcc, s87, v3
	s_cmp_lg_u64 vcc, 0
	s_subb_u32 s7, s6, 0
	v_cmp_le_u32_e32 vcc, s87, v3
	s_cmp_eq_u32 s6, 0
	v_cndmask_b32_e64 v5, 0, -1, vcc
	s_cselect_b64 vcc, -1, 0
	v_cndmask_b32_e32 v5, -1, v5, vcc
	v_mov_b32_e32 v6, s6
	v_mov_b32_e32 v7, s7
	v_cmp_ne_u32_e32 vcc, 0, v5
	v_cndmask_b32_e32 v5, v6, v7, vcc
	v_cndmask_b32_e32 v4, v3, v4, vcc
	v_cmp_le_u32_e32 vcc, s87, v2
	s_cmp_eq_u32 s4, 0
	v_cndmask_b32_e64 v3, 0, -1, vcc
	s_cselect_b64 vcc, -1, 0
	v_cndmask_b32_e32 v3, -1, v3, vcc
	v_mov_b32_e32 v6, s4
	v_cmp_ne_u32_e32 vcc, 0, v3
	v_cndmask_b32_e32 v3, v6, v5, vcc
	v_cndmask_b32_e32 v2, v2, v4, vcc
	s_cbranch_execnz .LBB195_292
.LBB195_291:                            ;   in Loop: Header=BB195_12 Depth=1
	v_cvt_f32_u32_e32 v2, s87
	s_sub_i32 s4, 0, s87
	v_rcp_iflag_f32_e32 v2, v2
	v_mul_f32_e32 v2, 0x4f7ffffe, v2
	v_cvt_u32_f32_e32 v2, v2
	v_mul_lo_u32 v3, s4, v2
	v_mul_hi_u32 v3, v2, v3
	v_add_u32_e32 v2, v2, v3
	v_mul_hi_u32 v2, s12, v2
	v_mul_lo_u32 v2, v2, s87
	v_sub_u32_e32 v2, s12, v2
	v_subrev_u32_e32 v3, s87, v2
	v_cmp_le_u32_e32 vcc, s87, v2
	v_cndmask_b32_e32 v2, v2, v3, vcc
	v_subrev_u32_e32 v3, s87, v2
	v_cmp_le_u32_e32 vcc, s87, v2
	v_cndmask_b32_e32 v14, v2, v3, vcc
	v_pk_mov_b32 v[2:3], v[14:15], v[14:15] op_sel:[0,1]
.LBB195_292:                            ;   in Loop: Header=BB195_12 Depth=1
	v_mov_b32_e32 v4, s5
	v_sub_co_u32_e32 v2, vcc, s12, v2
	v_subb_co_u32_e32 v3, vcc, v4, v3, vcc
	v_cmp_gt_u64_e32 vcc, v[2:3], v[0:1]
	s_mov_b64 s[4:5], 0
                                        ; implicit-def: $vgpr21
	s_and_saveexec_b64 s[12:13], vcc
	s_cbranch_execz .LBB195_302
; %bb.293:                              ;   in Loop: Header=BB195_12 Depth=1
	v_mov_b32_e32 v6, v16
	v_pk_mov_b32 v[4:5], v[0:1], v[0:1] op_sel:[0,1]
                                        ; implicit-def: $sgpr14_sgpr15
	s_branch .LBB195_295
.LBB195_294:                            ;   in Loop: Header=BB195_295 Depth=2
	s_or_b64 exec, exec, s[6:7]
	s_waitcnt lgkmcnt(0)
	s_barrier
	ds_read_b64 v[20:21], v15 offset:3072
	v_mov_b32_e32 v7, s88
	v_add_co_u32_e64 v4, s[6:7], s87, v4
	v_addc_co_u32_e64 v5, s[6:7], v5, v7, s[6:7]
	s_waitcnt lgkmcnt(0)
	v_cmp_neq_f32_e32 vcc, 0, v20
	v_cmp_ge_u64_e64 s[6:7], v[4:5], v[2:3]
	s_or_b64 s[6:7], s[6:7], vcc
	s_and_b64 s[6:7], exec, s[6:7]
	s_or_b64 s[4:5], s[6:7], s[4:5]
	s_andn2_b64 s[6:7], s[14:15], exec
	s_and_b64 s[14:15], vcc, exec
	v_add_u32_e32 v6, s95, v6
	s_or_b64 s[14:15], s[6:7], s[14:15]
	s_barrier
	s_andn2_b64 exec, exec, s[4:5]
	s_cbranch_execz .LBB195_301
.LBB195_295:                            ;   Parent Loop BB195_12 Depth=1
                                        ; =>  This Inner Loop Header: Depth=2
	v_cmp_gt_u64_e32 vcc, s[2:3], v[4:5]
	s_waitcnt vmcnt(0)
	v_mov_b32_e32 v19, 0
	s_and_saveexec_b64 s[6:7], vcc
	s_cbranch_execz .LBB195_297
; %bb.296:                              ;   in Loop: Header=BB195_295 Depth=2
	ds_read_b32 v19, v6
.LBB195_297:                            ;   in Loop: Header=BB195_295 Depth=2
	s_or_b64 exec, exec, s[6:7]
	s_and_saveexec_b64 s[6:7], vcc
	s_cbranch_execz .LBB195_294
; %bb.298:                              ;   in Loop: Header=BB195_295 Depth=2
	s_waitcnt lgkmcnt(0)
	v_cmp_lt_i32_e32 vcc, -1, v19
	v_cndmask_b32_e32 v7, -1, v35, vcc
	v_xor_b32_e32 v7, v7, v19
	v_cmp_o_f32_e32 vcc, v19, v19
	v_cndmask_b32_e32 v7, -1, v7, vcc
	v_and_b32_e32 v7, v7, v37
	v_cmp_eq_u32_e32 vcc, v7, v38
	s_and_b64 exec, exec, vcc
	s_cbranch_execz .LBB195_294
; %bb.299:                              ;   in Loop: Header=BB195_295 Depth=2
	ds_write_b64 v15, v[18:19] offset:3072
	s_branch .LBB195_294
.LBB195_300:                            ;   in Loop: Header=BB195_12 Depth=1
	s_mov_b64 s[14:15], -1
	s_mov_b64 s[4:5], 0
                                        ; implicit-def: $sgpr38_sgpr39
                                        ; implicit-def: $vgpr21
	s_mov_b64 s[20:21], s[14:15]
	s_cbranch_execnz .LBB195_303
	s_branch .LBB195_316
.LBB195_301:                            ;   in Loop: Header=BB195_12 Depth=1
	s_or_b64 exec, exec, s[4:5]
	s_and_b64 s[4:5], s[14:15], exec
.LBB195_302:                            ;   in Loop: Header=BB195_12 Depth=1
	s_or_b64 exec, exec, s[12:13]
	s_mov_b64 s[14:15], 0
	s_mov_b64 s[38:39], -1
	s_mov_b64 s[20:21], s[14:15]
	s_branch .LBB195_316
.LBB195_303:                            ;   in Loop: Header=BB195_12 Depth=1
	s_mov_b32 s92, s85
	s_cmp_lg_u64 s[92:93], 0
	s_cbranch_scc0 .LBB195_345
; %bb.304:                              ;   in Loop: Header=BB195_12 Depth=1
	v_cvt_f32_u32_e32 v2, s87
	s_sub_u32 s2, 0, s87
	s_subb_u32 s3, 0, 0
	v_mac_f32_e32 v2, 0, v36
	v_rcp_f32_e32 v2, v2
	v_mul_f32_e32 v2, 0x5f7ffffc, v2
	v_mul_f32_e32 v3, 0x2f800000, v2
	v_trunc_f32_e32 v3, v3
	v_mac_f32_e32 v2, 0xcf800000, v3
	v_cvt_u32_f32_e32 v3, v3
	v_cvt_u32_f32_e32 v2, v2
	v_readfirstlane_b32 s4, v3
	v_readfirstlane_b32 s5, v2
	s_mul_i32 s6, s2, s4
	s_mul_hi_u32 s12, s2, s5
	s_mul_i32 s7, s3, s5
	s_add_i32 s6, s12, s6
	s_mul_i32 s13, s2, s5
	s_add_i32 s6, s6, s7
	s_mul_hi_u32 s12, s5, s13
	s_mul_hi_u32 s7, s5, s6
	s_mul_i32 s5, s5, s6
	s_add_u32 s5, s12, s5
	s_addc_u32 s7, 0, s7
	s_mul_hi_u32 s14, s4, s13
	s_mul_i32 s13, s4, s13
	s_add_u32 s5, s5, s13
	s_mul_hi_u32 s12, s4, s6
	s_addc_u32 s5, s7, s14
	s_addc_u32 s7, s12, 0
	s_mul_i32 s6, s4, s6
	s_add_u32 s5, s5, s6
	s_addc_u32 s6, 0, s7
	v_add_co_u32_e32 v2, vcc, s5, v2
	s_cmp_lg_u64 vcc, 0
	s_addc_u32 s4, s4, s6
	v_readfirstlane_b32 s6, v2
	s_mul_i32 s5, s2, s4
	s_mul_hi_u32 s7, s2, s6
	s_add_i32 s5, s7, s5
	s_mul_i32 s3, s3, s6
	s_add_i32 s5, s5, s3
	s_mul_i32 s2, s2, s6
	s_mul_hi_u32 s7, s4, s2
	s_mul_i32 s12, s4, s2
	s_mul_i32 s14, s6, s5
	s_mul_hi_u32 s2, s6, s2
	s_mul_hi_u32 s13, s6, s5
	s_add_u32 s2, s2, s14
	s_addc_u32 s6, 0, s13
	s_add_u32 s2, s2, s12
	s_mul_hi_u32 s3, s4, s5
	s_addc_u32 s2, s6, s7
	s_addc_u32 s3, s3, 0
	s_mul_i32 s5, s4, s5
	s_add_u32 s2, s2, s5
	s_addc_u32 s3, 0, s3
	v_add_co_u32_e32 v2, vcc, s2, v2
	s_cmp_lg_u64 vcc, 0
	s_addc_u32 s2, s4, s3
	v_readlane_b32 s12, v48, 35
	v_readfirstlane_b32 s5, v2
	s_mul_i32 s4, s12, s2
	s_mul_hi_u32 s6, s12, s5
	s_mul_hi_u32 s3, s12, s2
	s_add_u32 s4, s6, s4
	s_addc_u32 s3, 0, s3
	s_mul_hi_u32 s7, s93, s5
	s_mul_i32 s5, s93, s5
	s_add_u32 s4, s4, s5
	s_mul_hi_u32 s6, s93, s2
	s_addc_u32 s3, s3, s7
	s_addc_u32 s4, s6, 0
	s_mul_i32 s2, s93, s2
	s_add_u32 s2, s3, s2
	s_addc_u32 s3, 0, s4
	s_mul_hi_u32 s4, s87, s2
	s_mul_i32 s2, s87, s2
	s_mul_i32 s3, s87, s3
	v_mov_b32_e32 v2, s2
	s_add_i32 s4, s4, s3
	v_sub_co_u32_e32 v2, vcc, s12, v2
	s_cmp_lg_u64 vcc, 0
	s_subb_u32 s2, s93, s4
	v_subrev_co_u32_e32 v3, vcc, s87, v2
	s_cmp_lg_u64 vcc, 0
	s_subb_u32 s3, s2, 0
	v_subrev_co_u32_e32 v4, vcc, s87, v3
	s_cmp_lg_u64 vcc, 0
	s_subb_u32 s4, s3, 0
	v_cmp_le_u32_e32 vcc, s87, v3
	s_cmp_eq_u32 s3, 0
	v_cndmask_b32_e64 v5, 0, -1, vcc
	s_cselect_b64 vcc, -1, 0
	v_cndmask_b32_e32 v5, -1, v5, vcc
	v_mov_b32_e32 v6, s3
	v_mov_b32_e32 v7, s4
	v_cmp_ne_u32_e32 vcc, 0, v5
	v_cndmask_b32_e32 v5, v6, v7, vcc
	v_cndmask_b32_e32 v4, v3, v4, vcc
	v_cmp_le_u32_e32 vcc, s87, v2
	s_cmp_eq_u32 s2, 0
	v_cndmask_b32_e64 v3, 0, -1, vcc
	s_cselect_b64 vcc, -1, 0
	v_cndmask_b32_e32 v3, -1, v3, vcc
	v_mov_b32_e32 v6, s2
	v_cmp_ne_u32_e32 vcc, 0, v3
	v_cndmask_b32_e32 v3, v6, v5, vcc
	v_cndmask_b32_e32 v2, v2, v4, vcc
	s_cbranch_execnz .LBB195_306
.LBB195_305:                            ;   in Loop: Header=BB195_12 Depth=1
	v_cvt_f32_u32_e32 v2, s87
	s_sub_i32 s2, 0, s87
	v_rcp_iflag_f32_e32 v2, v2
	v_mul_f32_e32 v2, 0x4f7ffffe, v2
	v_cvt_u32_f32_e32 v2, v2
	v_mul_lo_u32 v3, s2, v2
	v_mul_hi_u32 v3, v2, v3
	v_add_u32_e32 v2, v2, v3
	v_readlane_b32 s2, v48, 35
	v_mul_hi_u32 v2, s2, v2
	v_mul_lo_u32 v2, v2, s87
	v_sub_u32_e32 v2, s2, v2
	v_subrev_u32_e32 v3, s87, v2
	v_cmp_le_u32_e32 vcc, s87, v2
	v_cndmask_b32_e32 v2, v2, v3, vcc
	v_subrev_u32_e32 v3, s87, v2
	v_cmp_le_u32_e32 vcc, s87, v2
	v_cndmask_b32_e32 v14, v2, v3, vcc
	v_pk_mov_b32 v[2:3], v[14:15], v[14:15] op_sel:[0,1]
.LBB195_306:                            ;   in Loop: Header=BB195_12 Depth=1
	v_readlane_b32 s2, v48, 35
	v_mov_b32_e32 v4, s93
	v_sub_co_u32_e32 v2, vcc, s2, v2
	v_subb_co_u32_e32 v3, vcc, v4, v3, vcc
	v_cmp_gt_u64_e32 vcc, v[2:3], v[0:1]
	s_mov_b64 s[4:5], 0
                                        ; implicit-def: $vgpr21
	s_and_saveexec_b64 s[2:3], vcc
	s_cbranch_execz .LBB195_315
; %bb.307:                              ;   in Loop: Header=BB195_12 Depth=1
	v_pk_mov_b32 v[4:5], v[0:1], v[0:1] op_sel:[0,1]
                                        ; implicit-def: $sgpr12_sgpr13
	s_branch .LBB195_309
.LBB195_308:                            ;   in Loop: Header=BB195_309 Depth=2
	s_or_b64 exec, exec, s[6:7]
	s_waitcnt lgkmcnt(0)
	s_barrier
	ds_read_b64 v[20:21], v15 offset:3072
	v_mov_b32_e32 v6, s88
	v_add_co_u32_e64 v4, s[6:7], s87, v4
	v_addc_co_u32_e64 v5, s[6:7], v5, v6, s[6:7]
	s_waitcnt lgkmcnt(0)
	v_cmp_neq_f32_e32 vcc, 0, v20
	v_cmp_ge_u64_e64 s[6:7], v[4:5], v[2:3]
	s_or_b64 s[6:7], s[6:7], vcc
	s_and_b64 s[6:7], exec, s[6:7]
	s_or_b64 s[4:5], s[6:7], s[4:5]
	s_andn2_b64 s[6:7], s[12:13], exec
	s_and_b64 s[12:13], vcc, exec
	s_or_b64 s[12:13], s[6:7], s[12:13]
	s_barrier
	s_andn2_b64 exec, exec, s[4:5]
	s_cbranch_execz .LBB195_314
.LBB195_309:                            ;   Parent Loop BB195_12 Depth=1
                                        ; =>  This Inner Loop Header: Depth=2
	v_cmp_gt_u64_e32 vcc, s[60:61], v[4:5]
	s_waitcnt vmcnt(0)
	v_mov_b32_e32 v19, 0
	s_and_saveexec_b64 s[14:15], vcc
	s_cbranch_execz .LBB195_311
; %bb.310:                              ;   in Loop: Header=BB195_309 Depth=2
	v_mul_lo_u32 v8, v5, s58
	v_mul_lo_u32 v9, v4, s59
	v_mad_u64_u32 v[6:7], s[6:7], v4, s58, 0
	v_add3_u32 v7, v7, v9, v8
	v_lshlrev_b64 v[6:7], 2, v[6:7]
	v_mov_b32_e32 v8, s86
	v_add_co_u32_e64 v6, s[6:7], s33, v6
	v_addc_co_u32_e64 v7, s[6:7], v8, v7, s[6:7]
	global_load_dword v19, v[6:7], off
.LBB195_311:                            ;   in Loop: Header=BB195_309 Depth=2
	s_or_b64 exec, exec, s[14:15]
	s_and_saveexec_b64 s[6:7], vcc
	s_cbranch_execz .LBB195_308
; %bb.312:                              ;   in Loop: Header=BB195_309 Depth=2
	s_waitcnt vmcnt(0)
	v_cmp_lt_i32_e32 vcc, -1, v19
	v_cndmask_b32_e32 v6, -1, v35, vcc
	v_xor_b32_e32 v6, v6, v19
	v_cmp_o_f32_e32 vcc, v19, v19
	v_cndmask_b32_e32 v6, -1, v6, vcc
	v_and_b32_e32 v6, v6, v37
	v_cmp_eq_u32_e32 vcc, v6, v38
	s_and_b64 exec, exec, vcc
	s_cbranch_execz .LBB195_308
; %bb.313:                              ;   in Loop: Header=BB195_309 Depth=2
	ds_write_b64 v15, v[18:19] offset:3072
	s_branch .LBB195_308
.LBB195_314:                            ;   in Loop: Header=BB195_12 Depth=1
	s_or_b64 exec, exec, s[4:5]
	s_and_b64 s[4:5], s[12:13], exec
.LBB195_315:                            ;   in Loop: Header=BB195_12 Depth=1
	s_or_b64 exec, exec, s[2:3]
	s_mov_b64 s[38:39], 0
	s_mov_b64 s[14:15], -1
	s_mov_b64 s[20:21], 0
.LBB195_316:                            ;   in Loop: Header=BB195_12 Depth=1
	s_orn2_b64 s[2:3], s[4:5], exec
.LBB195_317:                            ;   in Loop: Header=BB195_12 Depth=1
	s_or_b64 exec, exec, s[10:11]
                                        ; implicit-def: $vgpr8
                                        ; implicit-def: $vgpr2_vgpr3
                                        ; implicit-def: $vgpr20
                                        ; implicit-def: $vgpr24
                                        ; implicit-def: $vgpr5
	s_and_saveexec_b64 s[34:35], s[2:3]
	s_cbranch_execz .LBB195_480
; %bb.318:                              ;   in Loop: Header=BB195_12 Depth=1
	v_mov_b32_e32 v2, 1
	s_xor_b64 s[4:5], s[8:9], -1
	s_mov_b64 s[6:7], 0
	v_mov_b32_e32 v3, 0
	v_mov_b32_e32 v8, 1
	s_and_saveexec_b64 s[2:3], s[4:5]
	s_cbranch_execz .LBB195_328
; %bb.319:                              ;   in Loop: Header=BB195_12 Depth=1
	v_cmp_ge_u64_e32 vcc, s[24:25], v[22:23]
                                        ; implicit-def: $sgpr8
                                        ; implicit-def: $sgpr4_sgpr5
	s_and_saveexec_b64 s[6:7], vcc
	s_xor_b64 s[6:7], exec, s[6:7]
	s_cbranch_execz .LBB195_325
; %bb.320:                              ;   in Loop: Header=BB195_12 Depth=1
	ds_read_b64 v[2:3], v15 offset:5120
	s_waitcnt lgkmcnt(0)
	v_cmp_ne_u64_e32 vcc, 0, v[2:3]
	s_cbranch_vccnz .LBB195_324
; %bb.321:                              ;   in Loop: Header=BB195_12 Depth=1
	s_mov_b64 s[4:5], exec
	v_readlane_b32 s8, v48, 12
	v_readlane_b32 s9, v48, 13
	s_and_b64 s[8:9], s[4:5], s[8:9]
	s_mov_b64 exec, s[8:9]
	s_cbranch_execz .LBB195_323
; %bb.322:                              ;   in Loop: Header=BB195_12 Depth=1
	v_pk_mov_b32 v[2:3], s[24:25], s[24:25] op_sel:[0,1]
	ds_write_b64 v15, v[2:3] offset:5128
.LBB195_323:                            ;   in Loop: Header=BB195_12 Depth=1
	s_or_b64 exec, exec, s[4:5]
	s_waitcnt lgkmcnt(0)
	s_barrier
.LBB195_324:                            ;   in Loop: Header=BB195_12 Depth=1
	v_or_b32_e32 v38, s84, v38
	v_or_b32_e32 v37, s84, v37
	s_mov_b64 s[4:5], 0
	s_mov_b32 s8, 5
.LBB195_325:                            ;   in Loop: Header=BB195_12 Depth=1
	s_or_saveexec_b64 s[6:7], s[6:7]
	v_mov_b32_e32 v8, s8
	s_xor_b64 exec, exec, s[6:7]
; %bb.326:                              ;   in Loop: Header=BB195_12 Depth=1
	v_mov_b32_e32 v2, s25
	v_subrev_co_u32_e32 v22, vcc, s24, v22
	v_subb_co_u32_e32 v23, vcc, v23, v2, vcc
	v_mov_b32_e32 v8, 0
	s_or_b64 s[4:5], s[4:5], exec
; %bb.327:                              ;   in Loop: Header=BB195_12 Depth=1
	s_or_b64 exec, exec, s[6:7]
	s_and_b64 s[6:7], s[4:5], exec
	v_pk_mov_b32 v[2:3], v[22:23], v[22:23] op_sel:[0,1]
.LBB195_328:                            ;   in Loop: Header=BB195_12 Depth=1
	s_or_b64 exec, exec, s[2:3]
	s_mov_b64 s[12:13], -1
                                        ; implicit-def: $sgpr2_sgpr3
                                        ; implicit-def: $sgpr4_sgpr5
                                        ; implicit-def: $sgpr8_sgpr9
	s_and_saveexec_b64 s[10:11], s[6:7]
	s_xor_b64 s[24:25], exec, s[10:11]
	s_cbranch_execz .LBB195_477
; %bb.329:                              ;   in Loop: Header=BB195_12 Depth=1
	s_cmp_eq_u64 s[22:23], 1
	s_cselect_b64 s[2:3], -1, 0
	v_cmp_eq_u64_e32 vcc, 1, v[2:3]
	s_and_b64 s[8:9], s[2:3], vcc
	s_mov_b64 s[2:3], -1
                                        ; implicit-def: $sgpr36_sgpr37
                                        ; implicit-def: $sgpr40_sgpr41
                                        ; implicit-def: $sgpr42_sgpr43
	s_and_saveexec_b64 s[10:11], s[8:9]
	s_cbranch_execz .LBB195_363
; %bb.330:                              ;   in Loop: Header=BB195_12 Depth=1
	ds_read_b64 v[4:5], v15 offset:5120
	s_waitcnt lgkmcnt(0)
	s_barrier
	v_readfirstlane_b32 s2, v4
	v_readfirstlane_b32 s3, v5
	s_mov_b64 s[4:5], exec
	v_readlane_b32 s6, v48, 30
	v_readlane_b32 s7, v48, 31
	s_and_b64 s[6:7], s[4:5], s[6:7]
	s_mov_b64 exec, s[6:7]
	s_cbranch_execz .LBB195_332
; %bb.331:                              ;   in Loop: Header=BB195_12 Depth=1
	ds_write_b32 v32, v15
.LBB195_332:                            ;   in Loop: Header=BB195_12 Depth=1
	s_or_b64 exec, exec, s[4:5]
	v_and_b32_e32 v4, s48, v38
	v_lshl_or_b32 v38, 2, s49, v4
	v_or_b32_e32 v37, s84, v37
	s_cmp_eq_u64 s[2:3], 0
	s_waitcnt lgkmcnt(0)
	s_barrier
	s_cbranch_scc1 .LBB195_346
; %bb.333:                              ;   in Loop: Header=BB195_12 Depth=1
	v_readlane_b32 s4, v48, 34
	s_add_u32 s12, s4, s2
	v_readlane_b32 s4, v48, 36
	s_addc_u32 s5, s4, s3
	s_mov_b32 s4, s85
	s_cmp_lg_u64 s[4:5], 0
	s_cbranch_scc0 .LBB195_390
; %bb.334:                              ;   in Loop: Header=BB195_12 Depth=1
	v_cvt_f32_u32_e32 v4, s87
	s_sub_u32 s4, 0, s87
	s_subb_u32 s6, 0, 0
	v_mac_f32_e32 v4, 0, v36
	v_rcp_f32_e32 v4, v4
	v_mul_f32_e32 v4, 0x5f7ffffc, v4
	v_mul_f32_e32 v5, 0x2f800000, v4
	v_trunc_f32_e32 v5, v5
	v_mac_f32_e32 v4, 0xcf800000, v5
	v_cvt_u32_f32_e32 v5, v5
	v_cvt_u32_f32_e32 v4, v4
	v_readfirstlane_b32 s7, v5
	v_readfirstlane_b32 s13, v4
	s_mul_i32 s36, s4, s7
	s_mul_hi_u32 s40, s4, s13
	s_mul_i32 s37, s6, s13
	s_add_i32 s36, s40, s36
	s_mul_i32 s41, s4, s13
	s_add_i32 s36, s36, s37
	s_mul_hi_u32 s40, s13, s41
	s_mul_hi_u32 s37, s13, s36
	s_mul_i32 s13, s13, s36
	s_add_u32 s13, s40, s13
	s_addc_u32 s37, 0, s37
	s_mul_hi_u32 s42, s7, s41
	s_mul_i32 s41, s7, s41
	s_add_u32 s13, s13, s41
	s_mul_hi_u32 s40, s7, s36
	s_addc_u32 s13, s37, s42
	s_addc_u32 s37, s40, 0
	s_mul_i32 s36, s7, s36
	s_add_u32 s13, s13, s36
	s_addc_u32 s36, 0, s37
	v_add_co_u32_e32 v4, vcc, s13, v4
	s_cmp_lg_u64 vcc, 0
	s_addc_u32 s7, s7, s36
	v_readfirstlane_b32 s36, v4
	s_mul_i32 s13, s4, s7
	s_mul_hi_u32 s37, s4, s36
	s_add_i32 s13, s37, s13
	s_mul_i32 s6, s6, s36
	s_add_i32 s13, s13, s6
	s_mul_i32 s4, s4, s36
	s_mul_hi_u32 s37, s7, s4
	s_mul_i32 s40, s7, s4
	s_mul_i32 s42, s36, s13
	s_mul_hi_u32 s4, s36, s4
	s_mul_hi_u32 s41, s36, s13
	s_add_u32 s4, s4, s42
	s_addc_u32 s36, 0, s41
	s_add_u32 s4, s4, s40
	s_mul_hi_u32 s6, s7, s13
	s_addc_u32 s4, s36, s37
	s_addc_u32 s6, s6, 0
	s_mul_i32 s13, s7, s13
	s_add_u32 s4, s4, s13
	s_addc_u32 s6, 0, s6
	v_add_co_u32_e32 v4, vcc, s4, v4
	s_cmp_lg_u64 vcc, 0
	s_addc_u32 s4, s7, s6
	v_readfirstlane_b32 s13, v4
	s_mul_i32 s7, s12, s4
	s_mul_hi_u32 s36, s12, s13
	s_mul_hi_u32 s6, s12, s4
	s_add_u32 s7, s36, s7
	s_addc_u32 s6, 0, s6
	s_mul_hi_u32 s37, s5, s13
	s_mul_i32 s13, s5, s13
	s_add_u32 s7, s7, s13
	s_mul_hi_u32 s36, s5, s4
	s_addc_u32 s6, s6, s37
	s_addc_u32 s7, s36, 0
	s_mul_i32 s4, s5, s4
	s_add_u32 s4, s6, s4
	s_addc_u32 s6, 0, s7
	s_mul_hi_u32 s7, s87, s4
	s_mul_i32 s4, s87, s4
	s_mul_i32 s6, s87, s6
	v_mov_b32_e32 v4, s4
	s_add_i32 s7, s7, s6
	v_sub_co_u32_e32 v4, vcc, s12, v4
	s_cmp_lg_u64 vcc, 0
	s_subb_u32 s4, s5, s7
	v_subrev_co_u32_e32 v5, vcc, s87, v4
	s_cmp_lg_u64 vcc, 0
	s_subb_u32 s6, s4, 0
	v_subrev_co_u32_e32 v6, vcc, s87, v5
	s_cmp_lg_u64 vcc, 0
	s_subb_u32 s7, s6, 0
	v_cmp_le_u32_e32 vcc, s87, v5
	s_cmp_eq_u32 s6, 0
	v_cndmask_b32_e64 v7, 0, -1, vcc
	s_cselect_b64 vcc, -1, 0
	v_cndmask_b32_e32 v7, -1, v7, vcc
	v_mov_b32_e32 v8, s6
	v_mov_b32_e32 v9, s7
	v_cmp_ne_u32_e32 vcc, 0, v7
	v_cndmask_b32_e32 v7, v8, v9, vcc
	v_cndmask_b32_e32 v6, v5, v6, vcc
	v_cmp_le_u32_e32 vcc, s87, v4
	s_cmp_eq_u32 s4, 0
	v_cndmask_b32_e64 v5, 0, -1, vcc
	s_cselect_b64 vcc, -1, 0
	v_cndmask_b32_e32 v5, -1, v5, vcc
	v_mov_b32_e32 v8, s4
	v_cmp_ne_u32_e32 vcc, 0, v5
	v_cndmask_b32_e32 v5, v8, v7, vcc
	v_cndmask_b32_e32 v4, v4, v6, vcc
	s_cbranch_execnz .LBB195_336
.LBB195_335:                            ;   in Loop: Header=BB195_12 Depth=1
	v_cvt_f32_u32_e32 v4, s87
	s_sub_i32 s4, 0, s87
	v_rcp_iflag_f32_e32 v4, v4
	v_mul_f32_e32 v4, 0x4f7ffffe, v4
	v_cvt_u32_f32_e32 v4, v4
	v_mul_lo_u32 v5, s4, v4
	v_mul_hi_u32 v5, v4, v5
	v_add_u32_e32 v4, v4, v5
	v_mul_hi_u32 v4, s12, v4
	v_mul_lo_u32 v4, v4, s87
	v_sub_u32_e32 v4, s12, v4
	v_subrev_u32_e32 v5, s87, v4
	v_cmp_le_u32_e32 vcc, s87, v4
	v_cndmask_b32_e32 v4, v4, v5, vcc
	v_subrev_u32_e32 v5, s87, v4
	v_cmp_le_u32_e32 vcc, s87, v4
	v_cndmask_b32_e32 v14, v4, v5, vcc
	v_pk_mov_b32 v[4:5], v[14:15], v[14:15] op_sel:[0,1]
.LBB195_336:                            ;   in Loop: Header=BB195_12 Depth=1
	v_mov_b32_e32 v6, s5
	v_sub_co_u32_e32 v4, vcc, s12, v4
	v_subb_co_u32_e32 v5, vcc, v6, v5, vcc
	v_cmp_gt_u64_e32 vcc, v[4:5], v[0:1]
	s_mov_b64 s[4:5], 0
                                        ; implicit-def: $vgpr21
	s_and_saveexec_b64 s[12:13], vcc
	s_cbranch_execz .LBB195_348
; %bb.337:                              ;   in Loop: Header=BB195_12 Depth=1
	v_mov_b32_e32 v8, v16
	v_pk_mov_b32 v[6:7], v[0:1], v[0:1] op_sel:[0,1]
                                        ; implicit-def: $sgpr36_sgpr37
	s_branch .LBB195_339
.LBB195_338:                            ;   in Loop: Header=BB195_339 Depth=2
	s_or_b64 exec, exec, s[6:7]
	s_waitcnt lgkmcnt(0)
	s_barrier
	ds_read_b64 v[20:21], v15 offset:3072
	v_mov_b32_e32 v9, s88
	v_add_co_u32_e64 v6, s[6:7], s87, v6
	v_addc_co_u32_e64 v7, s[6:7], v7, v9, s[6:7]
	s_waitcnt lgkmcnt(0)
	v_cmp_neq_f32_e32 vcc, 0, v20
	v_cmp_ge_u64_e64 s[6:7], v[6:7], v[4:5]
	s_or_b64 s[6:7], s[6:7], vcc
	s_and_b64 s[6:7], exec, s[6:7]
	s_or_b64 s[4:5], s[6:7], s[4:5]
	s_andn2_b64 s[6:7], s[36:37], exec
	s_and_b64 s[36:37], vcc, exec
	v_add_u32_e32 v8, s95, v8
	s_or_b64 s[36:37], s[6:7], s[36:37]
	s_barrier
	s_andn2_b64 exec, exec, s[4:5]
	s_cbranch_execz .LBB195_347
.LBB195_339:                            ;   Parent Loop BB195_12 Depth=1
                                        ; =>  This Inner Loop Header: Depth=2
	v_cmp_gt_u64_e32 vcc, s[2:3], v[6:7]
	s_waitcnt vmcnt(0)
	v_mov_b32_e32 v19, 0
	s_and_saveexec_b64 s[6:7], vcc
	s_cbranch_execz .LBB195_341
; %bb.340:                              ;   in Loop: Header=BB195_339 Depth=2
	ds_read_b32 v19, v8
.LBB195_341:                            ;   in Loop: Header=BB195_339 Depth=2
	s_or_b64 exec, exec, s[6:7]
	s_and_saveexec_b64 s[6:7], vcc
	s_cbranch_execz .LBB195_338
; %bb.342:                              ;   in Loop: Header=BB195_339 Depth=2
	s_waitcnt lgkmcnt(0)
	v_cmp_lt_i32_e32 vcc, -1, v19
	v_cndmask_b32_e32 v9, -1, v35, vcc
	v_xor_b32_e32 v9, v9, v19
	v_cmp_o_f32_e32 vcc, v19, v19
	v_cndmask_b32_e32 v9, -1, v9, vcc
	v_and_b32_e32 v9, v9, v37
	v_cmp_eq_u32_e32 vcc, v9, v38
	s_and_b64 exec, exec, vcc
	s_cbranch_execz .LBB195_338
; %bb.343:                              ;   in Loop: Header=BB195_339 Depth=2
	ds_write_b64 v15, v[18:19] offset:3072
	s_branch .LBB195_338
.LBB195_344:                            ;   in Loop: Header=BB195_12 Depth=1
                                        ; implicit-def: $vgpr2_vgpr3
	s_branch .LBB195_291
.LBB195_345:                            ;   in Loop: Header=BB195_12 Depth=1
                                        ; implicit-def: $vgpr2_vgpr3
	s_branch .LBB195_305
.LBB195_346:                            ;   in Loop: Header=BB195_12 Depth=1
	s_mov_b64 s[36:37], -1
	s_mov_b64 s[4:5], 0
                                        ; implicit-def: $sgpr40_sgpr41
                                        ; implicit-def: $vgpr21
	s_mov_b64 s[42:43], s[36:37]
	s_cbranch_execnz .LBB195_349
	s_branch .LBB195_362
.LBB195_347:                            ;   in Loop: Header=BB195_12 Depth=1
	s_or_b64 exec, exec, s[4:5]
	s_and_b64 s[4:5], s[36:37], exec
.LBB195_348:                            ;   in Loop: Header=BB195_12 Depth=1
	s_or_b64 exec, exec, s[12:13]
	s_mov_b64 s[36:37], 0
	s_mov_b64 s[40:41], -1
	s_mov_b64 s[42:43], s[36:37]
	s_branch .LBB195_362
.LBB195_349:                            ;   in Loop: Header=BB195_12 Depth=1
	s_mov_b32 s92, s85
	s_cmp_lg_u64 s[92:93], 0
	s_cbranch_scc0 .LBB195_391
; %bb.350:                              ;   in Loop: Header=BB195_12 Depth=1
	v_cvt_f32_u32_e32 v4, s87
	s_sub_u32 s2, 0, s87
	s_subb_u32 s3, 0, 0
	v_mac_f32_e32 v4, 0, v36
	v_rcp_f32_e32 v4, v4
	v_mul_f32_e32 v4, 0x5f7ffffc, v4
	v_mul_f32_e32 v5, 0x2f800000, v4
	v_trunc_f32_e32 v5, v5
	v_mac_f32_e32 v4, 0xcf800000, v5
	v_cvt_u32_f32_e32 v5, v5
	v_cvt_u32_f32_e32 v4, v4
	v_readfirstlane_b32 s4, v5
	v_readfirstlane_b32 s5, v4
	s_mul_i32 s6, s2, s4
	s_mul_hi_u32 s12, s2, s5
	s_mul_i32 s7, s3, s5
	s_add_i32 s6, s12, s6
	s_mul_i32 s13, s2, s5
	s_add_i32 s6, s6, s7
	s_mul_hi_u32 s12, s5, s13
	s_mul_hi_u32 s7, s5, s6
	s_mul_i32 s5, s5, s6
	s_add_u32 s5, s12, s5
	s_addc_u32 s7, 0, s7
	s_mul_hi_u32 s36, s4, s13
	s_mul_i32 s13, s4, s13
	s_add_u32 s5, s5, s13
	s_mul_hi_u32 s12, s4, s6
	s_addc_u32 s5, s7, s36
	s_addc_u32 s7, s12, 0
	s_mul_i32 s6, s4, s6
	s_add_u32 s5, s5, s6
	s_addc_u32 s6, 0, s7
	v_add_co_u32_e32 v4, vcc, s5, v4
	s_cmp_lg_u64 vcc, 0
	s_addc_u32 s4, s4, s6
	v_readfirstlane_b32 s6, v4
	s_mul_i32 s5, s2, s4
	s_mul_hi_u32 s7, s2, s6
	s_add_i32 s5, s7, s5
	s_mul_i32 s3, s3, s6
	s_add_i32 s5, s5, s3
	s_mul_i32 s2, s2, s6
	s_mul_hi_u32 s7, s4, s2
	s_mul_i32 s12, s4, s2
	s_mul_i32 s36, s6, s5
	s_mul_hi_u32 s2, s6, s2
	s_mul_hi_u32 s13, s6, s5
	s_add_u32 s2, s2, s36
	s_addc_u32 s6, 0, s13
	s_add_u32 s2, s2, s12
	s_mul_hi_u32 s3, s4, s5
	s_addc_u32 s2, s6, s7
	s_addc_u32 s3, s3, 0
	s_mul_i32 s5, s4, s5
	s_add_u32 s2, s2, s5
	s_addc_u32 s3, 0, s3
	v_add_co_u32_e32 v4, vcc, s2, v4
	s_cmp_lg_u64 vcc, 0
	s_addc_u32 s2, s4, s3
	v_readlane_b32 s12, v48, 35
	v_readfirstlane_b32 s5, v4
	s_mul_i32 s4, s12, s2
	s_mul_hi_u32 s6, s12, s5
	s_mul_hi_u32 s3, s12, s2
	s_add_u32 s4, s6, s4
	s_addc_u32 s3, 0, s3
	s_mul_hi_u32 s7, s93, s5
	s_mul_i32 s5, s93, s5
	s_add_u32 s4, s4, s5
	s_mul_hi_u32 s6, s93, s2
	s_addc_u32 s3, s3, s7
	s_addc_u32 s4, s6, 0
	s_mul_i32 s2, s93, s2
	s_add_u32 s2, s3, s2
	s_addc_u32 s3, 0, s4
	s_mul_hi_u32 s4, s87, s2
	s_mul_i32 s2, s87, s2
	s_mul_i32 s3, s87, s3
	v_mov_b32_e32 v4, s2
	s_add_i32 s4, s4, s3
	v_sub_co_u32_e32 v4, vcc, s12, v4
	s_cmp_lg_u64 vcc, 0
	s_subb_u32 s2, s93, s4
	v_subrev_co_u32_e32 v5, vcc, s87, v4
	s_cmp_lg_u64 vcc, 0
	s_subb_u32 s3, s2, 0
	v_subrev_co_u32_e32 v6, vcc, s87, v5
	s_cmp_lg_u64 vcc, 0
	s_subb_u32 s4, s3, 0
	v_cmp_le_u32_e32 vcc, s87, v5
	s_cmp_eq_u32 s3, 0
	v_cndmask_b32_e64 v7, 0, -1, vcc
	s_cselect_b64 vcc, -1, 0
	v_cndmask_b32_e32 v7, -1, v7, vcc
	v_mov_b32_e32 v8, s3
	v_mov_b32_e32 v9, s4
	v_cmp_ne_u32_e32 vcc, 0, v7
	v_cndmask_b32_e32 v7, v8, v9, vcc
	v_cndmask_b32_e32 v6, v5, v6, vcc
	v_cmp_le_u32_e32 vcc, s87, v4
	s_cmp_eq_u32 s2, 0
	v_cndmask_b32_e64 v5, 0, -1, vcc
	s_cselect_b64 vcc, -1, 0
	v_cndmask_b32_e32 v5, -1, v5, vcc
	v_mov_b32_e32 v8, s2
	v_cmp_ne_u32_e32 vcc, 0, v5
	v_cndmask_b32_e32 v5, v8, v7, vcc
	v_cndmask_b32_e32 v4, v4, v6, vcc
	s_cbranch_execnz .LBB195_352
.LBB195_351:                            ;   in Loop: Header=BB195_12 Depth=1
	v_cvt_f32_u32_e32 v4, s87
	s_sub_i32 s2, 0, s87
	v_rcp_iflag_f32_e32 v4, v4
	v_mul_f32_e32 v4, 0x4f7ffffe, v4
	v_cvt_u32_f32_e32 v4, v4
	v_mul_lo_u32 v5, s2, v4
	v_mul_hi_u32 v5, v4, v5
	v_add_u32_e32 v4, v4, v5
	v_readlane_b32 s2, v48, 35
	v_mul_hi_u32 v4, s2, v4
	v_mul_lo_u32 v4, v4, s87
	v_sub_u32_e32 v4, s2, v4
	v_subrev_u32_e32 v5, s87, v4
	v_cmp_le_u32_e32 vcc, s87, v4
	v_cndmask_b32_e32 v4, v4, v5, vcc
	v_subrev_u32_e32 v5, s87, v4
	v_cmp_le_u32_e32 vcc, s87, v4
	v_cndmask_b32_e32 v14, v4, v5, vcc
	v_pk_mov_b32 v[4:5], v[14:15], v[14:15] op_sel:[0,1]
.LBB195_352:                            ;   in Loop: Header=BB195_12 Depth=1
	v_readlane_b32 s2, v48, 35
	v_mov_b32_e32 v6, s93
	v_sub_co_u32_e32 v4, vcc, s2, v4
	v_subb_co_u32_e32 v5, vcc, v6, v5, vcc
	v_cmp_gt_u64_e32 vcc, v[4:5], v[0:1]
	s_mov_b64 s[4:5], 0
                                        ; implicit-def: $vgpr21
	s_and_saveexec_b64 s[2:3], vcc
	s_cbranch_execz .LBB195_361
; %bb.353:                              ;   in Loop: Header=BB195_12 Depth=1
	v_pk_mov_b32 v[6:7], v[0:1], v[0:1] op_sel:[0,1]
                                        ; implicit-def: $sgpr12_sgpr13
	s_branch .LBB195_355
.LBB195_354:                            ;   in Loop: Header=BB195_355 Depth=2
	s_or_b64 exec, exec, s[6:7]
	s_waitcnt lgkmcnt(0)
	s_barrier
	ds_read_b64 v[20:21], v15 offset:3072
	v_mov_b32_e32 v8, s88
	v_add_co_u32_e64 v6, s[6:7], s87, v6
	v_addc_co_u32_e64 v7, s[6:7], v7, v8, s[6:7]
	s_waitcnt lgkmcnt(0)
	v_cmp_neq_f32_e32 vcc, 0, v20
	v_cmp_ge_u64_e64 s[6:7], v[6:7], v[4:5]
	s_or_b64 s[6:7], s[6:7], vcc
	s_and_b64 s[6:7], exec, s[6:7]
	s_or_b64 s[4:5], s[6:7], s[4:5]
	s_andn2_b64 s[6:7], s[12:13], exec
	s_and_b64 s[12:13], vcc, exec
	s_or_b64 s[12:13], s[6:7], s[12:13]
	s_barrier
	s_andn2_b64 exec, exec, s[4:5]
	s_cbranch_execz .LBB195_360
.LBB195_355:                            ;   Parent Loop BB195_12 Depth=1
                                        ; =>  This Inner Loop Header: Depth=2
	v_cmp_gt_u64_e32 vcc, s[60:61], v[6:7]
	s_waitcnt vmcnt(0)
	v_mov_b32_e32 v19, 0
	s_and_saveexec_b64 s[36:37], vcc
	s_cbranch_execz .LBB195_357
; %bb.356:                              ;   in Loop: Header=BB195_355 Depth=2
	v_mul_lo_u32 v14, v7, s58
	v_mul_lo_u32 v19, v6, s59
	v_mad_u64_u32 v[8:9], s[6:7], v6, s58, 0
	v_add3_u32 v9, v9, v19, v14
	v_lshlrev_b64 v[8:9], 2, v[8:9]
	v_mov_b32_e32 v14, s86
	v_add_co_u32_e64 v8, s[6:7], s33, v8
	v_addc_co_u32_e64 v9, s[6:7], v14, v9, s[6:7]
	global_load_dword v19, v[8:9], off
.LBB195_357:                            ;   in Loop: Header=BB195_355 Depth=2
	s_or_b64 exec, exec, s[36:37]
	s_and_saveexec_b64 s[6:7], vcc
	s_cbranch_execz .LBB195_354
; %bb.358:                              ;   in Loop: Header=BB195_355 Depth=2
	s_waitcnt vmcnt(0)
	v_cmp_lt_i32_e32 vcc, -1, v19
	v_cndmask_b32_e32 v8, -1, v35, vcc
	v_xor_b32_e32 v8, v8, v19
	v_cmp_o_f32_e32 vcc, v19, v19
	v_cndmask_b32_e32 v8, -1, v8, vcc
	v_and_b32_e32 v8, v8, v37
	v_cmp_eq_u32_e32 vcc, v8, v38
	s_and_b64 exec, exec, vcc
	s_cbranch_execz .LBB195_354
; %bb.359:                              ;   in Loop: Header=BB195_355 Depth=2
	ds_write_b64 v15, v[18:19] offset:3072
	s_branch .LBB195_354
.LBB195_360:                            ;   in Loop: Header=BB195_12 Depth=1
	s_or_b64 exec, exec, s[4:5]
	s_and_b64 s[4:5], s[12:13], exec
.LBB195_361:                            ;   in Loop: Header=BB195_12 Depth=1
	s_or_b64 exec, exec, s[2:3]
	s_mov_b64 s[40:41], 0
	s_mov_b64 s[36:37], -1
	s_mov_b64 s[42:43], 0
.LBB195_362:                            ;   in Loop: Header=BB195_12 Depth=1
	s_orn2_b64 s[2:3], s[4:5], exec
.LBB195_363:                            ;   in Loop: Header=BB195_12 Depth=1
	s_or_b64 exec, exec, s[10:11]
	s_mov_b64 s[6:7], 0
                                        ; implicit-def: $vgpr8
	s_and_saveexec_b64 s[44:45], s[2:3]
	s_cbranch_execz .LBB195_476
; %bb.364:                              ;   in Loop: Header=BB195_12 Depth=1
	v_mov_b32_e32 v4, 1
	s_xor_b64 s[4:5], s[8:9], -1
	s_mov_b64 s[10:11], 0
	v_mov_b32_e32 v5, 0
	v_mov_b32_e32 v8, 1
	s_and_saveexec_b64 s[2:3], s[4:5]
	s_cbranch_execz .LBB195_374
; %bb.365:                              ;   in Loop: Header=BB195_12 Depth=1
	v_cmp_ge_u64_e32 vcc, s[22:23], v[2:3]
                                        ; implicit-def: $sgpr8
                                        ; implicit-def: $sgpr4_sgpr5
	s_and_saveexec_b64 s[6:7], vcc
	s_xor_b64 s[6:7], exec, s[6:7]
	s_cbranch_execz .LBB195_371
; %bb.366:                              ;   in Loop: Header=BB195_12 Depth=1
	ds_read_b64 v[4:5], v15 offset:5120
	s_waitcnt lgkmcnt(0)
	v_cmp_ne_u64_e32 vcc, 0, v[4:5]
	s_cbranch_vccnz .LBB195_370
; %bb.367:                              ;   in Loop: Header=BB195_12 Depth=1
	s_mov_b64 s[4:5], exec
	v_readlane_b32 s8, v48, 12
	v_readlane_b32 s9, v48, 13
	s_and_b64 s[8:9], s[4:5], s[8:9]
	s_mov_b64 exec, s[8:9]
	s_cbranch_execz .LBB195_369
; %bb.368:                              ;   in Loop: Header=BB195_12 Depth=1
	v_pk_mov_b32 v[4:5], s[22:23], s[22:23] op_sel:[0,1]
	ds_write_b64 v15, v[4:5] offset:5128
.LBB195_369:                            ;   in Loop: Header=BB195_12 Depth=1
	s_or_b64 exec, exec, s[4:5]
	s_waitcnt lgkmcnt(0)
	s_barrier
.LBB195_370:                            ;   in Loop: Header=BB195_12 Depth=1
	v_and_b32_e32 v4, s48, v38
	v_lshl_or_b32 v38, 2, s49, v4
	v_or_b32_e32 v37, s84, v37
	s_mov_b64 s[4:5], 0
	s_mov_b32 s8, 5
.LBB195_371:                            ;   in Loop: Header=BB195_12 Depth=1
	s_or_saveexec_b64 s[6:7], s[6:7]
	v_mov_b32_e32 v8, s8
	s_xor_b64 exec, exec, s[6:7]
; %bb.372:                              ;   in Loop: Header=BB195_12 Depth=1
	v_mov_b32_e32 v4, s23
	v_subrev_co_u32_e32 v2, vcc, s22, v2
	v_subb_co_u32_e32 v3, vcc, v3, v4, vcc
	v_mov_b32_e32 v8, 0
	s_or_b64 s[4:5], s[4:5], exec
; %bb.373:                              ;   in Loop: Header=BB195_12 Depth=1
	s_or_b64 exec, exec, s[6:7]
	s_and_b64 s[10:11], s[4:5], exec
	v_pk_mov_b32 v[4:5], v[2:3], v[2:3] op_sel:[0,1]
.LBB195_374:                            ;   in Loop: Header=BB195_12 Depth=1
	s_or_b64 exec, exec, s[2:3]
	s_mov_b64 s[2:3], -1
                                        ; implicit-def: $sgpr4_sgpr5
                                        ; implicit-def: $sgpr6_sgpr7
                                        ; implicit-def: $sgpr8_sgpr9
	s_and_saveexec_b64 s[22:23], s[10:11]
	s_cbranch_execz .LBB195_475
; %bb.375:                              ;   in Loop: Header=BB195_12 Depth=1
	s_cmp_eq_u64 s[18:19], 1
	s_cselect_b64 s[2:3], -1, 0
	v_cmp_eq_u64_e32 vcc, 1, v[4:5]
	s_and_b64 s[10:11], s[2:3], vcc
	s_mov_b64 s[4:5], -1
                                        ; implicit-def: $sgpr8_sgpr9
                                        ; implicit-def: $sgpr46_sgpr47
                                        ; implicit-def: $sgpr56_sgpr57
	s_and_saveexec_b64 s[50:51], s[10:11]
	s_cbranch_execz .LBB195_409
; %bb.376:                              ;   in Loop: Header=BB195_12 Depth=1
	ds_read_b64 v[2:3], v15 offset:5120
	s_waitcnt lgkmcnt(0)
	s_barrier
	v_readfirstlane_b32 s2, v2
	v_readfirstlane_b32 s3, v3
	s_mov_b64 s[4:5], exec
	v_readlane_b32 s6, v48, 30
	v_readlane_b32 s7, v48, 31
	s_and_b64 s[6:7], s[4:5], s[6:7]
	s_mov_b64 exec, s[6:7]
	s_cbranch_execz .LBB195_378
; %bb.377:                              ;   in Loop: Header=BB195_12 Depth=1
	ds_write_b32 v32, v15
.LBB195_378:                            ;   in Loop: Header=BB195_12 Depth=1
	s_or_b64 exec, exec, s[4:5]
	v_and_b32_e32 v2, s48, v38
	v_lshl_or_b32 v38, 1, s49, v2
	v_or_b32_e32 v37, s84, v37
	s_cmp_eq_u64 s[2:3], 0
	s_waitcnt lgkmcnt(0)
	s_barrier
	s_cbranch_scc1 .LBB195_392
; %bb.379:                              ;   in Loop: Header=BB195_12 Depth=1
	v_readlane_b32 s4, v48, 34
	s_add_u32 s8, s4, s2
	v_readlane_b32 s4, v48, 36
	s_addc_u32 s5, s4, s3
	s_mov_b32 s4, s85
	s_cmp_lg_u64 s[4:5], 0
	s_cbranch_scc0 .LBB195_427
; %bb.380:                              ;   in Loop: Header=BB195_12 Depth=1
	v_cvt_f32_u32_e32 v2, s87
	s_sub_u32 s4, 0, s87
	s_subb_u32 s6, 0, 0
	v_mac_f32_e32 v2, 0, v36
	v_rcp_f32_e32 v2, v2
	v_mul_f32_e32 v2, 0x5f7ffffc, v2
	v_mul_f32_e32 v3, 0x2f800000, v2
	v_trunc_f32_e32 v3, v3
	v_mac_f32_e32 v2, 0xcf800000, v3
	v_cvt_u32_f32_e32 v3, v3
	v_cvt_u32_f32_e32 v2, v2
	v_readfirstlane_b32 s7, v3
	v_readfirstlane_b32 s9, v2
	s_mul_i32 s12, s4, s7
	s_mul_hi_u32 s46, s4, s9
	s_mul_i32 s13, s6, s9
	s_add_i32 s12, s46, s12
	s_mul_i32 s47, s4, s9
	s_add_i32 s12, s12, s13
	s_mul_hi_u32 s46, s9, s47
	s_mul_hi_u32 s13, s9, s12
	s_mul_i32 s9, s9, s12
	s_add_u32 s9, s46, s9
	s_addc_u32 s13, 0, s13
	s_mul_hi_u32 s52, s7, s47
	s_mul_i32 s47, s7, s47
	s_add_u32 s9, s9, s47
	s_mul_hi_u32 s46, s7, s12
	s_addc_u32 s9, s13, s52
	s_addc_u32 s13, s46, 0
	s_mul_i32 s12, s7, s12
	s_add_u32 s9, s9, s12
	s_addc_u32 s12, 0, s13
	v_add_co_u32_e32 v2, vcc, s9, v2
	s_cmp_lg_u64 vcc, 0
	s_addc_u32 s7, s7, s12
	v_readfirstlane_b32 s12, v2
	s_mul_i32 s9, s4, s7
	s_mul_hi_u32 s13, s4, s12
	s_add_i32 s9, s13, s9
	s_mul_i32 s6, s6, s12
	s_add_i32 s9, s9, s6
	s_mul_i32 s4, s4, s12
	s_mul_hi_u32 s13, s7, s4
	s_mul_i32 s46, s7, s4
	s_mul_i32 s52, s12, s9
	s_mul_hi_u32 s4, s12, s4
	s_mul_hi_u32 s47, s12, s9
	s_add_u32 s4, s4, s52
	s_addc_u32 s12, 0, s47
	s_add_u32 s4, s4, s46
	s_mul_hi_u32 s6, s7, s9
	s_addc_u32 s4, s12, s13
	s_addc_u32 s6, s6, 0
	s_mul_i32 s9, s7, s9
	s_add_u32 s4, s4, s9
	s_addc_u32 s6, 0, s6
	v_add_co_u32_e32 v2, vcc, s4, v2
	s_cmp_lg_u64 vcc, 0
	s_addc_u32 s4, s7, s6
	v_readfirstlane_b32 s9, v2
	s_mul_i32 s7, s8, s4
	s_mul_hi_u32 s12, s8, s9
	s_mul_hi_u32 s6, s8, s4
	s_add_u32 s7, s12, s7
	s_addc_u32 s6, 0, s6
	s_mul_hi_u32 s13, s5, s9
	s_mul_i32 s9, s5, s9
	s_add_u32 s7, s7, s9
	s_mul_hi_u32 s12, s5, s4
	s_addc_u32 s6, s6, s13
	s_addc_u32 s7, s12, 0
	s_mul_i32 s4, s5, s4
	s_add_u32 s4, s6, s4
	s_addc_u32 s6, 0, s7
	s_mul_hi_u32 s7, s87, s4
	s_mul_i32 s4, s87, s4
	s_mul_i32 s6, s87, s6
	v_mov_b32_e32 v2, s4
	s_add_i32 s7, s7, s6
	v_sub_co_u32_e32 v2, vcc, s8, v2
	s_cmp_lg_u64 vcc, 0
	s_subb_u32 s4, s5, s7
	v_subrev_co_u32_e32 v3, vcc, s87, v2
	s_cmp_lg_u64 vcc, 0
	s_subb_u32 s6, s4, 0
	v_subrev_co_u32_e32 v6, vcc, s87, v3
	s_cmp_lg_u64 vcc, 0
	s_subb_u32 s7, s6, 0
	v_cmp_le_u32_e32 vcc, s87, v3
	s_cmp_eq_u32 s6, 0
	v_cndmask_b32_e64 v7, 0, -1, vcc
	s_cselect_b64 vcc, -1, 0
	v_cndmask_b32_e32 v7, -1, v7, vcc
	v_mov_b32_e32 v8, s6
	v_mov_b32_e32 v9, s7
	v_cmp_ne_u32_e32 vcc, 0, v7
	v_cndmask_b32_e32 v7, v8, v9, vcc
	v_cndmask_b32_e32 v6, v3, v6, vcc
	v_cmp_le_u32_e32 vcc, s87, v2
	s_cmp_eq_u32 s4, 0
	v_cndmask_b32_e64 v3, 0, -1, vcc
	s_cselect_b64 vcc, -1, 0
	v_cndmask_b32_e32 v3, -1, v3, vcc
	v_mov_b32_e32 v8, s4
	v_cmp_ne_u32_e32 vcc, 0, v3
	v_cndmask_b32_e32 v3, v8, v7, vcc
	v_cndmask_b32_e32 v2, v2, v6, vcc
	s_cbranch_execnz .LBB195_382
.LBB195_381:                            ;   in Loop: Header=BB195_12 Depth=1
	v_cvt_f32_u32_e32 v2, s87
	s_sub_i32 s4, 0, s87
	v_rcp_iflag_f32_e32 v2, v2
	v_mul_f32_e32 v2, 0x4f7ffffe, v2
	v_cvt_u32_f32_e32 v2, v2
	v_mul_lo_u32 v3, s4, v2
	v_mul_hi_u32 v3, v2, v3
	v_add_u32_e32 v2, v2, v3
	v_mul_hi_u32 v2, s8, v2
	v_mul_lo_u32 v2, v2, s87
	v_sub_u32_e32 v2, s8, v2
	v_subrev_u32_e32 v3, s87, v2
	v_cmp_le_u32_e32 vcc, s87, v2
	v_cndmask_b32_e32 v2, v2, v3, vcc
	v_subrev_u32_e32 v3, s87, v2
	v_cmp_le_u32_e32 vcc, s87, v2
	v_cndmask_b32_e32 v14, v2, v3, vcc
	v_pk_mov_b32 v[2:3], v[14:15], v[14:15] op_sel:[0,1]
.LBB195_382:                            ;   in Loop: Header=BB195_12 Depth=1
	v_mov_b32_e32 v6, s5
	v_sub_co_u32_e32 v2, vcc, s8, v2
	v_subb_co_u32_e32 v3, vcc, v6, v3, vcc
	v_cmp_gt_u64_e32 vcc, v[2:3], v[0:1]
	s_mov_b64 s[4:5], 0
                                        ; implicit-def: $vgpr21
	s_and_saveexec_b64 s[8:9], vcc
	s_cbranch_execz .LBB195_394
; %bb.383:                              ;   in Loop: Header=BB195_12 Depth=1
	v_mov_b32_e32 v8, v16
	v_pk_mov_b32 v[6:7], v[0:1], v[0:1] op_sel:[0,1]
                                        ; implicit-def: $sgpr12_sgpr13
	s_branch .LBB195_385
.LBB195_384:                            ;   in Loop: Header=BB195_385 Depth=2
	s_or_b64 exec, exec, s[6:7]
	s_waitcnt lgkmcnt(0)
	s_barrier
	ds_read_b64 v[20:21], v15 offset:3072
	v_mov_b32_e32 v9, s88
	v_add_co_u32_e64 v6, s[6:7], s87, v6
	v_addc_co_u32_e64 v7, s[6:7], v7, v9, s[6:7]
	s_waitcnt lgkmcnt(0)
	v_cmp_neq_f32_e32 vcc, 0, v20
	v_cmp_ge_u64_e64 s[6:7], v[6:7], v[2:3]
	s_or_b64 s[6:7], s[6:7], vcc
	s_and_b64 s[6:7], exec, s[6:7]
	s_or_b64 s[4:5], s[6:7], s[4:5]
	s_andn2_b64 s[6:7], s[12:13], exec
	s_and_b64 s[12:13], vcc, exec
	v_add_u32_e32 v8, s95, v8
	s_or_b64 s[12:13], s[6:7], s[12:13]
	s_barrier
	s_andn2_b64 exec, exec, s[4:5]
	s_cbranch_execz .LBB195_393
.LBB195_385:                            ;   Parent Loop BB195_12 Depth=1
                                        ; =>  This Inner Loop Header: Depth=2
	v_cmp_gt_u64_e32 vcc, s[2:3], v[6:7]
	s_waitcnt vmcnt(0)
	v_mov_b32_e32 v19, 0
	s_and_saveexec_b64 s[6:7], vcc
	s_cbranch_execz .LBB195_387
; %bb.386:                              ;   in Loop: Header=BB195_385 Depth=2
	ds_read_b32 v19, v8
.LBB195_387:                            ;   in Loop: Header=BB195_385 Depth=2
	s_or_b64 exec, exec, s[6:7]
	s_and_saveexec_b64 s[6:7], vcc
	s_cbranch_execz .LBB195_384
; %bb.388:                              ;   in Loop: Header=BB195_385 Depth=2
	s_waitcnt lgkmcnt(0)
	v_cmp_lt_i32_e32 vcc, -1, v19
	v_cndmask_b32_e32 v9, -1, v35, vcc
	v_xor_b32_e32 v9, v9, v19
	v_cmp_o_f32_e32 vcc, v19, v19
	v_cndmask_b32_e32 v9, -1, v9, vcc
	v_and_b32_e32 v9, v9, v37
	v_cmp_eq_u32_e32 vcc, v9, v38
	s_and_b64 exec, exec, vcc
	s_cbranch_execz .LBB195_384
; %bb.389:                              ;   in Loop: Header=BB195_385 Depth=2
	ds_write_b64 v15, v[18:19] offset:3072
	s_branch .LBB195_384
.LBB195_390:                            ;   in Loop: Header=BB195_12 Depth=1
                                        ; implicit-def: $vgpr4_vgpr5
	s_branch .LBB195_335
.LBB195_391:                            ;   in Loop: Header=BB195_12 Depth=1
                                        ; implicit-def: $vgpr4_vgpr5
	s_branch .LBB195_351
.LBB195_392:                            ;   in Loop: Header=BB195_12 Depth=1
	s_mov_b64 s[8:9], -1
	s_mov_b64 s[4:5], 0
                                        ; implicit-def: $sgpr46_sgpr47
                                        ; implicit-def: $vgpr21
	s_mov_b64 s[56:57], s[8:9]
	s_cbranch_execnz .LBB195_395
	s_branch .LBB195_408
.LBB195_393:                            ;   in Loop: Header=BB195_12 Depth=1
	s_or_b64 exec, exec, s[4:5]
	s_and_b64 s[4:5], s[12:13], exec
.LBB195_394:                            ;   in Loop: Header=BB195_12 Depth=1
	s_or_b64 exec, exec, s[8:9]
	s_mov_b64 s[8:9], 0
	s_mov_b64 s[46:47], -1
	s_mov_b64 s[56:57], s[8:9]
	s_branch .LBB195_408
.LBB195_395:                            ;   in Loop: Header=BB195_12 Depth=1
	s_mov_b32 s92, s85
	s_cmp_lg_u64 s[92:93], 0
	s_cbranch_scc0 .LBB195_428
; %bb.396:                              ;   in Loop: Header=BB195_12 Depth=1
	v_cvt_f32_u32_e32 v2, s87
	s_sub_u32 s2, 0, s87
	s_subb_u32 s3, 0, 0
	v_mac_f32_e32 v2, 0, v36
	v_rcp_f32_e32 v2, v2
	v_mul_f32_e32 v2, 0x5f7ffffc, v2
	v_mul_f32_e32 v3, 0x2f800000, v2
	v_trunc_f32_e32 v3, v3
	v_mac_f32_e32 v2, 0xcf800000, v3
	v_cvt_u32_f32_e32 v3, v3
	v_cvt_u32_f32_e32 v2, v2
	v_readfirstlane_b32 s4, v3
	v_readfirstlane_b32 s5, v2
	s_mul_i32 s6, s2, s4
	s_mul_hi_u32 s8, s2, s5
	s_mul_i32 s7, s3, s5
	s_add_i32 s6, s8, s6
	s_mul_i32 s9, s2, s5
	s_add_i32 s6, s6, s7
	s_mul_hi_u32 s8, s5, s9
	s_mul_hi_u32 s7, s5, s6
	s_mul_i32 s5, s5, s6
	s_add_u32 s5, s8, s5
	s_addc_u32 s7, 0, s7
	s_mul_hi_u32 s12, s4, s9
	s_mul_i32 s9, s4, s9
	s_add_u32 s5, s5, s9
	s_mul_hi_u32 s8, s4, s6
	s_addc_u32 s5, s7, s12
	s_addc_u32 s7, s8, 0
	s_mul_i32 s6, s4, s6
	s_add_u32 s5, s5, s6
	s_addc_u32 s6, 0, s7
	v_add_co_u32_e32 v2, vcc, s5, v2
	s_cmp_lg_u64 vcc, 0
	s_addc_u32 s4, s4, s6
	v_readfirstlane_b32 s6, v2
	s_mul_i32 s5, s2, s4
	s_mul_hi_u32 s7, s2, s6
	s_add_i32 s5, s7, s5
	s_mul_i32 s3, s3, s6
	s_add_i32 s5, s5, s3
	s_mul_i32 s2, s2, s6
	s_mul_hi_u32 s7, s4, s2
	s_mul_i32 s8, s4, s2
	s_mul_i32 s12, s6, s5
	s_mul_hi_u32 s2, s6, s2
	s_mul_hi_u32 s9, s6, s5
	s_add_u32 s2, s2, s12
	s_addc_u32 s6, 0, s9
	s_add_u32 s2, s2, s8
	s_mul_hi_u32 s3, s4, s5
	s_addc_u32 s2, s6, s7
	s_addc_u32 s3, s3, 0
	s_mul_i32 s5, s4, s5
	s_add_u32 s2, s2, s5
	s_addc_u32 s3, 0, s3
	v_add_co_u32_e32 v2, vcc, s2, v2
	s_cmp_lg_u64 vcc, 0
	s_addc_u32 s2, s4, s3
	v_readlane_b32 s8, v48, 35
	v_readfirstlane_b32 s5, v2
	s_mul_i32 s4, s8, s2
	s_mul_hi_u32 s6, s8, s5
	s_mul_hi_u32 s3, s8, s2
	s_add_u32 s4, s6, s4
	s_addc_u32 s3, 0, s3
	s_mul_hi_u32 s7, s93, s5
	s_mul_i32 s5, s93, s5
	s_add_u32 s4, s4, s5
	s_mul_hi_u32 s6, s93, s2
	s_addc_u32 s3, s3, s7
	s_addc_u32 s4, s6, 0
	s_mul_i32 s2, s93, s2
	s_add_u32 s2, s3, s2
	s_addc_u32 s3, 0, s4
	s_mul_hi_u32 s4, s87, s2
	s_mul_i32 s2, s87, s2
	s_mul_i32 s3, s87, s3
	v_mov_b32_e32 v2, s2
	s_add_i32 s4, s4, s3
	v_sub_co_u32_e32 v2, vcc, s8, v2
	s_cmp_lg_u64 vcc, 0
	s_subb_u32 s2, s93, s4
	v_subrev_co_u32_e32 v3, vcc, s87, v2
	s_cmp_lg_u64 vcc, 0
	s_subb_u32 s3, s2, 0
	v_subrev_co_u32_e32 v6, vcc, s87, v3
	s_cmp_lg_u64 vcc, 0
	s_subb_u32 s4, s3, 0
	v_cmp_le_u32_e32 vcc, s87, v3
	s_cmp_eq_u32 s3, 0
	v_cndmask_b32_e64 v7, 0, -1, vcc
	s_cselect_b64 vcc, -1, 0
	v_cndmask_b32_e32 v7, -1, v7, vcc
	v_mov_b32_e32 v8, s3
	v_mov_b32_e32 v9, s4
	v_cmp_ne_u32_e32 vcc, 0, v7
	v_cndmask_b32_e32 v7, v8, v9, vcc
	v_cndmask_b32_e32 v6, v3, v6, vcc
	v_cmp_le_u32_e32 vcc, s87, v2
	s_cmp_eq_u32 s2, 0
	v_cndmask_b32_e64 v3, 0, -1, vcc
	s_cselect_b64 vcc, -1, 0
	v_cndmask_b32_e32 v3, -1, v3, vcc
	v_mov_b32_e32 v8, s2
	v_cmp_ne_u32_e32 vcc, 0, v3
	v_cndmask_b32_e32 v3, v8, v7, vcc
	v_cndmask_b32_e32 v2, v2, v6, vcc
	s_cbranch_execnz .LBB195_398
.LBB195_397:                            ;   in Loop: Header=BB195_12 Depth=1
	v_cvt_f32_u32_e32 v2, s87
	s_sub_i32 s2, 0, s87
	v_rcp_iflag_f32_e32 v2, v2
	v_mul_f32_e32 v2, 0x4f7ffffe, v2
	v_cvt_u32_f32_e32 v2, v2
	v_mul_lo_u32 v3, s2, v2
	v_mul_hi_u32 v3, v2, v3
	v_add_u32_e32 v2, v2, v3
	v_readlane_b32 s2, v48, 35
	v_mul_hi_u32 v2, s2, v2
	v_mul_lo_u32 v2, v2, s87
	v_sub_u32_e32 v2, s2, v2
	v_subrev_u32_e32 v3, s87, v2
	v_cmp_le_u32_e32 vcc, s87, v2
	v_cndmask_b32_e32 v2, v2, v3, vcc
	v_subrev_u32_e32 v3, s87, v2
	v_cmp_le_u32_e32 vcc, s87, v2
	v_cndmask_b32_e32 v14, v2, v3, vcc
	v_pk_mov_b32 v[2:3], v[14:15], v[14:15] op_sel:[0,1]
.LBB195_398:                            ;   in Loop: Header=BB195_12 Depth=1
	v_readlane_b32 s2, v48, 35
	v_mov_b32_e32 v6, s93
	v_sub_co_u32_e32 v2, vcc, s2, v2
	v_subb_co_u32_e32 v3, vcc, v6, v3, vcc
	v_cmp_gt_u64_e32 vcc, v[2:3], v[0:1]
	s_mov_b64 s[4:5], 0
                                        ; implicit-def: $vgpr21
	s_and_saveexec_b64 s[2:3], vcc
	s_cbranch_execz .LBB195_407
; %bb.399:                              ;   in Loop: Header=BB195_12 Depth=1
	v_pk_mov_b32 v[6:7], v[0:1], v[0:1] op_sel:[0,1]
                                        ; implicit-def: $sgpr8_sgpr9
	s_branch .LBB195_401
.LBB195_400:                            ;   in Loop: Header=BB195_401 Depth=2
	s_or_b64 exec, exec, s[6:7]
	s_waitcnt lgkmcnt(0)
	s_barrier
	ds_read_b64 v[20:21], v15 offset:3072
	v_mov_b32_e32 v8, s88
	v_add_co_u32_e64 v6, s[6:7], s87, v6
	v_addc_co_u32_e64 v7, s[6:7], v7, v8, s[6:7]
	s_waitcnt lgkmcnt(0)
	v_cmp_neq_f32_e32 vcc, 0, v20
	v_cmp_ge_u64_e64 s[6:7], v[6:7], v[2:3]
	s_or_b64 s[6:7], s[6:7], vcc
	s_and_b64 s[6:7], exec, s[6:7]
	s_or_b64 s[4:5], s[6:7], s[4:5]
	s_andn2_b64 s[6:7], s[8:9], exec
	s_and_b64 s[8:9], vcc, exec
	s_or_b64 s[8:9], s[6:7], s[8:9]
	s_barrier
	s_andn2_b64 exec, exec, s[4:5]
	s_cbranch_execz .LBB195_406
.LBB195_401:                            ;   Parent Loop BB195_12 Depth=1
                                        ; =>  This Inner Loop Header: Depth=2
	v_cmp_gt_u64_e32 vcc, s[60:61], v[6:7]
	s_waitcnt vmcnt(0)
	v_mov_b32_e32 v19, 0
	s_and_saveexec_b64 s[12:13], vcc
	s_cbranch_execz .LBB195_403
; %bb.402:                              ;   in Loop: Header=BB195_401 Depth=2
	v_mul_lo_u32 v14, v7, s58
	v_mul_lo_u32 v19, v6, s59
	v_mad_u64_u32 v[8:9], s[6:7], v6, s58, 0
	v_add3_u32 v9, v9, v19, v14
	v_lshlrev_b64 v[8:9], 2, v[8:9]
	v_mov_b32_e32 v14, s86
	v_add_co_u32_e64 v8, s[6:7], s33, v8
	v_addc_co_u32_e64 v9, s[6:7], v14, v9, s[6:7]
	global_load_dword v19, v[8:9], off
.LBB195_403:                            ;   in Loop: Header=BB195_401 Depth=2
	s_or_b64 exec, exec, s[12:13]
	s_and_saveexec_b64 s[6:7], vcc
	s_cbranch_execz .LBB195_400
; %bb.404:                              ;   in Loop: Header=BB195_401 Depth=2
	s_waitcnt vmcnt(0)
	v_cmp_lt_i32_e32 vcc, -1, v19
	v_cndmask_b32_e32 v8, -1, v35, vcc
	v_xor_b32_e32 v8, v8, v19
	v_cmp_o_f32_e32 vcc, v19, v19
	v_cndmask_b32_e32 v8, -1, v8, vcc
	v_and_b32_e32 v8, v8, v37
	v_cmp_eq_u32_e32 vcc, v8, v38
	s_and_b64 exec, exec, vcc
	s_cbranch_execz .LBB195_400
; %bb.405:                              ;   in Loop: Header=BB195_401 Depth=2
	ds_write_b64 v15, v[18:19] offset:3072
	s_branch .LBB195_400
.LBB195_406:                            ;   in Loop: Header=BB195_12 Depth=1
	s_or_b64 exec, exec, s[4:5]
	s_and_b64 s[4:5], s[8:9], exec
.LBB195_407:                            ;   in Loop: Header=BB195_12 Depth=1
	s_or_b64 exec, exec, s[2:3]
	s_mov_b64 s[46:47], 0
	s_mov_b64 s[8:9], -1
	s_mov_b64 s[56:57], 0
.LBB195_408:                            ;   in Loop: Header=BB195_12 Depth=1
	s_orn2_b64 s[4:5], s[4:5], exec
.LBB195_409:                            ;   in Loop: Header=BB195_12 Depth=1
	s_or_b64 exec, exec, s[50:51]
	s_mov_b64 s[2:3], 0
                                        ; implicit-def: $vgpr8
	s_and_saveexec_b64 s[50:51], s[4:5]
	s_cbranch_execz .LBB195_474
; %bb.410:                              ;   in Loop: Header=BB195_12 Depth=1
	v_mov_b32_e32 v2, 1
	s_xor_b64 s[4:5], s[10:11], -1
	s_mov_b64 s[12:13], 0
	v_mov_b32_e32 v3, 0
	v_mov_b32_e32 v8, 1
	s_and_saveexec_b64 s[2:3], s[4:5]
	s_cbranch_execz .LBB195_420
; %bb.411:                              ;   in Loop: Header=BB195_12 Depth=1
	v_cmp_ge_u64_e32 vcc, s[18:19], v[4:5]
                                        ; implicit-def: $sgpr10
                                        ; implicit-def: $sgpr4_sgpr5
	s_and_saveexec_b64 s[6:7], vcc
	s_xor_b64 s[6:7], exec, s[6:7]
	s_cbranch_execz .LBB195_417
; %bb.412:                              ;   in Loop: Header=BB195_12 Depth=1
	ds_read_b64 v[2:3], v15 offset:5120
	s_waitcnt lgkmcnt(0)
	v_cmp_ne_u64_e32 vcc, 0, v[2:3]
	s_cbranch_vccnz .LBB195_416
; %bb.413:                              ;   in Loop: Header=BB195_12 Depth=1
	s_mov_b64 s[4:5], exec
	v_readlane_b32 s10, v48, 12
	v_readlane_b32 s11, v48, 13
	s_and_b64 s[10:11], s[4:5], s[10:11]
	s_mov_b64 exec, s[10:11]
	s_cbranch_execz .LBB195_415
; %bb.414:                              ;   in Loop: Header=BB195_12 Depth=1
	v_pk_mov_b32 v[2:3], s[18:19], s[18:19] op_sel:[0,1]
	ds_write_b64 v15, v[2:3] offset:5128
.LBB195_415:                            ;   in Loop: Header=BB195_12 Depth=1
	s_or_b64 exec, exec, s[4:5]
	s_waitcnt lgkmcnt(0)
	s_barrier
.LBB195_416:                            ;   in Loop: Header=BB195_12 Depth=1
	v_and_b32_e32 v2, s48, v38
	v_lshl_or_b32 v38, 1, s49, v2
	v_or_b32_e32 v37, s84, v37
	s_mov_b64 s[4:5], 0
	s_mov_b32 s10, 5
.LBB195_417:                            ;   in Loop: Header=BB195_12 Depth=1
	s_or_saveexec_b64 s[6:7], s[6:7]
	v_mov_b32_e32 v8, s10
	s_xor_b64 exec, exec, s[6:7]
; %bb.418:                              ;   in Loop: Header=BB195_12 Depth=1
	v_mov_b32_e32 v2, s19
	v_subrev_co_u32_e32 v4, vcc, s18, v4
	v_subb_co_u32_e32 v5, vcc, v5, v2, vcc
	v_mov_b32_e32 v8, 0
	s_or_b64 s[4:5], s[4:5], exec
; %bb.419:                              ;   in Loop: Header=BB195_12 Depth=1
	s_or_b64 exec, exec, s[6:7]
	s_and_b64 s[12:13], s[4:5], exec
	v_pk_mov_b32 v[2:3], v[4:5], v[4:5] op_sel:[0,1]
.LBB195_420:                            ;   in Loop: Header=BB195_12 Depth=1
	s_or_b64 exec, exec, s[2:3]
	s_mov_b64 s[10:11], -1
                                        ; implicit-def: $sgpr2_sgpr3
                                        ; implicit-def: $sgpr4_sgpr5
                                        ; implicit-def: $sgpr6_sgpr7
	s_and_saveexec_b64 s[18:19], s[12:13]
	s_cbranch_execz .LBB195_473
; %bb.421:                              ;   in Loop: Header=BB195_12 Depth=1
	s_cmp_eq_u64 s[16:17], 1
	s_cselect_b64 s[2:3], -1, 0
	v_cmp_eq_u64_e32 vcc, 1, v[2:3]
	s_and_b64 s[10:11], s[2:3], vcc
	s_mov_b64 s[54:55], -1
                                        ; implicit-def: $sgpr2_sgpr3
                                        ; implicit-def: $sgpr4_sgpr5
                                        ; implicit-def: $sgpr6_sgpr7
	s_and_saveexec_b64 s[52:53], s[10:11]
	s_cbranch_execz .LBB195_460
; %bb.422:                              ;   in Loop: Header=BB195_12 Depth=1
	ds_read_b64 v[4:5], v15 offset:5120
	s_waitcnt lgkmcnt(0)
	s_barrier
	v_readfirstlane_b32 s2, v4
	v_readfirstlane_b32 s3, v5
	s_mov_b64 s[4:5], exec
	v_readlane_b32 s6, v48, 30
	v_readlane_b32 s7, v48, 31
	s_and_b64 s[6:7], s[4:5], s[6:7]
	s_mov_b64 exec, s[6:7]
	s_cbranch_execz .LBB195_424
; %bb.423:                              ;   in Loop: Header=BB195_12 Depth=1
	ds_write_b32 v32, v15
.LBB195_424:                            ;   in Loop: Header=BB195_12 Depth=1
	s_or_b64 exec, exec, s[4:5]
	v_and_b32_e32 v38, s48, v38
	v_or_b32_e32 v37, s84, v37
	s_cmp_eq_u64 s[2:3], 0
	s_waitcnt lgkmcnt(0)
	s_barrier
	s_cbranch_scc1 .LBB195_429
; %bb.425:                              ;   in Loop: Header=BB195_12 Depth=1
	v_readlane_b32 s4, v48, 34
	s_add_u32 s12, s4, s2
	v_readlane_b32 s4, v48, 36
	s_addc_u32 s5, s4, s3
	s_mov_b32 s4, s85
	s_cmp_lg_u64 s[4:5], 0
	s_cbranch_scc0 .LBB195_430
; %bb.426:                              ;   in Loop: Header=BB195_12 Depth=1
	v_cvt_f32_u32_e32 v4, s87
	s_sub_u32 s4, 0, s87
	s_subb_u32 s6, 0, 0
	v_mac_f32_e32 v4, 0, v36
	v_rcp_f32_e32 v4, v4
	v_mul_f32_e32 v4, 0x5f7ffffc, v4
	v_mul_f32_e32 v5, 0x2f800000, v4
	v_trunc_f32_e32 v5, v5
	v_mac_f32_e32 v4, 0xcf800000, v5
	v_cvt_u32_f32_e32 v5, v5
	v_cvt_u32_f32_e32 v4, v4
	v_readfirstlane_b32 s7, v5
	v_readfirstlane_b32 s13, v4
	s_mul_i32 s49, s4, s7
	s_mul_hi_u32 s55, s4, s13
	s_mul_i32 s54, s6, s13
	s_add_i32 s49, s55, s49
	s_mul_i32 s90, s4, s13
	s_add_i32 s49, s49, s54
	s_mul_hi_u32 s55, s13, s90
	s_mul_hi_u32 s54, s13, s49
	s_mul_i32 s13, s13, s49
	s_add_u32 s13, s55, s13
	s_addc_u32 s54, 0, s54
	s_mul_hi_u32 s91, s7, s90
	s_mul_i32 s90, s7, s90
	s_add_u32 s13, s13, s90
	s_mul_hi_u32 s55, s7, s49
	s_addc_u32 s13, s54, s91
	s_addc_u32 s54, s55, 0
	s_mul_i32 s49, s7, s49
	s_add_u32 s13, s13, s49
	s_addc_u32 s49, 0, s54
	v_add_co_u32_e32 v4, vcc, s13, v4
	s_cmp_lg_u64 vcc, 0
	s_addc_u32 s7, s7, s49
	v_readfirstlane_b32 s49, v4
	s_mul_i32 s13, s4, s7
	s_mul_hi_u32 s54, s4, s49
	s_add_i32 s13, s54, s13
	s_mul_i32 s6, s6, s49
	s_add_i32 s13, s13, s6
	s_mul_i32 s4, s4, s49
	s_mul_hi_u32 s54, s7, s4
	s_mul_i32 s55, s7, s4
	s_mul_i32 s91, s49, s13
	s_mul_hi_u32 s4, s49, s4
	s_mul_hi_u32 s90, s49, s13
	s_add_u32 s4, s4, s91
	s_addc_u32 s49, 0, s90
	s_add_u32 s4, s4, s55
	s_mul_hi_u32 s6, s7, s13
	s_addc_u32 s4, s49, s54
	s_addc_u32 s6, s6, 0
	s_mul_i32 s13, s7, s13
	s_add_u32 s4, s4, s13
	s_addc_u32 s6, 0, s6
	v_add_co_u32_e32 v4, vcc, s4, v4
	s_cmp_lg_u64 vcc, 0
	s_addc_u32 s4, s7, s6
	v_readfirstlane_b32 s13, v4
	s_mul_i32 s7, s12, s4
	s_mul_hi_u32 s49, s12, s13
	s_mul_hi_u32 s6, s12, s4
	s_add_u32 s7, s49, s7
	s_addc_u32 s6, 0, s6
	s_mul_hi_u32 s54, s5, s13
	s_mul_i32 s13, s5, s13
	s_add_u32 s7, s7, s13
	s_mul_hi_u32 s49, s5, s4
	s_addc_u32 s6, s6, s54
	s_addc_u32 s7, s49, 0
	s_mul_i32 s4, s5, s4
	s_add_u32 s4, s6, s4
	s_addc_u32 s6, 0, s7
	s_mul_hi_u32 s7, s87, s4
	s_mul_i32 s4, s87, s4
	s_mul_i32 s6, s87, s6
	v_mov_b32_e32 v4, s4
	s_add_i32 s7, s7, s6
	v_sub_co_u32_e32 v4, vcc, s12, v4
	s_cmp_lg_u64 vcc, 0
	s_subb_u32 s4, s5, s7
	v_subrev_co_u32_e32 v5, vcc, s87, v4
	s_cmp_lg_u64 vcc, 0
	s_subb_u32 s6, s4, 0
	v_subrev_co_u32_e32 v6, vcc, s87, v5
	s_cmp_lg_u64 vcc, 0
	s_subb_u32 s7, s6, 0
	v_cmp_le_u32_e32 vcc, s87, v5
	s_cmp_eq_u32 s6, 0
	v_cndmask_b32_e64 v7, 0, -1, vcc
	s_cselect_b64 vcc, -1, 0
	v_cndmask_b32_e32 v7, -1, v7, vcc
	v_mov_b32_e32 v8, s6
	v_mov_b32_e32 v9, s7
	v_cmp_ne_u32_e32 vcc, 0, v7
	v_cndmask_b32_e32 v7, v8, v9, vcc
	v_cndmask_b32_e32 v6, v5, v6, vcc
	v_cmp_le_u32_e32 vcc, s87, v4
	s_cmp_eq_u32 s4, 0
	v_cndmask_b32_e64 v5, 0, -1, vcc
	s_cselect_b64 vcc, -1, 0
	v_cndmask_b32_e32 v5, -1, v5, vcc
	v_mov_b32_e32 v8, s4
	v_cmp_ne_u32_e32 vcc, 0, v5
	v_cndmask_b32_e32 v5, v8, v7, vcc
	v_cndmask_b32_e32 v4, v4, v6, vcc
	s_mov_b64 s[6:7], 0
	s_branch .LBB195_431
.LBB195_427:                            ;   in Loop: Header=BB195_12 Depth=1
                                        ; implicit-def: $vgpr2_vgpr3
	s_branch .LBB195_381
.LBB195_428:                            ;   in Loop: Header=BB195_12 Depth=1
                                        ; implicit-def: $vgpr2_vgpr3
	s_branch .LBB195_397
.LBB195_429:                            ;   in Loop: Header=BB195_12 Depth=1
	s_mov_b64 s[2:3], -1
	s_mov_b64 s[12:13], 0
                                        ; implicit-def: $sgpr4_sgpr5
                                        ; implicit-def: $vgpr21
	s_branch .LBB195_443
.LBB195_430:                            ;   in Loop: Header=BB195_12 Depth=1
	s_mov_b64 s[6:7], -1
                                        ; implicit-def: $vgpr4_vgpr5
.LBB195_431:                            ;   in Loop: Header=BB195_12 Depth=1
	s_andn2_b64 vcc, exec, s[6:7]
	s_cbranch_vccnz .LBB195_433
; %bb.432:                              ;   in Loop: Header=BB195_12 Depth=1
	v_cvt_f32_u32_e32 v4, s87
	s_sub_i32 s4, 0, s87
	v_rcp_iflag_f32_e32 v4, v4
	v_mul_f32_e32 v4, 0x4f7ffffe, v4
	v_cvt_u32_f32_e32 v4, v4
	v_mul_lo_u32 v5, s4, v4
	v_mul_hi_u32 v5, v4, v5
	v_add_u32_e32 v4, v4, v5
	v_mul_hi_u32 v4, s12, v4
	v_mul_lo_u32 v4, v4, s87
	v_sub_u32_e32 v4, s12, v4
	v_subrev_u32_e32 v5, s87, v4
	v_cmp_le_u32_e32 vcc, s87, v4
	v_cndmask_b32_e32 v4, v4, v5, vcc
	v_subrev_u32_e32 v5, s87, v4
	v_cmp_le_u32_e32 vcc, s87, v4
	v_cndmask_b32_e32 v14, v4, v5, vcc
	v_pk_mov_b32 v[4:5], v[14:15], v[14:15] op_sel:[0,1]
.LBB195_433:                            ;   in Loop: Header=BB195_12 Depth=1
	v_mov_b32_e32 v6, s5
	v_sub_co_u32_e32 v4, vcc, s12, v4
	v_subb_co_u32_e32 v5, vcc, v6, v5, vcc
	v_cmp_gt_u64_e32 vcc, v[4:5], v[0:1]
	s_mov_b64 s[12:13], 0
                                        ; implicit-def: $vgpr21
	s_and_saveexec_b64 s[4:5], vcc
	s_cbranch_execz .LBB195_442
; %bb.434:                              ;   in Loop: Header=BB195_12 Depth=1
	v_mov_b32_e32 v8, v16
	v_pk_mov_b32 v[6:7], v[0:1], v[0:1] op_sel:[0,1]
                                        ; implicit-def: $sgpr54_sgpr55
	s_branch .LBB195_436
.LBB195_435:                            ;   in Loop: Header=BB195_436 Depth=2
	s_or_b64 exec, exec, s[6:7]
	s_waitcnt lgkmcnt(0)
	s_barrier
	ds_read_b64 v[20:21], v15 offset:3072
	v_mov_b32_e32 v9, s88
	v_add_co_u32_e64 v6, s[6:7], s87, v6
	v_addc_co_u32_e64 v7, s[6:7], v7, v9, s[6:7]
	s_waitcnt lgkmcnt(0)
	v_cmp_neq_f32_e32 vcc, 0, v20
	v_cmp_ge_u64_e64 s[6:7], v[6:7], v[4:5]
	s_or_b64 s[6:7], s[6:7], vcc
	s_and_b64 s[6:7], exec, s[6:7]
	s_or_b64 s[12:13], s[6:7], s[12:13]
	s_andn2_b64 s[6:7], s[54:55], exec
	s_and_b64 s[54:55], vcc, exec
	v_add_u32_e32 v8, s95, v8
	s_or_b64 s[54:55], s[6:7], s[54:55]
	s_barrier
	s_andn2_b64 exec, exec, s[12:13]
	s_cbranch_execz .LBB195_441
.LBB195_436:                            ;   Parent Loop BB195_12 Depth=1
                                        ; =>  This Inner Loop Header: Depth=2
	v_cmp_gt_u64_e32 vcc, s[2:3], v[6:7]
	s_waitcnt vmcnt(0)
	v_mov_b32_e32 v19, 0
	s_and_saveexec_b64 s[6:7], vcc
	s_cbranch_execz .LBB195_438
; %bb.437:                              ;   in Loop: Header=BB195_436 Depth=2
	ds_read_b32 v19, v8
.LBB195_438:                            ;   in Loop: Header=BB195_436 Depth=2
	s_or_b64 exec, exec, s[6:7]
	s_and_saveexec_b64 s[6:7], vcc
	s_cbranch_execz .LBB195_435
; %bb.439:                              ;   in Loop: Header=BB195_436 Depth=2
	s_waitcnt lgkmcnt(0)
	v_cmp_lt_i32_e32 vcc, -1, v19
	v_cndmask_b32_e32 v9, -1, v35, vcc
	v_xor_b32_e32 v9, v9, v19
	v_cmp_o_f32_e32 vcc, v19, v19
	v_cndmask_b32_e32 v9, -1, v9, vcc
	v_and_b32_e32 v9, v9, v37
	v_cmp_eq_u32_e32 vcc, v9, v38
	s_and_b64 exec, exec, vcc
	s_cbranch_execz .LBB195_435
; %bb.440:                              ;   in Loop: Header=BB195_436 Depth=2
	ds_write_b64 v15, v[18:19] offset:3072
	s_branch .LBB195_435
.LBB195_441:                            ;   in Loop: Header=BB195_12 Depth=1
	s_or_b64 exec, exec, s[12:13]
	s_and_b64 s[12:13], s[54:55], exec
.LBB195_442:                            ;   in Loop: Header=BB195_12 Depth=1
	s_or_b64 exec, exec, s[4:5]
	s_mov_b64 s[2:3], 0
	s_mov_b64 s[4:5], -1
.LBB195_443:                            ;   in Loop: Header=BB195_12 Depth=1
	s_and_b64 vcc, exec, s[2:3]
	s_mov_b64 s[6:7], s[2:3]
	s_cbranch_vccz .LBB195_459
; %bb.444:                              ;   in Loop: Header=BB195_12 Depth=1
	s_mov_b32 s92, s85
	s_cmp_lg_u64 s[92:93], 0
	s_cbranch_scc0 .LBB195_446
; %bb.445:                              ;   in Loop: Header=BB195_12 Depth=1
	v_cvt_f32_u32_e32 v4, s87
	s_sub_u32 s2, 0, s87
	s_subb_u32 s3, 0, 0
	v_mac_f32_e32 v4, 0, v36
	v_rcp_f32_e32 v4, v4
	v_mul_f32_e32 v4, 0x5f7ffffc, v4
	v_mul_f32_e32 v5, 0x2f800000, v4
	v_trunc_f32_e32 v5, v5
	v_mac_f32_e32 v4, 0xcf800000, v5
	v_cvt_u32_f32_e32 v5, v5
	v_cvt_u32_f32_e32 v4, v4
	v_readfirstlane_b32 s4, v5
	v_readfirstlane_b32 s5, v4
	s_mul_i32 s6, s2, s4
	s_mul_hi_u32 s12, s2, s5
	s_mul_i32 s7, s3, s5
	s_add_i32 s6, s12, s6
	s_mul_i32 s13, s2, s5
	s_add_i32 s6, s6, s7
	s_mul_hi_u32 s12, s5, s13
	s_mul_hi_u32 s7, s5, s6
	s_mul_i32 s5, s5, s6
	s_add_u32 s5, s12, s5
	s_addc_u32 s7, 0, s7
	s_mul_hi_u32 s49, s4, s13
	s_mul_i32 s13, s4, s13
	s_add_u32 s5, s5, s13
	s_mul_hi_u32 s12, s4, s6
	s_addc_u32 s5, s7, s49
	s_addc_u32 s7, s12, 0
	s_mul_i32 s6, s4, s6
	s_add_u32 s5, s5, s6
	s_addc_u32 s6, 0, s7
	v_add_co_u32_e32 v4, vcc, s5, v4
	s_cmp_lg_u64 vcc, 0
	s_addc_u32 s4, s4, s6
	v_readfirstlane_b32 s6, v4
	s_mul_i32 s5, s2, s4
	s_mul_hi_u32 s7, s2, s6
	s_add_i32 s5, s7, s5
	s_mul_i32 s3, s3, s6
	s_add_i32 s5, s5, s3
	s_mul_i32 s2, s2, s6
	s_mul_hi_u32 s7, s4, s2
	s_mul_i32 s12, s4, s2
	s_mul_i32 s49, s6, s5
	s_mul_hi_u32 s2, s6, s2
	s_mul_hi_u32 s13, s6, s5
	s_add_u32 s2, s2, s49
	s_addc_u32 s6, 0, s13
	s_add_u32 s2, s2, s12
	s_mul_hi_u32 s3, s4, s5
	s_addc_u32 s2, s6, s7
	s_addc_u32 s3, s3, 0
	s_mul_i32 s5, s4, s5
	s_add_u32 s2, s2, s5
	s_addc_u32 s3, 0, s3
	v_add_co_u32_e32 v4, vcc, s2, v4
	s_cmp_lg_u64 vcc, 0
	s_addc_u32 s2, s4, s3
	v_readlane_b32 s12, v48, 35
	v_readfirstlane_b32 s5, v4
	s_mul_i32 s4, s12, s2
	s_mul_hi_u32 s6, s12, s5
	s_mul_hi_u32 s3, s12, s2
	s_add_u32 s4, s6, s4
	s_addc_u32 s3, 0, s3
	s_mul_hi_u32 s7, s93, s5
	s_mul_i32 s5, s93, s5
	s_add_u32 s4, s4, s5
	s_mul_hi_u32 s6, s93, s2
	s_addc_u32 s3, s3, s7
	s_addc_u32 s4, s6, 0
	s_mul_i32 s2, s93, s2
	s_add_u32 s2, s3, s2
	s_addc_u32 s3, 0, s4
	s_mul_hi_u32 s4, s87, s2
	s_mul_i32 s2, s87, s2
	s_mul_i32 s3, s87, s3
	v_mov_b32_e32 v4, s2
	s_add_i32 s4, s4, s3
	v_sub_co_u32_e32 v4, vcc, s12, v4
	s_cmp_lg_u64 vcc, 0
	s_subb_u32 s2, s93, s4
	v_subrev_co_u32_e32 v5, vcc, s87, v4
	s_cmp_lg_u64 vcc, 0
	s_subb_u32 s3, s2, 0
	v_subrev_co_u32_e32 v6, vcc, s87, v5
	s_cmp_lg_u64 vcc, 0
	s_subb_u32 s4, s3, 0
	v_cmp_le_u32_e32 vcc, s87, v5
	s_cmp_eq_u32 s3, 0
	v_cndmask_b32_e64 v7, 0, -1, vcc
	s_cselect_b64 vcc, -1, 0
	v_cndmask_b32_e32 v7, -1, v7, vcc
	v_mov_b32_e32 v8, s3
	v_mov_b32_e32 v9, s4
	v_cmp_ne_u32_e32 vcc, 0, v7
	v_cndmask_b32_e32 v7, v8, v9, vcc
	v_cndmask_b32_e32 v6, v5, v6, vcc
	v_cmp_le_u32_e32 vcc, s87, v4
	s_cmp_eq_u32 s2, 0
	v_cndmask_b32_e64 v5, 0, -1, vcc
	s_cselect_b64 vcc, -1, 0
	v_cndmask_b32_e32 v5, -1, v5, vcc
	v_mov_b32_e32 v8, s2
	v_cmp_ne_u32_e32 vcc, 0, v5
	v_cndmask_b32_e32 v5, v8, v7, vcc
	v_cndmask_b32_e32 v4, v4, v6, vcc
	s_mov_b64 s[2:3], 0
	s_branch .LBB195_447
.LBB195_446:                            ;   in Loop: Header=BB195_12 Depth=1
	s_mov_b64 s[2:3], -1
                                        ; implicit-def: $vgpr4_vgpr5
.LBB195_447:                            ;   in Loop: Header=BB195_12 Depth=1
	s_andn2_b64 vcc, exec, s[2:3]
	s_cbranch_vccnz .LBB195_449
; %bb.448:                              ;   in Loop: Header=BB195_12 Depth=1
	v_cvt_f32_u32_e32 v4, s87
	s_sub_i32 s2, 0, s87
	v_rcp_iflag_f32_e32 v4, v4
	v_mul_f32_e32 v4, 0x4f7ffffe, v4
	v_cvt_u32_f32_e32 v4, v4
	v_mul_lo_u32 v5, s2, v4
	v_mul_hi_u32 v5, v4, v5
	v_add_u32_e32 v4, v4, v5
	v_readlane_b32 s2, v48, 35
	v_mul_hi_u32 v4, s2, v4
	v_mul_lo_u32 v4, v4, s87
	v_sub_u32_e32 v4, s2, v4
	v_subrev_u32_e32 v5, s87, v4
	v_cmp_le_u32_e32 vcc, s87, v4
	v_cndmask_b32_e32 v4, v4, v5, vcc
	v_subrev_u32_e32 v5, s87, v4
	v_cmp_le_u32_e32 vcc, s87, v4
	v_cndmask_b32_e32 v14, v4, v5, vcc
	v_pk_mov_b32 v[4:5], v[14:15], v[14:15] op_sel:[0,1]
.LBB195_449:                            ;   in Loop: Header=BB195_12 Depth=1
	v_readlane_b32 s2, v48, 35
	v_mov_b32_e32 v6, s93
	v_sub_co_u32_e32 v4, vcc, s2, v4
	v_subb_co_u32_e32 v5, vcc, v6, v5, vcc
	v_cmp_gt_u64_e32 vcc, v[4:5], v[0:1]
	s_mov_b64 s[12:13], 0
                                        ; implicit-def: $vgpr21
	s_and_saveexec_b64 s[2:3], vcc
	s_cbranch_execz .LBB195_458
; %bb.450:                              ;   in Loop: Header=BB195_12 Depth=1
	s_mov_b64 s[4:5], 0
	v_pk_mov_b32 v[6:7], v[0:1], v[0:1] op_sel:[0,1]
                                        ; implicit-def: $sgpr12_sgpr13
	s_branch .LBB195_452
.LBB195_451:                            ;   in Loop: Header=BB195_452 Depth=2
	s_or_b64 exec, exec, s[6:7]
	s_waitcnt lgkmcnt(0)
	s_barrier
	ds_read_b64 v[20:21], v15 offset:3072
	v_mov_b32_e32 v8, s88
	v_add_co_u32_e64 v6, s[6:7], s87, v6
	v_addc_co_u32_e64 v7, s[6:7], v7, v8, s[6:7]
	s_waitcnt lgkmcnt(0)
	v_cmp_neq_f32_e32 vcc, 0, v20
	v_cmp_ge_u64_e64 s[6:7], v[6:7], v[4:5]
	s_or_b64 s[6:7], s[6:7], vcc
	s_and_b64 s[6:7], exec, s[6:7]
	s_or_b64 s[4:5], s[6:7], s[4:5]
	s_andn2_b64 s[6:7], s[12:13], exec
	s_and_b64 s[12:13], vcc, exec
	s_or_b64 s[12:13], s[6:7], s[12:13]
	s_barrier
	s_andn2_b64 exec, exec, s[4:5]
	s_cbranch_execz .LBB195_457
.LBB195_452:                            ;   Parent Loop BB195_12 Depth=1
                                        ; =>  This Inner Loop Header: Depth=2
	v_cmp_gt_u64_e32 vcc, s[60:61], v[6:7]
	s_waitcnt vmcnt(0)
	v_mov_b32_e32 v19, 0
	s_and_saveexec_b64 s[54:55], vcc
	s_cbranch_execz .LBB195_454
; %bb.453:                              ;   in Loop: Header=BB195_452 Depth=2
	v_mul_lo_u32 v14, v7, s58
	v_mul_lo_u32 v19, v6, s59
	v_mad_u64_u32 v[8:9], s[6:7], v6, s58, 0
	v_add3_u32 v9, v9, v19, v14
	v_lshlrev_b64 v[8:9], 2, v[8:9]
	v_mov_b32_e32 v14, s86
	v_add_co_u32_e64 v8, s[6:7], s33, v8
	v_addc_co_u32_e64 v9, s[6:7], v14, v9, s[6:7]
	global_load_dword v19, v[8:9], off
.LBB195_454:                            ;   in Loop: Header=BB195_452 Depth=2
	s_or_b64 exec, exec, s[54:55]
	s_and_saveexec_b64 s[6:7], vcc
	s_cbranch_execz .LBB195_451
; %bb.455:                              ;   in Loop: Header=BB195_452 Depth=2
	s_waitcnt vmcnt(0)
	v_cmp_lt_i32_e32 vcc, -1, v19
	v_cndmask_b32_e32 v8, -1, v35, vcc
	v_xor_b32_e32 v8, v8, v19
	v_cmp_o_f32_e32 vcc, v19, v19
	v_cndmask_b32_e32 v8, -1, v8, vcc
	v_and_b32_e32 v8, v8, v37
	v_cmp_eq_u32_e32 vcc, v8, v38
	s_and_b64 exec, exec, vcc
	s_cbranch_execz .LBB195_451
; %bb.456:                              ;   in Loop: Header=BB195_452 Depth=2
	ds_write_b64 v15, v[18:19] offset:3072
	s_branch .LBB195_451
.LBB195_457:                            ;   in Loop: Header=BB195_12 Depth=1
	s_or_b64 exec, exec, s[4:5]
	s_and_b64 s[12:13], s[12:13], exec
.LBB195_458:                            ;   in Loop: Header=BB195_12 Depth=1
	s_or_b64 exec, exec, s[2:3]
	s_mov_b64 s[4:5], 0
	s_mov_b64 s[2:3], -1
	s_mov_b64 s[6:7], 0
.LBB195_459:                            ;   in Loop: Header=BB195_12 Depth=1
	s_orn2_b64 s[54:55], s[12:13], exec
.LBB195_460:                            ;   in Loop: Header=BB195_12 Depth=1
	s_or_b64 exec, exec, s[52:53]
	s_mov_b64 s[52:53], 0
                                        ; implicit-def: $vgpr8
                                        ; implicit-def: $vgpr4_vgpr5
	s_and_saveexec_b64 s[12:13], s[54:55]
	s_cbranch_execz .LBB195_472
; %bb.461:                              ;   in Loop: Header=BB195_12 Depth=1
	v_mov_b32_e32 v4, 1
	s_xor_b64 s[52:53], s[10:11], -1
	v_mov_b32_e32 v8, 1
	v_mov_b32_e32 v5, 0
	s_and_saveexec_b64 s[10:11], s[52:53]
	s_cbranch_execz .LBB195_471
; %bb.462:                              ;   in Loop: Header=BB195_12 Depth=1
	v_cmp_ge_u64_e32 vcc, s[16:17], v[2:3]
                                        ; implicit-def: $sgpr49
	s_and_saveexec_b64 s[52:53], vcc
	s_xor_b64 s[52:53], exec, s[52:53]
	s_cbranch_execz .LBB195_468
; %bb.463:                              ;   in Loop: Header=BB195_12 Depth=1
	ds_read_b64 v[4:5], v15 offset:5120
	s_waitcnt lgkmcnt(0)
	v_cmp_ne_u64_e32 vcc, 0, v[4:5]
	s_cbranch_vccnz .LBB195_467
; %bb.464:                              ;   in Loop: Header=BB195_12 Depth=1
	s_mov_b64 s[54:55], exec
	v_readlane_b32 s90, v48, 12
	v_readlane_b32 s91, v48, 13
	s_and_b64 s[90:91], s[54:55], s[90:91]
	s_mov_b64 exec, s[90:91]
	s_cbranch_execz .LBB195_466
; %bb.465:                              ;   in Loop: Header=BB195_12 Depth=1
	v_pk_mov_b32 v[4:5], s[16:17], s[16:17] op_sel:[0,1]
	ds_write_b64 v15, v[4:5] offset:5128
.LBB195_466:                            ;   in Loop: Header=BB195_12 Depth=1
	s_or_b64 exec, exec, s[54:55]
	s_waitcnt lgkmcnt(0)
	s_barrier
.LBB195_467:                            ;   in Loop: Header=BB195_12 Depth=1
	v_and_b32_e32 v38, s48, v38
	v_or_b32_e32 v37, s84, v37
	s_mov_b32 s49, 5
.LBB195_468:                            ;   in Loop: Header=BB195_12 Depth=1
	s_or_saveexec_b64 s[52:53], s[52:53]
	v_mov_b32_e32 v8, s49
	s_xor_b64 exec, exec, s[52:53]
; %bb.469:                              ;   in Loop: Header=BB195_12 Depth=1
	v_mov_b32_e32 v4, s17
	v_subrev_co_u32_e32 v2, vcc, s16, v2
	v_subb_co_u32_e32 v3, vcc, v3, v4, vcc
	v_mov_b32_e32 v8, 5
; %bb.470:                              ;   in Loop: Header=BB195_12 Depth=1
	s_or_b64 exec, exec, s[52:53]
	v_pk_mov_b32 v[4:5], v[2:3], v[2:3] op_sel:[0,1]
.LBB195_471:                            ;   in Loop: Header=BB195_12 Depth=1
	s_or_b64 exec, exec, s[10:11]
	s_mov_b64 s[52:53], exec
.LBB195_472:                            ;   in Loop: Header=BB195_12 Depth=1
	s_or_b64 exec, exec, s[12:13]
	s_orn2_b64 s[10:11], s[52:53], exec
	v_pk_mov_b32 v[2:3], v[4:5], v[4:5] op_sel:[0,1]
.LBB195_473:                            ;   in Loop: Header=BB195_12 Depth=1
	s_or_b64 exec, exec, s[18:19]
	s_andn2_b64 s[8:9], s[8:9], exec
	s_and_b64 s[2:3], s[2:3], exec
	s_or_b64 s[8:9], s[8:9], s[2:3]
	s_andn2_b64 s[2:3], s[46:47], exec
	s_and_b64 s[4:5], s[4:5], exec
	s_or_b64 s[46:47], s[2:3], s[4:5]
	;; [unrolled: 3-line block ×3, first 2 shown]
	s_and_b64 s[2:3], s[10:11], exec
	v_pk_mov_b32 v[4:5], v[2:3], v[2:3] op_sel:[0,1]
.LBB195_474:                            ;   in Loop: Header=BB195_12 Depth=1
	s_or_b64 exec, exec, s[50:51]
	s_and_b64 s[8:9], s[8:9], exec
	s_and_b64 s[6:7], s[46:47], exec
	;; [unrolled: 1-line block ×3, first 2 shown]
	s_orn2_b64 s[2:3], s[2:3], exec
.LBB195_475:                            ;   in Loop: Header=BB195_12 Depth=1
	s_or_b64 exec, exec, s[22:23]
	s_andn2_b64 s[10:11], s[36:37], exec
	s_and_b64 s[8:9], s[8:9], exec
	s_or_b64 s[36:37], s[10:11], s[8:9]
	s_andn2_b64 s[8:9], s[40:41], exec
	s_and_b64 s[6:7], s[6:7], exec
	s_or_b64 s[40:41], s[8:9], s[6:7]
	;; [unrolled: 3-line block ×3, first 2 shown]
	s_and_b64 s[6:7], s[2:3], exec
	v_pk_mov_b32 v[2:3], v[4:5], v[4:5] op_sel:[0,1]
.LBB195_476:                            ;   in Loop: Header=BB195_12 Depth=1
	s_or_b64 exec, exec, s[44:45]
	s_and_b64 s[8:9], s[36:37], exec
	s_and_b64 s[4:5], s[40:41], exec
	;; [unrolled: 1-line block ×3, first 2 shown]
	s_orn2_b64 s[12:13], s[6:7], exec
.LBB195_477:                            ;   in Loop: Header=BB195_12 Depth=1
	s_or_b64 exec, exec, s[24:25]
	s_mov_b64 s[6:7], s[28:29]
	s_mov_b64 s[10:11], s[26:27]
	s_and_saveexec_b64 s[16:17], s[12:13]
; %bb.478:                              ;   in Loop: Header=BB195_12 Depth=1
	v_cmp_ne_u32_e64 s[6:7], 5, v8
	v_cmp_eq_u32_e32 vcc, 5, v8
	s_andn2_b64 s[10:11], s[26:27], exec
	s_and_b64 s[6:7], s[6:7], exec
	s_or_b64 s[10:11], s[10:11], s[6:7]
	s_andn2_b64 s[6:7], s[28:29], exec
	s_and_b64 s[12:13], vcc, exec
	s_andn2_b64 s[8:9], s[8:9], exec
	s_andn2_b64 s[4:5], s[4:5], exec
	s_andn2_b64 s[2:3], s[2:3], exec
	s_or_b64 s[6:7], s[6:7], s[12:13]
; %bb.479:                              ;   in Loop: Header=BB195_12 Depth=1
	s_or_b64 exec, exec, s[16:17]
	s_andn2_b64 s[12:13], s[14:15], exec
	s_and_b64 s[8:9], s[8:9], exec
	s_or_b64 s[14:15], s[12:13], s[8:9]
	s_andn2_b64 s[8:9], s[38:39], exec
	s_and_b64 s[4:5], s[4:5], exec
	s_or_b64 s[38:39], s[8:9], s[4:5]
	;; [unrolled: 3-line block ×5, first 2 shown]
	v_mov_b32_e32 v20, v38
	v_mov_b32_e32 v24, v37
	;; [unrolled: 1-line block ×3, first 2 shown]
.LBB195_480:                            ;   in Loop: Header=BB195_12 Depth=1
	s_or_b64 exec, exec, s[34:35]
	s_mov_b64 s[36:37], s[20:21]
	s_mov_b64 s[34:35], s[20:21]
	s_and_saveexec_b64 s[2:3], s[28:29]
.LBB195_481:                            ;   in Loop: Header=BB195_12 Depth=1
	v_mov_b32_e32 v8, 0
	s_andn2_b64 s[20:21], s[20:21], exec
	s_andn2_b64 s[14:15], s[14:15], exec
	;; [unrolled: 1-line block ×5, first 2 shown]
	s_or_b64 s[26:27], s[26:27], exec
.LBB195_482:                            ;   in Loop: Header=BB195_12 Depth=1
	s_or_b64 exec, exec, s[2:3]
	s_andn2_b64 s[2:3], s[82:83], exec
	s_and_b64 s[6:7], s[20:21], exec
	s_or_b64 s[82:83], s[2:3], s[6:7]
	s_andn2_b64 s[2:3], s[80:81], exec
	s_and_b64 s[6:7], s[14:15], exec
	s_or_b64 s[80:81], s[2:3], s[6:7]
	;; [unrolled: 3-line block ×4, first 2 shown]
	s_andn2_b64 s[2:3], s[72:73], exec
	s_and_b64 s[6:7], s[34:35], exec
	s_mov_b64 s[4:5], -1
	s_or_b64 s[72:73], s[2:3], s[6:7]
                                        ; implicit-def: $vgpr37
                                        ; implicit-def: $vgpr38
                                        ; implicit-def: $vgpr22_vgpr23
                                        ; implicit-def: $vgpr21
	s_and_saveexec_b64 s[2:3], s[26:27]
	s_xor_b64 s[2:3], exec, s[2:3]
	s_cbranch_execz .LBB195_11
; %bb.483:                              ;   in Loop: Header=BB195_12 Depth=1
	v_cmp_eq_u32_e32 vcc, 0, v8
	s_mov_b64 s[6:7], -1
	s_and_saveexec_b64 s[8:9], vcc
	s_cbranch_execz .LBB195_10
; %bb.484:                              ;   in Loop: Header=BB195_12 Depth=1
	v_readlane_b32 s4, v48, 50
	s_xor_b32 s4, s4, 1
	s_add_i32 s10, s89, -2
	s_cmp_eq_u32 s89, 0
	v_writelane_b32 v48, s4, 50
	s_cselect_b64 s[4:5], -1, 0
	s_xor_b64 s[6:7], exec, -1
	s_orn2_b64 s[4:5], s[4:5], exec
	s_mov_b32 s89, s10
	s_branch .LBB195_10
.LBB195_485:
	s_or_b64 exec, exec, s[64:65]
	s_xor_b64 s[4:5], s[30:31], -1
	s_xor_b64 s[14:15], s[78:79], -1
	;; [unrolled: 1-line block ×5, first 2 shown]
	s_mov_b64 s[8:9], 0
	s_and_saveexec_b64 s[10:11], s[6:7]
	s_xor_b64 s[6:7], exec, s[10:11]
	s_cbranch_execnz .LBB195_490
; %bb.486:
	s_andn2_saveexec_b64 s[0:1], s[6:7]
	s_cbranch_execnz .LBB195_509
.LBB195_487:
	s_or_b64 exec, exec, s[0:1]
	s_and_saveexec_b64 s[0:1], s[8:9]
.LBB195_488:
	; divergent unreachable
.LBB195_489:
	s_endpgm
.LBB195_490:
	s_mov_b64 s[10:11], 0
	s_and_saveexec_b64 s[8:9], s[12:13]
	s_xor_b64 s[8:9], exec, s[8:9]
	s_cbranch_execz .LBB195_507
; %bb.491:
	s_mov_b64 s[12:13], 0
	s_and_saveexec_b64 s[10:11], s[14:15]
	s_xor_b64 s[10:11], exec, s[10:11]
	s_cbranch_execz .LBB195_505
; %bb.492:
	;; [unrolled: 5-line block ×3, first 2 shown]
	s_and_saveexec_b64 s[4:5], s[2:3]
	s_xor_b64 s[2:3], exec, s[4:5]
; %bb.494:
	v_bfrev_b32_e32 v2, 1
	v_cmp_lt_i32_e32 vcc, -1, v20
	v_cndmask_b32_e64 v2, v2, -1, vcc
	v_xor_b32_e32 v5, v2, v20
; %bb.495:
	s_or_b64 exec, exec, s[2:3]
	s_mov_b64 s[2:3], exec
	v_readlane_b32 s4, v48, 12
	v_readlane_b32 s5, v48, 13
	;; [unrolled: 1-line block ×4, first 2 shown]
	s_and_b64 s[4:5], s[2:3], s[4:5]
	v_readlane_b32 s39, v48, 21
	v_readlane_b32 s21, v48, 45
	;; [unrolled: 1-line block ×4, first 2 shown]
	s_mov_b64 exec, s[4:5]
	s_cbranch_execz .LBB195_497
; %bb.496:
	v_mov_b32_e32 v2, 0
	v_mov_b32_e32 v3, v2
	ds_write_b64 v2, v[2:3] offset:5136
.LBB195_497:
	s_or_b64 exec, exec, s[2:3]
	v_mov_b32_e32 v18, 0
	s_waitcnt lgkmcnt(0)
	s_barrier
	s_mov_b64 s[2:3], exec
	v_readlane_b32 s4, v48, 28
	v_readlane_b32 s5, v48, 29
	s_and_b64 s[4:5], s[2:3], s[4:5]
	s_mov_b64 exec, s[4:5]
	s_cbranch_execz .LBB195_499
; %bb.498:
	global_load_dword v18, v[12:13], off
.LBB195_499:
	s_or_b64 exec, exec, s[2:3]
	s_add_u32 s2, s60, 63
	s_addc_u32 s15, s61, 0
	s_and_b32 s14, s2, 0xffffffc0
	v_readlane_b32 s4, v48, 2
	v_readlane_b32 s2, v48, 0
	;; [unrolled: 1-line block ×4, first 2 shown]
	s_mov_b32 s16, s2
	s_mul_i32 s2, s2, s5
	s_mul_hi_u32 s3, s16, s4
	s_add_i32 s3, s3, s2
	s_mul_i32 s2, s16, s4
	v_readlane_b32 s24, v48, 16
	s_sub_u32 s2, s18, s2
	v_readlane_b32 s26, v48, 18
	v_readlane_b32 s27, v48, 19
	s_subb_u32 s3, 0, s3
	s_mul_i32 s4, s2, s27
	s_mul_hi_u32 s5, s2, s26
	v_readlane_b32 s25, v48, 17
	s_add_i32 s4, s5, s4
	s_mul_i32 s3, s3, s26
	s_add_i32 s3, s4, s3
	s_mul_i32 s4, s16, s25
	s_mul_hi_u32 s5, s16, s24
	s_add_i32 s5, s5, s4
	s_mul_i32 s4, s16, s24
	v_readlane_b32 s22, v48, 6
	v_readlane_b32 s16, v48, 4
	;; [unrolled: 1-line block ×4, first 2 shown]
	s_mov_b32 s24, s16
	s_mul_i32 s16, s16, s23
	s_mul_hi_u32 s17, s24, s22
	s_add_i32 s17, s17, s16
	s_mul_i32 s16, s24, s22
	v_readlane_b32 s28, v48, 46
	s_sub_u32 s16, s18, s16
	v_readlane_b32 s30, v48, 48
	v_readlane_b32 s31, v48, 49
	s_subb_u32 s17, 0, s17
	s_mul_i32 s18, s16, s31
	s_mul_hi_u32 s19, s16, s30
	v_readlane_b32 s29, v48, 47
	s_add_i32 s18, s19, s18
	s_mul_i32 s17, s17, s30
	s_add_i32 s17, s18, s17
	s_mul_i32 s18, s24, s29
	s_mul_hi_u32 s19, s24, s28
	s_add_i32 s19, s19, s18
	s_lshl_b64 s[4:5], s[4:5], 2
	v_readlane_b32 s22, v48, 10
	s_mul_i32 s2, s2, s26
	v_readlane_b32 s23, v48, 11
	s_add_u32 s4, s22, s4
	s_addc_u32 s5, s23, s5
	s_lshl_b64 s[2:3], s[2:3], 2
	s_mul_i32 s18, s24, s28
	s_add_u32 s46, s4, s2
	s_addc_u32 s47, s5, s3
	s_lshl_b64 s[2:3], s[18:19], 3
	v_readlane_b32 s4, v48, 8
	s_mul_i32 s16, s16, s30
	v_readlane_b32 s5, v48, 9
	s_add_u32 s4, s4, s2
	s_addc_u32 s5, s5, s3
	s_lshl_b64 s[2:3], s[16:17], 3
	s_load_dwordx2 s[16:17], s[20:21], 0x368
	s_load_dwordx2 s[18:19], s[20:21], 0x510
	v_bfrev_b32_e32 v17, 1
	v_cmp_lt_i32_e32 vcc, -1, v5
	v_cndmask_b32_e32 v2, -1, v17, vcc
	v_xor_b32_e32 v2, v2, v5
	v_cmp_o_f32_e32 vcc, v5, v5
	s_add_u32 s48, s4, s2
	v_cndmask_b32_e32 v16, -1, v2, vcc
	s_addc_u32 s49, s5, s3
	v_cmp_gt_u64_e32 vcc, s[14:15], v[0:1]
	s_mov_b64 s[22:23], -1
	s_mov_b64 s[2:3], 0
	s_mov_b64 s[4:5], 0
	s_and_saveexec_b64 s[20:21], vcc
	s_cbranch_execnz .LBB195_510
; %bb.500:
	s_or_b64 exec, exec, s[20:21]
	s_and_saveexec_b64 s[20:21], s[22:23]
	s_cbranch_execnz .LBB195_527
.LBB195_501:
	s_or_b64 exec, exec, s[20:21]
	s_and_saveexec_b64 s[0:1], s[4:5]
	s_xor_b64 s[0:1], exec, s[0:1]
	s_cbranch_execnz .LBB195_549
.LBB195_502:
	s_or_b64 exec, exec, s[0:1]
	s_and_b64 s[14:15], s[2:3], exec
.LBB195_503:
	s_andn2_saveexec_b64 s[0:1], s[12:13]
	s_cbranch_execnz .LBB195_552
.LBB195_504:
	s_or_b64 exec, exec, s[0:1]
	s_and_b64 s[12:13], s[14:15], exec
.LBB195_505:
	s_andn2_saveexec_b64 s[0:1], s[10:11]
	s_cbranch_execnz .LBB195_551
.LBB195_506:
	s_or_b64 exec, exec, s[0:1]
	s_and_b64 s[10:11], s[12:13], exec
.LBB195_507:
	s_andn2_saveexec_b64 s[0:1], s[8:9]
	s_cbranch_execnz .LBB195_550
.LBB195_508:
	s_or_b64 exec, exec, s[0:1]
	s_and_b64 s[8:9], s[10:11], exec
	s_andn2_saveexec_b64 s[0:1], s[6:7]
	s_cbranch_execz .LBB195_487
.LBB195_509:
	s_or_b64 s[8:9], s[8:9], exec
	s_trap 2
	s_or_b64 exec, exec, s[0:1]
	s_and_saveexec_b64 s[0:1], s[8:9]
	s_cbranch_execnz .LBB195_488
	s_branch .LBB195_489
.LBB195_510:
	s_mov_b64 s[22:23], 0
	s_waitcnt vmcnt(0)
	v_mov_b32_e32 v19, s88
	v_mov_b32_e32 v3, 0
	v_pk_mov_b32 v[8:9], v[0:1], v[0:1] op_sel:[0,1]
                                        ; implicit-def: $sgpr24_sgpr25
                                        ; implicit-def: $vgpr6_vgpr7
	s_branch .LBB195_512
.LBB195_511:                            ;   in Loop: Header=BB195_512 Depth=1
	s_or_b64 exec, exec, s[26:27]
	s_xor_b64 s[26:27], s[30:31], -1
	s_and_b64 s[4:5], exec, s[4:5]
	s_or_b64 s[22:23], s[4:5], s[22:23]
	s_andn2_b64 s[4:5], s[24:25], exec
	s_and_b64 s[24:25], s[26:27], exec
	s_or_b64 s[24:25], s[4:5], s[24:25]
	s_waitcnt vmcnt(0)
	v_mov_b32_e32 v18, v20
	v_pk_mov_b32 v[8:9], v[4:5], v[4:5] op_sel:[0,1]
	s_andn2_b64 exec, exec, s[22:23]
	s_cbranch_execz .LBB195_526
.LBB195_512:                            ; =>This Inner Loop Header: Depth=1
	v_add_co_u32_e32 v4, vcc, s87, v8
	v_addc_co_u32_e32 v5, vcc, v9, v19, vcc
	v_cmp_gt_u64_e32 vcc, s[60:61], v[4:5]
	v_mov_b32_e32 v20, 0
	s_and_saveexec_b64 s[4:5], vcc
	s_cbranch_execz .LBB195_514
; %bb.513:                              ;   in Loop: Header=BB195_512 Depth=1
	v_mul_lo_u32 v2, v5, s58
	v_mul_lo_u32 v20, v4, s59
	v_mad_u64_u32 v[14:15], s[26:27], v4, s58, 0
	v_add3_u32 v15, v15, v20, v2
	v_lshlrev_b64 v[14:15], 2, v[14:15]
	v_mov_b32_e32 v2, s86
	v_add_co_u32_e32 v14, vcc, s33, v14
	v_addc_co_u32_e32 v15, vcc, v2, v15, vcc
	global_load_dword v20, v[14:15], off
.LBB195_514:                            ;   in Loop: Header=BB195_512 Depth=1
	s_or_b64 exec, exec, s[4:5]
	v_cmp_gt_u64_e32 vcc, s[60:61], v[8:9]
	s_mov_b64 s[26:27], 0
	s_and_saveexec_b64 s[4:5], vcc
	s_cbranch_execz .LBB195_516
; %bb.515:                              ;   in Loop: Header=BB195_512 Depth=1
	v_cmp_lt_i32_e32 vcc, -1, v18
	v_cndmask_b32_e32 v2, -1, v17, vcc
	v_xor_b32_e32 v2, v2, v18
	v_cmp_o_f32_e32 vcc, v18, v18
	v_cndmask_b32_e32 v2, -1, v2, vcc
	v_cmp_gt_u32_e32 vcc, v2, v16
	v_cndmask_b32_e64 v14, 0, 1, vcc
	v_cmp_lt_u32_e32 vcc, v2, v16
	v_cndmask_b32_e64 v2, 0, 1, vcc
	v_cndmask_b32_e64 v2, v2, v14, s[38:39]
	v_and_b32_e32 v2, 1, v2
	v_cmp_eq_u32_e32 vcc, 1, v2
	s_and_b64 s[26:27], vcc, exec
.LBB195_516:                            ;   in Loop: Header=BB195_512 Depth=1
	s_or_b64 exec, exec, s[4:5]
	v_cndmask_b32_e64 v2, 0, 1, s[26:27]
	v_cmp_ne_u32_e32 vcc, 0, v2
	s_cmp_lg_u64 vcc, 0
	s_cselect_b64 s[4:5], -1, 0
	s_and_b64 s[4:5], s[0:1], s[4:5]
	s_and_saveexec_b64 s[28:29], s[4:5]
	s_cbranch_execz .LBB195_520
; %bb.517:                              ;   in Loop: Header=BB195_512 Depth=1
	s_mov_b64 s[34:35], exec
	v_mbcnt_lo_u32_b32 v2, s34, 0
	v_mbcnt_hi_u32_b32 v14, s35, v2
	s_bcnt1_i32_b64 s36, vcc
	v_cmp_eq_u32_e64 s[4:5], 0, v14
                                        ; implicit-def: $vgpr6_vgpr7
	s_and_saveexec_b64 s[30:31], s[4:5]
	s_cbranch_execz .LBB195_519
; %bb.518:                              ;   in Loop: Header=BB195_512 Depth=1
	s_bcnt1_i32_b64 s4, s[34:35]
	s_mul_i32 s4, s36, s4
	v_mov_b32_e32 v2, s4
	s_waitcnt lgkmcnt(0)
	ds_add_rtn_u64 v[6:7], v3, v[2:3] offset:5136
.LBB195_519:                            ;   in Loop: Header=BB195_512 Depth=1
	s_or_b64 exec, exec, s[30:31]
	s_waitcnt lgkmcnt(0)
	v_readfirstlane_b32 s4, v7
	v_readfirstlane_b32 s5, v6
	v_mov_b32_e32 v6, s5
	v_mov_b32_e32 v7, s4
	v_mad_u64_u32 v[6:7], s[4:5], s36, v14, v[6:7]
.LBB195_520:                            ;   in Loop: Header=BB195_512 Depth=1
	s_or_b64 exec, exec, s[28:29]
	s_waitcnt lgkmcnt(0)
	ds_bpermute_b32 v6, v28, v6
	ds_bpermute_b32 v7, v28, v7
	s_mov_b64 s[4:5], -1
	s_mov_b64 s[34:35], -1
                                        ; implicit-def: $sgpr30_sgpr31
	s_and_saveexec_b64 s[28:29], s[26:27]
	s_cbranch_execz .LBB195_524
; %bb.521:                              ;   in Loop: Header=BB195_512 Depth=1
	v_and_b32_e32 v14, vcc_lo, v10
	v_and_b32_e32 v2, vcc_hi, v11
	v_bcnt_u32_b32 v14, v14, 0
	v_bcnt_u32_b32 v2, v2, v14
	s_waitcnt lgkmcnt(0)
	v_add_co_u32_e32 v14, vcc, v6, v2
	v_addc_co_u32_e32 v15, vcc, 0, v7, vcc
	v_cmp_gt_u64_e32 vcc, s[62:63], v[14:15]
	s_mov_b64 s[26:27], 0
	s_and_saveexec_b64 s[30:31], vcc
	s_cbranch_execz .LBB195_523
; %bb.522:                              ;   in Loop: Header=BB195_512 Depth=1
	v_mul_lo_u32 v2, v15, s16
	v_mul_lo_u32 v21, v14, s17
	v_mad_u64_u32 v[22:23], s[34:35], v14, s16, 0
	v_add3_u32 v23, v23, v21, v2
	v_mul_lo_u32 v2, v15, s18
	v_mul_lo_u32 v21, v14, s19
	v_mad_u64_u32 v[14:15], s[34:35], v14, s18, 0
	v_lshlrev_b64 v[22:23], 2, v[22:23]
	v_add3_u32 v15, v15, v21, v2
	v_mov_b32_e32 v2, s47
	v_add_co_u32_e32 v22, vcc, s46, v22
	v_addc_co_u32_e32 v23, vcc, v2, v23, vcc
	v_lshlrev_b64 v[14:15], 3, v[14:15]
	v_mov_b32_e32 v2, s49
	v_add_co_u32_e32 v14, vcc, s48, v14
	s_mov_b64 s[26:27], exec
	v_addc_co_u32_e32 v15, vcc, v2, v15, vcc
	global_store_dword v[22:23], v18, off
	global_store_dwordx2 v[14:15], v[8:9], off
.LBB195_523:                            ;   in Loop: Header=BB195_512 Depth=1
	s_or_b64 exec, exec, s[30:31]
	s_mov_b64 s[30:31], -1
	s_orn2_b64 s[34:35], s[26:27], exec
.LBB195_524:                            ;   in Loop: Header=BB195_512 Depth=1
	s_or_b64 exec, exec, s[28:29]
	s_and_saveexec_b64 s[26:27], s[34:35]
	s_cbranch_execz .LBB195_511
; %bb.525:                              ;   in Loop: Header=BB195_512 Depth=1
	v_cmp_le_u64_e32 vcc, s[14:15], v[4:5]
	s_andn2_b64 s[30:31], s[30:31], exec
	s_orn2_b64 s[4:5], vcc, exec
	s_branch .LBB195_511
.LBB195_526:
	s_or_b64 exec, exec, s[22:23]
	s_mov_b64 s[4:5], exec
	s_orn2_b64 s[22:23], s[24:25], exec
	s_or_b64 exec, exec, s[20:21]
	s_and_saveexec_b64 s[20:21], s[22:23]
	s_cbranch_execz .LBB195_501
.LBB195_527:
	v_mov_b32_e32 v3, 0
	v_mov_b32_e32 v14, 0
	s_waitcnt lgkmcnt(0)
	s_barrier
	s_mov_b64 s[2:3], exec
	v_readlane_b32 s22, v48, 28
	v_readlane_b32 s23, v48, 29
	s_and_b64 s[22:23], s[2:3], s[22:23]
	s_mov_b64 exec, s[22:23]
	s_cbranch_execz .LBB195_529
; %bb.528:
	global_load_dword v14, v[12:13], off
.LBB195_529:
	s_or_b64 exec, exec, s[2:3]
	s_mov_b64 s[22:23], 0
	v_bfrev_b32_e32 v12, 1
                                        ; implicit-def: $sgpr24_sgpr25
                                        ; implicit-def: $sgpr26_sgpr27
                                        ; implicit-def: $sgpr28_sgpr29
                                        ; implicit-def: $vgpr4_vgpr5
	s_branch .LBB195_532
.LBB195_530:                            ;   in Loop: Header=BB195_532 Depth=1
	s_or_b64 exec, exec, s[36:37]
	s_andn2_b64 s[28:29], s[28:29], exec
	s_and_b64 s[34:35], s[40:41], exec
	s_andn2_b64 s[26:27], s[26:27], exec
	s_and_b64 s[2:3], s[2:3], exec
	s_or_b64 s[28:29], s[28:29], s[34:35]
	s_or_b64 s[26:27], s[26:27], s[2:3]
	v_pk_mov_b32 v[0:1], v[6:7], v[6:7] op_sel:[0,1]
	v_mov_b32_e32 v14, v2
.LBB195_531:                            ;   in Loop: Header=BB195_532 Depth=1
	s_or_b64 exec, exec, s[30:31]
	s_xor_b64 s[2:3], s[28:29], -1
	s_and_b64 s[30:31], exec, s[26:27]
	s_or_b64 s[22:23], s[30:31], s[22:23]
	s_andn2_b64 s[24:25], s[24:25], exec
	s_and_b64 s[2:3], s[2:3], exec
	s_or_b64 s[24:25], s[24:25], s[2:3]
	s_andn2_b64 exec, exec, s[22:23]
	s_cbranch_execz .LBB195_547
.LBB195_532:                            ; =>This Inner Loop Header: Depth=1
	v_cmp_gt_u64_e32 vcc, s[14:15], v[0:1]
	s_or_b64 s[28:29], s[28:29], exec
	s_or_b64 s[26:27], s[26:27], exec
	s_and_saveexec_b64 s[30:31], vcc
	s_cbranch_execz .LBB195_531
; %bb.533:                              ;   in Loop: Header=BB195_532 Depth=1
	v_mov_b32_e32 v2, s88
	v_add_co_u32_e32 v6, vcc, s87, v0
	v_addc_co_u32_e32 v7, vcc, v1, v2, vcc
	v_cmp_gt_u64_e32 vcc, s[60:61], v[6:7]
	v_mov_b32_e32 v13, 0
	s_and_saveexec_b64 s[2:3], vcc
	s_cbranch_execz .LBB195_535
; %bb.534:                              ;   in Loop: Header=BB195_532 Depth=1
	v_mul_lo_u32 v2, v7, s58
	v_mul_lo_u32 v13, v6, s59
	v_mad_u64_u32 v[8:9], s[34:35], v6, s58, 0
	v_add3_u32 v9, v9, v13, v2
	v_lshlrev_b64 v[8:9], 2, v[8:9]
	v_mov_b32_e32 v2, s86
	v_add_co_u32_e32 v8, vcc, s33, v8
	v_addc_co_u32_e32 v9, vcc, v2, v9, vcc
	global_load_dword v13, v[8:9], off
.LBB195_535:                            ;   in Loop: Header=BB195_532 Depth=1
	s_or_b64 exec, exec, s[2:3]
	s_waitcnt vmcnt(0)
	v_cmp_lt_i32_e64 s[2:3], -1, v14
	v_cndmask_b32_e64 v2, -1, v12, s[2:3]
	v_xor_b32_e32 v2, v2, v14
	v_cmp_o_f32_e64 s[2:3], v14, v14
	v_cndmask_b32_e64 v2, -1, v2, s[2:3]
	v_cmp_gt_u64_e32 vcc, s[60:61], v[0:1]
	v_cmp_eq_u32_e64 s[2:3], v2, v16
	s_and_b64 s[36:37], vcc, s[2:3]
	v_cndmask_b32_e64 v2, 0, 1, s[36:37]
	v_cmp_ne_u32_e32 vcc, 0, v2
	s_cmp_lg_u64 vcc, 0
	s_cselect_b64 s[2:3], -1, 0
	s_and_b64 s[2:3], s[0:1], s[2:3]
	s_and_saveexec_b64 s[34:35], s[2:3]
	s_cbranch_execz .LBB195_539
; %bb.536:                              ;   in Loop: Header=BB195_532 Depth=1
	s_mov_b64 s[40:41], exec
	v_mbcnt_lo_u32_b32 v2, s40, 0
	v_mbcnt_hi_u32_b32 v8, s41, v2
	s_bcnt1_i32_b64 s42, vcc
	v_cmp_eq_u32_e64 s[2:3], 0, v8
                                        ; implicit-def: $vgpr4_vgpr5
	s_and_saveexec_b64 s[38:39], s[2:3]
	s_cbranch_execz .LBB195_538
; %bb.537:                              ;   in Loop: Header=BB195_532 Depth=1
	s_bcnt1_i32_b64 s2, s[40:41]
	s_mul_i32 s2, s42, s2
	v_mov_b32_e32 v2, s2
	ds_add_rtn_u64 v[4:5], v3, v[2:3] offset:5136
.LBB195_538:                            ;   in Loop: Header=BB195_532 Depth=1
	s_or_b64 exec, exec, s[38:39]
	s_waitcnt lgkmcnt(0)
	v_readfirstlane_b32 s2, v5
	v_readfirstlane_b32 s3, v4
	v_mov_b32_e32 v4, s3
	v_mov_b32_e32 v5, s2
	v_mad_u64_u32 v[4:5], s[2:3], s42, v8, v[4:5]
.LBB195_539:                            ;   in Loop: Header=BB195_532 Depth=1
	s_or_b64 exec, exec, s[34:35]
	ds_bpermute_b32 v4, v28, v4
	ds_bpermute_b32 v5, v28, v5
	s_cmp_eq_u64 vcc, 0
	s_cselect_b64 s[34:35], -1, 0
	s_mov_b64 s[38:39], -1
	s_mov_b64 s[40:41], -1
	s_waitcnt lgkmcnt(0)
	v_cmp_gt_u64_e64 s[2:3], s[62:63], v[4:5]
	s_or_b64 s[34:35], s[34:35], s[2:3]
	v_cndmask_b32_e64 v2, v14, v13, s[34:35]
	s_and_b64 s[42:43], s[36:37], s[34:35]
	s_mov_b64 s[2:3], -1
	s_and_saveexec_b64 s[36:37], s[42:43]
	s_cbranch_execz .LBB195_545
; %bb.540:                              ;   in Loop: Header=BB195_532 Depth=1
	v_and_b32_e32 v8, vcc_lo, v10
	v_and_b32_e32 v2, vcc_hi, v11
	v_bcnt_u32_b32 v8, v8, 0
	v_bcnt_u32_b32 v2, v2, v8
	v_mov_b32_e32 v9, s63
	v_sub_co_u32_e32 v8, vcc, s62, v4
	v_subb_co_u32_e32 v9, vcc, v9, v5, vcc
	v_cmp_le_u64_e64 s[38:39], v[8:9], v[2:3]
	v_cmp_gt_u64_e32 vcc, v[8:9], v[2:3]
	s_mov_b64 s[42:43], -1
	s_and_saveexec_b64 s[40:41], vcc
	s_cbranch_execz .LBB195_544
; %bb.541:                              ;   in Loop: Header=BB195_532 Depth=1
	v_add_co_u32_e32 v8, vcc, v4, v2
	v_addc_co_u32_e32 v9, vcc, 0, v5, vcc
	v_cmp_gt_u64_e32 vcc, s[62:63], v[8:9]
	s_mov_b64 s[44:45], s[38:39]
	s_and_saveexec_b64 s[42:43], vcc
	s_cbranch_execz .LBB195_543
; %bb.542:                              ;   in Loop: Header=BB195_532 Depth=1
	v_mul_lo_u32 v2, v9, s16
	v_mul_lo_u32 v15, v8, s17
	v_mad_u64_u32 v[18:19], s[44:45], v8, s16, 0
	v_add3_u32 v19, v19, v15, v2
	v_mul_lo_u32 v2, v9, s18
	v_mul_lo_u32 v15, v8, s19
	v_mad_u64_u32 v[8:9], s[44:45], v8, s18, 0
	v_lshlrev_b64 v[18:19], 2, v[18:19]
	v_add3_u32 v9, v9, v15, v2
	v_mov_b32_e32 v2, s47
	v_add_co_u32_e32 v18, vcc, s46, v18
	v_addc_co_u32_e32 v19, vcc, v2, v19, vcc
	v_lshlrev_b64 v[8:9], 3, v[8:9]
	v_mov_b32_e32 v2, s49
	v_add_co_u32_e32 v8, vcc, s48, v8
	v_addc_co_u32_e32 v9, vcc, v2, v9, vcc
	s_or_b64 s[44:45], s[38:39], exec
	global_store_dword v[18:19], v14, off
	global_store_dwordx2 v[8:9], v[0:1], off
.LBB195_543:                            ;   in Loop: Header=BB195_532 Depth=1
	s_or_b64 exec, exec, s[42:43]
	s_andn2_b64 s[38:39], s[38:39], exec
	s_and_b64 s[44:45], s[44:45], exec
	s_xor_b64 s[42:43], exec, -1
	s_or_b64 s[38:39], s[38:39], s[44:45]
.LBB195_544:                            ;   in Loop: Header=BB195_532 Depth=1
	s_or_b64 exec, exec, s[40:41]
	s_orn2_b64 s[40:41], s[42:43], exec
	s_or_b64 s[34:35], s[34:35], exec
	s_orn2_b64 s[38:39], s[38:39], exec
	v_mov_b32_e32 v2, v13
.LBB195_545:                            ;   in Loop: Header=BB195_532 Depth=1
	s_or_b64 exec, exec, s[36:37]
	s_and_saveexec_b64 s[36:37], s[38:39]
	s_cbranch_execz .LBB195_530
; %bb.546:                              ;   in Loop: Header=BB195_532 Depth=1
	s_xor_b64 s[2:3], s[34:35], -1
	s_or_b64 s[40:41], s[40:41], exec
	s_orn2_b64 s[2:3], s[2:3], exec
	s_branch .LBB195_530
.LBB195_547:
	s_or_b64 exec, exec, s[22:23]
	s_mov_b64 s[0:1], 0
	s_and_saveexec_b64 s[2:3], s[24:25]
	s_xor_b64 s[2:3], exec, s[2:3]
	s_cbranch_execnz .LBB195_553
.LBB195_548:
	s_or_b64 exec, exec, s[2:3]
	s_and_b64 s[2:3], s[0:1], exec
	s_andn2_b64 s[4:5], s[4:5], exec
	s_or_b64 exec, exec, s[20:21]
	s_and_saveexec_b64 s[0:1], s[4:5]
	s_xor_b64 s[0:1], exec, s[0:1]
	s_cbranch_execz .LBB195_502
.LBB195_549:
	s_or_b64 s[2:3], s[2:3], exec
	s_trap 2
	s_branch .LBB195_502
.LBB195_550:
	s_or_b64 s[10:11], s[10:11], exec
	s_trap 2
	s_branch .LBB195_508
.LBB195_551:
	s_or_b64 s[12:13], s[12:13], exec
	s_trap 2
	s_branch .LBB195_506
.LBB195_552:
	s_trap 2
	s_or_b64 s[14:15], s[14:15], exec
	s_branch .LBB195_504
.LBB195_553:
	s_mov_b64 s[0:1], exec
	s_trap 2
	s_branch .LBB195_548
	.section	.rodata,"a",@progbits
	.p2align	6, 0x0
	.amdhsa_kernel _ZN2at6native6sbtopk10gatherTopKIfmLi2ELb0EEEvNS_4cuda6detail10TensorInfoIKT_T0_EES8_S8_bS8_S8_NS5_IS6_S8_EES8_NS5_IlS8_EES8_PS6_
		.amdhsa_group_segment_fixed_size 5152
		.amdhsa_private_segment_fixed_size 0
		.amdhsa_kernarg_size 1568
		.amdhsa_user_sgpr_count 6
		.amdhsa_user_sgpr_private_segment_buffer 1
		.amdhsa_user_sgpr_dispatch_ptr 0
		.amdhsa_user_sgpr_queue_ptr 0
		.amdhsa_user_sgpr_kernarg_segment_ptr 1
		.amdhsa_user_sgpr_dispatch_id 0
		.amdhsa_user_sgpr_flat_scratch_init 0
		.amdhsa_user_sgpr_kernarg_preload_length 0
		.amdhsa_user_sgpr_kernarg_preload_offset 0
		.amdhsa_user_sgpr_private_segment_size 0
		.amdhsa_uses_dynamic_stack 0
		.amdhsa_system_sgpr_private_segment_wavefront_offset 0
		.amdhsa_system_sgpr_workgroup_id_x 1
		.amdhsa_system_sgpr_workgroup_id_y 1
		.amdhsa_system_sgpr_workgroup_id_z 1
		.amdhsa_system_sgpr_workgroup_info 0
		.amdhsa_system_vgpr_workitem_id 0
		.amdhsa_next_free_vgpr 49
		.amdhsa_next_free_sgpr 96
		.amdhsa_accum_offset 52
		.amdhsa_reserve_vcc 1
		.amdhsa_reserve_flat_scratch 0
		.amdhsa_float_round_mode_32 0
		.amdhsa_float_round_mode_16_64 0
		.amdhsa_float_denorm_mode_32 3
		.amdhsa_float_denorm_mode_16_64 3
		.amdhsa_dx10_clamp 1
		.amdhsa_ieee_mode 1
		.amdhsa_fp16_overflow 0
		.amdhsa_tg_split 0
		.amdhsa_exception_fp_ieee_invalid_op 0
		.amdhsa_exception_fp_denorm_src 0
		.amdhsa_exception_fp_ieee_div_zero 0
		.amdhsa_exception_fp_ieee_overflow 0
		.amdhsa_exception_fp_ieee_underflow 0
		.amdhsa_exception_fp_ieee_inexact 0
		.amdhsa_exception_int_div_zero 0
	.end_amdhsa_kernel
	.section	.text._ZN2at6native6sbtopk10gatherTopKIfmLi2ELb0EEEvNS_4cuda6detail10TensorInfoIKT_T0_EES8_S8_bS8_S8_NS5_IS6_S8_EES8_NS5_IlS8_EES8_PS6_,"axG",@progbits,_ZN2at6native6sbtopk10gatherTopKIfmLi2ELb0EEEvNS_4cuda6detail10TensorInfoIKT_T0_EES8_S8_bS8_S8_NS5_IS6_S8_EES8_NS5_IlS8_EES8_PS6_,comdat
.Lfunc_end195:
	.size	_ZN2at6native6sbtopk10gatherTopKIfmLi2ELb0EEEvNS_4cuda6detail10TensorInfoIKT_T0_EES8_S8_bS8_S8_NS5_IS6_S8_EES8_NS5_IlS8_EES8_PS6_, .Lfunc_end195-_ZN2at6native6sbtopk10gatherTopKIfmLi2ELb0EEEvNS_4cuda6detail10TensorInfoIKT_T0_EES8_S8_bS8_S8_NS5_IS6_S8_EES8_NS5_IlS8_EES8_PS6_
                                        ; -- End function
	.section	.AMDGPU.csdata,"",@progbits
; Kernel info:
; codeLenInByte = 27444
; NumSgprs: 100
; NumVgprs: 49
; NumAgprs: 0
; TotalNumVgprs: 49
; ScratchSize: 0
; MemoryBound: 0
; FloatMode: 240
; IeeeMode: 1
; LDSByteSize: 5152 bytes/workgroup (compile time only)
; SGPRBlocks: 12
; VGPRBlocks: 6
; NumSGPRsForWavesPerEU: 100
; NumVGPRsForWavesPerEU: 49
; AccumOffset: 52
; Occupancy: 8
; WaveLimiterHint : 1
; COMPUTE_PGM_RSRC2:SCRATCH_EN: 0
; COMPUTE_PGM_RSRC2:USER_SGPR: 6
; COMPUTE_PGM_RSRC2:TRAP_HANDLER: 0
; COMPUTE_PGM_RSRC2:TGID_X_EN: 1
; COMPUTE_PGM_RSRC2:TGID_Y_EN: 1
; COMPUTE_PGM_RSRC2:TGID_Z_EN: 1
; COMPUTE_PGM_RSRC2:TIDIG_COMP_CNT: 0
; COMPUTE_PGM_RSRC3_GFX90A:ACCUM_OFFSET: 12
; COMPUTE_PGM_RSRC3_GFX90A:TG_SPLIT: 0
	.section	.text._ZN2at6native6mbtopk23computeBlockDigitCountsIfmjLi3EEEvNS_4cuda6detail10TensorInfoIKT_T0_EEjPjjS8_iijT1_PSB_Ps,"axG",@progbits,_ZN2at6native6mbtopk23computeBlockDigitCountsIfmjLi3EEEvNS_4cuda6detail10TensorInfoIKT_T0_EEjPjjS8_iijT1_PSB_Ps,comdat
	.protected	_ZN2at6native6mbtopk23computeBlockDigitCountsIfmjLi3EEEvNS_4cuda6detail10TensorInfoIKT_T0_EEjPjjS8_iijT1_PSB_Ps ; -- Begin function _ZN2at6native6mbtopk23computeBlockDigitCountsIfmjLi3EEEvNS_4cuda6detail10TensorInfoIKT_T0_EEjPjjS8_iijT1_PSB_Ps
	.globl	_ZN2at6native6mbtopk23computeBlockDigitCountsIfmjLi3EEEvNS_4cuda6detail10TensorInfoIKT_T0_EEjPjjS8_iijT1_PSB_Ps
	.p2align	8
	.type	_ZN2at6native6mbtopk23computeBlockDigitCountsIfmjLi3EEEvNS_4cuda6detail10TensorInfoIKT_T0_EEjPjjS8_iijT1_PSB_Ps,@function
_ZN2at6native6mbtopk23computeBlockDigitCountsIfmjLi3EEEvNS_4cuda6detail10TensorInfoIKT_T0_EEjPjjS8_iijT1_PSB_Ps: ; @_ZN2at6native6mbtopk23computeBlockDigitCountsIfmjLi3EEEvNS_4cuda6detail10TensorInfoIKT_T0_EEjPjjS8_iijT1_PSB_Ps
; %bb.0:
	s_load_dwordx4 s[12:15], s[4:5], 0x1c0
	s_load_dword s2, s[4:5], 0x1b0
	s_load_dwordx2 s[0:1], s[4:5], 0x1e0
	s_mov_b32 s21, 0
	s_waitcnt lgkmcnt(0)
	v_cvt_f32_u32_e32 v1, s14
	s_sub_i32 s3, 0, s14
	s_mul_i32 s1, s1, s8
	s_add_i32 s1, s1, s7
	v_rcp_iflag_f32_e32 v1, v1
	s_mul_i32 s24, s1, s0
	s_add_i32 s24, s24, s6
	v_mul_f32_e32 v1, 0x4f7ffffe, v1
	v_cvt_u32_f32_e32 v1, v1
	v_readfirstlane_b32 s0, v1
	s_mul_i32 s3, s3, s0
	s_mul_hi_u32 s1, s0, s3
	s_add_i32 s0, s0, s1
	s_mul_hi_u32 s0, s24, s0
	s_mul_i32 s1, s0, s14
	s_sub_i32 s1, s24, s1
	s_add_i32 s3, s0, 1
	s_sub_i32 s6, s1, s14
	s_cmp_ge_u32 s1, s14
	s_cselect_b32 s0, s3, s0
	s_cselect_b32 s1, s6, s1
	s_add_i32 s3, s0, 1
	s_cmp_ge_u32 s1, s14
	s_cselect_b32 s20, s3, s0
	s_cmp_ge_u32 s20, s2
	s_cbranch_scc1 .LBB196_27
; %bb.1:
	s_load_dwordx4 s[0:3], s[4:5], 0x1d0
	s_load_dwordx4 s[8:11], s[4:5], 0x10
	s_lshl_b64 s[6:7], s[20:21], 2
	s_waitcnt lgkmcnt(0)
	s_add_u32 s22, s0, s6
	v_pk_mov_b32 v[2:3], s[10:11], s[10:11] op_sel:[0,1]
	v_cmp_lt_u64_e32 vcc, s[20:21], v[2:3]
	s_addc_u32 s23, s1, s7
	s_mov_b64 s[6:7], 0
	s_mov_b64 s[0:1], 0
	s_cbranch_vccnz .LBB196_3
; %bb.2:
	v_cvt_f32_u32_e32 v1, s10
	s_sub_i32 s0, 0, s10
	s_mov_b32 s1, 0
	v_rcp_iflag_f32_e32 v1, v1
	v_mul_f32_e32 v1, 0x4f7ffffe, v1
	v_cvt_u32_f32_e32 v1, v1
	v_readfirstlane_b32 s7, v1
	s_mul_i32 s0, s0, s7
	s_mul_hi_u32 s0, s7, s0
	s_add_i32 s7, s7, s0
	s_mul_hi_u32 s0, s20, s7
	s_mul_i32 s16, s0, s10
	s_sub_i32 s16, s20, s16
	s_add_i32 s7, s0, 1
	s_sub_i32 s17, s16, s10
	s_cmp_ge_u32 s16, s10
	s_cselect_b32 s0, s7, s0
	s_cselect_b32 s16, s17, s16
	s_add_i32 s7, s0, 1
	s_cmp_ge_u32 s16, s10
	s_cselect_b32 s0, s7, s0
.LBB196_3:
	v_pk_mov_b32 v[2:3], s[8:9], s[8:9] op_sel:[0,1]
	v_cmp_lt_u64_e32 vcc, s[0:1], v[2:3]
	s_cbranch_vccnz .LBB196_5
; %bb.4:
	v_cvt_f32_u32_e32 v1, s8
	s_sub_i32 s6, 0, s8
	v_rcp_iflag_f32_e32 v1, v1
	v_mul_f32_e32 v1, 0x4f7ffffe, v1
	v_cvt_u32_f32_e32 v1, v1
	v_readfirstlane_b32 s7, v1
	s_mul_i32 s6, s6, s7
	s_mul_hi_u32 s6, s7, s6
	s_add_i32 s7, s7, s6
	s_mul_hi_u32 s6, s0, s7
	s_mul_i32 s16, s6, s8
	s_sub_i32 s16, s0, s16
	s_add_i32 s7, s6, 1
	s_sub_i32 s17, s16, s8
	s_cmp_ge_u32 s16, s8
	s_cselect_b32 s6, s7, s6
	s_cselect_b32 s16, s17, s16
	s_add_i32 s7, s6, 1
	s_cmp_ge_u32 s16, s8
	s_cselect_b32 s6, s7, s6
.LBB196_5:
	s_movk_i32 s7, 0x100
	v_cmp_gt_u32_e32 vcc, s7, v0
	v_lshlrev_b32_e32 v1, 2, v0
	s_and_saveexec_b64 s[16:17], vcc
	s_cbranch_execz .LBB196_7
; %bb.6:
	v_mov_b32_e32 v2, 0
	ds_write_b32 v1, v2
.LBB196_7:
	s_or_b64 exec, exec, s[16:17]
	s_load_dword s21, s[4:5], 0x1a0
	s_mul_i32 s7, s20, s14
	s_sub_i32 s7, s24, s7
	s_add_i32 s16, s7, 1
	s_mul_i32 s7, s13, s7
	s_lshl_b32 s25, s7, 8
	s_waitcnt lgkmcnt(0)
	s_sub_i32 s7, s21, s25
	s_add_u32 s7, s7, 0xff
	s_addc_u32 s17, 0, 0
	v_mov_b32_e32 v2, s7
	v_alignbit_b32 v2, s17, v2, 8
	s_cmp_lt_u32 s16, s14
	v_readfirstlane_b32 s7, v2
	s_cselect_b32 s14, s13, s7
	s_cmp_lt_i32 s14, 1
	s_mov_b32 s7, 0
	s_barrier
	s_cbranch_scc1 .LBB196_23
; %bb.8:
	s_load_dwordx4 s[16:19], s[4:5], 0xd0
	s_load_dwordx2 s[26:27], s[4:5], 0x0
	s_load_dword s13, s[22:23], 0x0
	s_mul_i32 s11, s0, s11
	s_mul_hi_u32 s22, s0, s10
	s_add_i32 s11, s22, s11
	s_load_dwordx2 s[22:23], s[4:5], 0xe0
	s_mul_i32 s10, s0, s10
	s_sub_u32 s10, s20, s10
	s_subb_u32 s11, 0, s11
	s_mul_i32 s9, s6, s9
	s_waitcnt lgkmcnt(0)
	s_mul_i32 s20, s10, s23
	s_mul_hi_u32 s23, s10, s22
	s_add_i32 s20, s23, s20
	s_mul_i32 s11, s11, s22
	s_add_i32 s11, s20, s11
	s_mul_hi_u32 s20, s6, s8
	s_add_i32 s20, s20, s9
	s_mul_i32 s8, s6, s8
	s_sub_u32 s0, s0, s8
	s_subb_u32 s1, s1, s20
	s_mul_i32 s8, s0, s19
	s_mul_hi_u32 s9, s0, s18
	s_add_i32 s8, s9, s8
	s_mul_i32 s1, s1, s18
	s_add_i32 s1, s8, s1
	s_mul_i32 s8, s6, s17
	s_mul_hi_u32 s9, s6, s16
	s_add_i32 s9, s9, s8
	s_mul_i32 s8, s6, s16
	s_lshl_b64 s[8:9], s[8:9], 2
	s_mul_i32 s0, s0, s18
	s_add_u32 s6, s26, s8
	s_addc_u32 s8, s27, s9
	s_lshl_b64 s[0:1], s[0:1], 2
	s_load_dwordx2 s[4:5], s[4:5], 0x1b8
	s_mul_i32 s10, s10, s22
	s_add_u32 s6, s6, s0
	s_addc_u32 s8, s8, s1
	s_lshl_b64 s[0:1], s[10:11], 2
	s_add_u32 s9, s6, s0
	s_addc_u32 s10, s8, s1
	s_and_b32 s8, s12, 0xff
	s_cmp_eq_u32 s14, 1
	v_add_u32_e32 v2, s25, v0
	s_cbranch_scc1 .LBB196_18
; %bb.9:
	s_and_b32 s11, s14, 0x7ffffffe
	s_mov_b32 s12, 0
	v_mov_b32_e32 v3, 1
	v_bfrev_b32_e32 v4, 1
	v_mov_b32_e32 v5, v2
	s_branch .LBB196_11
.LBB196_10:                             ;   in Loop: Header=BB196_11 Depth=1
	s_or_b64 exec, exec, s[6:7]
	s_add_i32 s12, s12, 2
	s_cmp_eq_u32 s11, s12
	v_add_u32_e32 v5, 0x200, v5
	s_cbranch_scc1 .LBB196_17
.LBB196_11:                             ; =>This Inner Loop Header: Depth=1
	v_cmp_gt_u32_e64 s[0:1], s21, v5
	s_and_saveexec_b64 s[6:7], s[0:1]
	s_cbranch_execz .LBB196_14
; %bb.12:                               ;   in Loop: Header=BB196_11 Depth=1
	s_waitcnt lgkmcnt(0)
	v_mad_u64_u32 v[6:7], s[0:1], v5, s4, 0
	v_mov_b32_e32 v8, v7
	v_mad_u64_u32 v[8:9], s[0:1], v5, s5, v[8:9]
	v_mov_b32_e32 v7, v8
	v_lshlrev_b64 v[6:7], 2, v[6:7]
	v_mov_b32_e32 v8, s10
	v_add_co_u32_e64 v6, s[0:1], s9, v6
	v_addc_co_u32_e64 v7, s[0:1], v8, v7, s[0:1]
	global_load_dword v6, v[6:7], off
	s_waitcnt vmcnt(0)
	v_cmp_lt_i32_e64 s[0:1], -1, v6
	v_cndmask_b32_e64 v7, -1, v4, s[0:1]
	v_xor_b32_e32 v7, v7, v6
	v_cmp_o_f32_e64 s[0:1], v6, v6
	v_cndmask_b32_e64 v6, -1, v7, s[0:1]
	v_xor_b32_e32 v7, s13, v6
	v_and_b32_e32 v7, s15, v7
	v_cmp_eq_u32_e64 s[0:1], 0, v7
	s_and_b64 exec, exec, s[0:1]
	s_cbranch_execz .LBB196_14
; %bb.13:                               ;   in Loop: Header=BB196_11 Depth=1
	v_bfe_u32 v6, v6, s8, 8
	v_lshlrev_b32_e32 v6, 2, v6
	ds_add_u32 v6, v3
.LBB196_14:                             ;   in Loop: Header=BB196_11 Depth=1
	s_or_b64 exec, exec, s[6:7]
	v_add_u32_e32 v6, 0x100, v5
	v_cmp_gt_u32_e64 s[0:1], s21, v6
	s_and_saveexec_b64 s[6:7], s[0:1]
	s_cbranch_execz .LBB196_10
; %bb.15:                               ;   in Loop: Header=BB196_11 Depth=1
	s_waitcnt lgkmcnt(0)
	v_mad_u64_u32 v[8:9], s[0:1], v6, s4, 0
	v_mov_b32_e32 v10, v9
	v_mad_u64_u32 v[6:7], s[0:1], v6, s5, v[10:11]
	v_mov_b32_e32 v9, v6
	v_lshlrev_b64 v[6:7], 2, v[8:9]
	v_mov_b32_e32 v8, s10
	v_add_co_u32_e64 v6, s[0:1], s9, v6
	v_addc_co_u32_e64 v7, s[0:1], v8, v7, s[0:1]
	global_load_dword v6, v[6:7], off
	s_waitcnt vmcnt(0)
	v_cmp_lt_i32_e64 s[0:1], -1, v6
	v_cndmask_b32_e64 v7, -1, v4, s[0:1]
	v_xor_b32_e32 v7, v7, v6
	v_cmp_o_f32_e64 s[0:1], v6, v6
	v_cndmask_b32_e64 v6, -1, v7, s[0:1]
	v_xor_b32_e32 v7, s13, v6
	v_and_b32_e32 v7, s15, v7
	v_cmp_eq_u32_e64 s[0:1], 0, v7
	s_and_b64 exec, exec, s[0:1]
	s_cbranch_execz .LBB196_10
; %bb.16:                               ;   in Loop: Header=BB196_11 Depth=1
	v_bfe_u32 v6, v6, s8, 8
	v_lshlrev_b32_e32 v6, 2, v6
	ds_add_u32 v6, v3
	s_branch .LBB196_10
.LBB196_17:
	s_lshl_b32 s7, s11, 8
.LBB196_18:
	s_bitcmp0_b32 s14, 0
	s_cbranch_scc1 .LBB196_23
; %bb.19:
	v_add_u32_e32 v2, s7, v2
	v_cmp_gt_u32_e64 s[0:1], s21, v2
	s_and_saveexec_b64 s[6:7], s[0:1]
	s_cbranch_execz .LBB196_22
; %bb.20:
	s_waitcnt lgkmcnt(0)
	v_mad_u64_u32 v[4:5], s[0:1], v2, s4, 0
	v_mov_b32_e32 v6, v5
	v_mad_u64_u32 v[2:3], s[0:1], v2, s5, v[6:7]
	v_mov_b32_e32 v5, v2
	v_lshlrev_b64 v[2:3], 2, v[4:5]
	v_mov_b32_e32 v4, s10
	v_add_co_u32_e64 v2, s[0:1], s9, v2
	v_addc_co_u32_e64 v3, s[0:1], v4, v3, s[0:1]
	global_load_dword v2, v[2:3], off
	v_bfrev_b32_e32 v3, 1
	s_waitcnt vmcnt(0)
	v_cmp_lt_i32_e64 s[0:1], -1, v2
	v_cndmask_b32_e64 v3, -1, v3, s[0:1]
	v_xor_b32_e32 v3, v3, v2
	v_cmp_o_f32_e64 s[0:1], v2, v2
	v_cndmask_b32_e64 v2, -1, v3, s[0:1]
	v_xor_b32_e32 v3, s13, v2
	v_and_b32_e32 v3, s15, v3
	v_cmp_eq_u32_e64 s[0:1], 0, v3
	s_and_b64 exec, exec, s[0:1]
	s_cbranch_execz .LBB196_22
; %bb.21:
	v_bfe_u32 v2, v2, s8, 8
	v_lshlrev_b32_e32 v2, 2, v2
	v_mov_b32_e32 v3, 1
	ds_add_u32 v2, v3
.LBB196_22:
	s_or_b64 exec, exec, s[6:7]
.LBB196_23:
	v_mov_b32_e32 v2, 0
	s_waitcnt lgkmcnt(0)
	s_barrier
	s_and_saveexec_b64 s[0:1], vcc
	s_cbranch_execz .LBB196_25
; %bb.24:
	ds_read_b32 v2, v1
.LBB196_25:
	s_or_b64 exec, exec, s[0:1]
	s_and_saveexec_b64 s[0:1], vcc
	s_cbranch_execz .LBB196_27
; %bb.26:
	v_lshl_or_b32 v0, s24, 8, v0
	v_mov_b32_e32 v1, 0
	v_lshlrev_b64 v[0:1], 1, v[0:1]
	v_mov_b32_e32 v3, s3
	v_add_co_u32_e32 v0, vcc, s2, v0
	v_addc_co_u32_e32 v1, vcc, v3, v1, vcc
	s_waitcnt lgkmcnt(0)
	global_store_short v[0:1], v2, off
.LBB196_27:
	s_endpgm
	.section	.rodata,"a",@progbits
	.p2align	6, 0x0
	.amdhsa_kernel _ZN2at6native6mbtopk23computeBlockDigitCountsIfmjLi3EEEvNS_4cuda6detail10TensorInfoIKT_T0_EEjPjjS8_iijT1_PSB_Ps
		.amdhsa_group_segment_fixed_size 1024
		.amdhsa_private_segment_fixed_size 0
		.amdhsa_kernarg_size 736
		.amdhsa_user_sgpr_count 6
		.amdhsa_user_sgpr_private_segment_buffer 1
		.amdhsa_user_sgpr_dispatch_ptr 0
		.amdhsa_user_sgpr_queue_ptr 0
		.amdhsa_user_sgpr_kernarg_segment_ptr 1
		.amdhsa_user_sgpr_dispatch_id 0
		.amdhsa_user_sgpr_flat_scratch_init 0
		.amdhsa_user_sgpr_kernarg_preload_length 0
		.amdhsa_user_sgpr_kernarg_preload_offset 0
		.amdhsa_user_sgpr_private_segment_size 0
		.amdhsa_uses_dynamic_stack 0
		.amdhsa_system_sgpr_private_segment_wavefront_offset 0
		.amdhsa_system_sgpr_workgroup_id_x 1
		.amdhsa_system_sgpr_workgroup_id_y 1
		.amdhsa_system_sgpr_workgroup_id_z 1
		.amdhsa_system_sgpr_workgroup_info 0
		.amdhsa_system_vgpr_workitem_id 0
		.amdhsa_next_free_vgpr 12
		.amdhsa_next_free_sgpr 28
		.amdhsa_accum_offset 12
		.amdhsa_reserve_vcc 1
		.amdhsa_reserve_flat_scratch 0
		.amdhsa_float_round_mode_32 0
		.amdhsa_float_round_mode_16_64 0
		.amdhsa_float_denorm_mode_32 3
		.amdhsa_float_denorm_mode_16_64 3
		.amdhsa_dx10_clamp 1
		.amdhsa_ieee_mode 1
		.amdhsa_fp16_overflow 0
		.amdhsa_tg_split 0
		.amdhsa_exception_fp_ieee_invalid_op 0
		.amdhsa_exception_fp_denorm_src 0
		.amdhsa_exception_fp_ieee_div_zero 0
		.amdhsa_exception_fp_ieee_overflow 0
		.amdhsa_exception_fp_ieee_underflow 0
		.amdhsa_exception_fp_ieee_inexact 0
		.amdhsa_exception_int_div_zero 0
	.end_amdhsa_kernel
	.section	.text._ZN2at6native6mbtopk23computeBlockDigitCountsIfmjLi3EEEvNS_4cuda6detail10TensorInfoIKT_T0_EEjPjjS8_iijT1_PSB_Ps,"axG",@progbits,_ZN2at6native6mbtopk23computeBlockDigitCountsIfmjLi3EEEvNS_4cuda6detail10TensorInfoIKT_T0_EEjPjjS8_iijT1_PSB_Ps,comdat
.Lfunc_end196:
	.size	_ZN2at6native6mbtopk23computeBlockDigitCountsIfmjLi3EEEvNS_4cuda6detail10TensorInfoIKT_T0_EEjPjjS8_iijT1_PSB_Ps, .Lfunc_end196-_ZN2at6native6mbtopk23computeBlockDigitCountsIfmjLi3EEEvNS_4cuda6detail10TensorInfoIKT_T0_EEjPjjS8_iijT1_PSB_Ps
                                        ; -- End function
	.section	.AMDGPU.csdata,"",@progbits
; Kernel info:
; codeLenInByte = 1396
; NumSgprs: 32
; NumVgprs: 12
; NumAgprs: 0
; TotalNumVgprs: 12
; ScratchSize: 0
; MemoryBound: 0
; FloatMode: 240
; IeeeMode: 1
; LDSByteSize: 1024 bytes/workgroup (compile time only)
; SGPRBlocks: 3
; VGPRBlocks: 1
; NumSGPRsForWavesPerEU: 32
; NumVGPRsForWavesPerEU: 12
; AccumOffset: 12
; Occupancy: 8
; WaveLimiterHint : 1
; COMPUTE_PGM_RSRC2:SCRATCH_EN: 0
; COMPUTE_PGM_RSRC2:USER_SGPR: 6
; COMPUTE_PGM_RSRC2:TRAP_HANDLER: 0
; COMPUTE_PGM_RSRC2:TGID_X_EN: 1
; COMPUTE_PGM_RSRC2:TGID_Y_EN: 1
; COMPUTE_PGM_RSRC2:TGID_Z_EN: 1
; COMPUTE_PGM_RSRC2:TIDIG_COMP_CNT: 0
; COMPUTE_PGM_RSRC3_GFX90A:ACCUM_OFFSET: 2
; COMPUTE_PGM_RSRC3_GFX90A:TG_SPLIT: 0
	.section	.text._ZN2at6native6mbtopk10gatherTopKIfmLi3EEEvNS_4cuda6detail10TensorInfoIKT_T0_EES8_S8_bjS8_NS5_IS6_S8_EES8_NS5_IlS8_EES8_jjPS6_PjSD_j,"axG",@progbits,_ZN2at6native6mbtopk10gatherTopKIfmLi3EEEvNS_4cuda6detail10TensorInfoIKT_T0_EES8_S8_bjS8_NS5_IS6_S8_EES8_NS5_IlS8_EES8_jjPS6_PjSD_j,comdat
	.protected	_ZN2at6native6mbtopk10gatherTopKIfmLi3EEEvNS_4cuda6detail10TensorInfoIKT_T0_EES8_S8_bjS8_NS5_IS6_S8_EES8_NS5_IlS8_EES8_jjPS6_PjSD_j ; -- Begin function _ZN2at6native6mbtopk10gatherTopKIfmLi3EEEvNS_4cuda6detail10TensorInfoIKT_T0_EES8_S8_bjS8_NS5_IS6_S8_EES8_NS5_IlS8_EES8_jjPS6_PjSD_j
	.globl	_ZN2at6native6mbtopk10gatherTopKIfmLi3EEEvNS_4cuda6detail10TensorInfoIKT_T0_EES8_S8_bjS8_NS5_IS6_S8_EES8_NS5_IlS8_EES8_jjPS6_PjSD_j
	.p2align	8
	.type	_ZN2at6native6mbtopk10gatherTopKIfmLi3EEEvNS_4cuda6detail10TensorInfoIKT_T0_EES8_S8_bjS8_NS5_IS6_S8_EES8_NS5_IlS8_EES8_jjPS6_PjSD_j,@function
_ZN2at6native6mbtopk10gatherTopKIfmLi3EEEvNS_4cuda6detail10TensorInfoIKT_T0_EES8_S8_bjS8_NS5_IS6_S8_EES8_NS5_IlS8_EES8_jjPS6_PjSD_j: ; @_ZN2at6native6mbtopk10gatherTopKIfmLi3EEEvNS_4cuda6detail10TensorInfoIKT_T0_EES8_S8_bjS8_NS5_IS6_S8_EES8_NS5_IlS8_EES8_jjPS6_PjSD_j
; %bb.0:
	s_load_dwordx2 s[0:1], s[4:5], 0x538
	s_load_dword s2, s[4:5], 0x530
	s_waitcnt lgkmcnt(0)
	s_mul_i32 s1, s1, s8
	s_add_i32 s1, s1, s7
	s_mul_i32 s0, s1, s0
	s_add_i32 s0, s0, s6
	s_cmp_ge_u32 s0, s2
	s_cbranch_scc1 .LBB197_54
; %bb.1:
	s_load_dwordx2 s[34:35], s[4:5], 0x510
	s_load_dwordx4 s[8:11], s[4:5], 0x1a0
	s_load_dwordx4 s[12:15], s[4:5], 0x10
	s_mov_b32 s7, 0
	s_waitcnt lgkmcnt(0)
	v_cvt_f32_u32_e32 v1, s35
	s_sub_i32 s2, 0, s35
	s_lshl_b32 s1, s34, 8
	v_rcp_iflag_f32_e32 v1, v1
	v_mul_f32_e32 v1, 0x4f7ffffe, v1
	v_cvt_u32_f32_e32 v1, v1
	v_readfirstlane_b32 s3, v1
	s_mul_i32 s2, s2, s3
	s_mul_hi_u32 s2, s3, s2
	s_add_i32 s3, s3, s2
	s_mul_hi_u32 s2, s0, s3
	s_mul_i32 s3, s2, s35
	s_sub_i32 s3, s0, s3
	s_add_i32 s6, s2, 1
	s_sub_i32 s16, s3, s35
	s_cmp_ge_u32 s3, s35
	s_cselect_b32 s2, s6, s2
	s_cselect_b32 s3, s16, s3
	s_add_i32 s6, s2, 1
	s_cmp_ge_u32 s3, s35
	s_cselect_b32 s6, s6, s2
	s_mul_i32 s52, s6, s35
	s_sub_i32 s76, s0, s52
	s_add_i32 s0, s76, 1
	s_cmp_lt_u32 s0, s35
	s_mul_i32 s33, s76, s1
	s_cbranch_scc1 .LBB197_3
; %bb.2:
	s_sub_u32 s0, s8, s33
	s_subb_u32 s1, s9, 0
	s_add_u32 s0, s0, 0xff
	s_addc_u32 s1, s1, 0
	s_ashr_i32 s2, s1, 31
	s_lshr_b32 s2, s2, 24
	s_add_u32 s0, s0, s2
	s_addc_u32 s1, s1, 0
	v_mov_b32_e32 v1, s0
	v_alignbit_b32 v1, s1, v1, 8
	v_readfirstlane_b32 s34, v1
.LBB197_3:
	v_pk_mov_b32 v[2:3], s[14:15], s[14:15] op_sel:[0,1]
	v_cmp_lt_u64_e32 vcc, s[6:7], v[2:3]
	s_mov_b64 s[50:51], 0
	s_mov_b64 s[48:49], 0
	s_cbranch_vccnz .LBB197_5
; %bb.4:
	v_cvt_f32_u32_e32 v1, s14
	s_sub_i32 s0, 0, s14
	s_mov_b32 s49, 0
	v_rcp_iflag_f32_e32 v1, v1
	v_mul_f32_e32 v1, 0x4f7ffffe, v1
	v_cvt_u32_f32_e32 v1, v1
	v_readfirstlane_b32 s1, v1
	s_mul_i32 s0, s0, s1
	s_mul_hi_u32 s0, s1, s0
	s_add_i32 s1, s1, s0
	s_mul_hi_u32 s0, s6, s1
	s_mul_i32 s2, s0, s14
	s_sub_i32 s2, s6, s2
	s_add_i32 s1, s0, 1
	s_sub_i32 s3, s2, s14
	s_cmp_ge_u32 s2, s14
	s_cselect_b32 s0, s1, s0
	s_cselect_b32 s2, s3, s2
	s_add_i32 s1, s0, 1
	s_cmp_ge_u32 s2, s14
	s_cselect_b32 s48, s1, s0
.LBB197_5:
	s_load_dwordx4 s[16:19], s[4:5], 0x1d0
	v_pk_mov_b32 v[2:3], s[12:13], s[12:13] op_sel:[0,1]
	v_cmp_lt_u64_e32 vcc, s[48:49], v[2:3]
	s_cbranch_vccnz .LBB197_7
; %bb.6:
	v_cvt_f32_u32_e32 v1, s12
	s_sub_i32 s0, 0, s12
	v_rcp_iflag_f32_e32 v1, v1
	v_mul_f32_e32 v1, 0x4f7ffffe, v1
	v_cvt_u32_f32_e32 v1, v1
	v_readfirstlane_b32 s1, v1
	s_mul_i32 s0, s0, s1
	s_mul_hi_u32 s0, s1, s0
	s_add_i32 s1, s1, s0
	s_mul_hi_u32 s0, s48, s1
	s_mul_i32 s2, s0, s12
	s_sub_i32 s2, s48, s2
	s_add_i32 s1, s0, 1
	s_sub_i32 s3, s2, s12
	s_cmp_ge_u32 s2, s12
	s_cselect_b32 s0, s1, s0
	s_cselect_b32 s2, s3, s2
	s_add_i32 s1, s0, 1
	s_cmp_ge_u32 s2, s12
	s_cselect_b32 s50, s1, s0
.LBB197_7:
	s_waitcnt lgkmcnt(0)
	v_pk_mov_b32 v[2:3], s[18:19], s[18:19] op_sel:[0,1]
	v_cmp_lt_u64_e32 vcc, s[6:7], v[2:3]
	s_mov_b64 s[56:57], 0
	s_mov_b64 s[54:55], 0
	s_cbranch_vccnz .LBB197_9
; %bb.8:
	v_cvt_f32_u32_e32 v1, s18
	s_sub_i32 s0, 0, s18
	s_mov_b32 s55, 0
	v_rcp_iflag_f32_e32 v1, v1
	v_mul_f32_e32 v1, 0x4f7ffffe, v1
	v_cvt_u32_f32_e32 v1, v1
	v_readfirstlane_b32 s1, v1
	s_mul_i32 s0, s0, s1
	s_mul_hi_u32 s0, s1, s0
	s_add_i32 s1, s1, s0
	s_mul_hi_u32 s0, s6, s1
	s_mul_i32 s2, s0, s18
	s_sub_i32 s2, s6, s2
	s_add_i32 s1, s0, 1
	s_sub_i32 s3, s2, s18
	s_cmp_ge_u32 s2, s18
	s_cselect_b32 s0, s1, s0
	s_cselect_b32 s2, s3, s2
	s_add_i32 s1, s0, 1
	s_cmp_ge_u32 s2, s18
	s_cselect_b32 s54, s1, s0
.LBB197_9:
	s_load_dwordx4 s[28:31], s[4:5], 0x378
	v_pk_mov_b32 v[2:3], s[16:17], s[16:17] op_sel:[0,1]
	v_cmp_lt_u64_e32 vcc, s[54:55], v[2:3]
	s_cbranch_vccnz .LBB197_11
; %bb.10:
	v_cvt_f32_u32_e32 v1, s16
	s_sub_i32 s0, 0, s16
	v_rcp_iflag_f32_e32 v1, v1
	v_mul_f32_e32 v1, 0x4f7ffffe, v1
	v_cvt_u32_f32_e32 v1, v1
	v_readfirstlane_b32 s1, v1
	s_mul_i32 s0, s0, s1
	s_mul_hi_u32 s0, s1, s0
	s_add_i32 s1, s1, s0
	s_mul_hi_u32 s0, s54, s1
	s_mul_i32 s2, s0, s16
	s_sub_i32 s2, s54, s2
	s_add_i32 s1, s0, 1
	s_sub_i32 s3, s2, s16
	s_cmp_ge_u32 s2, s16
	s_cselect_b32 s0, s1, s0
	s_cselect_b32 s2, s3, s2
	s_add_i32 s1, s0, 1
	s_cmp_ge_u32 s2, s16
	s_cselect_b32 s56, s1, s0
.LBB197_11:
	s_waitcnt lgkmcnt(0)
	v_pk_mov_b32 v[2:3], s[30:31], s[30:31] op_sel:[0,1]
	v_cmp_lt_u64_e32 vcc, s[6:7], v[2:3]
	s_mov_b64 s[58:59], 0
	s_mov_b64 s[60:61], 0
	s_cbranch_vccnz .LBB197_13
; %bb.12:
	v_cvt_f32_u32_e32 v1, s30
	s_sub_i32 s0, 0, s30
	s_mov_b32 s61, 0
	v_rcp_iflag_f32_e32 v1, v1
	v_mul_f32_e32 v1, 0x4f7ffffe, v1
	v_cvt_u32_f32_e32 v1, v1
	v_readfirstlane_b32 s1, v1
	s_mul_i32 s0, s0, s1
	s_mul_hi_u32 s0, s1, s0
	s_add_i32 s1, s1, s0
	s_mul_hi_u32 s0, s6, s1
	s_mul_i32 s2, s0, s30
	s_sub_i32 s2, s6, s2
	s_add_i32 s1, s0, 1
	s_sub_i32 s3, s2, s30
	s_cmp_ge_u32 s2, s30
	s_cselect_b32 s0, s1, s0
	s_cselect_b32 s2, s3, s2
	s_add_i32 s1, s0, 1
	s_cmp_ge_u32 s2, s30
	s_cselect_b32 s60, s1, s0
.LBB197_13:
	s_load_dwordx2 s[62:63], s[4:5], 0xe0
	s_load_dwordx4 s[40:43], s[4:5], 0xd0
	s_load_dwordx2 s[66:67], s[4:5], 0x2a0
	s_load_dwordx4 s[44:47], s[4:5], 0x290
	;; [unrolled: 2-line block ×3, first 2 shown]
	v_pk_mov_b32 v[2:3], s[28:29], s[28:29] op_sel:[0,1]
	v_cmp_lt_u64_e32 vcc, s[60:61], v[2:3]
	s_cbranch_vccnz .LBB197_15
; %bb.14:
	v_cvt_f32_u32_e32 v1, s28
	s_sub_i32 s0, 0, s28
	v_rcp_iflag_f32_e32 v1, v1
	v_mul_f32_e32 v1, 0x4f7ffffe, v1
	v_cvt_u32_f32_e32 v1, v1
	v_readfirstlane_b32 s1, v1
	s_mul_i32 s0, s0, s1
	s_mul_hi_u32 s0, s1, s0
	s_add_i32 s1, s1, s0
	s_mul_hi_u32 s0, s60, s1
	s_mul_i32 s2, s0, s28
	s_sub_i32 s2, s60, s2
	s_add_i32 s1, s0, 1
	s_sub_i32 s3, s2, s28
	s_cmp_ge_u32 s2, s28
	s_cselect_b32 s0, s1, s0
	s_cselect_b32 s2, s3, s2
	s_add_i32 s1, s0, 1
	s_cmp_ge_u32 s2, s28
	s_cselect_b32 s58, s1, s0
.LBB197_15:
	s_load_dwordx4 s[20:23], s[4:5], 0x518
	s_load_dwordx2 s[64:65], s[4:5], 0x0
	s_lshl_b64 s[0:1], s[6:7], 2
	s_mov_b32 s53, 0
	v_cmp_eq_u32_e64 s[2:3], 0, v0
	s_waitcnt lgkmcnt(0)
	s_add_u32 s0, s20, s0
	s_addc_u32 s1, s21, s1
	s_load_dword s7, s[0:1], 0x0
	v_cmp_ne_u32_e64 s[0:1], 0, v0
	s_and_saveexec_b64 s[20:21], s[2:3]
	s_cbranch_execz .LBB197_31
; %bb.16:
	s_load_dwordx2 s[70:71], s[4:5], 0x528
	s_lshl_b64 s[72:73], s[52:53], 2
	s_add_u32 s24, s22, s72
	s_addc_u32 s25, s23, s73
	s_mov_b32 s51, 0
	s_waitcnt lgkmcnt(0)
	s_add_u32 s26, s70, s72
	s_addc_u32 s27, s71, s73
	s_mov_b32 s52, 0
	s_cmp_lt_u32 s35, 4
	s_cbranch_scc1 .LBB197_28
; %bb.17:
	s_mov_b32 s57, 0
.LBB197_18:                             ; =>This Inner Loop Header: Depth=1
	s_add_u32 s24, s22, s72
	s_addc_u32 s25, s23, s73
	s_load_dwordx4 s[24:27], s[24:25], 0x0
	s_add_u32 s74, s70, s72
	s_addc_u32 s75, s71, s73
	s_cmp_ge_u32 s57, s76
	s_cbranch_scc0 .LBB197_25
; %bb.19:                               ;   in Loop: Header=BB197_18 Depth=1
	s_add_i32 s59, s57, 1
	s_cmp_ge_u32 s59, s76
	s_cbranch_scc0 .LBB197_26
.LBB197_20:                             ;   in Loop: Header=BB197_18 Depth=1
	s_add_i32 s59, s59, 1
	s_cmp_ge_u32 s59, s76
	s_cbranch_scc0 .LBB197_27
.LBB197_21:                             ;   in Loop: Header=BB197_18 Depth=1
	s_add_i32 s59, s59, 1
	s_cmp_ge_u32 s59, s76
	s_cbranch_scc1 .LBB197_23
.LBB197_22:                             ;   in Loop: Header=BB197_18 Depth=1
	s_load_dword s74, s[74:75], 0xc
	s_waitcnt lgkmcnt(0)
	s_add_i32 s53, s53, s27
	s_add_i32 s51, s74, s51
.LBB197_23:                             ;   in Loop: Header=BB197_18 Depth=1
	s_waitcnt lgkmcnt(0)
	s_add_i32 s24, s24, s52
	s_add_i32 s24, s24, s25
	;; [unrolled: 1-line block ×4, first 2 shown]
	s_add_u32 s22, s22, 16
	s_addc_u32 s23, s23, 0
	s_add_u32 s70, s70, 16
	s_addc_u32 s71, s71, 0
	s_add_i32 s74, s59, 4
	s_add_u32 s26, s70, s72
	s_addc_u32 s27, s71, s73
	s_add_u32 s24, s22, s72
	s_addc_u32 s25, s23, s73
	s_add_i32 s59, s59, 1
	s_cmp_ge_u32 s74, s35
	s_cbranch_scc1 .LBB197_29
; %bb.24:                               ;   in Loop: Header=BB197_18 Depth=1
	s_mov_b32 s57, s59
	s_branch .LBB197_18
.LBB197_25:                             ;   in Loop: Header=BB197_18 Depth=1
	s_load_dword s59, s[74:75], 0x0
	s_waitcnt lgkmcnt(0)
	s_add_i32 s53, s24, s53
	s_add_i32 s51, s59, s51
	;; [unrolled: 1-line block ×3, first 2 shown]
	s_cmp_ge_u32 s59, s76
	s_cbranch_scc1 .LBB197_20
.LBB197_26:                             ;   in Loop: Header=BB197_18 Depth=1
	s_load_dword s77, s[74:75], 0x4
	s_waitcnt lgkmcnt(0)
	s_add_i32 s53, s53, s25
	s_add_i32 s51, s77, s51
	s_add_i32 s59, s59, 1
	s_cmp_ge_u32 s59, s76
	s_cbranch_scc1 .LBB197_21
.LBB197_27:                             ;   in Loop: Header=BB197_18 Depth=1
	s_load_dword s77, s[74:75], 0x8
	s_waitcnt lgkmcnt(0)
	s_add_i32 s53, s53, s26
	s_add_i32 s51, s77, s51
	;; [unrolled: 1-line block ×3, first 2 shown]
	s_cmp_ge_u32 s59, s76
	s_cbranch_scc0 .LBB197_22
	s_branch .LBB197_23
.LBB197_28:
	s_mov_b32 s22, 0
	s_cmp_ge_u32 s22, s35
	s_cbranch_scc0 .LBB197_52
	s_branch .LBB197_30
.LBB197_29:
	s_add_i32 s22, s57, 4
	s_cmp_ge_u32 s22, s35
	s_cbranch_scc0 .LBB197_52
.LBB197_30:
	v_mov_b32_e32 v2, s51
	v_mov_b32_e32 v3, s52
	;; [unrolled: 1-line block ×4, first 2 shown]
	ds_write_b96 v1, v[2:4] offset:1056
.LBB197_31:
	s_or_b64 exec, exec, s[20:21]
	s_load_dwordx4 s[20:23], s[4:5], 0x1b8
	s_load_dwordx4 s[24:27], s[4:5], 0x360
	s_cmp_eq_u32 s34, 0
	s_waitcnt lgkmcnt(0)
	s_barrier
	s_cbranch_scc1 .LBB197_54
; %bb.32:
	s_mul_i32 s31, s60, s31
	s_mul_hi_u32 s35, s60, s30
	s_add_i32 s35, s35, s31
	s_mul_i32 s30, s60, s30
	s_sub_u32 s30, s6, s30
	s_subb_u32 s31, 0, s35
	s_mul_i32 s35, s30, s69
	s_mul_hi_u32 s51, s30, s68
	s_add_i32 s35, s51, s35
	s_mul_i32 s31, s31, s68
	s_add_i32 s31, s35, s31
	s_mul_i32 s17, s56, s17
	s_mul_hi_u32 s35, s56, s16
	s_add_i32 s35, s35, s17
	s_mul_i32 s16, s56, s16
	s_sub_u32 s16, s54, s16
	s_subb_u32 s17, s55, s35
	s_mul_i32 s35, s16, s47
	s_mul_hi_u32 s47, s16, s46
	s_add_i32 s35, s47, s35
	s_mul_i32 s17, s17, s46
	s_add_i32 s47, s35, s17
	s_mul_i32 s46, s16, s46
	s_mul_i32 s16, s56, s45
	s_mul_hi_u32 s17, s56, s44
	s_add_i32 s45, s17, s16
	s_mul_i32 s16, s54, s19
	s_mul_hi_u32 s17, s54, s18
	s_add_i32 s17, s17, s16
	s_mul_i32 s16, s54, s18
	s_sub_u32 s16, s6, s16
	s_subb_u32 s17, 0, s17
	s_mul_i32 s18, s16, s67
	s_mul_hi_u32 s19, s16, s66
	s_add_i32 s18, s19, s18
	s_mul_i32 s17, s17, s66
	s_add_i32 s19, s18, s17
	s_mul_i32 s18, s16, s66
	s_mul_i32 s13, s50, s13
	s_mul_hi_u32 s16, s50, s12
	s_add_i32 s16, s16, s13
	s_mul_i32 s12, s50, s12
	s_sub_u32 s12, s48, s12
	s_subb_u32 s13, s49, s16
	s_mul_i32 s16, s12, s43
	s_mul_hi_u32 s17, s12, s42
	s_add_i32 s16, s17, s16
	s_mul_i32 s13, s13, s42
	s_add_i32 s13, s16, s13
	s_mul_i32 s16, s50, s41
	s_mul_hi_u32 s17, s50, s40
	s_mul_i32 s15, s48, s15
	s_mul_hi_u32 s35, s48, s14
	s_add_i32 s17, s17, s16
	s_add_i32 s35, s35, s15
	s_mul_i32 s14, s48, s14
	s_sub_u32 s6, s6, s14
	s_subb_u32 s14, 0, s35
	s_mul_i32 s15, s6, s63
	s_mul_hi_u32 s35, s6, s62
	s_add_i32 s15, s35, s15
	s_mul_i32 s14, s14, s62
	s_add_i32 s15, s15, s14
	s_mul_i32 s14, s6, s62
	s_mul_i32 s6, s58, s29
	s_mul_hi_u32 s29, s58, s28
	s_add_i32 s29, s29, s6
	s_mul_i32 s6, s58, s28
	s_sub_u32 s6, s60, s6
	s_subb_u32 s28, s61, s29
	s_mul_i32 s29, s6, s39
	s_mul_hi_u32 s35, s6, s38
	s_add_i32 s29, s35, s29
	s_mul_i32 s28, s28, s38
	s_mul_i32 s16, s50, s40
	s_add_i32 s29, s29, s28
	s_mul_i32 s28, s6, s38
	s_mul_i32 s6, s58, s37
	s_mul_hi_u32 s35, s58, s36
	s_add_i32 s37, s35, s6
	s_lshl_b64 s[16:17], s[16:17], 2
	s_mul_i32 s12, s12, s42
	s_add_u32 s6, s64, s16
	s_addc_u32 s16, s65, s17
	s_lshl_b64 s[12:13], s[12:13], 2
	s_add_u32 s6, s6, s12
	s_addc_u32 s17, s16, s13
	s_lshl_b64 s[12:13], s[14:15], 2
	s_mul_i32 s44, s56, s44
	s_add_u32 s16, s6, s12
	s_addc_u32 s17, s17, s13
	s_lshl_b64 s[12:13], s[44:45], 2
	s_add_u32 s6, s22, s12
	s_addc_u32 s14, s23, s13
	s_lshl_b64 s[12:13], s[46:47], 2
	;; [unrolled: 3-line block ×3, first 2 shown]
	s_mul_i32 s36, s58, s36
	s_add_u32 s18, s6, s12
	s_addc_u32 s19, s14, s13
	s_lshl_b64 s[12:13], s[36:37], 3
	s_add_u32 s6, s26, s12
	s_addc_u32 s14, s27, s13
	s_lshl_b64 s[12:13], s[28:29], 3
	s_mul_i32 s30, s30, s68
	s_add_u32 s6, s6, s12
	s_addc_u32 s14, s14, s13
	s_lshl_b64 s[12:13], s[30:31], 3
	s_add_u32 s22, s6, s12
	v_mov_b32_e32 v1, 0
	s_addc_u32 s23, s14, s13
	ds_read_b96 v[2:4], v1 offset:1056
	s_cmp_gt_i32 s7, -1
	s_cselect_b32 s6, 0x80000000, -1
	v_cmp_o_f32_e64 s[12:13], s7, s7
	s_xor_b32 s14, s6, s7
	s_and_b64 s[6:7], s[12:13], exec
	s_load_dword s6, s[4:5], 0x1b0
	s_load_dwordx2 s[12:13], s[4:5], 0x508
	s_waitcnt lgkmcnt(0)
	v_add_u32_e32 v2, v2, v3
	v_lshrrev_b32_e32 v3, 5, v0
	v_add_lshl_u32 v5, v3, v0, 2
	v_lshlrev_b32_e32 v3, 2, v0
	v_lshrrev_b32_e32 v6, 3, v0
	v_add_lshl_u32 v8, v6, v3, 2
	v_add_u32_e32 v3, -1, v0
	v_lshrrev_b32_e32 v6, 5, v3
	v_add_lshl_u32 v9, v6, v3, 2
	v_mbcnt_lo_u32_b32 v3, -1, 0
	s_cselect_b32 s26, s14, -1
	s_bitcmp1_b32 s6, 0
	v_mbcnt_hi_u32_b32 v11, -1, v3
	s_cselect_b64 s[4:5], -1, 0
	v_cmp_gt_u32_e64 s[6:7], 64, v0
	v_add_u32_e32 v0, s33, v0
	v_bfrev_b32_e32 v10, 1
	v_and_b32_e32 v12, 15, v11
	v_bfe_i32 v13, v11, 4, 1
	v_add_u32_e32 v14, -1, v11
	v_and_b32_e32 v15, 64, v11
                                        ; implicit-def: $vgpr16
	s_branch .LBB197_35
.LBB197_33:                             ;   in Loop: Header=BB197_35 Depth=1
	s_or_b64 exec, exec, s[14:15]
	v_add_u32_e32 v2, v3, v2
.LBB197_34:                             ;   in Loop: Header=BB197_35 Depth=1
	s_add_i32 s34, s34, -1
	v_add_u32_e32 v4, v17, v4
	s_cmp_lg_u32 s34, 0
	v_add_u32_e32 v0, 0x100, v0
	s_cbranch_scc0 .LBB197_54
.LBB197_35:                             ; =>This Inner Loop Header: Depth=1
	v_cmp_gt_u64_e32 vcc, s[8:9], v[0:1]
	v_mov_b32_e32 v3, v1
	v_mov_b32_e32 v6, v1
	s_and_saveexec_b64 s[14:15], vcc
	s_cbranch_execz .LBB197_37
; %bb.36:                               ;   in Loop: Header=BB197_35 Depth=1
	v_mad_u64_u32 v[6:7], s[28:29], v0, s20, 0
	v_mov_b32_e32 v16, v7
	v_mad_u64_u32 v[16:17], s[28:29], v0, s21, v[16:17]
	v_mov_b32_e32 v7, v16
	v_lshlrev_b64 v[6:7], 2, v[6:7]
	v_mov_b32_e32 v3, s17
	v_add_co_u32_e32 v6, vcc, s16, v6
	v_addc_co_u32_e32 v7, vcc, v3, v7, vcc
	global_load_dword v16, v[6:7], off
	s_waitcnt vmcnt(0)
	v_cmp_lt_i32_e32 vcc, -1, v16
	v_cndmask_b32_e32 v3, -1, v10, vcc
	v_xor_b32_e32 v3, v3, v16
	v_cmp_o_f32_e32 vcc, v16, v16
	v_cndmask_b32_e32 v6, -1, v3, vcc
	v_cmp_lt_u32_e32 vcc, s26, v6
	v_cndmask_b32_e64 v3, 0, 1, vcc
	v_cmp_gt_u32_e32 vcc, s26, v6
	v_cndmask_b32_e64 v7, 0, 1, vcc
	v_cndmask_b32_e64 v3, v7, v3, s[4:5]
	v_cmp_eq_u32_e32 vcc, s26, v6
	v_and_b32_e32 v3, 1, v3
	v_cndmask_b32_e64 v6, 0, 1, vcc
.LBB197_37:                             ;   in Loop: Header=BB197_35 Depth=1
	s_or_b64 exec, exec, s[14:15]
	ds_write_b32 v5, v3
	s_waitcnt lgkmcnt(0)
	s_barrier
	s_and_saveexec_b64 s[14:15], s[6:7]
	s_cbranch_execz .LBB197_39
; %bb.38:                               ;   in Loop: Header=BB197_35 Depth=1
	ds_read2_b32 v[18:19], v8 offset1:1
	ds_read2_b32 v[20:21], v8 offset0:2 offset1:3
	v_cmp_ne_u32_e32 vcc, 0, v12
	; wave barrier
	s_waitcnt lgkmcnt(1)
	v_add_u32_e32 v7, v19, v18
	s_waitcnt lgkmcnt(0)
	v_add3_u32 v7, v7, v20, v21
	s_nop 1
	v_mov_b32_dpp v17, v7 row_shr:1 row_mask:0xf bank_mask:0xf
	v_cndmask_b32_e32 v17, 0, v17, vcc
	v_add_u32_e32 v7, v17, v7
	v_cmp_lt_u32_e32 vcc, 1, v12
	s_nop 0
	v_mov_b32_dpp v17, v7 row_shr:2 row_mask:0xf bank_mask:0xf
	v_cndmask_b32_e32 v17, 0, v17, vcc
	v_add_u32_e32 v7, v7, v17
	v_cmp_lt_u32_e32 vcc, 3, v12
	;; [unrolled: 5-line block ×4, first 2 shown]
	s_nop 0
	v_mov_b32_dpp v17, v7 row_bcast:15 row_mask:0xf bank_mask:0xf
	v_and_b32_e32 v17, v13, v17
	v_add_u32_e32 v7, v7, v17
	s_nop 1
	v_mov_b32_dpp v17, v7 row_bcast:31 row_mask:0xf bank_mask:0xf
	v_cndmask_b32_e32 v17, 0, v17, vcc
	v_cmp_lt_i32_e32 vcc, v14, v15
	v_add_u32_e32 v7, v7, v17
	v_cndmask_b32_e32 v17, v14, v11, vcc
	v_lshlrev_b32_e32 v17, 2, v17
	ds_bpermute_b32 v7, v17, v7
	s_waitcnt lgkmcnt(0)
	v_add_u32_e32 v7, v7, v18
	v_cndmask_b32_e64 v7, v7, v3, s[2:3]
	ds_write_b32 v8, v7
	; wave barrier
	ds_read2_b32 v[18:19], v8 offset0:1 offset1:2
	ds_read_b32 v17, v8 offset:12
	s_waitcnt lgkmcnt(1)
	v_add_u32_e32 v7, v18, v7
	v_add_u32_e32 v18, v19, v7
	ds_write2_b32 v8, v7, v18 offset0:1 offset1:2
	s_waitcnt lgkmcnt(1)
	v_add_u32_e32 v7, v17, v18
	ds_write_b32 v8, v7 offset:12
.LBB197_39:                             ;   in Loop: Header=BB197_35 Depth=1
	s_or_b64 exec, exec, s[14:15]
	v_mov_b32_e32 v7, 0
	s_waitcnt lgkmcnt(0)
	s_barrier
	s_and_saveexec_b64 s[14:15], s[0:1]
	s_cbranch_execz .LBB197_41
; %bb.40:                               ;   in Loop: Header=BB197_35 Depth=1
	ds_read_b32 v7, v9
.LBB197_41:                             ;   in Loop: Header=BB197_35 Depth=1
	s_or_b64 exec, exec, s[14:15]
	ds_read_b32 v17, v1 offset:1048
	v_cmp_ne_u32_e32 vcc, 0, v3
	s_waitcnt lgkmcnt(0)
	s_barrier
	s_and_saveexec_b64 s[14:15], vcc
	s_cbranch_execz .LBB197_43
; %bb.42:                               ;   in Loop: Header=BB197_35 Depth=1
	v_add_u32_e32 v3, v7, v4
	v_mad_u64_u32 v[18:19], s[28:29], v3, s24, 0
	v_mov_b32_e32 v20, v19
	v_mad_u64_u32 v[20:21], s[28:29], v3, s25, v[20:21]
	v_mov_b32_e32 v19, v20
	v_lshlrev_b64 v[18:19], 2, v[18:19]
	v_mov_b32_e32 v7, s19
	v_add_co_u32_e32 v18, vcc, s18, v18
	v_addc_co_u32_e32 v19, vcc, v7, v19, vcc
	global_store_dword v[18:19], v16, off
	v_mad_u64_u32 v[18:19], s[28:29], v3, s12, 0
	v_mov_b32_e32 v20, v19
	v_mad_u64_u32 v[20:21], s[28:29], v3, s13, v[20:21]
	v_mov_b32_e32 v19, v20
	v_lshlrev_b64 v[18:19], 3, v[18:19]
	v_mov_b32_e32 v3, s23
	v_add_co_u32_e32 v18, vcc, s22, v18
	v_addc_co_u32_e32 v19, vcc, v3, v19, vcc
	global_store_dwordx2 v[18:19], v[0:1], off
.LBB197_43:                             ;   in Loop: Header=BB197_35 Depth=1
	s_or_b64 exec, exec, s[14:15]
	v_mov_b32_e32 v3, v1
	v_cmp_le_u64_e32 vcc, s[10:11], v[2:3]
	s_cbranch_vccnz .LBB197_34
; %bb.44:                               ;   in Loop: Header=BB197_35 Depth=1
	ds_write_b32 v5, v6
	s_waitcnt lgkmcnt(0)
	s_barrier
	s_and_saveexec_b64 s[14:15], s[6:7]
	s_cbranch_execz .LBB197_46
; %bb.45:                               ;   in Loop: Header=BB197_35 Depth=1
	ds_read2_b32 v[18:19], v8 offset1:1
	ds_read2_b32 v[20:21], v8 offset0:2 offset1:3
	v_cmp_ne_u32_e32 vcc, 0, v12
	; wave barrier
	s_waitcnt lgkmcnt(1)
	v_add_u32_e32 v3, v19, v18
	s_waitcnt lgkmcnt(0)
	v_add3_u32 v3, v3, v20, v21
	s_nop 1
	v_mov_b32_dpp v7, v3 row_shr:1 row_mask:0xf bank_mask:0xf
	v_cndmask_b32_e32 v7, 0, v7, vcc
	v_add_u32_e32 v3, v7, v3
	v_cmp_lt_u32_e32 vcc, 1, v12
	s_nop 0
	v_mov_b32_dpp v7, v3 row_shr:2 row_mask:0xf bank_mask:0xf
	v_cndmask_b32_e32 v7, 0, v7, vcc
	v_add_u32_e32 v3, v3, v7
	v_cmp_lt_u32_e32 vcc, 3, v12
	;; [unrolled: 5-line block ×4, first 2 shown]
	s_nop 0
	v_mov_b32_dpp v7, v3 row_bcast:15 row_mask:0xf bank_mask:0xf
	v_and_b32_e32 v7, v13, v7
	v_add_u32_e32 v3, v3, v7
	s_nop 1
	v_mov_b32_dpp v7, v3 row_bcast:31 row_mask:0xf bank_mask:0xf
	v_cndmask_b32_e32 v7, 0, v7, vcc
	v_cmp_lt_i32_e32 vcc, v14, v15
	v_add_u32_e32 v3, v3, v7
	v_cndmask_b32_e32 v7, v14, v11, vcc
	v_lshlrev_b32_e32 v7, 2, v7
	ds_bpermute_b32 v3, v7, v3
	s_waitcnt lgkmcnt(0)
	v_add_u32_e32 v3, v3, v18
	v_cndmask_b32_e64 v3, v3, v6, s[2:3]
	ds_write_b32 v8, v3
	; wave barrier
	ds_read2_b32 v[18:19], v8 offset0:1 offset1:2
	ds_read_b32 v7, v8 offset:12
	s_waitcnt lgkmcnt(1)
	v_add_u32_e32 v3, v18, v3
	v_add_u32_e32 v18, v19, v3
	ds_write2_b32 v8, v3, v18 offset0:1 offset1:2
	s_waitcnt lgkmcnt(1)
	v_add_u32_e32 v3, v7, v18
	ds_write_b32 v8, v3 offset:12
.LBB197_46:                             ;   in Loop: Header=BB197_35 Depth=1
	s_or_b64 exec, exec, s[14:15]
	v_mov_b32_e32 v7, 0
	s_waitcnt lgkmcnt(0)
	s_barrier
	s_and_saveexec_b64 s[14:15], s[0:1]
	s_cbranch_execz .LBB197_48
; %bb.47:                               ;   in Loop: Header=BB197_35 Depth=1
	ds_read_b32 v7, v9
.LBB197_48:                             ;   in Loop: Header=BB197_35 Depth=1
	s_or_b64 exec, exec, s[14:15]
	ds_read_b32 v3, v1 offset:1048
	v_cmp_ne_u32_e32 vcc, 0, v6
	s_waitcnt lgkmcnt(0)
	s_barrier
	s_and_saveexec_b64 s[14:15], vcc
	s_cbranch_execz .LBB197_33
; %bb.49:                               ;   in Loop: Header=BB197_35 Depth=1
	v_add_u32_e32 v6, v7, v2
	v_mov_b32_e32 v7, v1
	v_cmp_gt_u64_e32 vcc, s[10:11], v[6:7]
	s_and_b64 exec, exec, vcc
	s_cbranch_execz .LBB197_33
; %bb.50:                               ;   in Loop: Header=BB197_35 Depth=1
	v_mad_u64_u32 v[18:19], s[28:29], v6, s24, 0
	v_mov_b32_e32 v20, v19
	v_mad_u64_u32 v[20:21], s[28:29], v6, s25, v[20:21]
	v_mov_b32_e32 v19, v20
	v_lshlrev_b64 v[18:19], 2, v[18:19]
	v_mov_b32_e32 v7, s19
	v_add_co_u32_e32 v18, vcc, s18, v18
	v_addc_co_u32_e32 v19, vcc, v7, v19, vcc
	global_store_dword v[18:19], v16, off
	v_mad_u64_u32 v[18:19], s[28:29], v6, s12, 0
	v_mov_b32_e32 v20, v19
	v_mad_u64_u32 v[6:7], s[28:29], v6, s13, v[20:21]
	v_mov_b32_e32 v19, v6
	v_lshlrev_b64 v[6:7], 3, v[18:19]
	v_mov_b32_e32 v18, s23
	v_add_co_u32_e32 v6, vcc, s22, v6
	v_addc_co_u32_e32 v7, vcc, v18, v7, vcc
	global_store_dwordx2 v[6:7], v[0:1], off
	s_branch .LBB197_33
.LBB197_51:                             ;   in Loop: Header=BB197_52 Depth=1
	s_add_u32 s24, s24, 4
	s_addc_u32 s25, s25, 0
	s_waitcnt lgkmcnt(0)
	s_add_i32 s52, s23, s52
	s_add_u32 s26, s26, 4
	s_addc_u32 s27, s27, 0
	s_add_i32 s22, s22, 1
	s_cmp_lt_u32 s22, s35
	s_cbranch_scc0 .LBB197_30
.LBB197_52:                             ; =>This Inner Loop Header: Depth=1
	s_load_dword s23, s[24:25], 0x0
	s_cmp_ge_u32 s22, s76
	s_cbranch_scc1 .LBB197_51
; %bb.53:                               ;   in Loop: Header=BB197_52 Depth=1
	s_load_dword s57, s[26:27], 0x0
	s_waitcnt lgkmcnt(0)
	s_add_i32 s53, s23, s53
	s_add_i32 s51, s57, s51
	s_branch .LBB197_51
.LBB197_54:
	s_endpgm
	.section	.rodata,"a",@progbits
	.p2align	6, 0x0
	.amdhsa_kernel _ZN2at6native6mbtopk10gatherTopKIfmLi3EEEvNS_4cuda6detail10TensorInfoIKT_T0_EES8_S8_bjS8_NS5_IS6_S8_EES8_NS5_IlS8_EES8_jjPS6_PjSD_j
		.amdhsa_group_segment_fixed_size 1068
		.amdhsa_private_segment_fixed_size 0
		.amdhsa_kernarg_size 1592
		.amdhsa_user_sgpr_count 6
		.amdhsa_user_sgpr_private_segment_buffer 1
		.amdhsa_user_sgpr_dispatch_ptr 0
		.amdhsa_user_sgpr_queue_ptr 0
		.amdhsa_user_sgpr_kernarg_segment_ptr 1
		.amdhsa_user_sgpr_dispatch_id 0
		.amdhsa_user_sgpr_flat_scratch_init 0
		.amdhsa_user_sgpr_kernarg_preload_length 0
		.amdhsa_user_sgpr_kernarg_preload_offset 0
		.amdhsa_user_sgpr_private_segment_size 0
		.amdhsa_uses_dynamic_stack 0
		.amdhsa_system_sgpr_private_segment_wavefront_offset 0
		.amdhsa_system_sgpr_workgroup_id_x 1
		.amdhsa_system_sgpr_workgroup_id_y 1
		.amdhsa_system_sgpr_workgroup_id_z 1
		.amdhsa_system_sgpr_workgroup_info 0
		.amdhsa_system_vgpr_workitem_id 0
		.amdhsa_next_free_vgpr 22
		.amdhsa_next_free_sgpr 78
		.amdhsa_accum_offset 24
		.amdhsa_reserve_vcc 1
		.amdhsa_reserve_flat_scratch 0
		.amdhsa_float_round_mode_32 0
		.amdhsa_float_round_mode_16_64 0
		.amdhsa_float_denorm_mode_32 3
		.amdhsa_float_denorm_mode_16_64 3
		.amdhsa_dx10_clamp 1
		.amdhsa_ieee_mode 1
		.amdhsa_fp16_overflow 0
		.amdhsa_tg_split 0
		.amdhsa_exception_fp_ieee_invalid_op 0
		.amdhsa_exception_fp_denorm_src 0
		.amdhsa_exception_fp_ieee_div_zero 0
		.amdhsa_exception_fp_ieee_overflow 0
		.amdhsa_exception_fp_ieee_underflow 0
		.amdhsa_exception_fp_ieee_inexact 0
		.amdhsa_exception_int_div_zero 0
	.end_amdhsa_kernel
	.section	.text._ZN2at6native6mbtopk10gatherTopKIfmLi3EEEvNS_4cuda6detail10TensorInfoIKT_T0_EES8_S8_bjS8_NS5_IS6_S8_EES8_NS5_IlS8_EES8_jjPS6_PjSD_j,"axG",@progbits,_ZN2at6native6mbtopk10gatherTopKIfmLi3EEEvNS_4cuda6detail10TensorInfoIKT_T0_EES8_S8_bjS8_NS5_IS6_S8_EES8_NS5_IlS8_EES8_jjPS6_PjSD_j,comdat
.Lfunc_end197:
	.size	_ZN2at6native6mbtopk10gatherTopKIfmLi3EEEvNS_4cuda6detail10TensorInfoIKT_T0_EES8_S8_bjS8_NS5_IS6_S8_EES8_NS5_IlS8_EES8_jjPS6_PjSD_j, .Lfunc_end197-_ZN2at6native6mbtopk10gatherTopKIfmLi3EEEvNS_4cuda6detail10TensorInfoIKT_T0_EES8_S8_bjS8_NS5_IS6_S8_EES8_NS5_IlS8_EES8_jjPS6_PjSD_j
                                        ; -- End function
	.section	.AMDGPU.csdata,"",@progbits
; Kernel info:
; codeLenInByte = 3272
; NumSgprs: 82
; NumVgprs: 22
; NumAgprs: 0
; TotalNumVgprs: 22
; ScratchSize: 0
; MemoryBound: 0
; FloatMode: 240
; IeeeMode: 1
; LDSByteSize: 1068 bytes/workgroup (compile time only)
; SGPRBlocks: 10
; VGPRBlocks: 2
; NumSGPRsForWavesPerEU: 82
; NumVGPRsForWavesPerEU: 22
; AccumOffset: 24
; Occupancy: 8
; WaveLimiterHint : 1
; COMPUTE_PGM_RSRC2:SCRATCH_EN: 0
; COMPUTE_PGM_RSRC2:USER_SGPR: 6
; COMPUTE_PGM_RSRC2:TRAP_HANDLER: 0
; COMPUTE_PGM_RSRC2:TGID_X_EN: 1
; COMPUTE_PGM_RSRC2:TGID_Y_EN: 1
; COMPUTE_PGM_RSRC2:TGID_Z_EN: 1
; COMPUTE_PGM_RSRC2:TIDIG_COMP_CNT: 0
; COMPUTE_PGM_RSRC3_GFX90A:ACCUM_OFFSET: 5
; COMPUTE_PGM_RSRC3_GFX90A:TG_SPLIT: 0
	.section	.text._ZN2at6native6sbtopk10gatherTopKIfmLi3ELb0EEEvNS_4cuda6detail10TensorInfoIKT_T0_EES8_S8_bS8_S8_NS5_IS6_S8_EES8_NS5_IlS8_EES8_PS6_,"axG",@progbits,_ZN2at6native6sbtopk10gatherTopKIfmLi3ELb0EEEvNS_4cuda6detail10TensorInfoIKT_T0_EES8_S8_bS8_S8_NS5_IS6_S8_EES8_NS5_IlS8_EES8_PS6_,comdat
	.protected	_ZN2at6native6sbtopk10gatherTopKIfmLi3ELb0EEEvNS_4cuda6detail10TensorInfoIKT_T0_EES8_S8_bS8_S8_NS5_IS6_S8_EES8_NS5_IlS8_EES8_PS6_ ; -- Begin function _ZN2at6native6sbtopk10gatherTopKIfmLi3ELb0EEEvNS_4cuda6detail10TensorInfoIKT_T0_EES8_S8_bS8_S8_NS5_IS6_S8_EES8_NS5_IlS8_EES8_PS6_
	.globl	_ZN2at6native6sbtopk10gatherTopKIfmLi3ELb0EEEvNS_4cuda6detail10TensorInfoIKT_T0_EES8_S8_bS8_S8_NS5_IS6_S8_EES8_NS5_IlS8_EES8_PS6_
	.p2align	8
	.type	_ZN2at6native6sbtopk10gatherTopKIfmLi3ELb0EEEvNS_4cuda6detail10TensorInfoIKT_T0_EES8_S8_bS8_S8_NS5_IS6_S8_EES8_NS5_IlS8_EES8_PS6_,@function
_ZN2at6native6sbtopk10gatherTopKIfmLi3ELb0EEEvNS_4cuda6detail10TensorInfoIKT_T0_EES8_S8_bS8_S8_NS5_IS6_S8_EES8_NS5_IlS8_EES8_PS6_: ; @_ZN2at6native6sbtopk10gatherTopKIfmLi3ELb0EEEvNS_4cuda6detail10TensorInfoIKT_T0_EES8_S8_bS8_S8_NS5_IS6_S8_EES8_NS5_IlS8_EES8_PS6_
; %bb.0:
	s_load_dwordx4 s[56:59], s[4:5], 0x1b8
	s_load_dwordx2 s[16:17], s[4:5], 0x520
	s_mov_b64 s[26:27], s[4:5]
	s_add_u32 s10, s26, 0x520
	s_addc_u32 s11, s27, 0
	s_waitcnt lgkmcnt(0)
	v_mov_b32_e32 v2, s56
	s_mul_i32 s0, s17, s8
	s_add_i32 s0, s0, s7
	s_mul_i32 s0, s0, s16
	v_mov_b32_e32 v3, s57
	s_add_i32 s28, s0, s6
	s_mov_b32 s29, 0
	v_cmp_ge_u64_e32 vcc, s[28:29], v[2:3]
	s_cbranch_vccnz .LBB198_495
; %bb.1:
	s_load_dwordx4 s[0:3], s[26:27], 0x10
	s_mov_b64 s[8:9], 0
	s_mov_b64 s[4:5], 0
	s_waitcnt lgkmcnt(0)
	v_pk_mov_b32 v[2:3], s[2:3], s[2:3] op_sel:[0,1]
	v_cmp_lt_u64_e32 vcc, s[28:29], v[2:3]
	s_cbranch_vccnz .LBB198_3
; %bb.2:
	v_cvt_f32_u32_e32 v1, s2
	s_sub_i32 s4, 0, s2
	s_mov_b32 s5, 0
	v_rcp_iflag_f32_e32 v1, v1
	v_mul_f32_e32 v1, 0x4f7ffffe, v1
	v_cvt_u32_f32_e32 v1, v1
	v_readfirstlane_b32 s7, v1
	s_mul_i32 s4, s4, s7
	s_mul_hi_u32 s4, s7, s4
	s_add_i32 s7, s7, s4
	s_mul_hi_u32 s4, s28, s7
	s_mul_i32 s9, s4, s2
	s_sub_i32 s9, s28, s9
	s_add_i32 s7, s4, 1
	s_sub_i32 s12, s9, s2
	s_cmp_ge_u32 s9, s2
	s_cselect_b32 s4, s7, s4
	s_cselect_b32 s9, s12, s9
	s_add_i32 s7, s4, 1
	s_cmp_ge_u32 s9, s2
	s_cselect_b32 s4, s7, s4
.LBB198_3:
	s_load_dwordx4 s[20:23], s[26:27], 0x1d8
	v_pk_mov_b32 v[2:3], s[0:1], s[0:1] op_sel:[0,1]
	v_cmp_lt_u64_e32 vcc, s[4:5], v[2:3]
	s_cbranch_vccnz .LBB198_5
; %bb.4:
	v_cvt_f32_u32_e32 v1, s0
	s_sub_i32 s7, 0, s0
	v_rcp_iflag_f32_e32 v1, v1
	v_mul_f32_e32 v1, 0x4f7ffffe, v1
	v_cvt_u32_f32_e32 v1, v1
	v_readfirstlane_b32 s8, v1
	s_mul_i32 s7, s7, s8
	s_mul_hi_u32 s7, s8, s7
	s_add_i32 s8, s8, s7
	s_mul_hi_u32 s7, s4, s8
	s_mul_i32 s9, s7, s0
	s_sub_i32 s9, s4, s9
	s_add_i32 s8, s7, 1
	s_sub_i32 s12, s9, s0
	s_cmp_ge_u32 s9, s0
	s_cselect_b32 s7, s8, s7
	s_cselect_b32 s9, s12, s9
	s_add_i32 s8, s7, 1
	s_cmp_ge_u32 s9, s0
	s_cselect_b32 s8, s8, s7
.LBB198_5:
	s_waitcnt lgkmcnt(0)
	v_pk_mov_b32 v[2:3], s[22:23], s[22:23] op_sel:[0,1]
	v_cmp_lt_u64_e32 vcc, s[28:29], v[2:3]
	s_mov_b64 s[12:13], 0
                                        ; implicit-def: $vgpr49 : SGPR spill to VGPR lane
	v_writelane_b32 v49, s12, 0
	s_mov_b64 s[24:25], 0
	v_writelane_b32 v49, s13, 1
	s_cbranch_vccnz .LBB198_7
; %bb.6:
	v_cvt_f32_u32_e32 v1, s22
	s_sub_i32 s7, 0, s22
	s_mov_b32 s25, 0
	v_rcp_iflag_f32_e32 v1, v1
	v_mul_f32_e32 v1, 0x4f7ffffe, v1
	v_cvt_u32_f32_e32 v1, v1
	v_readfirstlane_b32 s9, v1
	s_mul_i32 s7, s7, s9
	s_mul_hi_u32 s7, s9, s7
	s_add_i32 s9, s9, s7
	s_mul_hi_u32 s7, s28, s9
	s_mul_i32 s12, s7, s22
	s_sub_i32 s12, s28, s12
	s_add_i32 s9, s7, 1
	s_sub_i32 s13, s12, s22
	s_cmp_ge_u32 s12, s22
	s_cselect_b32 s7, s9, s7
	s_cselect_b32 s12, s13, s12
	s_add_i32 s9, s7, 1
	s_cmp_ge_u32 s12, s22
	s_cselect_b32 s24, s9, s7
.LBB198_7:
	s_load_dwordx4 s[36:39], s[26:27], 0x380
	v_pk_mov_b32 v[2:3], s[20:21], s[20:21] op_sel:[0,1]
	v_cmp_lt_u64_e32 vcc, s[24:25], v[2:3]
	s_cbranch_vccnz .LBB198_9
; %bb.8:
	v_cvt_f32_u32_e32 v1, s20
	s_sub_i32 s7, 0, s20
	v_rcp_iflag_f32_e32 v1, v1
	v_mul_f32_e32 v1, 0x4f7ffffe, v1
	v_cvt_u32_f32_e32 v1, v1
	v_readfirstlane_b32 s9, v1
	s_mul_i32 s7, s7, s9
	s_mul_hi_u32 s7, s9, s7
	s_add_i32 s9, s9, s7
	s_mul_hi_u32 s7, s24, s9
	s_mul_i32 s12, s7, s20
	s_sub_i32 s12, s24, s12
	s_add_i32 s9, s7, 1
	s_sub_i32 s13, s12, s20
	s_cmp_ge_u32 s12, s20
	s_cselect_b32 s7, s9, s7
	s_cselect_b32 s12, s13, s12
	s_add_i32 s9, s7, 1
	s_cmp_ge_u32 s12, s20
	s_cselect_b32 s12, s9, s7
	v_writelane_b32 v49, s12, 0
	v_writelane_b32 v49, s13, 1
.LBB198_9:
	v_writelane_b32 v49, s20, 2
	v_writelane_b32 v49, s21, 3
	s_load_dwordx2 s[18:19], s[26:27], 0xe0
	s_load_dwordx4 s[12:15], s[26:27], 0xd0
	v_writelane_b32 v49, s22, 4
	v_writelane_b32 v49, s23, 5
	s_waitcnt lgkmcnt(0)
	v_pk_mov_b32 v[2:3], s[38:39], s[38:39] op_sel:[0,1]
	s_mov_b64 s[20:21], 0
	v_cmp_lt_u64_e32 vcc, s[28:29], v[2:3]
	v_writelane_b32 v49, s20, 6
	v_writelane_b32 v49, s21, 7
	s_mov_b64 s[20:21], 0
	s_cbranch_vccnz .LBB198_11
; %bb.10:
	v_cvt_f32_u32_e32 v1, s38
	s_sub_i32 s7, 0, s38
	s_mov_b32 s21, 0
	v_rcp_iflag_f32_e32 v1, v1
	v_mul_f32_e32 v1, 0x4f7ffffe, v1
	v_cvt_u32_f32_e32 v1, v1
	v_readfirstlane_b32 s9, v1
	s_mul_i32 s7, s7, s9
	s_mul_hi_u32 s7, s9, s7
	s_add_i32 s9, s9, s7
	s_mul_hi_u32 s7, s28, s9
	s_mul_i32 s17, s7, s38
	s_sub_i32 s17, s28, s17
	s_add_i32 s9, s7, 1
	s_sub_i32 s20, s17, s38
	s_cmp_ge_u32 s17, s38
	s_cselect_b32 s7, s9, s7
	s_cselect_b32 s17, s20, s17
	s_add_i32 s9, s7, 1
	s_cmp_ge_u32 s17, s38
	s_cselect_b32 s20, s9, s7
.LBB198_11:
	s_load_dwordx2 s[22:23], s[26:27], 0x450
	s_load_dwordx4 s[40:43], s[26:27], 0x440
	v_writelane_b32 v49, s24, 8
	v_writelane_b32 v49, s25, 9
	v_pk_mov_b32 v[2:3], s[36:37], s[36:37] op_sel:[0,1]
	s_waitcnt lgkmcnt(0)
	v_writelane_b32 v49, s22, 10
	v_writelane_b32 v49, s23, 11
	s_load_dwordx2 s[22:23], s[26:27], 0x2a8
	v_writelane_b32 v49, s40, 12
	v_writelane_b32 v49, s41, 13
	;; [unrolled: 1-line block ×4, first 2 shown]
	s_load_dwordx4 s[40:43], s[26:27], 0x298
	s_waitcnt lgkmcnt(0)
	v_writelane_b32 v49, s22, 16
	v_writelane_b32 v49, s23, 17
	s_mov_b64 s[22:23], s[20:21]
	s_load_dwordx2 s[20:21], s[26:27], 0x0
	v_writelane_b32 v49, s40, 18
	v_writelane_b32 v49, s41, 19
	;; [unrolled: 1-line block ×5, first 2 shown]
	v_cmp_lt_u64_e32 vcc, s[22:23], v[2:3]
	v_writelane_b32 v49, s23, 23
	s_cbranch_vccnz .LBB198_13
; %bb.12:
	v_cvt_f32_u32_e32 v1, s36
	s_sub_i32 s7, 0, s36
	v_readlane_b32 s22, v49, 22
	v_readlane_b32 s23, v49, 23
	v_rcp_iflag_f32_e32 v1, v1
	v_mul_f32_e32 v1, 0x4f7ffffe, v1
	v_cvt_u32_f32_e32 v1, v1
	v_readfirstlane_b32 s9, v1
	s_mul_i32 s7, s7, s9
	s_mul_hi_u32 s7, s9, s7
	s_add_i32 s9, s9, s7
	s_mul_hi_u32 s7, s22, s9
	s_mul_i32 s17, s7, s36
	s_sub_i32 s17, s22, s17
	s_add_i32 s9, s7, 1
	s_sub_i32 s22, s17, s36
	s_cmp_ge_u32 s17, s36
	s_cselect_b32 s7, s9, s7
	s_cselect_b32 s17, s22, s17
	s_add_i32 s9, s7, 1
	s_cmp_ge_u32 s17, s36
	s_cselect_b32 s22, s9, s7
	v_writelane_b32 v49, s22, 6
	v_writelane_b32 v49, s23, 7
.LBB198_13:
	s_load_dwordx2 s[22:23], s[26:27], 0x370
	v_writelane_b32 v49, s36, 24
	v_writelane_b32 v49, s37, 25
	;; [unrolled: 1-line block ×4, first 2 shown]
	s_waitcnt lgkmcnt(0)
	v_writelane_b32 v49, s22, 28
	v_writelane_b32 v49, s23, 29
	s_load_dwordx2 s[22:23], s[26:27], 0x1c8
	s_load_dwordx4 s[60:63], s[26:27], 0x1a0
	s_mov_b32 s91, 0
	v_cmp_eq_u32_e64 s[24:25], 0, v0
	s_waitcnt lgkmcnt(0)
	v_writelane_b32 v49, s22, 30
	v_writelane_b32 v49, s23, 31
	s_mov_b64 s[22:23], exec
	v_writelane_b32 v49, s24, 32
	v_writelane_b32 v49, s25, 33
	s_and_b64 s[24:25], s[22:23], s[24:25]
	s_mov_b64 exec, s[24:25]
	s_cbranch_execz .LBB198_15
; %bb.14:
	v_mov_b32_e32 v2, 0
	v_mov_b32_e32 v4, s60
	;; [unrolled: 1-line block ×4, first 2 shown]
	ds_write_b32 v2, v2 offset:5144
	ds_write_b128 v2, v[2:5] offset:5120
.LBB198_15:
	s_or_b64 exec, exec, s[22:23]
	s_mul_i32 s1, s8, s1
	s_mul_hi_u32 s7, s8, s0
	s_add_i32 s7, s7, s1
	s_mul_i32 s0, s8, s0
	s_sub_u32 s0, s4, s0
	s_subb_u32 s1, s5, s7
	s_mul_i32 s5, s0, s15
	s_mul_hi_u32 s7, s0, s14
	s_add_i32 s5, s7, s5
	s_mul_i32 s1, s1, s14
	s_add_i32 s1, s5, s1
	s_mul_i32 s5, s8, s13
	s_mul_hi_u32 s7, s8, s12
	s_add_i32 s9, s7, s5
	s_mul_i32 s3, s4, s3
	s_mul_hi_u32 s5, s4, s2
	s_add_i32 s5, s5, s3
	s_mul_i32 s2, s4, s2
	s_mov_b32 s4, s28
	v_writelane_b32 v49, s4, 34
	s_sub_u32 s2, s28, s2
	v_writelane_b32 v49, s5, 35
	s_subb_u32 s3, 0, s5
	s_mul_i32 s4, s2, s19
	s_mul_hi_u32 s5, s2, s18
	s_mul_i32 s8, s8, s12
	s_add_i32 s4, s5, s4
	s_mul_i32 s3, s3, s18
	s_add_i32 s3, s4, s3
	s_lshl_b64 s[4:5], s[8:9], 2
	s_mul_i32 s0, s0, s14
	s_add_u32 s4, s20, s4
	s_addc_u32 s5, s21, s5
	s_lshl_b64 s[0:1], s[0:1], 2
	v_writelane_b32 v49, s26, 36
	s_load_dword s7, s[26:27], 0x1b0
	s_mul_i32 s2, s2, s18
	s_add_u32 s4, s4, s0
	s_addc_u32 s5, s5, s1
	s_lshl_b64 s[0:1], s[2:3], 2
	s_add_u32 s33, s4, s0
	s_addc_u32 s88, s5, s1
	s_waitcnt lgkmcnt(0)
	s_bitcmp1_b32 s7, 0
	v_writelane_b32 v49, s27, 37
	s_cselect_b64 s[0:1], -1, 0
	v_writelane_b32 v49, s0, 38
	v_mbcnt_lo_u32_b32 v1, -1, 0
	v_writelane_b32 v49, s1, 39
	s_xor_b64 s[0:1], s[0:1], -1
	v_mbcnt_hi_u32_b32 v29, -1, v1
	v_writelane_b32 v49, s0, 40
	v_cmp_gt_u32_e32 vcc, 64, v0
	v_cmp_gt_i32_e64 s[2:3], 4, v29
	v_writelane_b32 v49, s1, 41
	s_and_b64 s[2:3], vcc, s[2:3]
	v_mov_b32_e32 v2, 0x300
	v_writelane_b32 v49, s2, 42
	v_mov_b32_e32 v3, 0
	v_mov_b32_e32 v15, 0
	v_writelane_b32 v49, s3, 43
	v_cmp_gt_u64_e64 s[2:3], s[60:61], v[2:3]
	v_writelane_b32 v49, s2, 44
	v_mov_b32_e32 v1, v15
	v_writelane_b32 v49, s3, 45
	v_cmp_gt_u64_e64 s[2:3], s[60:61], v[0:1]
	v_writelane_b32 v49, s2, 46
	v_writelane_b32 v49, s3, 47
	v_mad_u64_u32 v[2:3], s[2:3], v0, s58, 0
	v_mov_b32_e32 v4, v3
	v_mad_u64_u32 v[4:5], s[2:3], v0, s59, v[4:5]
	v_cmp_gt_u32_e64 s[2:3], 2, v0
	v_writelane_b32 v49, s2, 48
	s_barrier
	v_writelane_b32 v49, s3, 49
	s_load_dword s2, s[10:11], 0xc
	v_mov_b32_e32 v3, v4
	v_lshlrev_b64 v[2:3], 2, v[2:3]
	v_add_co_u32_e32 v12, vcc, s33, v2
	s_waitcnt lgkmcnt(0)
	s_and_b32 s89, s2, 0xffff
	s_bfe_u32 s3, s2, 0xa0006
	v_cmp_gt_u16_e64 s[4:5], s2, 63
	v_writelane_b32 v49, s4, 50
	s_add_u32 s2, s89, -1
	v_writelane_b32 v49, s5, 51
	s_addc_u32 s4, 0, -1
	v_writelane_b32 v49, s2, 52
	s_add_u32 s2, s2, s60
	s_addc_u32 s73, s4, s61
	s_cmp_lt_u32 s6, s16
	v_writelane_b32 v49, s2, 53
	s_cselect_b32 s2, 12, 18
	v_writelane_b32 v49, s4, 54
	s_add_u32 s4, s10, s2
	s_addc_u32 s5, s11, 0
	v_writelane_b32 v49, s4, 55
	v_writelane_b32 v49, s5, 56
	s_add_i32 s2, s3, -1
	s_bfe_u32 s5, s89, 0x30006
	s_cmp_gt_u32 s2, 6
	s_cselect_b64 s[6:7], -1, 0
	v_lshrrev_b32_e32 v2, 4, v0
	v_writelane_b32 v49, s6, 57
	s_and_b32 s4, s3, 0x3f8
	v_mov_b32_e32 v30, s88
	v_and_b32_e32 v31, 60, v2
	v_lshlrev_b32_e32 v2, 2, v29
	v_writelane_b32 v49, s7, 58
	s_cmp_lg_u32 s5, 0
	v_addc_co_u32_e32 v13, vcc, v30, v3, vcc
	v_and_b32_e32 v28, 0x100, v2
	v_lshlrev_b64 v[2:3], v29, -1
	v_writelane_b32 v49, s5, 59
	s_cselect_b64 s[2:3], -1, 0
	v_lshlrev_b32_e32 v16, 2, v0
	v_not_b32_e32 v10, v2
	v_writelane_b32 v49, s2, 60
	v_mov_b32_e32 v2, 0xc00
	v_cmp_eq_u32_e64 s[0:1], 0, v29
	v_mov_b32_e32 v17, v15
	v_add_u32_e32 v32, 0xc00, v16
	v_not_b32_e32 v11, v3
	s_mov_b32 s74, s91
	v_writelane_b32 v49, s3, 61
	v_lshlrev_b32_e32 v33, 4, v0
	v_lshl_or_b32 v34, v29, 3, v2
	s_lshl_b32 s5, s89, 2
	s_mov_b32 s75, 30
	s_mov_b64 s[82:83], 0
	v_pk_mov_b32 v[22:23], s[62:63], s[62:63] op_sel:[0,1]
	v_mov_b32_e32 v18, 1.0
	v_bfrev_b32_e32 v35, 1
	v_mov_b32_e32 v36, 0x4f800000
	v_mov_b32_e32 v21, 0
	;; [unrolled: 1-line block ×4, first 2 shown]
	s_mov_b32 s2, 0
                                        ; implicit-def: $sgpr30_sgpr31
                                        ; implicit-def: $sgpr84_sgpr85
                                        ; implicit-def: $sgpr66_sgpr67
                                        ; implicit-def: $sgpr68_sgpr69
                                        ; implicit-def: $sgpr64_sgpr65
                                        ; implicit-def: $sgpr70_sgpr71
                                        ; implicit-def: $sgpr80_sgpr81
                                        ; implicit-def: $sgpr86_sgpr87
	v_writelane_b32 v49, s2, 62
                                        ; implicit-def: $sgpr76_sgpr77
                                        ; implicit-def: $sgpr78_sgpr79
	s_branch .LBB198_18
.LBB198_16:                             ;   in Loop: Header=BB198_18 Depth=1
	s_or_b64 exec, exec, s[10:11]
	s_andn2_b64 s[10:11], s[78:79], exec
	s_and_b64 s[8:9], s[8:9], exec
	s_or_b64 s[78:79], s[10:11], s[8:9]
	s_andn2_b64 s[76:77], s[76:77], exec
	s_andn2_b64 s[86:87], s[86:87], exec
	;; [unrolled: 1-line block ×4, first 2 shown]
	s_orn2_b64 s[6:7], s[6:7], exec
	v_mov_b32_e32 v37, v24
	v_mov_b32_e32 v38, v20
	v_pk_mov_b32 v[22:23], v[2:3], v[2:3] op_sel:[0,1]
	v_mov_b32_e32 v21, v5
.LBB198_17:                             ;   in Loop: Header=BB198_18 Depth=1
	s_or_b64 exec, exec, s[2:3]
	s_and_b64 s[2:3], exec, s[6:7]
	s_or_b64 s[82:83], s[2:3], s[82:83]
	s_andn2_b64 s[2:3], s[64:65], exec
	s_and_b64 s[6:7], s[78:79], exec
	s_or_b64 s[64:65], s[2:3], s[6:7]
	s_andn2_b64 s[2:3], s[68:69], exec
	s_and_b64 s[6:7], s[76:77], exec
	;; [unrolled: 3-line block ×5, first 2 shown]
	s_or_b64 s[30:31], s[2:3], s[6:7]
	s_andn2_b64 exec, exec, s[82:83]
	s_cbranch_execz .LBB198_491
.LBB198_18:                             ; =>This Loop Header: Depth=1
                                        ;     Child Loop BB198_26 Depth 2
                                        ;     Child Loop BB198_41 Depth 2
	;; [unrolled: 1-line block ×24, first 2 shown]
	ds_read_b128 v[2:5], v15 offset:5120
	s_waitcnt lgkmcnt(0)
	v_readfirstlane_b32 s9, v3
	v_readfirstlane_b32 s8, v2
	s_cmp_lg_u64 s[8:9], 0
	s_cbranch_scc1 .LBB198_48
; %bb.19:                               ;   in Loop: Header=BB198_18 Depth=1
	v_readlane_b32 s2, v49, 44
	v_readlane_b32 s3, v49, 45
	s_and_b64 vcc, exec, s[2:3]
	s_cbranch_vccz .LBB198_34
; %bb.20:                               ;   in Loop: Header=BB198_18 Depth=1
	s_mov_b64 s[2:3], 0x301
	v_cmp_gt_u64_e32 vcc, s[2:3], v[4:5]
	s_mov_b64 s[8:9], 0
	s_mov_b64 s[2:3], 0
	s_cbranch_vccz .LBB198_35
; %bb.21:                               ;   in Loop: Header=BB198_18 Depth=1
	v_mov_b32_e32 v4, 0
	s_mov_b64 s[2:3], exec
	v_readlane_b32 s6, v49, 46
	v_readlane_b32 s7, v49, 47
	s_and_b64 s[6:7], s[2:3], s[6:7]
	s_mov_b64 exec, s[6:7]
	s_cbranch_execz .LBB198_23
; %bb.22:                               ;   in Loop: Header=BB198_18 Depth=1
	global_load_dword v4, v[12:13], off
.LBB198_23:                             ;   in Loop: Header=BB198_18 Depth=1
	s_or_b64 exec, exec, s[2:3]
	s_mov_b64 s[2:3], exec
	v_readlane_b32 s6, v49, 46
	v_readlane_b32 s7, v49, 47
	s_and_b64 s[6:7], s[2:3], s[6:7]
	s_mov_b64 exec, s[6:7]
	s_cbranch_execz .LBB198_107
; %bb.24:                               ;   in Loop: Header=BB198_18 Depth=1
	v_readlane_b32 s6, v49, 55
	v_readlane_b32 s7, v49, 56
	s_mov_b64 s[10:11], 0
	v_pk_mov_b32 v[2:3], v[0:1], v[0:1] op_sel:[0,1]
	s_nop 2
	global_load_ushort v5, v15, s[6:7]
	s_branch .LBB198_26
.LBB198_25:                             ;   in Loop: Header=BB198_26 Depth=2
	s_or_b64 exec, exec, s[6:7]
	s_waitcnt vmcnt(0)
	v_mov_b32_e32 v4, v6
	s_andn2_b64 exec, exec, s[10:11]
	s_cbranch_execz .LBB198_107
.LBB198_26:                             ;   Parent Loop BB198_18 Depth=1
                                        ; =>  This Inner Loop Header: Depth=2
	s_waitcnt vmcnt(0)
	v_add_co_u32_sdwa v2, vcc, v2, v5 dst_sel:DWORD dst_unused:UNUSED_PAD src0_sel:DWORD src1_sel:WORD_0
	v_addc_co_u32_e32 v3, vcc, 0, v3, vcc
	v_cmp_gt_u64_e64 s[6:7], s[60:61], v[2:3]
	v_cmp_le_u64_e32 vcc, s[60:61], v[2:3]
	s_waitcnt lgkmcnt(0)
	v_mov_b32_e32 v7, 0
	v_mov_b32_e32 v6, 0
	s_and_saveexec_b64 s[12:13], s[6:7]
	s_cbranch_execz .LBB198_28
; %bb.27:                               ;   in Loop: Header=BB198_26 Depth=2
	v_mul_lo_u32 v6, v3, s58
	v_mul_lo_u32 v14, v2, s59
	v_mad_u64_u32 v[8:9], s[6:7], v2, s58, 0
	v_add3_u32 v9, v9, v14, v6
	v_lshlrev_b64 v[8:9], 2, v[8:9]
	v_add_co_u32_e64 v8, s[6:7], s33, v8
	v_addc_co_u32_e64 v9, s[6:7], v30, v9, s[6:7]
	global_load_dword v6, v[8:9], off
.LBB198_28:                             ;   in Loop: Header=BB198_26 Depth=2
	s_or_b64 exec, exec, s[12:13]
	v_cmp_lt_i32_e64 s[6:7], -1, v4
	v_cndmask_b32_e64 v8, -1, v35, s[6:7]
	v_xor_b32_e32 v8, v8, v4
	v_cmp_o_f32_e64 s[6:7], v4, v4
	v_cndmask_b32_e64 v8, -1, v8, s[6:7]
	v_and_b32_e32 v8, v8, v37
	v_cmp_eq_u32_e64 s[14:15], v8, v38
	s_cmp_lg_u64 s[14:15], 0
	s_cselect_b64 s[6:7], -1, 0
	s_and_b64 s[6:7], s[0:1], s[6:7]
	s_and_saveexec_b64 s[12:13], s[6:7]
	s_cbranch_execz .LBB198_32
; %bb.29:                               ;   in Loop: Header=BB198_26 Depth=2
	s_mov_b64 s[18:19], exec
	v_mbcnt_lo_u32_b32 v7, s18, 0
	v_mbcnt_hi_u32_b32 v7, s19, v7
	s_bcnt1_i32_b64 s20, s[14:15]
	v_cmp_eq_u32_e64 s[6:7], 0, v7
                                        ; implicit-def: $vgpr8
	s_and_saveexec_b64 s[16:17], s[6:7]
	s_cbranch_execz .LBB198_31
; %bb.30:                               ;   in Loop: Header=BB198_26 Depth=2
	s_bcnt1_i32_b64 s6, s[18:19]
	s_mul_i32 s6, s20, s6
	v_mov_b32_e32 v8, s6
	ds_add_rtn_u32 v8, v15, v8 offset:5144
.LBB198_31:                             ;   in Loop: Header=BB198_26 Depth=2
	s_or_b64 exec, exec, s[16:17]
	s_waitcnt lgkmcnt(0)
	v_readfirstlane_b32 s6, v8
	v_mov_b32_e32 v8, s6
	v_mad_u32_u24 v7, s20, v7, v8
.LBB198_32:                             ;   in Loop: Header=BB198_26 Depth=2
	s_or_b64 exec, exec, s[12:13]
	ds_bpermute_b32 v7, v28, v7
	s_and_b64 s[6:7], exec, vcc
	s_or_b64 s[10:11], s[6:7], s[10:11]
	s_and_saveexec_b64 s[6:7], s[14:15]
	s_cbranch_execz .LBB198_25
; %bb.33:                               ;   in Loop: Header=BB198_26 Depth=2
	v_and_b32_e32 v9, s14, v10
	v_and_b32_e32 v8, s15, v11
	v_bcnt_u32_b32 v9, v9, 0
	v_bcnt_u32_b32 v8, v8, v9
	v_lshlrev_b32_e32 v8, 2, v8
	s_waitcnt lgkmcnt(0)
	v_lshl_add_u32 v7, v7, 2, v8
	ds_write_b32 v7, v4
	s_branch .LBB198_25
.LBB198_34:                             ;   in Loop: Header=BB198_18 Depth=1
	s_mov_b64 s[8:9], -1
	s_mov_b64 s[2:3], 0
.LBB198_35:                             ;   in Loop: Header=BB198_18 Depth=1
	s_and_b64 vcc, exec, s[8:9]
	s_cbranch_vccz .LBB198_46
.LBB198_36:                             ;   in Loop: Header=BB198_18 Depth=1
	s_waitcnt vmcnt(0)
	v_mov_b32_e32 v4, 0
	s_mov_b64 s[2:3], exec
	v_readlane_b32 s6, v49, 46
	v_readlane_b32 s7, v49, 47
	s_and_b64 s[6:7], s[2:3], s[6:7]
	s_mov_b64 exec, s[6:7]
	s_cbranch_execz .LBB198_38
; %bb.37:                               ;   in Loop: Header=BB198_18 Depth=1
	global_load_dword v4, v[12:13], off
.LBB198_38:                             ;   in Loop: Header=BB198_18 Depth=1
	s_or_b64 exec, exec, s[2:3]
	s_mov_b64 s[2:3], exec
	v_readlane_b32 s6, v49, 46
	v_readlane_b32 s7, v49, 47
	s_and_b64 s[6:7], s[2:3], s[6:7]
	s_mov_b64 exec, s[6:7]
	s_cbranch_execz .LBB198_43
; %bb.39:                               ;   in Loop: Header=BB198_18 Depth=1
	v_readlane_b32 s6, v49, 55
	v_readlane_b32 s7, v49, 56
	s_mov_b64 s[8:9], 0
	v_mov_b32_e32 v5, v16
	s_nop 2
	global_load_ushort v2, v15, s[6:7]
	s_waitcnt vmcnt(0)
	v_and_b32_e32 v6, 0xffff, v2
	v_lshlrev_b32_e32 v7, 2, v6
	v_pk_mov_b32 v[2:3], v[0:1], v[0:1] op_sel:[0,1]
	s_branch .LBB198_41
.LBB198_40:                             ;   in Loop: Header=BB198_41 Depth=2
	s_or_b64 exec, exec, s[10:11]
	s_and_b64 s[6:7], exec, vcc
	s_or_b64 s[8:9], s[6:7], s[8:9]
	ds_write_b32 v5, v4
	v_add_u32_e32 v5, v5, v7
	s_waitcnt vmcnt(0)
	v_mov_b32_e32 v4, v8
	s_andn2_b64 exec, exec, s[8:9]
	s_cbranch_execz .LBB198_43
.LBB198_41:                             ;   Parent Loop BB198_18 Depth=1
                                        ; =>  This Inner Loop Header: Depth=2
	v_add_co_u32_e32 v2, vcc, v2, v6
	v_addc_co_u32_e32 v3, vcc, 0, v3, vcc
	v_cmp_gt_u64_e64 s[6:7], s[60:61], v[2:3]
	v_cmp_le_u64_e32 vcc, s[60:61], v[2:3]
	v_mov_b32_e32 v8, 0
	s_and_saveexec_b64 s[10:11], s[6:7]
	s_cbranch_execz .LBB198_40
; %bb.42:                               ;   in Loop: Header=BB198_41 Depth=2
	v_mul_lo_u32 v14, v3, s58
	v_mul_lo_u32 v19, v2, s59
	v_mad_u64_u32 v[8:9], s[6:7], v2, s58, 0
	v_add3_u32 v9, v9, v19, v14
	v_lshlrev_b64 v[8:9], 2, v[8:9]
	v_mov_b32_e32 v14, s88
	v_add_co_u32_e64 v8, s[6:7], s33, v8
	v_addc_co_u32_e64 v9, s[6:7], v14, v9, s[6:7]
	global_load_dword v8, v[8:9], off
	s_branch .LBB198_40
.LBB198_43:                             ;   in Loop: Header=BB198_18 Depth=1
	s_or_b64 exec, exec, s[2:3]
	s_waitcnt lgkmcnt(0)
	s_barrier
	s_mov_b64 s[2:3], exec
	v_readlane_b32 s6, v49, 32
	v_readlane_b32 s7, v49, 33
	s_and_b64 s[6:7], s[2:3], s[6:7]
	s_mov_b64 exec, s[6:7]
	s_cbranch_execz .LBB198_45
; %bb.44:                               ;   in Loop: Header=BB198_18 Depth=1
	v_pk_mov_b32 v[2:3], s[60:61], s[60:61] op_sel:[0,1]
	ds_write_b64 v15, v[2:3] offset:5120
.LBB198_45:                             ;   in Loop: Header=BB198_18 Depth=1
	s_or_b64 exec, exec, s[2:3]
	s_mov_b64 s[2:3], -1
	s_waitcnt lgkmcnt(0)
	s_barrier
                                        ; implicit-def: $sgpr8_sgpr9
.LBB198_46:                             ;   in Loop: Header=BB198_18 Depth=1
	s_and_b64 vcc, exec, s[2:3]
	s_cbranch_vccz .LBB198_48
; %bb.47:                               ;   in Loop: Header=BB198_18 Depth=1
	ds_read_b64 v[2:3], v15 offset:5120
	s_waitcnt lgkmcnt(0)
	v_readfirstlane_b32 s8, v2
.LBB198_48:                             ;   in Loop: Header=BB198_18 Depth=1
	s_cmp_lt_i32 s8, 1
	s_cbranch_scc0 .LBB198_63
; %bb.49:                               ;   in Loop: Header=BB198_18 Depth=1
	v_readlane_b32 s2, v49, 55
	v_readlane_b32 s3, v49, 56
	s_nop 4
	global_load_ushort v19, v15, s[2:3]
	s_mov_b32 s2, s91
	s_waitcnt vmcnt(0)
	v_readfirstlane_b32 s3, v19
	s_and_b32 s3, 0xffff, s3
	s_lshl_b32 s9, s3, 2
	s_mov_b32 s3, s61
	s_cmp_lg_u64 s[2:3], 0
	s_cbranch_scc0 .LBB198_83
; %bb.50:                               ;   in Loop: Header=BB198_18 Depth=1
	v_cvt_f32_u32_e32 v2, s9
	s_sub_u32 s2, 0, s9
	s_subb_u32 s3, 0, 0
	v_mac_f32_e32 v2, 0, v36
	v_rcp_f32_e32 v2, v2
	v_mul_f32_e32 v2, 0x5f7ffffc, v2
	v_mul_f32_e32 v3, 0x2f800000, v2
	v_trunc_f32_e32 v3, v3
	v_mac_f32_e32 v2, 0xcf800000, v3
	v_cvt_u32_f32_e32 v3, v3
	v_cvt_u32_f32_e32 v2, v2
	v_readfirstlane_b32 s6, v3
	v_readfirstlane_b32 s7, v2
	s_mul_i32 s10, s2, s6
	s_mul_hi_u32 s12, s2, s7
	s_mul_i32 s11, s3, s7
	s_add_i32 s10, s12, s10
	s_mul_i32 s13, s2, s7
	s_add_i32 s10, s10, s11
	s_mul_hi_u32 s12, s7, s13
	s_mul_hi_u32 s11, s7, s10
	s_mul_i32 s7, s7, s10
	s_add_u32 s7, s12, s7
	s_addc_u32 s11, 0, s11
	s_mul_hi_u32 s14, s6, s13
	s_mul_i32 s13, s6, s13
	s_add_u32 s7, s7, s13
	s_mul_hi_u32 s12, s6, s10
	s_addc_u32 s7, s11, s14
	s_addc_u32 s11, s12, 0
	s_mul_i32 s10, s6, s10
	s_add_u32 s7, s7, s10
	s_addc_u32 s10, 0, s11
	v_add_co_u32_e32 v2, vcc, s7, v2
	s_cmp_lg_u64 vcc, 0
	s_addc_u32 s6, s6, s10
	v_readfirstlane_b32 s10, v2
	s_mul_i32 s7, s2, s6
	s_mul_hi_u32 s11, s2, s10
	s_add_i32 s7, s11, s7
	s_mul_i32 s3, s3, s10
	s_add_i32 s7, s7, s3
	s_mul_i32 s2, s2, s10
	s_mul_hi_u32 s11, s6, s2
	s_mul_i32 s12, s6, s2
	s_mul_i32 s14, s10, s7
	s_mul_hi_u32 s2, s10, s2
	s_mul_hi_u32 s13, s10, s7
	s_add_u32 s2, s2, s14
	s_addc_u32 s10, 0, s13
	s_add_u32 s2, s2, s12
	s_mul_hi_u32 s3, s6, s7
	s_addc_u32 s2, s10, s11
	s_addc_u32 s3, s3, 0
	s_mul_i32 s7, s6, s7
	s_add_u32 s2, s2, s7
	s_addc_u32 s3, 0, s3
	v_add_co_u32_e32 v2, vcc, s2, v2
	s_cmp_lg_u64 vcc, 0
	s_addc_u32 s2, s6, s3
	v_readfirstlane_b32 s7, v2
	s_mul_i32 s6, s60, s2
	s_mul_hi_u32 s10, s60, s7
	s_mul_hi_u32 s3, s60, s2
	s_add_u32 s6, s10, s6
	s_addc_u32 s3, 0, s3
	s_mul_hi_u32 s11, s61, s7
	s_mul_i32 s7, s61, s7
	s_add_u32 s6, s6, s7
	s_mul_hi_u32 s10, s61, s2
	s_addc_u32 s3, s3, s11
	s_addc_u32 s6, s10, 0
	s_mul_i32 s2, s61, s2
	s_add_u32 s2, s3, s2
	s_addc_u32 s3, 0, s6
	s_mul_hi_u32 s6, s9, s2
	s_mul_i32 s2, s9, s2
	s_mul_i32 s3, s9, s3
	v_mov_b32_e32 v2, s2
	s_add_i32 s6, s6, s3
	v_sub_co_u32_e32 v2, vcc, s60, v2
	s_cmp_lg_u64 vcc, 0
	s_subb_u32 s2, s61, s6
	v_subrev_co_u32_e32 v3, vcc, s9, v2
	s_cmp_lg_u64 vcc, 0
	s_subb_u32 s3, s2, 0
	v_subrev_co_u32_e32 v4, vcc, s9, v3
	s_cmp_lg_u64 vcc, 0
	s_subb_u32 s6, s3, 0
	v_cmp_le_u32_e32 vcc, s9, v3
	s_cmp_eq_u32 s3, 0
	v_cndmask_b32_e64 v5, 0, -1, vcc
	s_cselect_b64 vcc, -1, 0
	v_cndmask_b32_e32 v5, -1, v5, vcc
	v_mov_b32_e32 v6, s3
	v_mov_b32_e32 v7, s6
	v_cmp_ne_u32_e32 vcc, 0, v5
	v_cndmask_b32_e32 v5, v6, v7, vcc
	v_cndmask_b32_e32 v4, v3, v4, vcc
	v_cmp_le_u32_e32 vcc, s9, v2
	s_cmp_eq_u32 s2, 0
	v_cndmask_b32_e64 v3, 0, -1, vcc
	s_cselect_b64 vcc, -1, 0
	v_cndmask_b32_e32 v3, -1, v3, vcc
	v_mov_b32_e32 v6, s2
	v_cmp_ne_u32_e32 vcc, 0, v3
	v_cndmask_b32_e32 v3, v6, v5, vcc
	v_cndmask_b32_e32 v2, v2, v4, vcc
	s_cbranch_execnz .LBB198_52
.LBB198_51:                             ;   in Loop: Header=BB198_18 Depth=1
	v_cvt_f32_u32_e32 v2, s9
	s_sub_i32 s2, 0, s9
	v_rcp_iflag_f32_e32 v2, v2
	v_mul_f32_e32 v2, 0x4f7ffffe, v2
	v_cvt_u32_f32_e32 v2, v2
	v_mul_lo_u32 v3, s2, v2
	v_mul_hi_u32 v3, v2, v3
	v_add_u32_e32 v2, v2, v3
	v_mul_hi_u32 v2, s60, v2
	v_mul_lo_u32 v2, v2, s9
	v_sub_u32_e32 v2, s60, v2
	v_subrev_u32_e32 v3, s9, v2
	v_cmp_le_u32_e32 vcc, s9, v2
	v_cndmask_b32_e32 v2, v2, v3, vcc
	v_subrev_u32_e32 v3, s9, v2
	v_cmp_le_u32_e32 vcc, s9, v2
	v_cndmask_b32_e32 v14, v2, v3, vcc
	v_pk_mov_b32 v[2:3], v[14:15], v[14:15] op_sel:[0,1]
.LBB198_52:                             ;   in Loop: Header=BB198_18 Depth=1
	v_mov_b32_e32 v4, s61
	v_sub_co_u32_e32 v24, vcc, s60, v2
	v_subb_co_u32_e32 v25, vcc, v4, v3, vcc
	v_pk_mov_b32 v[2:3], 0, 0
	v_cmp_gt_u64_e32 vcc, v[24:25], v[16:17]
	s_mov_b64 s[54:55], 0
	v_pk_mov_b32 v[4:5], v[2:3], v[2:3] op_sel:[0,1]
	v_pk_mov_b32 v[6:7], v[2:3], v[2:3] op_sel:[0,1]
	;; [unrolled: 1-line block ×3, first 2 shown]
	s_and_saveexec_b64 s[10:11], vcc
	s_cbranch_execz .LBB198_56
; %bb.53:                               ;   in Loop: Header=BB198_18 Depth=1
	s_and_b32 s72, s75, 0xfe
	s_mov_b64 s[56:57], 0
	s_mov_b64 s[94:95], 0
	;; [unrolled: 1-line block ×4, first 2 shown]
	v_pk_mov_b32 v[26:27], v[16:17], v[16:17] op_sel:[0,1]
.LBB198_54:                             ;   Parent Loop BB198_18 Depth=1
                                        ; =>  This Inner Loop Header: Depth=2
	v_mul_lo_u32 v4, v27, s58
	v_mul_lo_u32 v5, v26, s59
	v_mad_u64_u32 v[2:3], s[6:7], v26, s58, 0
	v_add3_u32 v3, v3, v5, v4
	v_lshlrev_b64 v[2:3], 2, v[2:3]
	v_mov_b32_e32 v6, s88
	v_add_co_u32_e64 v2, s[6:7], s33, v2
	s_lshl_b64 s[14:15], s[58:59], 2
	v_addc_co_u32_e64 v3, s[6:7], v6, v3, s[6:7]
	v_mov_b32_e32 v4, s15
	global_load_dword v5, v[2:3], off
	v_add_co_u32_e64 v2, s[6:7], s14, v2
	v_addc_co_u32_e64 v3, s[6:7], v3, v4, s[6:7]
	global_load_dword v6, v[2:3], off
	v_add_co_u32_e64 v2, s[6:7], s14, v2
	v_addc_co_u32_e64 v3, s[6:7], v3, v4, s[6:7]
	;; [unrolled: 3-line block ×3, first 2 shown]
	global_load_dword v2, v[2:3], off
	v_add_co_u32_e32 v26, vcc, s9, v26
	v_addc_co_u32_e32 v27, vcc, 0, v27, vcc
	v_cmp_ge_u64_e32 vcc, v[26:27], v[24:25]
	s_waitcnt vmcnt(3)
	v_cmp_lt_i32_e64 s[6:7], -1, v5
	v_cndmask_b32_e64 v3, -1, v35, s[6:7]
	v_xor_b32_e32 v3, v3, v5
	s_waitcnt vmcnt(2)
	v_cmp_lt_i32_e64 s[6:7], -1, v6
	v_cndmask_b32_e64 v4, -1, v35, s[6:7]
	v_cmp_o_f32_e64 s[6:7], v5, v5
	v_cndmask_b32_e64 v3, -1, v3, s[6:7]
	v_xor_b32_e32 v4, v4, v6
	s_waitcnt vmcnt(1)
	v_cmp_lt_i32_e64 s[6:7], -1, v7
	v_cndmask_b32_e64 v5, -1, v35, s[6:7]
	v_cmp_o_f32_e64 s[6:7], v6, v6
	v_cndmask_b32_e64 v4, -1, v4, s[6:7]
	v_xor_b32_e32 v5, v5, v7
	s_waitcnt vmcnt(0)
	v_cmp_lt_i32_e64 s[6:7], -1, v2
	v_cndmask_b32_e64 v6, -1, v35, s[6:7]
	v_and_b32_e32 v8, v3, v37
	v_bfe_u32 v3, v3, s72, 2
	v_cmp_o_f32_e64 s[6:7], v7, v7
	v_cndmask_b32_e64 v5, -1, v5, s[6:7]
	v_xor_b32_e32 v6, v6, v2
	v_cmp_eq_u32_e64 s[14:15], v8, v38
	v_and_b32_e32 v7, v4, v37
	v_bfe_u32 v4, v4, s72, 2
	v_cmp_eq_u32_e64 s[6:7], 0, v3
	v_cmp_o_f32_e64 s[16:17], v2, v2
	v_cndmask_b32_e64 v2, -1, v6, s[16:17]
	v_cmp_eq_u32_e64 s[16:17], v7, v38
	v_cmp_eq_u32_e64 s[26:27], 0, v4
	s_and_b64 s[6:7], s[14:15], s[6:7]
	v_cmp_eq_u32_e64 s[34:35], 1, v3
	v_cmp_eq_u32_e64 s[36:37], 2, v3
	;; [unrolled: 1-line block ×3, first 2 shown]
	v_and_b32_e32 v3, v5, v37
	v_bfe_u32 v5, v5, s72, 2
	v_cmp_eq_u32_e64 s[38:39], 1, v4
	v_cmp_eq_u32_e64 s[40:41], 2, v4
	;; [unrolled: 1-line block ×3, first 2 shown]
	v_cndmask_b32_e64 v4, 0, 1, s[6:7]
	s_and_b64 s[26:27], s[16:17], s[26:27]
	v_cmp_eq_u32_e64 s[22:23], v3, v38
	v_and_b32_e32 v3, v2, v37
	v_bfe_u32 v2, v2, s72, 2
	v_cmp_eq_u32_e64 s[6:7], 0, v5
	v_cmp_ne_u32_e64 s[46:47], 0, v4
	v_cndmask_b32_e64 v4, 0, 1, s[26:27]
	v_cmp_eq_u32_e64 s[26:27], v3, v38
	v_cmp_eq_u32_e64 s[48:49], 0, v2
	s_bcnt1_i32_b64 s90, s[46:47]
	v_cmp_ne_u32_e64 s[46:47], 0, v4
	s_and_b64 s[6:7], s[22:23], s[6:7]
	v_cmp_eq_u32_e64 s[50:51], 1, v2
	v_cmp_eq_u32_e64 s[52:53], 2, v2
	;; [unrolled: 1-line block ×3, first 2 shown]
	v_cndmask_b32_e64 v2, 0, 1, s[6:7]
	s_bcnt1_i32_b64 s92, s[46:47]
	s_and_b64 s[46:47], s[26:27], s[48:49]
	v_cmp_ne_u32_e64 s[6:7], 0, v2
	v_cndmask_b32_e64 v2, 0, 1, s[46:47]
	s_bcnt1_i32_b64 s46, s[6:7]
	v_cmp_ne_u32_e64 s[6:7], 0, v2
	s_bcnt1_i32_b64 s6, s[6:7]
	s_add_u32 s7, s90, s12
	s_addc_u32 s12, 0, s13
	s_add_u32 s7, s7, s92
	s_addc_u32 s12, s12, 0
	;; [unrolled: 2-line block ×4, first 2 shown]
	s_and_b64 s[6:7], s[14:15], s[34:35]
	v_cmp_eq_u32_e64 s[42:43], 1, v5
	v_cndmask_b32_e64 v4, 0, 1, s[6:7]
	s_and_b64 s[6:7], s[16:17], s[38:39]
	v_cmp_eq_u32_e64 s[44:45], 2, v5
	v_cmp_eq_u32_e64 s[24:25], 3, v5
	v_cndmask_b32_e64 v5, 0, 1, s[6:7]
	s_and_b64 s[6:7], s[22:23], s[42:43]
	v_cndmask_b32_e64 v6, 0, 1, s[6:7]
	s_and_b64 s[6:7], s[26:27], s[50:51]
	v_cndmask_b32_e64 v7, 0, 1, s[6:7]
	v_cmp_ne_u32_e64 s[6:7], 0, v4
	v_cmp_ne_u32_e64 s[34:35], 0, v5
	;; [unrolled: 1-line block ×4, first 2 shown]
	s_bcnt1_i32_b64 s6, s[6:7]
	s_bcnt1_i32_b64 s7, s[34:35]
	;; [unrolled: 1-line block ×4, first 2 shown]
	s_add_u32 s2, s6, s2
	s_addc_u32 s3, 0, s3
	s_add_u32 s2, s2, s7
	s_addc_u32 s3, s3, 0
	;; [unrolled: 2-line block ×4, first 2 shown]
	s_and_b64 s[6:7], s[14:15], s[36:37]
	v_cndmask_b32_e64 v6, 0, 1, s[6:7]
	s_and_b64 s[6:7], s[16:17], s[40:41]
	v_cndmask_b32_e64 v7, 0, 1, s[6:7]
	;; [unrolled: 2-line block ×4, first 2 shown]
	v_cmp_ne_u32_e64 s[6:7], 0, v6
	v_cmp_ne_u32_e64 s[34:35], 0, v7
	;; [unrolled: 1-line block ×4, first 2 shown]
	s_bcnt1_i32_b64 s6, s[6:7]
	s_bcnt1_i32_b64 s7, s[34:35]
	s_bcnt1_i32_b64 s34, s[36:37]
	s_bcnt1_i32_b64 s35, s[38:39]
	s_add_u32 s6, s6, s94
	s_addc_u32 s36, 0, s95
	s_add_u32 s6, s6, s7
	s_addc_u32 s7, s36, 0
	;; [unrolled: 2-line block ×4, first 2 shown]
	s_and_b64 s[6:7], s[14:15], s[18:19]
	v_cndmask_b32_e64 v8, 0, 1, s[6:7]
	s_and_b64 s[6:7], s[16:17], s[20:21]
	v_cndmask_b32_e64 v9, 0, 1, s[6:7]
	;; [unrolled: 2-line block ×4, first 2 shown]
	v_cmp_ne_u32_e64 s[6:7], 0, v8
	v_cmp_ne_u32_e64 s[14:15], 0, v9
	;; [unrolled: 1-line block ×4, first 2 shown]
	s_bcnt1_i32_b64 s6, s[6:7]
	s_bcnt1_i32_b64 s7, s[14:15]
	s_bcnt1_i32_b64 s14, s[16:17]
	s_bcnt1_i32_b64 s15, s[18:19]
	s_add_u32 s6, s6, s56
	s_addc_u32 s16, 0, s57
	s_add_u32 s6, s6, s7
	s_addc_u32 s7, s16, 0
	;; [unrolled: 2-line block ×4, first 2 shown]
	v_pk_mov_b32 v[2:3], s[12:13], s[12:13] op_sel:[0,1]
	v_pk_mov_b32 v[4:5], s[2:3], s[2:3] op_sel:[0,1]
	;; [unrolled: 1-line block ×3, first 2 shown]
	s_or_b64 s[54:55], vcc, s[54:55]
	v_pk_mov_b32 v[8:9], s[56:57], s[56:57] op_sel:[0,1]
	s_andn2_b64 exec, exec, s[54:55]
	s_cbranch_execnz .LBB198_54
; %bb.55:                               ;   in Loop: Header=BB198_18 Depth=1
	s_or_b64 exec, exec, s[54:55]
.LBB198_56:                             ;   in Loop: Header=BB198_18 Depth=1
	s_or_b64 exec, exec, s[10:11]
	v_add_co_u32_e32 v24, vcc, v24, v0
	v_addc_co_u32_e32 v25, vcc, 0, v25, vcc
	v_cmp_gt_u64_e32 vcc, s[60:61], v[24:25]
	v_mov_b32_e32 v14, 0
	s_and_saveexec_b64 s[2:3], vcc
	s_cbranch_execz .LBB198_58
; %bb.57:                               ;   in Loop: Header=BB198_18 Depth=1
	v_mul_lo_u32 v14, v25, s58
	v_mul_lo_u32 v20, v24, s59
	v_mad_u64_u32 v[26:27], s[6:7], v24, s58, 0
	v_add3_u32 v27, v27, v20, v14
	v_lshlrev_b64 v[26:27], 2, v[26:27]
	v_mov_b32_e32 v14, s88
	v_add_co_u32_e64 v26, s[6:7], s33, v26
	v_addc_co_u32_e64 v27, s[6:7], v14, v27, s[6:7]
	global_load_dword v14, v[26:27], off
.LBB198_58:                             ;   in Loop: Header=BB198_18 Depth=1
	s_or_b64 exec, exec, s[2:3]
	s_and_saveexec_b64 s[2:3], vcc
	s_cbranch_execz .LBB198_65
; %bb.59:                               ;   in Loop: Header=BB198_18 Depth=1
	s_and_b32 s9, s75, 0xfe
	s_mov_b64 s[10:11], 0
	s_branch .LBB198_61
.LBB198_60:                             ;   in Loop: Header=BB198_61 Depth=2
	s_or_b64 exec, exec, s[12:13]
	s_and_b64 s[6:7], exec, vcc
	s_waitcnt vmcnt(0)
	v_cmp_lt_i32_e32 vcc, -1, v14
	v_cndmask_b32_e32 v26, -1, v35, vcc
	v_xor_b32_e32 v26, v26, v14
	v_cmp_o_f32_e32 vcc, v14, v14
	v_cndmask_b32_e32 v14, -1, v26, vcc
	v_and_b32_e32 v26, v14, v37
	v_bfe_u32 v14, v14, s9, 2
	s_or_b64 s[10:11], s[6:7], s[10:11]
	v_cmp_eq_u32_e32 vcc, v26, v38
	v_cmp_eq_u32_e64 s[6:7], 0, v14
	s_and_b64 s[6:7], vcc, s[6:7]
	v_cndmask_b32_e64 v26, 0, 1, s[6:7]
	v_cmp_ne_u32_e64 s[6:7], 0, v26
	s_bcnt1_i32_b64 s6, s[6:7]
	v_add_co_u32_e64 v2, s[6:7], s6, v2
	v_addc_co_u32_e64 v3, s[6:7], 0, v3, s[6:7]
	v_cmp_eq_u32_e64 s[6:7], 1, v14
	s_and_b64 s[6:7], vcc, s[6:7]
	v_cndmask_b32_e64 v26, 0, 1, s[6:7]
	v_cmp_ne_u32_e64 s[6:7], 0, v26
	s_bcnt1_i32_b64 s6, s[6:7]
	v_add_co_u32_e64 v4, s[6:7], s6, v4
	v_addc_co_u32_e64 v5, s[6:7], 0, v5, s[6:7]
	;; [unrolled: 7-line block ×3, first 2 shown]
	v_cmp_eq_u32_e64 s[6:7], 3, v14
	s_and_b64 s[6:7], vcc, s[6:7]
	v_cndmask_b32_e64 v14, 0, 1, s[6:7]
	v_cmp_ne_u32_e32 vcc, 0, v14
	s_bcnt1_i32_b64 s6, vcc
	v_add_co_u32_e32 v8, vcc, s6, v8
	v_addc_co_u32_e32 v9, vcc, 0, v9, vcc
	v_mov_b32_e32 v14, v20
	s_andn2_b64 exec, exec, s[10:11]
	s_cbranch_execz .LBB198_64
.LBB198_61:                             ;   Parent Loop BB198_18 Depth=1
                                        ; =>  This Inner Loop Header: Depth=2
	v_add_co_u32_sdwa v24, vcc, v24, v19 dst_sel:DWORD dst_unused:UNUSED_PAD src0_sel:DWORD src1_sel:WORD_0
	v_addc_co_u32_e32 v25, vcc, 0, v25, vcc
	v_cmp_gt_u64_e64 s[6:7], s[60:61], v[24:25]
	v_cmp_le_u64_e32 vcc, s[60:61], v[24:25]
	v_mov_b32_e32 v20, 0
	s_and_saveexec_b64 s[12:13], s[6:7]
	s_cbranch_execz .LBB198_60
; %bb.62:                               ;   in Loop: Header=BB198_61 Depth=2
	v_mul_lo_u32 v20, v25, s58
	v_mul_lo_u32 v39, v24, s59
	v_mad_u64_u32 v[26:27], s[6:7], v24, s58, 0
	v_add3_u32 v27, v27, v39, v20
	v_lshlrev_b64 v[26:27], 2, v[26:27]
	v_mov_b32_e32 v20, s88
	v_add_co_u32_e64 v26, s[6:7], s33, v26
	v_addc_co_u32_e64 v27, s[6:7], v20, v27, s[6:7]
	global_load_dword v20, v[26:27], off
	s_branch .LBB198_60
.LBB198_63:                             ;   in Loop: Header=BB198_18 Depth=1
                                        ; implicit-def: $vgpr8_vgpr9
                                        ; implicit-def: $vgpr4_vgpr5
	s_cbranch_execnz .LBB198_66
	s_branch .LBB198_75
.LBB198_64:                             ;   in Loop: Header=BB198_18 Depth=1
	s_or_b64 exec, exec, s[10:11]
.LBB198_65:                             ;   in Loop: Header=BB198_18 Depth=1
	s_or_b64 exec, exec, s[2:3]
	s_branch .LBB198_75
.LBB198_66:                             ;   in Loop: Header=BB198_18 Depth=1
	v_readlane_b32 s2, v49, 55
	v_readlane_b32 s3, v49, 56
	s_nop 4
	global_load_ushort v8, v15, s[2:3]
	s_waitcnt vmcnt(0)
	v_readfirstlane_b32 s2, v8
	s_and_b32 s2, 0xffff, s2
	s_lshl_b32 s72, s2, 2
	v_cvt_f32_u32_e32 v2, s72
	s_sub_i32 s6, 0, s72
	s_mov_b64 s[2:3], 0
	v_and_b32_e32 v19, 0xffff, v8
	v_rcp_iflag_f32_e32 v6, v2
	v_pk_mov_b32 v[2:3], 0, 0
	v_pk_mov_b32 v[4:5], v[2:3], v[2:3] op_sel:[0,1]
	v_mul_f32_e32 v6, 0x4f7ffffe, v6
	v_cvt_u32_f32_e32 v9, v6
	v_pk_mov_b32 v[6:7], v[2:3], v[2:3] op_sel:[0,1]
	v_readfirstlane_b32 s7, v9
	s_mul_i32 s6, s6, s7
	s_mul_hi_u32 s6, s7, s6
	s_add_i32 s7, s7, s6
	s_mul_hi_u32 s6, s8, s7
	s_mul_i32 s6, s6, s72
	s_sub_i32 s6, s8, s6
	s_sub_i32 s7, s6, s72
	s_cmp_ge_u32 s6, s72
	s_cselect_b32 s6, s7, s6
	s_sub_i32 s7, s6, s72
	s_cmp_ge_u32 s6, s72
	s_cselect_b32 s6, s7, s6
	s_sub_i32 s90, s8, s6
	v_cmp_gt_u32_e32 vcc, s90, v16
	v_pk_mov_b32 v[8:9], v[2:3], v[2:3] op_sel:[0,1]
	s_and_saveexec_b64 s[10:11], vcc
	s_cbranch_execz .LBB198_70
; %bb.67:                               ;   in Loop: Header=BB198_18 Depth=1
	s_and_b32 s9, s75, 0xfe
	v_lshlrev_b32_e32 v14, 4, v19
	v_mov_b32_e32 v20, v33
	s_mov_b64 s[12:13], 0
	s_mov_b64 s[56:57], 0
	;; [unrolled: 1-line block ×4, first 2 shown]
	v_pk_mov_b32 v[24:25], v[16:17], v[16:17] op_sel:[0,1]
.LBB198_68:                             ;   Parent Loop BB198_18 Depth=1
                                        ; =>  This Inner Loop Header: Depth=2
	ds_read_b128 v[2:5], v20
	v_add_co_u32_e32 v24, vcc, s72, v24
	v_addc_co_u32_e32 v25, vcc, 0, v25, vcc
	s_waitcnt lgkmcnt(0)
	v_cmp_lt_i32_e64 s[6:7], -1, v2
	v_cndmask_b32_e64 v6, -1, v35, s[6:7]
	v_cmp_lt_i32_e64 s[6:7], -1, v3
	v_cndmask_b32_e64 v7, -1, v35, s[6:7]
	;; [unrolled: 2-line block ×4, first 2 shown]
	v_xor_b32_e32 v7, v7, v3
	v_cmp_o_f32_e64 s[6:7], v3, v3
	v_xor_b32_e32 v3, v8, v4
	v_cmp_o_f32_e64 s[14:15], v4, v4
	v_xor_b32_e32 v4, v9, v5
	v_cmp_o_f32_e64 s[16:17], v5, v5
	v_xor_b32_e32 v5, v6, v2
	v_cmp_o_f32_e64 s[18:19], v2, v2
	v_cndmask_b32_e64 v2, -1, v5, s[18:19]
	v_cndmask_b32_e64 v5, -1, v7, s[6:7]
	v_and_b32_e32 v6, v2, v37
	v_bfe_u32 v2, v2, s9, 2
	v_cndmask_b32_e64 v3, -1, v3, s[14:15]
	v_and_b32_e32 v7, v5, v37
	v_bfe_u32 v5, v5, s9, 2
	v_cmp_eq_u32_e64 s[20:21], v6, v38
	v_cmp_eq_u32_e64 s[6:7], 0, v2
	v_cndmask_b32_e64 v4, -1, v4, s[16:17]
	v_and_b32_e32 v8, v3, v37
	v_bfe_u32 v3, v3, s9, 2
	v_cmp_eq_u32_e64 s[18:19], v7, v38
	v_cmp_eq_u32_e64 s[34:35], 0, v5
	s_and_b64 s[6:7], s[20:21], s[6:7]
	v_and_b32_e32 v9, v4, v37
	v_bfe_u32 v4, v4, s9, 2
	v_cmp_eq_u32_e64 s[16:17], v8, v38
	v_cmp_eq_u32_e64 s[36:37], 0, v3
	;; [unrolled: 1-line block ×5, first 2 shown]
	v_cndmask_b32_e64 v2, 0, 1, s[6:7]
	s_and_b64 s[6:7], s[18:19], s[34:35]
	v_cmp_eq_u32_e64 s[14:15], v9, v38
	v_cmp_eq_u32_e64 s[38:39], 0, v4
	;; [unrolled: 1-line block ×5, first 2 shown]
	v_cndmask_b32_e64 v3, 0, 1, s[6:7]
	s_and_b64 s[6:7], s[16:17], s[36:37]
	v_cmp_eq_u32_e64 s[46:47], 1, v4
	v_cmp_eq_u32_e64 s[54:55], 2, v4
	;; [unrolled: 1-line block ×3, first 2 shown]
	v_cndmask_b32_e64 v4, 0, 1, s[6:7]
	s_and_b64 s[6:7], s[14:15], s[38:39]
	v_cmp_eq_u32_e64 s[42:43], 1, v5
	v_cmp_eq_u32_e64 s[50:51], 2, v5
	;; [unrolled: 1-line block ×3, first 2 shown]
	v_cndmask_b32_e64 v5, 0, 1, s[6:7]
	v_cmp_ne_u32_e64 s[6:7], 0, v2
	v_cmp_ne_u32_e64 s[34:35], 0, v3
	v_cmp_ne_u32_e64 s[36:37], 0, v4
	v_cmp_ne_u32_e64 s[38:39], 0, v5
	s_bcnt1_i32_b64 s6, s[6:7]
	s_bcnt1_i32_b64 s7, s[34:35]
	s_bcnt1_i32_b64 s34, s[36:37]
	s_bcnt1_i32_b64 s35, s[38:39]
	s_add_u32 s6, s6, s92
	s_addc_u32 s36, 0, s93
	s_add_u32 s6, s6, s7
	s_addc_u32 s7, s36, 0
	s_add_u32 s6, s6, s34
	s_addc_u32 s7, s7, 0
	s_add_u32 s92, s6, s35
	s_addc_u32 s93, s7, 0
	s_and_b64 s[6:7], s[20:21], s[40:41]
	v_cndmask_b32_e64 v4, 0, 1, s[6:7]
	s_and_b64 s[6:7], s[18:19], s[42:43]
	v_cndmask_b32_e64 v5, 0, 1, s[6:7]
	s_and_b64 s[6:7], s[16:17], s[44:45]
	v_cndmask_b32_e64 v6, 0, 1, s[6:7]
	s_and_b64 s[6:7], s[14:15], s[46:47]
	v_cndmask_b32_e64 v7, 0, 1, s[6:7]
	v_cmp_ne_u32_e64 s[6:7], 0, v4
	v_cmp_ne_u32_e64 s[34:35], 0, v5
	v_cmp_ne_u32_e64 s[36:37], 0, v6
	v_cmp_ne_u32_e64 s[38:39], 0, v7
	s_bcnt1_i32_b64 s6, s[6:7]
	s_bcnt1_i32_b64 s7, s[34:35]
	s_bcnt1_i32_b64 s34, s[36:37]
	s_bcnt1_i32_b64 s35, s[38:39]
	s_add_u32 s6, s6, s94
	s_addc_u32 s36, 0, s95
	s_add_u32 s6, s6, s7
	s_addc_u32 s7, s36, 0
	s_add_u32 s6, s6, s34
	s_addc_u32 s7, s7, 0
	s_add_u32 s94, s6, s35
	s_addc_u32 s95, s7, 0
	s_and_b64 s[6:7], s[20:21], s[48:49]
	v_cndmask_b32_e64 v6, 0, 1, s[6:7]
	s_and_b64 s[6:7], s[18:19], s[50:51]
	v_cndmask_b32_e64 v7, 0, 1, s[6:7]
	s_and_b64 s[6:7], s[16:17], s[52:53]
	v_cndmask_b32_e64 v8, 0, 1, s[6:7]
	s_and_b64 s[6:7], s[14:15], s[54:55]
	v_cndmask_b32_e64 v9, 0, 1, s[6:7]
	v_cmp_ne_u32_e64 s[6:7], 0, v6
	v_cmp_ne_u32_e64 s[34:35], 0, v7
	v_cmp_ne_u32_e64 s[36:37], 0, v8
	v_cmp_ne_u32_e64 s[38:39], 0, v9
	s_bcnt1_i32_b64 s6, s[6:7]
	s_bcnt1_i32_b64 s7, s[34:35]
	s_bcnt1_i32_b64 s34, s[36:37]
	s_bcnt1_i32_b64 s35, s[38:39]
	s_add_u32 s6, s6, s56
	s_addc_u32 s36, 0, s57
	s_add_u32 s6, s6, s7
	s_addc_u32 s7, s36, 0
	s_add_u32 s6, s6, s34
	s_addc_u32 s7, s7, 0
	s_add_u32 s56, s6, s35
	s_addc_u32 s57, s7, 0
	s_and_b64 s[6:7], s[20:21], s[28:29]
	v_cndmask_b32_e64 v8, 0, 1, s[6:7]
	s_and_b64 s[6:7], s[18:19], s[26:27]
	v_cndmask_b32_e64 v9, 0, 1, s[6:7]
	s_and_b64 s[6:7], s[16:17], s[24:25]
	v_cndmask_b32_e64 v26, 0, 1, s[6:7]
	s_and_b64 s[6:7], s[14:15], s[22:23]
	v_cndmask_b32_e64 v27, 0, 1, s[6:7]
	v_cmp_ne_u32_e64 s[6:7], 0, v8
	v_cmp_ne_u32_e64 s[14:15], 0, v9
	;; [unrolled: 1-line block ×4, first 2 shown]
	s_bcnt1_i32_b64 s6, s[6:7]
	s_bcnt1_i32_b64 s7, s[14:15]
	;; [unrolled: 1-line block ×4, first 2 shown]
	s_add_u32 s6, s6, s12
	s_addc_u32 s12, 0, s13
	s_add_u32 s6, s6, s7
	s_addc_u32 s7, s12, 0
	;; [unrolled: 2-line block ×3, first 2 shown]
	s_add_u32 s12, s6, s15
	v_cmp_le_u64_e32 vcc, s[90:91], v[24:25]
	s_addc_u32 s13, s7, 0
	v_add_u32_e32 v20, v20, v14
	v_pk_mov_b32 v[2:3], s[92:93], s[92:93] op_sel:[0,1]
	v_pk_mov_b32 v[4:5], s[94:95], s[94:95] op_sel:[0,1]
	;; [unrolled: 1-line block ×3, first 2 shown]
	s_or_b64 s[2:3], vcc, s[2:3]
	v_pk_mov_b32 v[8:9], s[12:13], s[12:13] op_sel:[0,1]
	s_andn2_b64 exec, exec, s[2:3]
	s_cbranch_execnz .LBB198_68
; %bb.69:                               ;   in Loop: Header=BB198_18 Depth=1
	s_or_b64 exec, exec, s[2:3]
.LBB198_70:                             ;   in Loop: Header=BB198_18 Depth=1
	s_or_b64 exec, exec, s[10:11]
	v_add_u32_e32 v14, s90, v0
	v_cmp_gt_u32_e32 vcc, s8, v14
	s_and_saveexec_b64 s[2:3], vcc
	s_cbranch_execz .LBB198_74
; %bb.71:                               ;   in Loop: Header=BB198_18 Depth=1
	s_and_b32 s90, s8, 0x7fffffff
	s_and_b32 s10, s75, 0xfe
	v_lshlrev_b32_e32 v20, 2, v14
	s_mov_b64 s[8:9], 0
	v_pk_mov_b32 v[24:25], v[14:15], v[14:15] op_sel:[0,1]
.LBB198_72:                             ;   Parent Loop BB198_18 Depth=1
                                        ; =>  This Inner Loop Header: Depth=2
	ds_read_b32 v14, v20
	v_add_co_u32_e32 v24, vcc, v24, v19
	v_addc_co_u32_e32 v25, vcc, 0, v25, vcc
	s_waitcnt lgkmcnt(0)
	v_cmp_lt_i32_e64 s[6:7], -1, v14
	v_cndmask_b32_e64 v26, -1, v35, s[6:7]
	v_xor_b32_e32 v26, v26, v14
	v_cmp_o_f32_e64 s[6:7], v14, v14
	v_cndmask_b32_e64 v14, -1, v26, s[6:7]
	v_and_b32_e32 v26, v14, v37
	v_bfe_u32 v14, v14, s10, 2
	v_cmp_eq_u32_e64 s[6:7], v26, v38
	v_cmp_eq_u32_e64 s[14:15], 0, v14
	;; [unrolled: 1-line block ×3, first 2 shown]
	s_and_b64 s[12:13], s[6:7], s[14:15]
	v_cmp_eq_u32_e64 s[18:19], 2, v14
	v_cmp_eq_u32_e64 s[20:21], 3, v14
	v_cndmask_b32_e64 v14, 0, 1, s[12:13]
	s_and_b64 s[12:13], s[6:7], s[16:17]
	v_cndmask_b32_e64 v26, 0, 1, s[12:13]
	s_and_b64 s[12:13], s[6:7], s[18:19]
	s_and_b64 s[6:7], s[6:7], s[20:21]
	v_cndmask_b32_e64 v27, 0, 1, s[12:13]
	v_cndmask_b32_e64 v39, 0, 1, s[6:7]
	v_cmp_ne_u32_e64 s[6:7], 0, v14
	v_cmp_ne_u32_e64 s[14:15], 0, v26
	;; [unrolled: 1-line block ×4, first 2 shown]
	v_cmp_le_u64_e32 vcc, s[90:91], v[24:25]
	s_bcnt1_i32_b64 s6, s[6:7]
	s_bcnt1_i32_b64 s7, s[14:15]
	s_bcnt1_i32_b64 s11, s[16:17]
	s_bcnt1_i32_b64 s12, s[18:19]
	s_or_b64 s[8:9], vcc, s[8:9]
	v_add_co_u32_e32 v2, vcc, s6, v2
	v_addc_co_u32_e32 v3, vcc, 0, v3, vcc
	v_add_co_u32_e32 v4, vcc, s7, v4
	v_addc_co_u32_e32 v5, vcc, 0, v5, vcc
	;; [unrolled: 2-line block ×3, first 2 shown]
	v_add_co_u32_e32 v8, vcc, s12, v8
	v_add_u32_e32 v20, s72, v20
	v_addc_co_u32_e32 v9, vcc, 0, v9, vcc
	s_andn2_b64 exec, exec, s[8:9]
	s_cbranch_execnz .LBB198_72
; %bb.73:                               ;   in Loop: Header=BB198_18 Depth=1
	s_or_b64 exec, exec, s[8:9]
.LBB198_74:                             ;   in Loop: Header=BB198_18 Depth=1
	s_or_b64 exec, exec, s[2:3]
.LBB198_75:                             ;   in Loop: Header=BB198_18 Depth=1
	v_readlane_b32 s2, v49, 62
	s_lshl_b32 s6, s2, 6
	s_and_saveexec_b64 s[2:3], s[0:1]
	s_cbranch_execz .LBB198_77
; %bb.76:                               ;   in Loop: Header=BB198_18 Depth=1
	s_waitcnt vmcnt(0)
	v_or_b32_e32 v14, s6, v31
	v_lshlrev_b32_e32 v14, 3, v14
	ds_write_b128 v14, v[2:5] offset:3072
	ds_write_b128 v14, v[6:9] offset:3088
.LBB198_77:                             ;   in Loop: Header=BB198_18 Depth=1
	s_or_b64 exec, exec, s[2:3]
	s_waitcnt lgkmcnt(0)
	s_barrier
	s_mov_b64 s[2:3], exec
	v_readlane_b32 s8, v49, 42
	v_readlane_b32 s9, v49, 43
	s_and_b64 s[8:9], s[2:3], s[8:9]
	s_mov_b64 exec, s[8:9]
	s_cbranch_execz .LBB198_89
; %bb.78:                               ;   in Loop: Header=BB198_18 Depth=1
	v_readlane_b32 s8, v49, 50
	v_readlane_b32 s9, v49, 51
	s_andn2_b64 vcc, exec, s[8:9]
	v_pk_mov_b32 v[2:3], 0, 0
	s_cbranch_vccnz .LBB198_88
; %bb.79:                               ;   in Loop: Header=BB198_18 Depth=1
	v_readlane_b32 s8, v49, 57
	v_readlane_b32 s9, v49, 58
	s_andn2_b64 vcc, exec, s[8:9]
	s_cbranch_vccnz .LBB198_84
; %bb.80:                               ;   in Loop: Header=BB198_18 Depth=1
	v_readlane_b32 s7, v49, 62
	s_waitcnt vmcnt(0)
	v_lshl_add_u32 v4, s7, 9, v34
	s_mov_b32 s7, 0
	v_pk_mov_b32 v[2:3], 0, 0
.LBB198_81:                             ;   Parent Loop BB198_18 Depth=1
                                        ; =>  This Inner Loop Header: Depth=2
	ds_read2_b64 v[6:9], v4 offset1:4
	ds_read2_b64 v[24:27], v4 offset0:8 offset1:12
	ds_read2_b64 v[40:43], v4 offset0:16 offset1:20
	;; [unrolled: 1-line block ×3, first 2 shown]
	s_add_i32 s7, s7, 8
	s_waitcnt lgkmcnt(3)
	v_add_co_u32_e32 v2, vcc, v6, v2
	v_addc_co_u32_e32 v3, vcc, v7, v3, vcc
	v_add_co_u32_e32 v2, vcc, v8, v2
	v_addc_co_u32_e32 v3, vcc, v9, v3, vcc
	s_waitcnt lgkmcnt(2)
	v_add_co_u32_e32 v2, vcc, v24, v2
	v_addc_co_u32_e32 v3, vcc, v25, v3, vcc
	v_add_co_u32_e32 v2, vcc, v26, v2
	v_addc_co_u32_e32 v3, vcc, v27, v3, vcc
	;; [unrolled: 5-line block ×3, first 2 shown]
	s_waitcnt lgkmcnt(0)
	v_add_co_u32_e32 v2, vcc, v44, v2
	v_addc_co_u32_e32 v3, vcc, v45, v3, vcc
	v_add_co_u32_e32 v2, vcc, v46, v2
	v_add_u32_e32 v4, 0x100, v4
	s_cmp_eq_u32 s4, s7
	v_addc_co_u32_e32 v3, vcc, v47, v3, vcc
	s_cbranch_scc0 .LBB198_81
; %bb.82:                               ;   in Loop: Header=BB198_18 Depth=1
	s_mov_b32 s7, s4
	s_branch .LBB198_85
.LBB198_83:                             ;   in Loop: Header=BB198_18 Depth=1
                                        ; implicit-def: $vgpr2_vgpr3
	s_branch .LBB198_51
.LBB198_84:                             ;   in Loop: Header=BB198_18 Depth=1
	s_mov_b32 s7, 0
	v_pk_mov_b32 v[2:3], 0, 0
.LBB198_85:                             ;   in Loop: Header=BB198_18 Depth=1
	v_readlane_b32 s8, v49, 60
	v_readlane_b32 s9, v49, 61
	s_andn2_b64 vcc, exec, s[8:9]
	s_cbranch_vccnz .LBB198_88
; %bb.86:                               ;   in Loop: Header=BB198_18 Depth=1
	v_readlane_b32 s8, v49, 62
	s_lshl_b32 s8, s8, 9
	s_lshl_b32 s7, s7, 5
	s_add_i32 s8, s8, s7
	s_waitcnt vmcnt(0)
	v_add_u32_e32 v4, s8, v34
	v_readlane_b32 s7, v49, 59
.LBB198_87:                             ;   Parent Loop BB198_18 Depth=1
                                        ; =>  This Inner Loop Header: Depth=2
	ds_read_b64 v[6:7], v4
	s_add_i32 s7, s7, -1
	v_add_u32_e32 v4, 32, v4
	s_cmp_lg_u32 s7, 0
	s_waitcnt lgkmcnt(0)
	v_add_co_u32_e32 v2, vcc, v6, v2
	v_addc_co_u32_e32 v3, vcc, v7, v3, vcc
	s_cbranch_scc1 .LBB198_87
.LBB198_88:                             ;   in Loop: Header=BB198_18 Depth=1
	s_waitcnt vmcnt(0)
	v_add_lshl_u32 v4, s6, v29, 3
	ds_write_b64 v4, v[2:3] offset:3072
.LBB198_89:                             ;   in Loop: Header=BB198_18 Depth=1
	s_or_b64 exec, exec, s[2:3]
	s_lshl_b32 s2, s6, 3
	v_mov_b32_e32 v6, s2
	s_waitcnt lgkmcnt(0)
	s_barrier
	s_waitcnt vmcnt(0)
	ds_read_b128 v[2:5], v6 offset:3072
	ds_read_b128 v[6:9], v6 offset:3088
	s_and_b32 s49, s75, 0xfe
	v_readlane_b32 s2, v49, 40
	s_lshl_b32 s90, 3, s49
	v_readlane_b32 s3, v49, 41
	s_waitcnt lgkmcnt(1)
	v_readfirstlane_b32 s17, v3
	v_readfirstlane_b32 s16, v2
	;; [unrolled: 1-line block ×4, first 2 shown]
	s_waitcnt lgkmcnt(0)
	v_readfirstlane_b32 s23, v7
	v_readfirstlane_b32 s22, v6
	;; [unrolled: 1-line block ×4, first 2 shown]
	s_not_b32 s48, s90
	s_andn2_b64 vcc, exec, s[2:3]
	v_cmp_eq_u64_e64 s[14:15], 1, v[22:23]
	s_cbranch_vccnz .LBB198_105
; %bb.90:                               ;   in Loop: Header=BB198_18 Depth=1
	s_cmp_eq_u64 s[16:17], 1
	s_cselect_b64 s[2:3], -1, 0
	s_and_b64 s[8:9], s[2:3], s[14:15]
	s_mov_b64 s[2:3], -1
	v_mov_b32_e32 v20, v38
	v_mov_b32_e32 v24, v37
	;; [unrolled: 1-line block ×3, first 2 shown]
                                        ; implicit-def: $sgpr20_sgpr21
                                        ; implicit-def: $sgpr36_sgpr37
                                        ; implicit-def: $sgpr34_sgpr35
	s_and_saveexec_b64 s[10:11], s[8:9]
	s_cbranch_execz .LBB198_127
; %bb.91:                               ;   in Loop: Header=BB198_18 Depth=1
	ds_read_b64 v[2:3], v15 offset:5120
	s_waitcnt lgkmcnt(0)
	s_barrier
	v_readfirstlane_b32 s2, v2
	v_readfirstlane_b32 s3, v3
	s_mov_b64 s[6:7], exec
	v_readlane_b32 s12, v49, 48
	v_readlane_b32 s13, v49, 49
	s_and_b64 s[12:13], s[6:7], s[12:13]
	s_mov_b64 exec, s[12:13]
	s_cbranch_execz .LBB198_93
; %bb.92:                               ;   in Loop: Header=BB198_18 Depth=1
	ds_write_b32 v32, v15
.LBB198_93:                             ;   in Loop: Header=BB198_18 Depth=1
	s_or_b64 exec, exec, s[6:7]
	v_and_b32_e32 v20, s48, v38
	v_or_b32_e32 v24, s90, v37
	s_cmp_eq_u64 s[2:3], 0
	s_waitcnt lgkmcnt(0)
	s_barrier
	s_cbranch_scc1 .LBB198_110
; %bb.94:                               ;   in Loop: Header=BB198_18 Depth=1
	v_readlane_b32 s6, v49, 52
	s_add_u32 s20, s6, s2
	v_readlane_b32 s6, v49, 54
	s_addc_u32 s7, s6, s3
	s_mov_b32 s6, s91
	s_cmp_lg_u64 s[6:7], 0
	s_cbranch_scc0 .LBB198_154
; %bb.95:                               ;   in Loop: Header=BB198_18 Depth=1
	v_cvt_f32_u32_e32 v2, s89
	s_sub_u32 s6, 0, s89
	s_subb_u32 s12, 0, 0
	v_mac_f32_e32 v2, 0, v36
	v_rcp_f32_e32 v2, v2
	v_mul_f32_e32 v2, 0x5f7ffffc, v2
	v_mul_f32_e32 v3, 0x2f800000, v2
	v_trunc_f32_e32 v3, v3
	v_mac_f32_e32 v2, 0xcf800000, v3
	v_cvt_u32_f32_e32 v3, v3
	v_cvt_u32_f32_e32 v2, v2
	v_readfirstlane_b32 s13, v3
	v_readfirstlane_b32 s21, v2
	s_mul_i32 s26, s6, s13
	s_mul_hi_u32 s28, s6, s21
	s_mul_i32 s27, s12, s21
	s_add_i32 s26, s28, s26
	s_mul_i32 s29, s6, s21
	s_add_i32 s26, s26, s27
	s_mul_hi_u32 s28, s21, s29
	s_mul_hi_u32 s27, s21, s26
	s_mul_i32 s21, s21, s26
	s_add_u32 s21, s28, s21
	s_addc_u32 s27, 0, s27
	s_mul_hi_u32 s34, s13, s29
	s_mul_i32 s29, s13, s29
	s_add_u32 s21, s21, s29
	s_mul_hi_u32 s28, s13, s26
	s_addc_u32 s21, s27, s34
	s_addc_u32 s27, s28, 0
	s_mul_i32 s26, s13, s26
	s_add_u32 s21, s21, s26
	s_addc_u32 s26, 0, s27
	v_add_co_u32_e32 v2, vcc, s21, v2
	s_cmp_lg_u64 vcc, 0
	s_addc_u32 s13, s13, s26
	v_readfirstlane_b32 s26, v2
	s_mul_i32 s21, s6, s13
	s_mul_hi_u32 s27, s6, s26
	s_add_i32 s21, s27, s21
	s_mul_i32 s12, s12, s26
	s_add_i32 s21, s21, s12
	s_mul_i32 s6, s6, s26
	s_mul_hi_u32 s27, s13, s6
	s_mul_i32 s28, s13, s6
	s_mul_i32 s34, s26, s21
	s_mul_hi_u32 s6, s26, s6
	s_mul_hi_u32 s29, s26, s21
	s_add_u32 s6, s6, s34
	s_addc_u32 s26, 0, s29
	s_add_u32 s6, s6, s28
	s_mul_hi_u32 s12, s13, s21
	s_addc_u32 s6, s26, s27
	s_addc_u32 s12, s12, 0
	s_mul_i32 s21, s13, s21
	s_add_u32 s6, s6, s21
	s_addc_u32 s12, 0, s12
	v_add_co_u32_e32 v2, vcc, s6, v2
	s_cmp_lg_u64 vcc, 0
	s_addc_u32 s6, s13, s12
	v_readfirstlane_b32 s21, v2
	s_mul_i32 s13, s20, s6
	s_mul_hi_u32 s26, s20, s21
	s_mul_hi_u32 s12, s20, s6
	s_add_u32 s13, s26, s13
	s_addc_u32 s12, 0, s12
	s_mul_hi_u32 s27, s7, s21
	s_mul_i32 s21, s7, s21
	s_add_u32 s13, s13, s21
	s_mul_hi_u32 s26, s7, s6
	s_addc_u32 s12, s12, s27
	s_addc_u32 s13, s26, 0
	s_mul_i32 s6, s7, s6
	s_add_u32 s6, s12, s6
	s_addc_u32 s12, 0, s13
	s_mul_hi_u32 s13, s89, s6
	s_mul_i32 s6, s89, s6
	s_mul_i32 s12, s89, s12
	v_mov_b32_e32 v2, s6
	s_add_i32 s13, s13, s12
	v_sub_co_u32_e32 v2, vcc, s20, v2
	s_cmp_lg_u64 vcc, 0
	s_subb_u32 s6, s7, s13
	v_subrev_co_u32_e32 v3, vcc, s89, v2
	s_cmp_lg_u64 vcc, 0
	s_subb_u32 s12, s6, 0
	v_subrev_co_u32_e32 v4, vcc, s89, v3
	s_cmp_lg_u64 vcc, 0
	s_subb_u32 s13, s12, 0
	v_cmp_le_u32_e32 vcc, s89, v3
	s_cmp_eq_u32 s12, 0
	v_cndmask_b32_e64 v5, 0, -1, vcc
	s_cselect_b64 vcc, -1, 0
	v_cndmask_b32_e32 v5, -1, v5, vcc
	v_mov_b32_e32 v6, s12
	v_mov_b32_e32 v7, s13
	v_cmp_ne_u32_e32 vcc, 0, v5
	v_cndmask_b32_e32 v5, v6, v7, vcc
	v_cndmask_b32_e32 v4, v3, v4, vcc
	v_cmp_le_u32_e32 vcc, s89, v2
	s_cmp_eq_u32 s6, 0
	v_cndmask_b32_e64 v3, 0, -1, vcc
	s_cselect_b64 vcc, -1, 0
	v_cndmask_b32_e32 v3, -1, v3, vcc
	v_mov_b32_e32 v6, s6
	v_cmp_ne_u32_e32 vcc, 0, v3
	v_cndmask_b32_e32 v3, v6, v5, vcc
	v_cndmask_b32_e32 v2, v2, v4, vcc
	s_cbranch_execnz .LBB198_97
.LBB198_96:                             ;   in Loop: Header=BB198_18 Depth=1
	v_cvt_f32_u32_e32 v2, s89
	s_sub_i32 s6, 0, s89
	v_rcp_iflag_f32_e32 v2, v2
	v_mul_f32_e32 v2, 0x4f7ffffe, v2
	v_cvt_u32_f32_e32 v2, v2
	v_mul_lo_u32 v3, s6, v2
	v_mul_hi_u32 v3, v2, v3
	v_add_u32_e32 v2, v2, v3
	v_mul_hi_u32 v2, s20, v2
	v_mul_lo_u32 v2, v2, s89
	v_sub_u32_e32 v2, s20, v2
	v_subrev_u32_e32 v3, s89, v2
	v_cmp_le_u32_e32 vcc, s89, v2
	v_cndmask_b32_e32 v2, v2, v3, vcc
	v_subrev_u32_e32 v3, s89, v2
	v_cmp_le_u32_e32 vcc, s89, v2
	v_cndmask_b32_e32 v14, v2, v3, vcc
	v_pk_mov_b32 v[2:3], v[14:15], v[14:15] op_sel:[0,1]
.LBB198_97:                             ;   in Loop: Header=BB198_18 Depth=1
	v_mov_b32_e32 v4, s7
	v_sub_co_u32_e32 v2, vcc, s20, v2
	v_subb_co_u32_e32 v3, vcc, v4, v3, vcc
	v_cmp_gt_u64_e32 vcc, v[2:3], v[0:1]
	s_mov_b64 s[6:7], 0
                                        ; implicit-def: $vgpr5
	s_and_saveexec_b64 s[12:13], vcc
	s_cbranch_execz .LBB198_112
; %bb.98:                               ;   in Loop: Header=BB198_18 Depth=1
	s_mov_b64 s[20:21], 0
	v_mov_b32_e32 v8, v16
	v_pk_mov_b32 v[6:7], v[0:1], v[0:1] op_sel:[0,1]
                                        ; implicit-def: $sgpr26_sgpr27
	s_branch .LBB198_100
.LBB198_99:                             ;   in Loop: Header=BB198_100 Depth=2
	s_or_b64 exec, exec, s[6:7]
	s_waitcnt lgkmcnt(0)
	s_barrier
	ds_read_b64 v[4:5], v15 offset:3072
	v_add_co_u32_e64 v6, s[6:7], s89, v6
	v_add_u32_e32 v8, s5, v8
	s_waitcnt lgkmcnt(0)
	v_cmp_neq_f32_e32 vcc, 0, v4
	v_mov_b32_e32 v4, s74
	v_addc_co_u32_e64 v7, s[6:7], v7, v4, s[6:7]
	v_cmp_ge_u64_e64 s[6:7], v[6:7], v[2:3]
	s_or_b64 s[6:7], s[6:7], vcc
	s_and_b64 s[6:7], exec, s[6:7]
	s_or_b64 s[20:21], s[6:7], s[20:21]
	s_andn2_b64 s[6:7], s[26:27], exec
	s_and_b64 s[26:27], vcc, exec
	s_or_b64 s[26:27], s[6:7], s[26:27]
	s_barrier
	s_andn2_b64 exec, exec, s[20:21]
	s_cbranch_execz .LBB198_111
.LBB198_100:                            ;   Parent Loop BB198_18 Depth=1
                                        ; =>  This Inner Loop Header: Depth=2
	v_cmp_gt_u64_e32 vcc, s[2:3], v[6:7]
	v_mov_b32_e32 v19, 0
	s_and_saveexec_b64 s[6:7], vcc
	s_cbranch_execz .LBB198_102
; %bb.101:                              ;   in Loop: Header=BB198_100 Depth=2
	ds_read_b32 v19, v8
.LBB198_102:                            ;   in Loop: Header=BB198_100 Depth=2
	s_or_b64 exec, exec, s[6:7]
	s_and_saveexec_b64 s[6:7], vcc
	s_cbranch_execz .LBB198_99
; %bb.103:                              ;   in Loop: Header=BB198_100 Depth=2
	s_waitcnt lgkmcnt(0)
	v_cmp_lt_i32_e32 vcc, -1, v19
	v_cndmask_b32_e32 v4, -1, v35, vcc
	v_xor_b32_e32 v4, v4, v19
	v_cmp_o_f32_e32 vcc, v19, v19
	v_cndmask_b32_e32 v4, -1, v4, vcc
	v_and_b32_e32 v4, v4, v24
	v_cmp_eq_u32_e32 vcc, v4, v20
	s_and_b64 exec, exec, vcc
	s_cbranch_execz .LBB198_99
; %bb.104:                              ;   in Loop: Header=BB198_100 Depth=2
	ds_write_b64 v15, v[18:19] offset:3072
	s_branch .LBB198_99
.LBB198_105:                            ;   in Loop: Header=BB198_18 Depth=1
	s_mov_b64 s[28:29], 0
	s_mov_b64 s[26:27], 0
                                        ; implicit-def: $sgpr34_sgpr35
                                        ; implicit-def: $sgpr36_sgpr37
                                        ; implicit-def: $sgpr20_sgpr21
                                        ; implicit-def: $vgpr8
                                        ; implicit-def: $vgpr2_vgpr3
                                        ; implicit-def: $vgpr20
                                        ; implicit-def: $vgpr24
                                        ; implicit-def: $vgpr5
	s_cbranch_execnz .LBB198_291
.LBB198_106:                            ;   in Loop: Header=BB198_18 Depth=1
	s_mov_b64 s[14:15], s[20:21]
	s_mov_b64 s[38:39], s[20:21]
	s_and_saveexec_b64 s[2:3], s[28:29]
	s_cbranch_execnz .LBB198_487
	s_branch .LBB198_488
.LBB198_107:                            ;   in Loop: Header=BB198_18 Depth=1
	s_or_b64 exec, exec, s[2:3]
	s_waitcnt lgkmcnt(0)
	s_barrier
	s_mov_b64 s[2:3], exec
	v_readlane_b32 s6, v49, 32
	v_readlane_b32 s7, v49, 33
	s_and_b64 s[6:7], s[2:3], s[6:7]
	s_mov_b64 exec, s[6:7]
	s_cbranch_execz .LBB198_109
; %bb.108:                              ;   in Loop: Header=BB198_18 Depth=1
	ds_read_b32 v2, v15 offset:5144
	s_waitcnt lgkmcnt(0)
	v_ashrrev_i32_e32 v3, 31, v2
	ds_write_b64 v15, v[2:3] offset:5120
.LBB198_109:                            ;   in Loop: Header=BB198_18 Depth=1
	s_or_b64 exec, exec, s[2:3]
	s_waitcnt lgkmcnt(0)
	s_barrier
	s_mov_b64 s[2:3], -1
	s_and_b64 vcc, exec, s[8:9]
	s_cbranch_vccnz .LBB198_36
	s_branch .LBB198_46
.LBB198_110:                            ;   in Loop: Header=BB198_18 Depth=1
	s_mov_b64 s[20:21], -1
	s_mov_b64 s[6:7], 0
                                        ; implicit-def: $sgpr34_sgpr35
                                        ; implicit-def: $vgpr5
	s_mov_b64 s[36:37], s[20:21]
	s_cbranch_execnz .LBB198_113
	s_branch .LBB198_126
.LBB198_111:                            ;   in Loop: Header=BB198_18 Depth=1
	s_or_b64 exec, exec, s[20:21]
	s_and_b64 s[6:7], s[26:27], exec
.LBB198_112:                            ;   in Loop: Header=BB198_18 Depth=1
	s_or_b64 exec, exec, s[12:13]
	s_mov_b64 s[34:35], -1
	s_mov_b64 s[20:21], 0
	s_mov_b64 s[36:37], s[20:21]
	s_branch .LBB198_126
.LBB198_113:                            ;   in Loop: Header=BB198_18 Depth=1
	s_mov_b32 s72, s91
	s_cmp_lg_u64 s[72:73], 0
	s_cbranch_scc0 .LBB198_155
; %bb.114:                              ;   in Loop: Header=BB198_18 Depth=1
	v_cvt_f32_u32_e32 v2, s89
	s_sub_u32 s2, 0, s89
	s_subb_u32 s3, 0, 0
	v_mac_f32_e32 v2, 0, v36
	v_rcp_f32_e32 v2, v2
	v_mul_f32_e32 v2, 0x5f7ffffc, v2
	v_mul_f32_e32 v3, 0x2f800000, v2
	v_trunc_f32_e32 v3, v3
	v_mac_f32_e32 v2, 0xcf800000, v3
	v_cvt_u32_f32_e32 v3, v3
	v_cvt_u32_f32_e32 v2, v2
	v_readfirstlane_b32 s6, v3
	v_readfirstlane_b32 s7, v2
	s_mul_i32 s12, s2, s6
	s_mul_hi_u32 s20, s2, s7
	s_mul_i32 s13, s3, s7
	s_add_i32 s12, s20, s12
	s_mul_i32 s21, s2, s7
	s_add_i32 s12, s12, s13
	s_mul_hi_u32 s20, s7, s21
	s_mul_hi_u32 s13, s7, s12
	s_mul_i32 s7, s7, s12
	s_add_u32 s7, s20, s7
	s_addc_u32 s13, 0, s13
	s_mul_hi_u32 s26, s6, s21
	s_mul_i32 s21, s6, s21
	s_add_u32 s7, s7, s21
	s_mul_hi_u32 s20, s6, s12
	s_addc_u32 s7, s13, s26
	s_addc_u32 s13, s20, 0
	s_mul_i32 s12, s6, s12
	s_add_u32 s7, s7, s12
	s_addc_u32 s12, 0, s13
	v_add_co_u32_e32 v2, vcc, s7, v2
	s_cmp_lg_u64 vcc, 0
	s_addc_u32 s6, s6, s12
	v_readfirstlane_b32 s12, v2
	s_mul_i32 s7, s2, s6
	s_mul_hi_u32 s13, s2, s12
	s_add_i32 s7, s13, s7
	s_mul_i32 s3, s3, s12
	s_add_i32 s7, s7, s3
	s_mul_i32 s2, s2, s12
	s_mul_hi_u32 s13, s6, s2
	s_mul_i32 s20, s6, s2
	s_mul_i32 s26, s12, s7
	s_mul_hi_u32 s2, s12, s2
	s_mul_hi_u32 s21, s12, s7
	s_add_u32 s2, s2, s26
	s_addc_u32 s12, 0, s21
	s_add_u32 s2, s2, s20
	s_mul_hi_u32 s3, s6, s7
	s_addc_u32 s2, s12, s13
	s_addc_u32 s3, s3, 0
	s_mul_i32 s7, s6, s7
	s_add_u32 s2, s2, s7
	s_addc_u32 s3, 0, s3
	v_add_co_u32_e32 v2, vcc, s2, v2
	s_cmp_lg_u64 vcc, 0
	s_addc_u32 s2, s6, s3
	v_readlane_b32 s20, v49, 53
	v_readfirstlane_b32 s7, v2
	s_mul_i32 s6, s20, s2
	s_mul_hi_u32 s12, s20, s7
	s_mul_hi_u32 s3, s20, s2
	s_add_u32 s6, s12, s6
	s_addc_u32 s3, 0, s3
	s_mul_hi_u32 s13, s73, s7
	s_mul_i32 s7, s73, s7
	s_add_u32 s6, s6, s7
	s_mul_hi_u32 s12, s73, s2
	s_addc_u32 s3, s3, s13
	s_addc_u32 s6, s12, 0
	s_mul_i32 s2, s73, s2
	s_add_u32 s2, s3, s2
	s_addc_u32 s3, 0, s6
	s_mul_hi_u32 s6, s89, s2
	s_mul_i32 s2, s89, s2
	s_mul_i32 s3, s89, s3
	v_mov_b32_e32 v2, s2
	s_add_i32 s6, s6, s3
	v_sub_co_u32_e32 v2, vcc, s20, v2
	s_cmp_lg_u64 vcc, 0
	s_subb_u32 s2, s73, s6
	v_subrev_co_u32_e32 v3, vcc, s89, v2
	s_cmp_lg_u64 vcc, 0
	s_subb_u32 s3, s2, 0
	v_subrev_co_u32_e32 v4, vcc, s89, v3
	s_cmp_lg_u64 vcc, 0
	s_subb_u32 s6, s3, 0
	v_cmp_le_u32_e32 vcc, s89, v3
	s_cmp_eq_u32 s3, 0
	v_cndmask_b32_e64 v5, 0, -1, vcc
	s_cselect_b64 vcc, -1, 0
	v_cndmask_b32_e32 v5, -1, v5, vcc
	v_mov_b32_e32 v6, s3
	v_mov_b32_e32 v7, s6
	v_cmp_ne_u32_e32 vcc, 0, v5
	v_cndmask_b32_e32 v5, v6, v7, vcc
	v_cndmask_b32_e32 v4, v3, v4, vcc
	v_cmp_le_u32_e32 vcc, s89, v2
	s_cmp_eq_u32 s2, 0
	v_cndmask_b32_e64 v3, 0, -1, vcc
	s_cselect_b64 vcc, -1, 0
	v_cndmask_b32_e32 v3, -1, v3, vcc
	v_mov_b32_e32 v6, s2
	v_cmp_ne_u32_e32 vcc, 0, v3
	v_cndmask_b32_e32 v3, v6, v5, vcc
	v_cndmask_b32_e32 v2, v2, v4, vcc
	s_cbranch_execnz .LBB198_116
.LBB198_115:                            ;   in Loop: Header=BB198_18 Depth=1
	v_cvt_f32_u32_e32 v2, s89
	s_sub_i32 s2, 0, s89
	v_rcp_iflag_f32_e32 v2, v2
	v_mul_f32_e32 v2, 0x4f7ffffe, v2
	v_cvt_u32_f32_e32 v2, v2
	v_mul_lo_u32 v3, s2, v2
	v_mul_hi_u32 v3, v2, v3
	v_add_u32_e32 v2, v2, v3
	v_readlane_b32 s2, v49, 53
	v_mul_hi_u32 v2, s2, v2
	v_mul_lo_u32 v2, v2, s89
	v_sub_u32_e32 v2, s2, v2
	v_subrev_u32_e32 v3, s89, v2
	v_cmp_le_u32_e32 vcc, s89, v2
	v_cndmask_b32_e32 v2, v2, v3, vcc
	v_subrev_u32_e32 v3, s89, v2
	v_cmp_le_u32_e32 vcc, s89, v2
	v_cndmask_b32_e32 v14, v2, v3, vcc
	v_pk_mov_b32 v[2:3], v[14:15], v[14:15] op_sel:[0,1]
.LBB198_116:                            ;   in Loop: Header=BB198_18 Depth=1
	v_readlane_b32 s2, v49, 53
	v_mov_b32_e32 v4, s73
	v_sub_co_u32_e32 v2, vcc, s2, v2
	v_subb_co_u32_e32 v3, vcc, v4, v3, vcc
	v_cmp_gt_u64_e32 vcc, v[2:3], v[0:1]
	s_mov_b64 s[6:7], 0
                                        ; implicit-def: $vgpr5
	s_and_saveexec_b64 s[2:3], vcc
	s_cbranch_execz .LBB198_125
; %bb.117:                              ;   in Loop: Header=BB198_18 Depth=1
	s_mov_b64 s[12:13], 0
	v_pk_mov_b32 v[6:7], v[0:1], v[0:1] op_sel:[0,1]
                                        ; implicit-def: $sgpr20_sgpr21
	s_branch .LBB198_119
.LBB198_118:                            ;   in Loop: Header=BB198_119 Depth=2
	s_or_b64 exec, exec, s[6:7]
	s_waitcnt lgkmcnt(0)
	s_barrier
	ds_read_b64 v[4:5], v15 offset:3072
	v_add_co_u32_e64 v6, s[6:7], s89, v6
	s_waitcnt lgkmcnt(0)
	s_barrier
	v_cmp_neq_f32_e32 vcc, 0, v4
	v_mov_b32_e32 v4, s74
	v_addc_co_u32_e64 v7, s[6:7], v7, v4, s[6:7]
	v_cmp_ge_u64_e64 s[6:7], v[6:7], v[2:3]
	s_or_b64 s[6:7], s[6:7], vcc
	s_and_b64 s[6:7], exec, s[6:7]
	s_or_b64 s[12:13], s[6:7], s[12:13]
	s_andn2_b64 s[6:7], s[20:21], exec
	s_and_b64 s[20:21], vcc, exec
	s_or_b64 s[20:21], s[6:7], s[20:21]
	s_andn2_b64 exec, exec, s[12:13]
	s_cbranch_execz .LBB198_124
.LBB198_119:                            ;   Parent Loop BB198_18 Depth=1
                                        ; =>  This Inner Loop Header: Depth=2
	v_cmp_gt_u64_e32 vcc, s[60:61], v[6:7]
	s_waitcnt vmcnt(0)
	v_mov_b32_e32 v19, 0
	s_and_saveexec_b64 s[26:27], vcc
	s_cbranch_execz .LBB198_121
; %bb.120:                              ;   in Loop: Header=BB198_119 Depth=2
	v_mul_lo_u32 v8, v7, s58
	v_mul_lo_u32 v9, v6, s59
	v_mad_u64_u32 v[4:5], s[6:7], v6, s58, 0
	v_add3_u32 v5, v5, v9, v8
	v_lshlrev_b64 v[4:5], 2, v[4:5]
	v_mov_b32_e32 v8, s88
	v_add_co_u32_e64 v4, s[6:7], s33, v4
	v_addc_co_u32_e64 v5, s[6:7], v8, v5, s[6:7]
	global_load_dword v19, v[4:5], off
.LBB198_121:                            ;   in Loop: Header=BB198_119 Depth=2
	s_or_b64 exec, exec, s[26:27]
	s_and_saveexec_b64 s[6:7], vcc
	s_cbranch_execz .LBB198_118
; %bb.122:                              ;   in Loop: Header=BB198_119 Depth=2
	s_waitcnt vmcnt(0)
	v_cmp_lt_i32_e32 vcc, -1, v19
	v_cndmask_b32_e32 v4, -1, v35, vcc
	v_xor_b32_e32 v4, v4, v19
	v_cmp_o_f32_e32 vcc, v19, v19
	v_cndmask_b32_e32 v4, -1, v4, vcc
	v_and_b32_e32 v4, v4, v24
	v_cmp_eq_u32_e32 vcc, v4, v20
	s_and_b64 exec, exec, vcc
	s_cbranch_execz .LBB198_118
; %bb.123:                              ;   in Loop: Header=BB198_119 Depth=2
	ds_write_b64 v15, v[18:19] offset:3072
	s_branch .LBB198_118
.LBB198_124:                            ;   in Loop: Header=BB198_18 Depth=1
	s_or_b64 exec, exec, s[12:13]
	s_and_b64 s[6:7], s[20:21], exec
.LBB198_125:                            ;   in Loop: Header=BB198_18 Depth=1
	s_or_b64 exec, exec, s[2:3]
	s_mov_b64 s[36:37], -1
	s_mov_b64 s[20:21], 0
	s_mov_b64 s[34:35], 0
.LBB198_126:                            ;   in Loop: Header=BB198_18 Depth=1
	s_orn2_b64 s[2:3], s[6:7], exec
.LBB198_127:                            ;   in Loop: Header=BB198_18 Depth=1
	s_or_b64 exec, exec, s[10:11]
	s_mov_b64 s[38:39], 0
	s_mov_b64 s[28:29], 0
	;; [unrolled: 1-line block ×3, first 2 shown]
                                        ; implicit-def: $vgpr8
                                        ; implicit-def: $vgpr2_vgpr3
	s_and_saveexec_b64 s[40:41], s[2:3]
	s_cbranch_execz .LBB198_290
; %bb.128:                              ;   in Loop: Header=BB198_18 Depth=1
	v_mov_b32_e32 v2, 1
	s_xor_b64 s[8:9], s[8:9], -1
	s_mov_b64 s[6:7], 0
	v_mov_b32_e32 v3, 0
	v_mov_b32_e32 v8, 1
	s_and_saveexec_b64 s[2:3], s[8:9]
	s_cbranch_execz .LBB198_138
; %bb.129:                              ;   in Loop: Header=BB198_18 Depth=1
	v_cmp_ge_u64_e32 vcc, s[16:17], v[22:23]
                                        ; implicit-def: $sgpr10
                                        ; implicit-def: $sgpr6_sgpr7
	s_and_saveexec_b64 s[8:9], vcc
	s_xor_b64 s[8:9], exec, s[8:9]
	s_cbranch_execz .LBB198_135
; %bb.130:                              ;   in Loop: Header=BB198_18 Depth=1
	ds_read_b64 v[2:3], v15 offset:5120
	s_waitcnt lgkmcnt(0)
	v_cmp_ne_u64_e32 vcc, 0, v[2:3]
	s_cbranch_vccnz .LBB198_134
; %bb.131:                              ;   in Loop: Header=BB198_18 Depth=1
	s_mov_b64 s[6:7], exec
	v_readlane_b32 s10, v49, 32
	v_readlane_b32 s11, v49, 33
	s_and_b64 s[10:11], s[6:7], s[10:11]
	s_mov_b64 exec, s[10:11]
	s_cbranch_execz .LBB198_133
; %bb.132:                              ;   in Loop: Header=BB198_18 Depth=1
	v_pk_mov_b32 v[2:3], s[16:17], s[16:17] op_sel:[0,1]
	ds_write_b64 v15, v[2:3] offset:5128
.LBB198_133:                            ;   in Loop: Header=BB198_18 Depth=1
	s_or_b64 exec, exec, s[6:7]
	s_waitcnt lgkmcnt(0)
	s_barrier
.LBB198_134:                            ;   in Loop: Header=BB198_18 Depth=1
	v_and_b32_e32 v20, s48, v20
	v_or_b32_e32 v24, s90, v24
	s_mov_b64 s[6:7], 0
	s_mov_b32 s10, 8
.LBB198_135:                            ;   in Loop: Header=BB198_18 Depth=1
	s_or_saveexec_b64 s[8:9], s[8:9]
	v_mov_b32_e32 v8, s10
	v_pk_mov_b32 v[2:3], v[22:23], v[22:23] op_sel:[0,1]
	s_xor_b64 exec, exec, s[8:9]
; %bb.136:                              ;   in Loop: Header=BB198_18 Depth=1
	v_mov_b32_e32 v3, s17
	v_subrev_co_u32_e32 v2, vcc, s16, v22
	v_subb_co_u32_e32 v3, vcc, v23, v3, vcc
	v_mov_b32_e32 v8, 0
	s_or_b64 s[6:7], s[6:7], exec
; %bb.137:                              ;   in Loop: Header=BB198_18 Depth=1
	s_or_b64 exec, exec, s[8:9]
	s_and_b64 s[6:7], s[6:7], exec
.LBB198_138:                            ;   in Loop: Header=BB198_18 Depth=1
	s_or_b64 exec, exec, s[2:3]
	s_mov_b64 s[28:29], -1
                                        ; implicit-def: $sgpr2_sgpr3
                                        ; implicit-def: $sgpr8_sgpr9
                                        ; implicit-def: $sgpr10_sgpr11
	s_and_saveexec_b64 s[12:13], s[6:7]
	s_xor_b64 s[26:27], exec, s[12:13]
	s_cbranch_execz .LBB198_287
; %bb.139:                              ;   in Loop: Header=BB198_18 Depth=1
	s_cmp_eq_u64 s[18:19], 1
	s_cselect_b64 s[2:3], -1, 0
	v_cmp_eq_u64_e32 vcc, 1, v[2:3]
	s_and_b64 s[8:9], s[2:3], vcc
	s_mov_b64 s[2:3], -1
                                        ; implicit-def: $sgpr28_sgpr29
                                        ; implicit-def: $sgpr44_sgpr45
                                        ; implicit-def: $sgpr42_sgpr43
	s_and_saveexec_b64 s[10:11], s[8:9]
	s_cbranch_execz .LBB198_173
; %bb.140:                              ;   in Loop: Header=BB198_18 Depth=1
	ds_read_b64 v[4:5], v15 offset:5120
	s_waitcnt lgkmcnt(0)
	s_barrier
	v_readfirstlane_b32 s2, v4
	v_readfirstlane_b32 s3, v5
	s_mov_b64 s[6:7], exec
	v_readlane_b32 s12, v49, 48
	v_readlane_b32 s13, v49, 49
	s_and_b64 s[12:13], s[6:7], s[12:13]
	s_mov_b64 exec, s[12:13]
	s_cbranch_execz .LBB198_142
; %bb.141:                              ;   in Loop: Header=BB198_18 Depth=1
	ds_write_b32 v32, v15
.LBB198_142:                            ;   in Loop: Header=BB198_18 Depth=1
	s_or_b64 exec, exec, s[6:7]
	v_and_b32_e32 v4, s48, v20
	v_lshl_or_b32 v20, 1, s49, v4
	v_or_b32_e32 v24, s90, v24
	s_cmp_eq_u64 s[2:3], 0
	s_waitcnt lgkmcnt(0)
	s_barrier
	s_cbranch_scc1 .LBB198_156
; %bb.143:                              ;   in Loop: Header=BB198_18 Depth=1
	v_readlane_b32 s6, v49, 52
	s_add_u32 s28, s6, s2
	v_readlane_b32 s6, v49, 54
	s_addc_u32 s7, s6, s3
	s_mov_b32 s6, s91
	s_cmp_lg_u64 s[6:7], 0
	s_cbranch_scc0 .LBB198_200
; %bb.144:                              ;   in Loop: Header=BB198_18 Depth=1
	v_cvt_f32_u32_e32 v4, s89
	s_sub_u32 s6, 0, s89
	s_subb_u32 s12, 0, 0
	v_mac_f32_e32 v4, 0, v36
	v_rcp_f32_e32 v4, v4
	v_mul_f32_e32 v4, 0x5f7ffffc, v4
	v_mul_f32_e32 v5, 0x2f800000, v4
	v_trunc_f32_e32 v5, v5
	v_mac_f32_e32 v4, 0xcf800000, v5
	v_cvt_u32_f32_e32 v5, v5
	v_cvt_u32_f32_e32 v4, v4
	v_readfirstlane_b32 s13, v5
	v_readfirstlane_b32 s29, v4
	s_mul_i32 s42, s6, s13
	s_mul_hi_u32 s44, s6, s29
	s_mul_i32 s43, s12, s29
	s_add_i32 s42, s44, s42
	s_mul_i32 s45, s6, s29
	s_add_i32 s42, s42, s43
	s_mul_hi_u32 s44, s29, s45
	s_mul_hi_u32 s43, s29, s42
	s_mul_i32 s29, s29, s42
	s_add_u32 s29, s44, s29
	s_addc_u32 s43, 0, s43
	s_mul_hi_u32 s46, s13, s45
	s_mul_i32 s45, s13, s45
	s_add_u32 s29, s29, s45
	s_mul_hi_u32 s44, s13, s42
	s_addc_u32 s29, s43, s46
	s_addc_u32 s43, s44, 0
	s_mul_i32 s42, s13, s42
	s_add_u32 s29, s29, s42
	s_addc_u32 s42, 0, s43
	v_add_co_u32_e32 v4, vcc, s29, v4
	s_cmp_lg_u64 vcc, 0
	s_addc_u32 s13, s13, s42
	v_readfirstlane_b32 s42, v4
	s_mul_i32 s29, s6, s13
	s_mul_hi_u32 s43, s6, s42
	s_add_i32 s29, s43, s29
	s_mul_i32 s12, s12, s42
	s_add_i32 s29, s29, s12
	s_mul_i32 s6, s6, s42
	s_mul_hi_u32 s43, s13, s6
	s_mul_i32 s44, s13, s6
	s_mul_i32 s46, s42, s29
	s_mul_hi_u32 s6, s42, s6
	s_mul_hi_u32 s45, s42, s29
	s_add_u32 s6, s6, s46
	s_addc_u32 s42, 0, s45
	s_add_u32 s6, s6, s44
	s_mul_hi_u32 s12, s13, s29
	s_addc_u32 s6, s42, s43
	s_addc_u32 s12, s12, 0
	s_mul_i32 s29, s13, s29
	s_add_u32 s6, s6, s29
	s_addc_u32 s12, 0, s12
	v_add_co_u32_e32 v4, vcc, s6, v4
	s_cmp_lg_u64 vcc, 0
	s_addc_u32 s6, s13, s12
	v_readfirstlane_b32 s29, v4
	s_mul_i32 s13, s28, s6
	s_mul_hi_u32 s42, s28, s29
	s_mul_hi_u32 s12, s28, s6
	s_add_u32 s13, s42, s13
	s_addc_u32 s12, 0, s12
	s_mul_hi_u32 s43, s7, s29
	s_mul_i32 s29, s7, s29
	s_add_u32 s13, s13, s29
	s_mul_hi_u32 s42, s7, s6
	s_addc_u32 s12, s12, s43
	s_addc_u32 s13, s42, 0
	s_mul_i32 s6, s7, s6
	s_add_u32 s6, s12, s6
	s_addc_u32 s12, 0, s13
	s_mul_hi_u32 s13, s89, s6
	s_mul_i32 s6, s89, s6
	s_mul_i32 s12, s89, s12
	v_mov_b32_e32 v4, s6
	s_add_i32 s13, s13, s12
	v_sub_co_u32_e32 v4, vcc, s28, v4
	s_cmp_lg_u64 vcc, 0
	s_subb_u32 s6, s7, s13
	v_subrev_co_u32_e32 v5, vcc, s89, v4
	s_cmp_lg_u64 vcc, 0
	s_subb_u32 s12, s6, 0
	v_subrev_co_u32_e32 v6, vcc, s89, v5
	s_cmp_lg_u64 vcc, 0
	s_subb_u32 s13, s12, 0
	v_cmp_le_u32_e32 vcc, s89, v5
	s_cmp_eq_u32 s12, 0
	v_cndmask_b32_e64 v7, 0, -1, vcc
	s_cselect_b64 vcc, -1, 0
	v_cndmask_b32_e32 v7, -1, v7, vcc
	v_mov_b32_e32 v8, s12
	v_mov_b32_e32 v9, s13
	v_cmp_ne_u32_e32 vcc, 0, v7
	v_cndmask_b32_e32 v7, v8, v9, vcc
	v_cndmask_b32_e32 v6, v5, v6, vcc
	v_cmp_le_u32_e32 vcc, s89, v4
	s_cmp_eq_u32 s6, 0
	v_cndmask_b32_e64 v5, 0, -1, vcc
	s_cselect_b64 vcc, -1, 0
	v_cndmask_b32_e32 v5, -1, v5, vcc
	v_mov_b32_e32 v8, s6
	v_cmp_ne_u32_e32 vcc, 0, v5
	v_cndmask_b32_e32 v5, v8, v7, vcc
	v_cndmask_b32_e32 v4, v4, v6, vcc
	s_cbranch_execnz .LBB198_146
.LBB198_145:                            ;   in Loop: Header=BB198_18 Depth=1
	v_cvt_f32_u32_e32 v4, s89
	s_sub_i32 s6, 0, s89
	v_rcp_iflag_f32_e32 v4, v4
	v_mul_f32_e32 v4, 0x4f7ffffe, v4
	v_cvt_u32_f32_e32 v4, v4
	v_mul_lo_u32 v5, s6, v4
	v_mul_hi_u32 v5, v4, v5
	v_add_u32_e32 v4, v4, v5
	v_mul_hi_u32 v4, s28, v4
	v_mul_lo_u32 v4, v4, s89
	v_sub_u32_e32 v4, s28, v4
	v_subrev_u32_e32 v5, s89, v4
	v_cmp_le_u32_e32 vcc, s89, v4
	v_cndmask_b32_e32 v4, v4, v5, vcc
	v_subrev_u32_e32 v5, s89, v4
	v_cmp_le_u32_e32 vcc, s89, v4
	v_cndmask_b32_e32 v14, v4, v5, vcc
	v_pk_mov_b32 v[4:5], v[14:15], v[14:15] op_sel:[0,1]
.LBB198_146:                            ;   in Loop: Header=BB198_18 Depth=1
	v_mov_b32_e32 v7, s7
	v_sub_co_u32_e32 v6, vcc, s28, v4
	v_subb_co_u32_e32 v7, vcc, v7, v5, vcc
	v_cmp_gt_u64_e32 vcc, v[6:7], v[0:1]
	s_mov_b64 s[6:7], 0
                                        ; implicit-def: $vgpr5
	s_and_saveexec_b64 s[12:13], vcc
	s_cbranch_execz .LBB198_158
; %bb.147:                              ;   in Loop: Header=BB198_18 Depth=1
	s_mov_b64 s[28:29], 0
	v_mov_b32_e32 v14, v16
	v_pk_mov_b32 v[8:9], v[0:1], v[0:1] op_sel:[0,1]
                                        ; implicit-def: $sgpr42_sgpr43
	s_branch .LBB198_149
.LBB198_148:                            ;   in Loop: Header=BB198_149 Depth=2
	s_or_b64 exec, exec, s[6:7]
	s_waitcnt lgkmcnt(0)
	s_barrier
	ds_read_b64 v[4:5], v15 offset:3072
	v_add_co_u32_e64 v8, s[6:7], s89, v8
	v_add_u32_e32 v14, s5, v14
	s_waitcnt lgkmcnt(0)
	v_cmp_neq_f32_e32 vcc, 0, v4
	v_mov_b32_e32 v4, s74
	v_addc_co_u32_e64 v9, s[6:7], v9, v4, s[6:7]
	v_cmp_ge_u64_e64 s[6:7], v[8:9], v[6:7]
	s_or_b64 s[6:7], s[6:7], vcc
	s_and_b64 s[6:7], exec, s[6:7]
	s_or_b64 s[28:29], s[6:7], s[28:29]
	s_andn2_b64 s[6:7], s[42:43], exec
	s_and_b64 s[42:43], vcc, exec
	s_or_b64 s[42:43], s[6:7], s[42:43]
	s_barrier
	s_andn2_b64 exec, exec, s[28:29]
	s_cbranch_execz .LBB198_157
.LBB198_149:                            ;   Parent Loop BB198_18 Depth=1
                                        ; =>  This Inner Loop Header: Depth=2
	v_cmp_gt_u64_e32 vcc, s[2:3], v[8:9]
	s_waitcnt vmcnt(0)
	v_mov_b32_e32 v19, 0
	s_and_saveexec_b64 s[6:7], vcc
	s_cbranch_execz .LBB198_151
; %bb.150:                              ;   in Loop: Header=BB198_149 Depth=2
	ds_read_b32 v19, v14
.LBB198_151:                            ;   in Loop: Header=BB198_149 Depth=2
	s_or_b64 exec, exec, s[6:7]
	s_and_saveexec_b64 s[6:7], vcc
	s_cbranch_execz .LBB198_148
; %bb.152:                              ;   in Loop: Header=BB198_149 Depth=2
	s_waitcnt lgkmcnt(0)
	v_cmp_lt_i32_e32 vcc, -1, v19
	v_cndmask_b32_e32 v4, -1, v35, vcc
	v_xor_b32_e32 v4, v4, v19
	v_cmp_o_f32_e32 vcc, v19, v19
	v_cndmask_b32_e32 v4, -1, v4, vcc
	v_and_b32_e32 v4, v4, v24
	v_cmp_eq_u32_e32 vcc, v4, v20
	s_and_b64 exec, exec, vcc
	s_cbranch_execz .LBB198_148
; %bb.153:                              ;   in Loop: Header=BB198_149 Depth=2
	ds_write_b64 v15, v[18:19] offset:3072
	s_branch .LBB198_148
.LBB198_154:                            ;   in Loop: Header=BB198_18 Depth=1
                                        ; implicit-def: $vgpr2_vgpr3
	s_branch .LBB198_96
.LBB198_155:                            ;   in Loop: Header=BB198_18 Depth=1
                                        ; implicit-def: $vgpr2_vgpr3
	s_branch .LBB198_115
.LBB198_156:                            ;   in Loop: Header=BB198_18 Depth=1
	s_mov_b64 s[28:29], -1
	s_mov_b64 s[6:7], 0
                                        ; implicit-def: $sgpr42_sgpr43
                                        ; implicit-def: $vgpr5
	s_mov_b64 s[44:45], s[28:29]
	s_cbranch_execnz .LBB198_159
	s_branch .LBB198_172
.LBB198_157:                            ;   in Loop: Header=BB198_18 Depth=1
	s_or_b64 exec, exec, s[28:29]
	s_and_b64 s[6:7], s[42:43], exec
.LBB198_158:                            ;   in Loop: Header=BB198_18 Depth=1
	s_or_b64 exec, exec, s[12:13]
	s_mov_b64 s[42:43], -1
	s_mov_b64 s[28:29], 0
	s_mov_b64 s[44:45], s[28:29]
	s_branch .LBB198_172
.LBB198_159:                            ;   in Loop: Header=BB198_18 Depth=1
	s_mov_b32 s72, s91
	s_cmp_lg_u64 s[72:73], 0
	s_cbranch_scc0 .LBB198_201
; %bb.160:                              ;   in Loop: Header=BB198_18 Depth=1
	v_cvt_f32_u32_e32 v4, s89
	s_sub_u32 s2, 0, s89
	s_subb_u32 s3, 0, 0
	v_mac_f32_e32 v4, 0, v36
	v_rcp_f32_e32 v4, v4
	v_mul_f32_e32 v4, 0x5f7ffffc, v4
	v_mul_f32_e32 v5, 0x2f800000, v4
	v_trunc_f32_e32 v5, v5
	v_mac_f32_e32 v4, 0xcf800000, v5
	v_cvt_u32_f32_e32 v5, v5
	v_cvt_u32_f32_e32 v4, v4
	v_readfirstlane_b32 s6, v5
	v_readfirstlane_b32 s7, v4
	s_mul_i32 s12, s2, s6
	s_mul_hi_u32 s28, s2, s7
	s_mul_i32 s13, s3, s7
	s_add_i32 s12, s28, s12
	s_mul_i32 s29, s2, s7
	s_add_i32 s12, s12, s13
	s_mul_hi_u32 s28, s7, s29
	s_mul_hi_u32 s13, s7, s12
	s_mul_i32 s7, s7, s12
	s_add_u32 s7, s28, s7
	s_addc_u32 s13, 0, s13
	s_mul_hi_u32 s42, s6, s29
	s_mul_i32 s29, s6, s29
	s_add_u32 s7, s7, s29
	s_mul_hi_u32 s28, s6, s12
	s_addc_u32 s7, s13, s42
	s_addc_u32 s13, s28, 0
	s_mul_i32 s12, s6, s12
	s_add_u32 s7, s7, s12
	s_addc_u32 s12, 0, s13
	v_add_co_u32_e32 v4, vcc, s7, v4
	s_cmp_lg_u64 vcc, 0
	s_addc_u32 s6, s6, s12
	v_readfirstlane_b32 s12, v4
	s_mul_i32 s7, s2, s6
	s_mul_hi_u32 s13, s2, s12
	s_add_i32 s7, s13, s7
	s_mul_i32 s3, s3, s12
	s_add_i32 s7, s7, s3
	s_mul_i32 s2, s2, s12
	s_mul_hi_u32 s13, s6, s2
	s_mul_i32 s28, s6, s2
	s_mul_i32 s42, s12, s7
	s_mul_hi_u32 s2, s12, s2
	s_mul_hi_u32 s29, s12, s7
	s_add_u32 s2, s2, s42
	s_addc_u32 s12, 0, s29
	s_add_u32 s2, s2, s28
	s_mul_hi_u32 s3, s6, s7
	s_addc_u32 s2, s12, s13
	s_addc_u32 s3, s3, 0
	s_mul_i32 s7, s6, s7
	s_add_u32 s2, s2, s7
	s_addc_u32 s3, 0, s3
	v_add_co_u32_e32 v4, vcc, s2, v4
	s_cmp_lg_u64 vcc, 0
	s_addc_u32 s2, s6, s3
	v_readlane_b32 s28, v49, 53
	v_readfirstlane_b32 s7, v4
	s_mul_i32 s6, s28, s2
	s_mul_hi_u32 s12, s28, s7
	s_mul_hi_u32 s3, s28, s2
	s_add_u32 s6, s12, s6
	s_addc_u32 s3, 0, s3
	s_mul_hi_u32 s13, s73, s7
	s_mul_i32 s7, s73, s7
	s_add_u32 s6, s6, s7
	s_mul_hi_u32 s12, s73, s2
	s_addc_u32 s3, s3, s13
	s_addc_u32 s6, s12, 0
	s_mul_i32 s2, s73, s2
	s_add_u32 s2, s3, s2
	s_addc_u32 s3, 0, s6
	s_mul_hi_u32 s6, s89, s2
	s_mul_i32 s2, s89, s2
	s_mul_i32 s3, s89, s3
	v_mov_b32_e32 v4, s2
	s_add_i32 s6, s6, s3
	v_sub_co_u32_e32 v4, vcc, s28, v4
	s_cmp_lg_u64 vcc, 0
	s_subb_u32 s2, s73, s6
	v_subrev_co_u32_e32 v5, vcc, s89, v4
	s_cmp_lg_u64 vcc, 0
	s_subb_u32 s3, s2, 0
	v_subrev_co_u32_e32 v6, vcc, s89, v5
	s_cmp_lg_u64 vcc, 0
	s_subb_u32 s6, s3, 0
	v_cmp_le_u32_e32 vcc, s89, v5
	s_cmp_eq_u32 s3, 0
	v_cndmask_b32_e64 v7, 0, -1, vcc
	s_cselect_b64 vcc, -1, 0
	v_cndmask_b32_e32 v7, -1, v7, vcc
	v_mov_b32_e32 v8, s3
	v_mov_b32_e32 v9, s6
	v_cmp_ne_u32_e32 vcc, 0, v7
	v_cndmask_b32_e32 v7, v8, v9, vcc
	v_cndmask_b32_e32 v6, v5, v6, vcc
	v_cmp_le_u32_e32 vcc, s89, v4
	s_cmp_eq_u32 s2, 0
	v_cndmask_b32_e64 v5, 0, -1, vcc
	s_cselect_b64 vcc, -1, 0
	v_cndmask_b32_e32 v5, -1, v5, vcc
	v_mov_b32_e32 v8, s2
	v_cmp_ne_u32_e32 vcc, 0, v5
	v_cndmask_b32_e32 v5, v8, v7, vcc
	v_cndmask_b32_e32 v4, v4, v6, vcc
	s_cbranch_execnz .LBB198_162
.LBB198_161:                            ;   in Loop: Header=BB198_18 Depth=1
	v_cvt_f32_u32_e32 v4, s89
	s_sub_i32 s2, 0, s89
	v_rcp_iflag_f32_e32 v4, v4
	v_mul_f32_e32 v4, 0x4f7ffffe, v4
	v_cvt_u32_f32_e32 v4, v4
	v_mul_lo_u32 v5, s2, v4
	v_mul_hi_u32 v5, v4, v5
	v_add_u32_e32 v4, v4, v5
	v_readlane_b32 s2, v49, 53
	v_mul_hi_u32 v4, s2, v4
	v_mul_lo_u32 v4, v4, s89
	v_sub_u32_e32 v4, s2, v4
	v_subrev_u32_e32 v5, s89, v4
	v_cmp_le_u32_e32 vcc, s89, v4
	v_cndmask_b32_e32 v4, v4, v5, vcc
	v_subrev_u32_e32 v5, s89, v4
	v_cmp_le_u32_e32 vcc, s89, v4
	v_cndmask_b32_e32 v14, v4, v5, vcc
	v_pk_mov_b32 v[4:5], v[14:15], v[14:15] op_sel:[0,1]
.LBB198_162:                            ;   in Loop: Header=BB198_18 Depth=1
	v_readlane_b32 s2, v49, 53
	v_mov_b32_e32 v7, s73
	v_sub_co_u32_e32 v6, vcc, s2, v4
	v_subb_co_u32_e32 v7, vcc, v7, v5, vcc
	v_cmp_gt_u64_e32 vcc, v[6:7], v[0:1]
	s_mov_b64 s[6:7], 0
                                        ; implicit-def: $vgpr5
	s_and_saveexec_b64 s[2:3], vcc
	s_cbranch_execz .LBB198_171
; %bb.163:                              ;   in Loop: Header=BB198_18 Depth=1
	s_mov_b64 s[12:13], 0
	v_pk_mov_b32 v[8:9], v[0:1], v[0:1] op_sel:[0,1]
                                        ; implicit-def: $sgpr28_sgpr29
	s_branch .LBB198_165
.LBB198_164:                            ;   in Loop: Header=BB198_165 Depth=2
	s_or_b64 exec, exec, s[6:7]
	s_waitcnt lgkmcnt(0)
	s_barrier
	ds_read_b64 v[4:5], v15 offset:3072
	v_add_co_u32_e64 v8, s[6:7], s89, v8
	s_waitcnt lgkmcnt(0)
	s_barrier
	v_cmp_neq_f32_e32 vcc, 0, v4
	v_mov_b32_e32 v4, s74
	v_addc_co_u32_e64 v9, s[6:7], v9, v4, s[6:7]
	v_cmp_ge_u64_e64 s[6:7], v[8:9], v[6:7]
	s_or_b64 s[6:7], s[6:7], vcc
	s_and_b64 s[6:7], exec, s[6:7]
	s_or_b64 s[12:13], s[6:7], s[12:13]
	s_andn2_b64 s[6:7], s[28:29], exec
	s_and_b64 s[28:29], vcc, exec
	s_or_b64 s[28:29], s[6:7], s[28:29]
	s_andn2_b64 exec, exec, s[12:13]
	s_cbranch_execz .LBB198_170
.LBB198_165:                            ;   Parent Loop BB198_18 Depth=1
                                        ; =>  This Inner Loop Header: Depth=2
	v_cmp_gt_u64_e32 vcc, s[60:61], v[8:9]
	s_waitcnt vmcnt(0)
	v_mov_b32_e32 v19, 0
	s_and_saveexec_b64 s[42:43], vcc
	s_cbranch_execz .LBB198_167
; %bb.166:                              ;   in Loop: Header=BB198_165 Depth=2
	v_mul_lo_u32 v14, v9, s58
	v_mul_lo_u32 v19, v8, s59
	v_mad_u64_u32 v[4:5], s[6:7], v8, s58, 0
	v_add3_u32 v5, v5, v19, v14
	v_lshlrev_b64 v[4:5], 2, v[4:5]
	v_mov_b32_e32 v14, s88
	v_add_co_u32_e64 v4, s[6:7], s33, v4
	v_addc_co_u32_e64 v5, s[6:7], v14, v5, s[6:7]
	global_load_dword v19, v[4:5], off
.LBB198_167:                            ;   in Loop: Header=BB198_165 Depth=2
	s_or_b64 exec, exec, s[42:43]
	s_and_saveexec_b64 s[6:7], vcc
	s_cbranch_execz .LBB198_164
; %bb.168:                              ;   in Loop: Header=BB198_165 Depth=2
	s_waitcnt vmcnt(0)
	v_cmp_lt_i32_e32 vcc, -1, v19
	v_cndmask_b32_e32 v4, -1, v35, vcc
	v_xor_b32_e32 v4, v4, v19
	v_cmp_o_f32_e32 vcc, v19, v19
	v_cndmask_b32_e32 v4, -1, v4, vcc
	v_and_b32_e32 v4, v4, v24
	v_cmp_eq_u32_e32 vcc, v4, v20
	s_and_b64 exec, exec, vcc
	s_cbranch_execz .LBB198_164
; %bb.169:                              ;   in Loop: Header=BB198_165 Depth=2
	ds_write_b64 v15, v[18:19] offset:3072
	s_branch .LBB198_164
.LBB198_170:                            ;   in Loop: Header=BB198_18 Depth=1
	s_or_b64 exec, exec, s[12:13]
	s_and_b64 s[6:7], s[28:29], exec
.LBB198_171:                            ;   in Loop: Header=BB198_18 Depth=1
	s_or_b64 exec, exec, s[2:3]
	s_mov_b64 s[44:45], -1
	s_mov_b64 s[28:29], 0
	s_mov_b64 s[42:43], 0
.LBB198_172:                            ;   in Loop: Header=BB198_18 Depth=1
	s_orn2_b64 s[2:3], s[6:7], exec
.LBB198_173:                            ;   in Loop: Header=BB198_18 Depth=1
	s_or_b64 exec, exec, s[10:11]
	s_mov_b64 s[6:7], 0
                                        ; implicit-def: $vgpr8
	s_and_saveexec_b64 s[46:47], s[2:3]
	s_cbranch_execz .LBB198_286
; %bb.174:                              ;   in Loop: Header=BB198_18 Depth=1
	v_mov_b32_e32 v6, 1
	s_xor_b64 s[6:7], s[8:9], -1
	s_mov_b64 s[12:13], 0
	v_mov_b32_e32 v7, 0
	v_mov_b32_e32 v8, 1
	s_and_saveexec_b64 s[2:3], s[6:7]
	s_cbranch_execz .LBB198_184
; %bb.175:                              ;   in Loop: Header=BB198_18 Depth=1
	v_cmp_ge_u64_e32 vcc, s[18:19], v[2:3]
                                        ; implicit-def: $sgpr10
                                        ; implicit-def: $sgpr6_sgpr7
	s_and_saveexec_b64 s[8:9], vcc
	s_xor_b64 s[8:9], exec, s[8:9]
	s_cbranch_execz .LBB198_181
; %bb.176:                              ;   in Loop: Header=BB198_18 Depth=1
	ds_read_b64 v[6:7], v15 offset:5120
	s_waitcnt lgkmcnt(0)
	v_cmp_ne_u64_e32 vcc, 0, v[6:7]
	s_cbranch_vccnz .LBB198_180
; %bb.177:                              ;   in Loop: Header=BB198_18 Depth=1
	s_mov_b64 s[6:7], exec
	v_readlane_b32 s10, v49, 32
	v_readlane_b32 s11, v49, 33
	s_and_b64 s[10:11], s[6:7], s[10:11]
	s_mov_b64 exec, s[10:11]
	s_cbranch_execz .LBB198_179
; %bb.178:                              ;   in Loop: Header=BB198_18 Depth=1
	v_pk_mov_b32 v[6:7], s[18:19], s[18:19] op_sel:[0,1]
	ds_write_b64 v15, v[6:7] offset:5128
.LBB198_179:                            ;   in Loop: Header=BB198_18 Depth=1
	s_or_b64 exec, exec, s[6:7]
	s_waitcnt lgkmcnt(0)
	s_barrier
.LBB198_180:                            ;   in Loop: Header=BB198_18 Depth=1
	v_and_b32_e32 v4, s48, v20
	v_lshl_or_b32 v20, 1, s49, v4
	v_or_b32_e32 v24, s90, v24
	s_mov_b64 s[6:7], 0
	s_mov_b32 s10, 8
.LBB198_181:                            ;   in Loop: Header=BB198_18 Depth=1
	s_or_saveexec_b64 s[8:9], s[8:9]
	v_mov_b32_e32 v8, s10
	s_xor_b64 exec, exec, s[8:9]
; %bb.182:                              ;   in Loop: Header=BB198_18 Depth=1
	v_mov_b32_e32 v4, s19
	v_subrev_co_u32_e32 v2, vcc, s18, v2
	v_subb_co_u32_e32 v3, vcc, v3, v4, vcc
	v_mov_b32_e32 v8, 0
	s_or_b64 s[6:7], s[6:7], exec
; %bb.183:                              ;   in Loop: Header=BB198_18 Depth=1
	s_or_b64 exec, exec, s[8:9]
	s_and_b64 s[12:13], s[6:7], exec
	v_pk_mov_b32 v[6:7], v[2:3], v[2:3] op_sel:[0,1]
.LBB198_184:                            ;   in Loop: Header=BB198_18 Depth=1
	s_or_b64 exec, exec, s[2:3]
	s_mov_b64 s[2:3], -1
                                        ; implicit-def: $sgpr6_sgpr7
                                        ; implicit-def: $sgpr8_sgpr9
                                        ; implicit-def: $sgpr10_sgpr11
	s_and_saveexec_b64 s[52:53], s[12:13]
	s_cbranch_execz .LBB198_285
; %bb.185:                              ;   in Loop: Header=BB198_18 Depth=1
	s_cmp_eq_u64 s[22:23], 1
	s_cselect_b64 s[2:3], -1, 0
	v_cmp_eq_u64_e32 vcc, 1, v[6:7]
	s_and_b64 s[10:11], s[2:3], vcc
	s_mov_b64 s[6:7], -1
                                        ; implicit-def: $sgpr8_sgpr9
                                        ; implicit-def: $sgpr50_sgpr51
                                        ; implicit-def: $vcc
	s_and_saveexec_b64 s[54:55], s[10:11]
	s_cbranch_execz .LBB198_219
; %bb.186:                              ;   in Loop: Header=BB198_18 Depth=1
	ds_read_b64 v[2:3], v15 offset:5120
	s_waitcnt lgkmcnt(0)
	s_barrier
	v_readfirstlane_b32 s2, v2
	v_readfirstlane_b32 s3, v3
	s_mov_b64 s[6:7], exec
	v_readlane_b32 s8, v49, 48
	v_readlane_b32 s9, v49, 49
	s_and_b64 s[8:9], s[6:7], s[8:9]
	s_mov_b64 exec, s[8:9]
	s_cbranch_execz .LBB198_188
; %bb.187:                              ;   in Loop: Header=BB198_18 Depth=1
	ds_write_b32 v32, v15
.LBB198_188:                            ;   in Loop: Header=BB198_18 Depth=1
	s_or_b64 exec, exec, s[6:7]
	v_and_b32_e32 v2, s48, v20
	v_lshl_or_b32 v20, 2, s49, v2
	v_or_b32_e32 v24, s90, v24
	s_cmp_eq_u64 s[2:3], 0
	s_waitcnt lgkmcnt(0)
	s_barrier
	s_cbranch_scc1 .LBB198_202
; %bb.189:                              ;   in Loop: Header=BB198_18 Depth=1
	v_readlane_b32 s6, v49, 52
	s_add_u32 s12, s6, s2
	v_readlane_b32 s6, v49, 54
	s_addc_u32 s7, s6, s3
	s_mov_b32 s6, s91
	s_cmp_lg_u64 s[6:7], 0
	s_cbranch_scc0 .LBB198_237
; %bb.190:                              ;   in Loop: Header=BB198_18 Depth=1
	v_cvt_f32_u32_e32 v2, s89
	s_sub_u32 s6, 0, s89
	s_subb_u32 s8, 0, 0
	v_mac_f32_e32 v2, 0, v36
	v_rcp_f32_e32 v2, v2
	v_mul_f32_e32 v2, 0x5f7ffffc, v2
	v_mul_f32_e32 v3, 0x2f800000, v2
	v_trunc_f32_e32 v3, v3
	v_mac_f32_e32 v2, 0xcf800000, v3
	v_cvt_u32_f32_e32 v3, v3
	v_cvt_u32_f32_e32 v2, v2
	v_readfirstlane_b32 s9, v3
	v_readfirstlane_b32 s13, v2
	s_mul_i32 s50, s6, s9
	s_mul_hi_u32 s56, s6, s13
	s_mul_i32 s51, s8, s13
	s_add_i32 s50, s56, s50
	s_mul_i32 s57, s6, s13
	s_add_i32 s50, s50, s51
	s_mul_hi_u32 s56, s13, s57
	s_mul_hi_u32 s51, s13, s50
	s_mul_i32 s13, s13, s50
	s_add_u32 s13, s56, s13
	s_addc_u32 s51, 0, s51
	s_mul_hi_u32 s72, s9, s57
	s_mul_i32 s57, s9, s57
	s_add_u32 s13, s13, s57
	s_mul_hi_u32 s56, s9, s50
	s_addc_u32 s13, s51, s72
	s_addc_u32 s51, s56, 0
	s_mul_i32 s50, s9, s50
	s_add_u32 s13, s13, s50
	s_addc_u32 s50, 0, s51
	v_add_co_u32_e32 v2, vcc, s13, v2
	s_cmp_lg_u64 vcc, 0
	s_addc_u32 s9, s9, s50
	v_readfirstlane_b32 s50, v2
	s_mul_i32 s13, s6, s9
	s_mul_hi_u32 s51, s6, s50
	s_add_i32 s13, s51, s13
	s_mul_i32 s8, s8, s50
	s_add_i32 s13, s13, s8
	s_mul_i32 s6, s6, s50
	s_mul_hi_u32 s51, s9, s6
	s_mul_i32 s56, s9, s6
	s_mul_i32 s72, s50, s13
	s_mul_hi_u32 s6, s50, s6
	s_mul_hi_u32 s57, s50, s13
	s_add_u32 s6, s6, s72
	s_addc_u32 s50, 0, s57
	s_add_u32 s6, s6, s56
	s_mul_hi_u32 s8, s9, s13
	s_addc_u32 s6, s50, s51
	s_addc_u32 s8, s8, 0
	s_mul_i32 s13, s9, s13
	s_add_u32 s6, s6, s13
	s_addc_u32 s8, 0, s8
	v_add_co_u32_e32 v2, vcc, s6, v2
	s_cmp_lg_u64 vcc, 0
	s_addc_u32 s6, s9, s8
	v_readfirstlane_b32 s13, v2
	s_mul_i32 s9, s12, s6
	s_mul_hi_u32 s50, s12, s13
	s_mul_hi_u32 s8, s12, s6
	s_add_u32 s9, s50, s9
	s_addc_u32 s8, 0, s8
	s_mul_hi_u32 s51, s7, s13
	s_mul_i32 s13, s7, s13
	s_add_u32 s9, s9, s13
	s_mul_hi_u32 s50, s7, s6
	s_addc_u32 s8, s8, s51
	s_addc_u32 s9, s50, 0
	s_mul_i32 s6, s7, s6
	s_add_u32 s6, s8, s6
	s_addc_u32 s8, 0, s9
	s_mul_hi_u32 s9, s89, s6
	s_mul_i32 s6, s89, s6
	s_mul_i32 s8, s89, s8
	v_mov_b32_e32 v2, s6
	s_add_i32 s9, s9, s8
	v_sub_co_u32_e32 v2, vcc, s12, v2
	s_cmp_lg_u64 vcc, 0
	s_subb_u32 s6, s7, s9
	v_subrev_co_u32_e32 v3, vcc, s89, v2
	s_cmp_lg_u64 vcc, 0
	s_subb_u32 s8, s6, 0
	v_subrev_co_u32_e32 v4, vcc, s89, v3
	s_cmp_lg_u64 vcc, 0
	s_subb_u32 s9, s8, 0
	v_cmp_le_u32_e32 vcc, s89, v3
	s_cmp_eq_u32 s8, 0
	v_cndmask_b32_e64 v5, 0, -1, vcc
	s_cselect_b64 vcc, -1, 0
	v_cndmask_b32_e32 v5, -1, v5, vcc
	v_mov_b32_e32 v8, s8
	v_mov_b32_e32 v9, s9
	v_cmp_ne_u32_e32 vcc, 0, v5
	v_cndmask_b32_e32 v5, v8, v9, vcc
	v_cndmask_b32_e32 v4, v3, v4, vcc
	v_cmp_le_u32_e32 vcc, s89, v2
	s_cmp_eq_u32 s6, 0
	v_cndmask_b32_e64 v3, 0, -1, vcc
	s_cselect_b64 vcc, -1, 0
	v_cndmask_b32_e32 v3, -1, v3, vcc
	v_mov_b32_e32 v8, s6
	v_cmp_ne_u32_e32 vcc, 0, v3
	v_cndmask_b32_e32 v3, v8, v5, vcc
	v_cndmask_b32_e32 v2, v2, v4, vcc
	s_cbranch_execnz .LBB198_192
.LBB198_191:                            ;   in Loop: Header=BB198_18 Depth=1
	v_cvt_f32_u32_e32 v2, s89
	s_sub_i32 s6, 0, s89
	v_rcp_iflag_f32_e32 v2, v2
	v_mul_f32_e32 v2, 0x4f7ffffe, v2
	v_cvt_u32_f32_e32 v2, v2
	v_mul_lo_u32 v3, s6, v2
	v_mul_hi_u32 v3, v2, v3
	v_add_u32_e32 v2, v2, v3
	v_mul_hi_u32 v2, s12, v2
	v_mul_lo_u32 v2, v2, s89
	v_sub_u32_e32 v2, s12, v2
	v_subrev_u32_e32 v3, s89, v2
	v_cmp_le_u32_e32 vcc, s89, v2
	v_cndmask_b32_e32 v2, v2, v3, vcc
	v_subrev_u32_e32 v3, s89, v2
	v_cmp_le_u32_e32 vcc, s89, v2
	v_cndmask_b32_e32 v14, v2, v3, vcc
	v_pk_mov_b32 v[2:3], v[14:15], v[14:15] op_sel:[0,1]
.LBB198_192:                            ;   in Loop: Header=BB198_18 Depth=1
	v_mov_b32_e32 v4, s7
	v_sub_co_u32_e32 v2, vcc, s12, v2
	v_subb_co_u32_e32 v3, vcc, v4, v3, vcc
	v_cmp_gt_u64_e32 vcc, v[2:3], v[0:1]
	s_mov_b64 s[6:7], 0
                                        ; implicit-def: $vgpr5
	s_and_saveexec_b64 s[8:9], vcc
	s_cbranch_execz .LBB198_204
; %bb.193:                              ;   in Loop: Header=BB198_18 Depth=1
	s_mov_b64 s[12:13], 0
	v_mov_b32_e32 v14, v16
	v_pk_mov_b32 v[8:9], v[0:1], v[0:1] op_sel:[0,1]
                                        ; implicit-def: $sgpr50_sgpr51
	s_branch .LBB198_195
.LBB198_194:                            ;   in Loop: Header=BB198_195 Depth=2
	s_or_b64 exec, exec, s[6:7]
	s_waitcnt lgkmcnt(0)
	s_barrier
	ds_read_b64 v[4:5], v15 offset:3072
	v_add_co_u32_e64 v8, s[6:7], s89, v8
	v_add_u32_e32 v14, s5, v14
	s_waitcnt lgkmcnt(0)
	v_cmp_neq_f32_e32 vcc, 0, v4
	v_mov_b32_e32 v4, s74
	v_addc_co_u32_e64 v9, s[6:7], v9, v4, s[6:7]
	v_cmp_ge_u64_e64 s[6:7], v[8:9], v[2:3]
	s_or_b64 s[6:7], s[6:7], vcc
	s_and_b64 s[6:7], exec, s[6:7]
	s_or_b64 s[12:13], s[6:7], s[12:13]
	s_andn2_b64 s[6:7], s[50:51], exec
	s_and_b64 s[50:51], vcc, exec
	s_or_b64 s[50:51], s[6:7], s[50:51]
	s_barrier
	s_andn2_b64 exec, exec, s[12:13]
	s_cbranch_execz .LBB198_203
.LBB198_195:                            ;   Parent Loop BB198_18 Depth=1
                                        ; =>  This Inner Loop Header: Depth=2
	v_cmp_gt_u64_e32 vcc, s[2:3], v[8:9]
	s_waitcnt vmcnt(0)
	v_mov_b32_e32 v19, 0
	s_and_saveexec_b64 s[6:7], vcc
	s_cbranch_execz .LBB198_197
; %bb.196:                              ;   in Loop: Header=BB198_195 Depth=2
	ds_read_b32 v19, v14
.LBB198_197:                            ;   in Loop: Header=BB198_195 Depth=2
	s_or_b64 exec, exec, s[6:7]
	s_and_saveexec_b64 s[6:7], vcc
	s_cbranch_execz .LBB198_194
; %bb.198:                              ;   in Loop: Header=BB198_195 Depth=2
	s_waitcnt lgkmcnt(0)
	v_cmp_lt_i32_e32 vcc, -1, v19
	v_cndmask_b32_e32 v4, -1, v35, vcc
	v_xor_b32_e32 v4, v4, v19
	v_cmp_o_f32_e32 vcc, v19, v19
	v_cndmask_b32_e32 v4, -1, v4, vcc
	v_and_b32_e32 v4, v4, v24
	v_cmp_eq_u32_e32 vcc, v4, v20
	s_and_b64 exec, exec, vcc
	s_cbranch_execz .LBB198_194
; %bb.199:                              ;   in Loop: Header=BB198_195 Depth=2
	ds_write_b64 v15, v[18:19] offset:3072
	s_branch .LBB198_194
.LBB198_200:                            ;   in Loop: Header=BB198_18 Depth=1
                                        ; implicit-def: $vgpr4_vgpr5
	s_branch .LBB198_145
.LBB198_201:                            ;   in Loop: Header=BB198_18 Depth=1
                                        ; implicit-def: $vgpr4_vgpr5
	s_branch .LBB198_161
.LBB198_202:                            ;   in Loop: Header=BB198_18 Depth=1
	s_mov_b64 s[8:9], -1
	s_mov_b64 s[6:7], 0
                                        ; implicit-def: $sgpr2_sgpr3
                                        ; implicit-def: $vgpr5
	s_mov_b64 s[50:51], s[8:9]
	s_cbranch_execnz .LBB198_205
	s_branch .LBB198_218
.LBB198_203:                            ;   in Loop: Header=BB198_18 Depth=1
	s_or_b64 exec, exec, s[12:13]
	s_and_b64 s[6:7], s[50:51], exec
.LBB198_204:                            ;   in Loop: Header=BB198_18 Depth=1
	s_or_b64 exec, exec, s[8:9]
	s_mov_b64 s[2:3], -1
	s_mov_b64 s[8:9], 0
	s_mov_b64 s[50:51], s[8:9]
	s_branch .LBB198_218
.LBB198_205:                            ;   in Loop: Header=BB198_18 Depth=1
	s_mov_b32 s72, s91
	s_cmp_lg_u64 s[72:73], 0
	s_cbranch_scc0 .LBB198_238
; %bb.206:                              ;   in Loop: Header=BB198_18 Depth=1
	v_cvt_f32_u32_e32 v2, s89
	s_sub_u32 s2, 0, s89
	s_subb_u32 s3, 0, 0
	v_mac_f32_e32 v2, 0, v36
	v_rcp_f32_e32 v2, v2
	v_mul_f32_e32 v2, 0x5f7ffffc, v2
	v_mul_f32_e32 v3, 0x2f800000, v2
	v_trunc_f32_e32 v3, v3
	v_mac_f32_e32 v2, 0xcf800000, v3
	v_cvt_u32_f32_e32 v3, v3
	v_cvt_u32_f32_e32 v2, v2
	v_readfirstlane_b32 s6, v3
	v_readfirstlane_b32 s7, v2
	s_mul_i32 s8, s2, s6
	s_mul_hi_u32 s12, s2, s7
	s_mul_i32 s9, s3, s7
	s_add_i32 s8, s12, s8
	s_mul_i32 s13, s2, s7
	s_add_i32 s8, s8, s9
	s_mul_hi_u32 s12, s7, s13
	s_mul_hi_u32 s9, s7, s8
	s_mul_i32 s7, s7, s8
	s_add_u32 s7, s12, s7
	s_addc_u32 s9, 0, s9
	s_mul_hi_u32 s50, s6, s13
	s_mul_i32 s13, s6, s13
	s_add_u32 s7, s7, s13
	s_mul_hi_u32 s12, s6, s8
	s_addc_u32 s7, s9, s50
	s_addc_u32 s9, s12, 0
	s_mul_i32 s8, s6, s8
	s_add_u32 s7, s7, s8
	s_addc_u32 s8, 0, s9
	v_add_co_u32_e32 v2, vcc, s7, v2
	s_cmp_lg_u64 vcc, 0
	s_addc_u32 s6, s6, s8
	v_readfirstlane_b32 s8, v2
	s_mul_i32 s7, s2, s6
	s_mul_hi_u32 s9, s2, s8
	s_add_i32 s7, s9, s7
	s_mul_i32 s3, s3, s8
	s_add_i32 s7, s7, s3
	s_mul_i32 s2, s2, s8
	s_mul_hi_u32 s9, s6, s2
	s_mul_i32 s12, s6, s2
	s_mul_i32 s50, s8, s7
	s_mul_hi_u32 s2, s8, s2
	s_mul_hi_u32 s13, s8, s7
	s_add_u32 s2, s2, s50
	s_addc_u32 s8, 0, s13
	s_add_u32 s2, s2, s12
	s_mul_hi_u32 s3, s6, s7
	s_addc_u32 s2, s8, s9
	s_addc_u32 s3, s3, 0
	s_mul_i32 s7, s6, s7
	s_add_u32 s2, s2, s7
	s_addc_u32 s3, 0, s3
	v_add_co_u32_e32 v2, vcc, s2, v2
	s_cmp_lg_u64 vcc, 0
	s_addc_u32 s2, s6, s3
	v_readlane_b32 s12, v49, 53
	v_readfirstlane_b32 s7, v2
	s_mul_i32 s6, s12, s2
	s_mul_hi_u32 s8, s12, s7
	s_mul_hi_u32 s3, s12, s2
	s_add_u32 s6, s8, s6
	s_addc_u32 s3, 0, s3
	s_mul_hi_u32 s9, s73, s7
	s_mul_i32 s7, s73, s7
	s_add_u32 s6, s6, s7
	s_mul_hi_u32 s8, s73, s2
	s_addc_u32 s3, s3, s9
	s_addc_u32 s6, s8, 0
	s_mul_i32 s2, s73, s2
	s_add_u32 s2, s3, s2
	s_addc_u32 s3, 0, s6
	s_mul_hi_u32 s6, s89, s2
	s_mul_i32 s2, s89, s2
	s_mul_i32 s3, s89, s3
	v_mov_b32_e32 v2, s2
	s_add_i32 s6, s6, s3
	v_sub_co_u32_e32 v2, vcc, s12, v2
	s_cmp_lg_u64 vcc, 0
	s_subb_u32 s2, s73, s6
	v_subrev_co_u32_e32 v3, vcc, s89, v2
	s_cmp_lg_u64 vcc, 0
	s_subb_u32 s3, s2, 0
	v_subrev_co_u32_e32 v4, vcc, s89, v3
	s_cmp_lg_u64 vcc, 0
	s_subb_u32 s6, s3, 0
	v_cmp_le_u32_e32 vcc, s89, v3
	s_cmp_eq_u32 s3, 0
	v_cndmask_b32_e64 v5, 0, -1, vcc
	s_cselect_b64 vcc, -1, 0
	v_cndmask_b32_e32 v5, -1, v5, vcc
	v_mov_b32_e32 v8, s3
	v_mov_b32_e32 v9, s6
	v_cmp_ne_u32_e32 vcc, 0, v5
	v_cndmask_b32_e32 v5, v8, v9, vcc
	v_cndmask_b32_e32 v4, v3, v4, vcc
	v_cmp_le_u32_e32 vcc, s89, v2
	s_cmp_eq_u32 s2, 0
	v_cndmask_b32_e64 v3, 0, -1, vcc
	s_cselect_b64 vcc, -1, 0
	v_cndmask_b32_e32 v3, -1, v3, vcc
	v_mov_b32_e32 v8, s2
	v_cmp_ne_u32_e32 vcc, 0, v3
	v_cndmask_b32_e32 v3, v8, v5, vcc
	v_cndmask_b32_e32 v2, v2, v4, vcc
	s_cbranch_execnz .LBB198_208
.LBB198_207:                            ;   in Loop: Header=BB198_18 Depth=1
	v_cvt_f32_u32_e32 v2, s89
	s_sub_i32 s2, 0, s89
	v_rcp_iflag_f32_e32 v2, v2
	v_mul_f32_e32 v2, 0x4f7ffffe, v2
	v_cvt_u32_f32_e32 v2, v2
	v_mul_lo_u32 v3, s2, v2
	v_mul_hi_u32 v3, v2, v3
	v_add_u32_e32 v2, v2, v3
	v_readlane_b32 s2, v49, 53
	v_mul_hi_u32 v2, s2, v2
	v_mul_lo_u32 v2, v2, s89
	v_sub_u32_e32 v2, s2, v2
	v_subrev_u32_e32 v3, s89, v2
	v_cmp_le_u32_e32 vcc, s89, v2
	v_cndmask_b32_e32 v2, v2, v3, vcc
	v_subrev_u32_e32 v3, s89, v2
	v_cmp_le_u32_e32 vcc, s89, v2
	v_cndmask_b32_e32 v14, v2, v3, vcc
	v_pk_mov_b32 v[2:3], v[14:15], v[14:15] op_sel:[0,1]
.LBB198_208:                            ;   in Loop: Header=BB198_18 Depth=1
	v_readlane_b32 s2, v49, 53
	v_mov_b32_e32 v4, s73
	v_sub_co_u32_e32 v2, vcc, s2, v2
	v_subb_co_u32_e32 v3, vcc, v4, v3, vcc
	v_cmp_gt_u64_e32 vcc, v[2:3], v[0:1]
	s_mov_b64 s[6:7], 0
                                        ; implicit-def: $vgpr5
	s_and_saveexec_b64 s[2:3], vcc
	s_cbranch_execz .LBB198_217
; %bb.209:                              ;   in Loop: Header=BB198_18 Depth=1
	s_mov_b64 s[8:9], 0
	v_pk_mov_b32 v[8:9], v[0:1], v[0:1] op_sel:[0,1]
                                        ; implicit-def: $sgpr12_sgpr13
	s_branch .LBB198_211
.LBB198_210:                            ;   in Loop: Header=BB198_211 Depth=2
	s_or_b64 exec, exec, s[6:7]
	s_waitcnt lgkmcnt(0)
	s_barrier
	ds_read_b64 v[4:5], v15 offset:3072
	v_add_co_u32_e64 v8, s[6:7], s89, v8
	s_waitcnt lgkmcnt(0)
	s_barrier
	v_cmp_neq_f32_e32 vcc, 0, v4
	v_mov_b32_e32 v4, s74
	v_addc_co_u32_e64 v9, s[6:7], v9, v4, s[6:7]
	v_cmp_ge_u64_e64 s[6:7], v[8:9], v[2:3]
	s_or_b64 s[6:7], s[6:7], vcc
	s_and_b64 s[6:7], exec, s[6:7]
	s_or_b64 s[8:9], s[6:7], s[8:9]
	s_andn2_b64 s[6:7], s[12:13], exec
	s_and_b64 s[12:13], vcc, exec
	s_or_b64 s[12:13], s[6:7], s[12:13]
	s_andn2_b64 exec, exec, s[8:9]
	s_cbranch_execz .LBB198_216
.LBB198_211:                            ;   Parent Loop BB198_18 Depth=1
                                        ; =>  This Inner Loop Header: Depth=2
	v_cmp_gt_u64_e32 vcc, s[60:61], v[8:9]
	s_waitcnt vmcnt(0)
	v_mov_b32_e32 v19, 0
	s_and_saveexec_b64 s[50:51], vcc
	s_cbranch_execz .LBB198_213
; %bb.212:                              ;   in Loop: Header=BB198_211 Depth=2
	v_mul_lo_u32 v14, v9, s58
	v_mul_lo_u32 v19, v8, s59
	v_mad_u64_u32 v[4:5], s[6:7], v8, s58, 0
	v_add3_u32 v5, v5, v19, v14
	v_lshlrev_b64 v[4:5], 2, v[4:5]
	v_mov_b32_e32 v14, s88
	v_add_co_u32_e64 v4, s[6:7], s33, v4
	v_addc_co_u32_e64 v5, s[6:7], v14, v5, s[6:7]
	global_load_dword v19, v[4:5], off
.LBB198_213:                            ;   in Loop: Header=BB198_211 Depth=2
	s_or_b64 exec, exec, s[50:51]
	s_and_saveexec_b64 s[6:7], vcc
	s_cbranch_execz .LBB198_210
; %bb.214:                              ;   in Loop: Header=BB198_211 Depth=2
	s_waitcnt vmcnt(0)
	v_cmp_lt_i32_e32 vcc, -1, v19
	v_cndmask_b32_e32 v4, -1, v35, vcc
	v_xor_b32_e32 v4, v4, v19
	v_cmp_o_f32_e32 vcc, v19, v19
	v_cndmask_b32_e32 v4, -1, v4, vcc
	v_and_b32_e32 v4, v4, v24
	v_cmp_eq_u32_e32 vcc, v4, v20
	s_and_b64 exec, exec, vcc
	s_cbranch_execz .LBB198_210
; %bb.215:                              ;   in Loop: Header=BB198_211 Depth=2
	ds_write_b64 v15, v[18:19] offset:3072
	s_branch .LBB198_210
.LBB198_216:                            ;   in Loop: Header=BB198_18 Depth=1
	s_or_b64 exec, exec, s[8:9]
	s_and_b64 s[6:7], s[12:13], exec
.LBB198_217:                            ;   in Loop: Header=BB198_18 Depth=1
	s_or_b64 exec, exec, s[2:3]
	s_mov_b64 s[50:51], -1
	s_mov_b64 s[8:9], 0
	s_mov_b64 s[2:3], 0
.LBB198_218:                            ;   in Loop: Header=BB198_18 Depth=1
	s_orn2_b64 s[6:7], s[6:7], exec
	s_mov_b64 vcc, s[2:3]
.LBB198_219:                            ;   in Loop: Header=BB198_18 Depth=1
	s_or_b64 exec, exec, s[54:55]
	s_mov_b64 s[2:3], 0
                                        ; implicit-def: $vgpr8
	s_and_saveexec_b64 s[54:55], s[6:7]
	s_cbranch_execz .LBB198_284
; %bb.220:                              ;   in Loop: Header=BB198_18 Depth=1
	v_mov_b32_e32 v2, 1
	s_xor_b64 s[6:7], s[10:11], -1
	s_mov_b64 s[92:93], 0
	v_mov_b32_e32 v3, 0
	v_mov_b32_e32 v8, 1
	s_and_saveexec_b64 s[2:3], s[6:7]
	s_cbranch_execz .LBB198_230
; %bb.221:                              ;   in Loop: Header=BB198_18 Depth=1
	s_mov_b64 s[94:95], vcc
	v_cmp_ge_u64_e32 vcc, s[22:23], v[6:7]
                                        ; implicit-def: $sgpr12
                                        ; implicit-def: $sgpr6_sgpr7
	s_and_saveexec_b64 s[10:11], vcc
	s_xor_b64 s[10:11], exec, s[10:11]
	s_cbranch_execz .LBB198_227
; %bb.222:                              ;   in Loop: Header=BB198_18 Depth=1
	ds_read_b64 v[2:3], v15 offset:5120
	s_waitcnt lgkmcnt(0)
	v_cmp_ne_u64_e32 vcc, 0, v[2:3]
	s_cbranch_vccnz .LBB198_226
; %bb.223:                              ;   in Loop: Header=BB198_18 Depth=1
	s_mov_b64 s[6:7], exec
	v_readlane_b32 s12, v49, 32
	v_readlane_b32 s13, v49, 33
	s_and_b64 s[12:13], s[6:7], s[12:13]
	s_mov_b64 exec, s[12:13]
	s_cbranch_execz .LBB198_225
; %bb.224:                              ;   in Loop: Header=BB198_18 Depth=1
	v_pk_mov_b32 v[2:3], s[22:23], s[22:23] op_sel:[0,1]
	ds_write_b64 v15, v[2:3] offset:5128
.LBB198_225:                            ;   in Loop: Header=BB198_18 Depth=1
	s_or_b64 exec, exec, s[6:7]
	s_waitcnt lgkmcnt(0)
	s_barrier
.LBB198_226:                            ;   in Loop: Header=BB198_18 Depth=1
	v_and_b32_e32 v2, s48, v20
	v_lshl_or_b32 v20, 2, s49, v2
	v_or_b32_e32 v24, s90, v24
	s_mov_b64 s[6:7], 0
	s_mov_b32 s12, 8
.LBB198_227:                            ;   in Loop: Header=BB198_18 Depth=1
	s_or_saveexec_b64 s[10:11], s[10:11]
	v_mov_b32_e32 v8, s12
	s_xor_b64 exec, exec, s[10:11]
; %bb.228:                              ;   in Loop: Header=BB198_18 Depth=1
	v_mov_b32_e32 v2, s23
	v_subrev_co_u32_e32 v6, vcc, s22, v6
	v_subb_co_u32_e32 v7, vcc, v7, v2, vcc
	v_mov_b32_e32 v8, 0
	s_or_b64 s[6:7], s[6:7], exec
; %bb.229:                              ;   in Loop: Header=BB198_18 Depth=1
	s_or_b64 exec, exec, s[10:11]
	s_and_b64 s[92:93], s[6:7], exec
	v_pk_mov_b32 v[2:3], v[6:7], v[6:7] op_sel:[0,1]
	s_mov_b64 vcc, s[94:95]
.LBB198_230:                            ;   in Loop: Header=BB198_18 Depth=1
	s_or_b64 exec, exec, s[2:3]
	s_mov_b64 s[56:57], -1
                                        ; implicit-def: $sgpr2_sgpr3
                                        ; implicit-def: $sgpr12_sgpr13
                                        ; implicit-def: $sgpr6_sgpr7
	s_and_saveexec_b64 s[10:11], s[92:93]
	s_cbranch_execz .LBB198_283
; %bb.231:                              ;   in Loop: Header=BB198_18 Depth=1
                                        ; implicit-def: $vgpr48 : SGPR spill to VGPR lane
	v_writelane_b32 v49, vcc_lo, 63
	s_cmp_eq_u64 s[24:25], 1
	v_writelane_b32 v48, vcc_hi, 0
	s_cselect_b64 s[2:3], -1, 0
	v_cmp_eq_u64_e32 vcc, 1, v[2:3]
	s_mov_b64 s[92:93], -1
	s_and_b64 s[56:57], s[2:3], vcc
                                        ; implicit-def: $sgpr2_sgpr3
                                        ; implicit-def: $sgpr12_sgpr13
                                        ; implicit-def: $sgpr6_sgpr7
	s_mov_b64 s[94:95], exec
	v_writelane_b32 v48, s56, 1
	v_writelane_b32 v48, s57, 2
	s_and_b64 s[56:57], s[94:95], s[56:57]
	s_mov_b64 exec, s[56:57]
	s_cbranch_execz .LBB198_270
; %bb.232:                              ;   in Loop: Header=BB198_18 Depth=1
	ds_read_b64 v[4:5], v15 offset:5120
	s_waitcnt lgkmcnt(0)
	s_barrier
	v_readfirstlane_b32 s2, v4
	v_readfirstlane_b32 s3, v5
	s_mov_b64 s[6:7], exec
	v_readlane_b32 s12, v49, 48
	v_readlane_b32 s13, v49, 49
	s_and_b64 s[12:13], s[6:7], s[12:13]
	s_mov_b64 exec, s[12:13]
	s_cbranch_execz .LBB198_234
; %bb.233:                              ;   in Loop: Header=BB198_18 Depth=1
	ds_write_b32 v32, v15
.LBB198_234:                            ;   in Loop: Header=BB198_18 Depth=1
	s_or_b64 exec, exec, s[6:7]
	v_or_b32_e32 v20, s90, v20
	v_or_b32_e32 v24, s90, v24
	s_cmp_eq_u64 s[2:3], 0
	v_writelane_b32 v48, s94, 3
	s_waitcnt lgkmcnt(0)
	s_barrier
	v_writelane_b32 v48, s95, 4
	s_cbranch_scc1 .LBB198_239
; %bb.235:                              ;   in Loop: Header=BB198_18 Depth=1
	v_readlane_b32 s6, v49, 52
	s_add_u32 s56, s6, s2
	v_readlane_b32 s6, v49, 54
	s_addc_u32 s7, s6, s3
	s_mov_b32 s6, s91
	s_cmp_lg_u64 s[6:7], 0
	s_cbranch_scc0 .LBB198_240
; %bb.236:                              ;   in Loop: Header=BB198_18 Depth=1
	v_cvt_f32_u32_e32 v4, s89
	s_sub_u32 s6, 0, s89
	s_subb_u32 s12, 0, 0
	v_mac_f32_e32 v4, 0, v36
	v_rcp_f32_e32 v4, v4
	v_mul_f32_e32 v4, 0x5f7ffffc, v4
	v_mul_f32_e32 v5, 0x2f800000, v4
	v_trunc_f32_e32 v5, v5
	v_mac_f32_e32 v4, 0xcf800000, v5
	v_cvt_u32_f32_e32 v5, v5
	v_cvt_u32_f32_e32 v4, v4
	v_readfirstlane_b32 s13, v5
	v_readfirstlane_b32 s57, v4
	s_mul_i32 s72, s6, s13
	s_mul_hi_u32 s93, s6, s57
	s_mul_i32 s92, s12, s57
	s_add_i32 s72, s93, s72
	s_mul_i32 s94, s6, s57
	s_add_i32 s72, s72, s92
	s_mul_hi_u32 s93, s57, s94
	s_mul_hi_u32 s92, s57, s72
	s_mul_i32 s57, s57, s72
	s_add_u32 s57, s93, s57
	s_addc_u32 s92, 0, s92
	s_mul_hi_u32 s95, s13, s94
	s_mul_i32 s94, s13, s94
	s_add_u32 s57, s57, s94
	s_mul_hi_u32 s93, s13, s72
	s_addc_u32 s57, s92, s95
	s_addc_u32 s92, s93, 0
	s_mul_i32 s72, s13, s72
	s_add_u32 s57, s57, s72
	s_addc_u32 s72, 0, s92
	v_add_co_u32_e32 v4, vcc, s57, v4
	s_cmp_lg_u64 vcc, 0
	s_addc_u32 s13, s13, s72
	v_readfirstlane_b32 s72, v4
	s_mul_i32 s57, s6, s13
	s_mul_hi_u32 s92, s6, s72
	s_add_i32 s57, s92, s57
	s_mul_i32 s12, s12, s72
	s_add_i32 s57, s57, s12
	s_mul_i32 s6, s6, s72
	s_mul_hi_u32 s92, s13, s6
	s_mul_i32 s93, s13, s6
	s_mul_i32 s95, s72, s57
	s_mul_hi_u32 s6, s72, s6
	s_mul_hi_u32 s94, s72, s57
	s_add_u32 s6, s6, s95
	s_addc_u32 s72, 0, s94
	s_add_u32 s6, s6, s93
	s_mul_hi_u32 s12, s13, s57
	s_addc_u32 s6, s72, s92
	s_addc_u32 s12, s12, 0
	s_mul_i32 s57, s13, s57
	s_add_u32 s6, s6, s57
	s_addc_u32 s12, 0, s12
	v_add_co_u32_e32 v4, vcc, s6, v4
	s_cmp_lg_u64 vcc, 0
	s_addc_u32 s6, s13, s12
	v_readfirstlane_b32 s57, v4
	s_mul_i32 s13, s56, s6
	s_mul_hi_u32 s72, s56, s57
	s_mul_hi_u32 s12, s56, s6
	s_add_u32 s13, s72, s13
	s_addc_u32 s12, 0, s12
	s_mul_hi_u32 s92, s7, s57
	s_mul_i32 s57, s7, s57
	s_add_u32 s13, s13, s57
	s_mul_hi_u32 s72, s7, s6
	s_addc_u32 s12, s12, s92
	s_addc_u32 s13, s72, 0
	s_mul_i32 s6, s7, s6
	s_add_u32 s6, s12, s6
	s_addc_u32 s12, 0, s13
	s_mul_hi_u32 s13, s89, s6
	s_mul_i32 s6, s89, s6
	s_mul_i32 s12, s89, s12
	v_mov_b32_e32 v4, s6
	s_add_i32 s13, s13, s12
	v_sub_co_u32_e32 v4, vcc, s56, v4
	s_cmp_lg_u64 vcc, 0
	s_subb_u32 s6, s7, s13
	v_subrev_co_u32_e32 v5, vcc, s89, v4
	s_cmp_lg_u64 vcc, 0
	s_subb_u32 s12, s6, 0
	v_subrev_co_u32_e32 v6, vcc, s89, v5
	s_cmp_lg_u64 vcc, 0
	s_subb_u32 s13, s12, 0
	v_cmp_le_u32_e32 vcc, s89, v5
	s_cmp_eq_u32 s12, 0
	v_cndmask_b32_e64 v7, 0, -1, vcc
	s_cselect_b64 vcc, -1, 0
	v_cndmask_b32_e32 v7, -1, v7, vcc
	v_mov_b32_e32 v8, s12
	v_mov_b32_e32 v9, s13
	v_cmp_ne_u32_e32 vcc, 0, v7
	v_cndmask_b32_e32 v7, v8, v9, vcc
	v_cndmask_b32_e32 v6, v5, v6, vcc
	v_cmp_le_u32_e32 vcc, s89, v4
	s_cmp_eq_u32 s6, 0
	v_cndmask_b32_e64 v5, 0, -1, vcc
	s_cselect_b64 vcc, -1, 0
	v_cndmask_b32_e32 v5, -1, v5, vcc
	v_mov_b32_e32 v8, s6
	v_cmp_ne_u32_e32 vcc, 0, v5
	v_cndmask_b32_e32 v5, v8, v7, vcc
	v_cndmask_b32_e32 v4, v4, v6, vcc
	s_mov_b64 s[12:13], 0
	s_branch .LBB198_241
.LBB198_237:                            ;   in Loop: Header=BB198_18 Depth=1
                                        ; implicit-def: $vgpr2_vgpr3
	s_branch .LBB198_191
.LBB198_238:                            ;   in Loop: Header=BB198_18 Depth=1
                                        ; implicit-def: $vgpr2_vgpr3
	s_branch .LBB198_207
.LBB198_239:                            ;   in Loop: Header=BB198_18 Depth=1
	s_mov_b64 s[2:3], -1
	s_mov_b64 s[56:57], 0
                                        ; implicit-def: $sgpr6_sgpr7
                                        ; implicit-def: $vgpr5
	s_branch .LBB198_253
.LBB198_240:                            ;   in Loop: Header=BB198_18 Depth=1
	s_mov_b64 s[12:13], -1
                                        ; implicit-def: $vgpr4_vgpr5
.LBB198_241:                            ;   in Loop: Header=BB198_18 Depth=1
	s_andn2_b64 vcc, exec, s[12:13]
	s_cbranch_vccnz .LBB198_243
; %bb.242:                              ;   in Loop: Header=BB198_18 Depth=1
	v_cvt_f32_u32_e32 v4, s89
	s_sub_i32 s6, 0, s89
	v_rcp_iflag_f32_e32 v4, v4
	v_mul_f32_e32 v4, 0x4f7ffffe, v4
	v_cvt_u32_f32_e32 v4, v4
	v_mul_lo_u32 v5, s6, v4
	v_mul_hi_u32 v5, v4, v5
	v_add_u32_e32 v4, v4, v5
	v_mul_hi_u32 v4, s56, v4
	v_mul_lo_u32 v4, v4, s89
	v_sub_u32_e32 v4, s56, v4
	v_subrev_u32_e32 v5, s89, v4
	v_cmp_le_u32_e32 vcc, s89, v4
	v_cndmask_b32_e32 v4, v4, v5, vcc
	v_subrev_u32_e32 v5, s89, v4
	v_cmp_le_u32_e32 vcc, s89, v4
	v_cndmask_b32_e32 v14, v4, v5, vcc
	v_pk_mov_b32 v[4:5], v[14:15], v[14:15] op_sel:[0,1]
.LBB198_243:                            ;   in Loop: Header=BB198_18 Depth=1
	v_mov_b32_e32 v7, s7
	v_sub_co_u32_e32 v6, vcc, s56, v4
	v_subb_co_u32_e32 v7, vcc, v7, v5, vcc
	v_cmp_gt_u64_e32 vcc, v[6:7], v[0:1]
	s_mov_b64 s[56:57], 0
                                        ; implicit-def: $vgpr5
	s_and_saveexec_b64 s[12:13], vcc
	s_cbranch_execz .LBB198_252
; %bb.244:                              ;   in Loop: Header=BB198_18 Depth=1
	v_mov_b32_e32 v14, v16
	v_pk_mov_b32 v[8:9], v[0:1], v[0:1] op_sel:[0,1]
                                        ; implicit-def: $sgpr92_sgpr93
	s_branch .LBB198_246
.LBB198_245:                            ;   in Loop: Header=BB198_246 Depth=2
	s_or_b64 exec, exec, s[6:7]
	s_waitcnt lgkmcnt(0)
	s_barrier
	ds_read_b64 v[4:5], v15 offset:3072
	v_add_co_u32_e64 v8, s[6:7], s89, v8
	v_add_u32_e32 v14, s5, v14
	s_waitcnt lgkmcnt(0)
	v_cmp_neq_f32_e32 vcc, 0, v4
	v_mov_b32_e32 v4, s74
	v_addc_co_u32_e64 v9, s[6:7], v9, v4, s[6:7]
	v_cmp_ge_u64_e64 s[6:7], v[8:9], v[6:7]
	s_or_b64 s[6:7], s[6:7], vcc
	s_and_b64 s[6:7], exec, s[6:7]
	s_or_b64 s[56:57], s[6:7], s[56:57]
	s_andn2_b64 s[6:7], s[92:93], exec
	s_and_b64 s[92:93], vcc, exec
	s_or_b64 s[92:93], s[6:7], s[92:93]
	s_barrier
	s_andn2_b64 exec, exec, s[56:57]
	s_cbranch_execz .LBB198_251
.LBB198_246:                            ;   Parent Loop BB198_18 Depth=1
                                        ; =>  This Inner Loop Header: Depth=2
	v_cmp_gt_u64_e32 vcc, s[2:3], v[8:9]
	s_waitcnt vmcnt(0)
	v_mov_b32_e32 v19, 0
	s_and_saveexec_b64 s[6:7], vcc
	s_cbranch_execz .LBB198_248
; %bb.247:                              ;   in Loop: Header=BB198_246 Depth=2
	ds_read_b32 v19, v14
.LBB198_248:                            ;   in Loop: Header=BB198_246 Depth=2
	s_or_b64 exec, exec, s[6:7]
	s_and_saveexec_b64 s[6:7], vcc
	s_cbranch_execz .LBB198_245
; %bb.249:                              ;   in Loop: Header=BB198_246 Depth=2
	s_waitcnt lgkmcnt(0)
	v_cmp_lt_i32_e32 vcc, -1, v19
	v_cndmask_b32_e32 v4, -1, v35, vcc
	v_xor_b32_e32 v4, v4, v19
	v_cmp_o_f32_e32 vcc, v19, v19
	v_cndmask_b32_e32 v4, -1, v4, vcc
	v_and_b32_e32 v4, v4, v24
	v_cmp_eq_u32_e32 vcc, v4, v20
	s_and_b64 exec, exec, vcc
	s_cbranch_execz .LBB198_245
; %bb.250:                              ;   in Loop: Header=BB198_246 Depth=2
	ds_write_b64 v15, v[18:19] offset:3072
	s_branch .LBB198_245
.LBB198_251:                            ;   in Loop: Header=BB198_18 Depth=1
	s_or_b64 exec, exec, s[56:57]
	s_and_b64 s[56:57], s[92:93], exec
.LBB198_252:                            ;   in Loop: Header=BB198_18 Depth=1
	s_or_b64 exec, exec, s[12:13]
	s_mov_b64 s[6:7], -1
	s_mov_b64 s[2:3], 0
.LBB198_253:                            ;   in Loop: Header=BB198_18 Depth=1
	s_and_b64 vcc, exec, s[2:3]
	s_mov_b64 s[12:13], s[2:3]
	s_cbranch_vccz .LBB198_269
; %bb.254:                              ;   in Loop: Header=BB198_18 Depth=1
	s_mov_b32 s72, s91
	s_cmp_lg_u64 s[72:73], 0
	s_cbranch_scc0 .LBB198_256
; %bb.255:                              ;   in Loop: Header=BB198_18 Depth=1
	v_cvt_f32_u32_e32 v4, s89
	s_sub_u32 s2, 0, s89
	s_subb_u32 s3, 0, 0
	v_mac_f32_e32 v4, 0, v36
	v_rcp_f32_e32 v4, v4
	v_mul_f32_e32 v4, 0x5f7ffffc, v4
	v_mul_f32_e32 v5, 0x2f800000, v4
	v_trunc_f32_e32 v5, v5
	v_mac_f32_e32 v4, 0xcf800000, v5
	v_cvt_u32_f32_e32 v5, v5
	v_cvt_u32_f32_e32 v4, v4
	v_readfirstlane_b32 s6, v5
	v_readfirstlane_b32 s7, v4
	s_mul_i32 s12, s2, s6
	s_mul_hi_u32 s56, s2, s7
	s_mul_i32 s13, s3, s7
	s_add_i32 s12, s56, s12
	s_mul_i32 s57, s2, s7
	s_add_i32 s12, s12, s13
	s_mul_hi_u32 s56, s7, s57
	s_mul_hi_u32 s13, s7, s12
	s_mul_i32 s7, s7, s12
	s_add_u32 s7, s56, s7
	s_addc_u32 s13, 0, s13
	s_mul_hi_u32 s72, s6, s57
	s_mul_i32 s57, s6, s57
	s_add_u32 s7, s7, s57
	s_mul_hi_u32 s56, s6, s12
	s_addc_u32 s7, s13, s72
	s_addc_u32 s13, s56, 0
	s_mul_i32 s12, s6, s12
	s_add_u32 s7, s7, s12
	s_addc_u32 s12, 0, s13
	v_add_co_u32_e32 v4, vcc, s7, v4
	s_cmp_lg_u64 vcc, 0
	s_addc_u32 s6, s6, s12
	v_readfirstlane_b32 s12, v4
	s_mul_i32 s7, s2, s6
	s_mul_hi_u32 s13, s2, s12
	s_add_i32 s7, s13, s7
	s_mul_i32 s3, s3, s12
	s_add_i32 s7, s7, s3
	s_mul_i32 s2, s2, s12
	s_mul_hi_u32 s13, s6, s2
	s_mul_i32 s56, s6, s2
	s_mul_i32 s72, s12, s7
	s_mul_hi_u32 s2, s12, s2
	s_mul_hi_u32 s57, s12, s7
	s_add_u32 s2, s2, s72
	s_addc_u32 s12, 0, s57
	s_add_u32 s2, s2, s56
	s_mul_hi_u32 s3, s6, s7
	s_addc_u32 s2, s12, s13
	s_addc_u32 s3, s3, 0
	s_mul_i32 s7, s6, s7
	s_add_u32 s2, s2, s7
	s_addc_u32 s3, 0, s3
	v_add_co_u32_e32 v4, vcc, s2, v4
	s_cmp_lg_u64 vcc, 0
	s_addc_u32 s2, s6, s3
	v_readlane_b32 s56, v49, 53
	v_readfirstlane_b32 s7, v4
	s_mul_i32 s6, s56, s2
	s_mul_hi_u32 s12, s56, s7
	s_mul_hi_u32 s3, s56, s2
	s_add_u32 s6, s12, s6
	s_addc_u32 s3, 0, s3
	s_mul_hi_u32 s13, s73, s7
	s_mul_i32 s7, s73, s7
	s_add_u32 s6, s6, s7
	s_mul_hi_u32 s12, s73, s2
	s_addc_u32 s3, s3, s13
	s_addc_u32 s6, s12, 0
	s_mul_i32 s2, s73, s2
	s_add_u32 s2, s3, s2
	s_addc_u32 s3, 0, s6
	s_mul_hi_u32 s6, s89, s2
	s_mul_i32 s2, s89, s2
	s_mul_i32 s3, s89, s3
	v_mov_b32_e32 v4, s2
	s_add_i32 s6, s6, s3
	v_sub_co_u32_e32 v4, vcc, s56, v4
	s_cmp_lg_u64 vcc, 0
	s_subb_u32 s2, s73, s6
	v_subrev_co_u32_e32 v5, vcc, s89, v4
	s_cmp_lg_u64 vcc, 0
	s_subb_u32 s3, s2, 0
	v_subrev_co_u32_e32 v6, vcc, s89, v5
	s_cmp_lg_u64 vcc, 0
	s_subb_u32 s6, s3, 0
	v_cmp_le_u32_e32 vcc, s89, v5
	s_cmp_eq_u32 s3, 0
	v_cndmask_b32_e64 v7, 0, -1, vcc
	s_cselect_b64 vcc, -1, 0
	v_cndmask_b32_e32 v7, -1, v7, vcc
	v_mov_b32_e32 v8, s3
	v_mov_b32_e32 v9, s6
	v_cmp_ne_u32_e32 vcc, 0, v7
	v_cndmask_b32_e32 v7, v8, v9, vcc
	v_cndmask_b32_e32 v6, v5, v6, vcc
	v_cmp_le_u32_e32 vcc, s89, v4
	s_cmp_eq_u32 s2, 0
	v_cndmask_b32_e64 v5, 0, -1, vcc
	s_cselect_b64 vcc, -1, 0
	v_cndmask_b32_e32 v5, -1, v5, vcc
	v_mov_b32_e32 v8, s2
	v_cmp_ne_u32_e32 vcc, 0, v5
	v_cndmask_b32_e32 v5, v8, v7, vcc
	v_cndmask_b32_e32 v4, v4, v6, vcc
	s_mov_b64 s[2:3], 0
	s_branch .LBB198_257
.LBB198_256:                            ;   in Loop: Header=BB198_18 Depth=1
	s_mov_b64 s[2:3], -1
                                        ; implicit-def: $vgpr4_vgpr5
.LBB198_257:                            ;   in Loop: Header=BB198_18 Depth=1
	s_andn2_b64 vcc, exec, s[2:3]
	s_cbranch_vccnz .LBB198_259
; %bb.258:                              ;   in Loop: Header=BB198_18 Depth=1
	v_cvt_f32_u32_e32 v4, s89
	s_sub_i32 s2, 0, s89
	v_rcp_iflag_f32_e32 v4, v4
	v_mul_f32_e32 v4, 0x4f7ffffe, v4
	v_cvt_u32_f32_e32 v4, v4
	v_mul_lo_u32 v5, s2, v4
	v_mul_hi_u32 v5, v4, v5
	v_add_u32_e32 v4, v4, v5
	v_readlane_b32 s2, v49, 53
	v_mul_hi_u32 v4, s2, v4
	v_mul_lo_u32 v4, v4, s89
	v_sub_u32_e32 v4, s2, v4
	v_subrev_u32_e32 v5, s89, v4
	v_cmp_le_u32_e32 vcc, s89, v4
	v_cndmask_b32_e32 v4, v4, v5, vcc
	v_subrev_u32_e32 v5, s89, v4
	v_cmp_le_u32_e32 vcc, s89, v4
	v_cndmask_b32_e32 v14, v4, v5, vcc
	v_pk_mov_b32 v[4:5], v[14:15], v[14:15] op_sel:[0,1]
.LBB198_259:                            ;   in Loop: Header=BB198_18 Depth=1
	v_readlane_b32 s2, v49, 53
	v_mov_b32_e32 v7, s73
	v_sub_co_u32_e32 v6, vcc, s2, v4
	v_subb_co_u32_e32 v7, vcc, v7, v5, vcc
	v_cmp_gt_u64_e32 vcc, v[6:7], v[0:1]
	s_mov_b64 s[56:57], 0
                                        ; implicit-def: $vgpr5
	s_and_saveexec_b64 s[2:3], vcc
	s_cbranch_execz .LBB198_268
; %bb.260:                              ;   in Loop: Header=BB198_18 Depth=1
	s_mov_b64 s[12:13], 0
	v_pk_mov_b32 v[8:9], v[0:1], v[0:1] op_sel:[0,1]
                                        ; implicit-def: $sgpr56_sgpr57
	s_branch .LBB198_262
.LBB198_261:                            ;   in Loop: Header=BB198_262 Depth=2
	s_or_b64 exec, exec, s[6:7]
	s_waitcnt lgkmcnt(0)
	s_barrier
	ds_read_b64 v[4:5], v15 offset:3072
	v_add_co_u32_e64 v8, s[6:7], s89, v8
	s_waitcnt lgkmcnt(0)
	s_barrier
	v_cmp_neq_f32_e32 vcc, 0, v4
	v_mov_b32_e32 v4, s74
	v_addc_co_u32_e64 v9, s[6:7], v9, v4, s[6:7]
	v_cmp_ge_u64_e64 s[6:7], v[8:9], v[6:7]
	s_or_b64 s[6:7], s[6:7], vcc
	s_and_b64 s[6:7], exec, s[6:7]
	s_or_b64 s[12:13], s[6:7], s[12:13]
	s_andn2_b64 s[6:7], s[56:57], exec
	s_and_b64 s[56:57], vcc, exec
	s_or_b64 s[56:57], s[6:7], s[56:57]
	s_andn2_b64 exec, exec, s[12:13]
	s_cbranch_execz .LBB198_267
.LBB198_262:                            ;   Parent Loop BB198_18 Depth=1
                                        ; =>  This Inner Loop Header: Depth=2
	v_cmp_gt_u64_e32 vcc, s[60:61], v[8:9]
	s_waitcnt vmcnt(0)
	v_mov_b32_e32 v19, 0
	s_and_saveexec_b64 s[92:93], vcc
	s_cbranch_execz .LBB198_264
; %bb.263:                              ;   in Loop: Header=BB198_262 Depth=2
	v_mul_lo_u32 v14, v9, s58
	v_mul_lo_u32 v19, v8, s59
	v_mad_u64_u32 v[4:5], s[6:7], v8, s58, 0
	v_add3_u32 v5, v5, v19, v14
	v_lshlrev_b64 v[4:5], 2, v[4:5]
	v_mov_b32_e32 v14, s88
	v_add_co_u32_e64 v4, s[6:7], s33, v4
	v_addc_co_u32_e64 v5, s[6:7], v14, v5, s[6:7]
	global_load_dword v19, v[4:5], off
.LBB198_264:                            ;   in Loop: Header=BB198_262 Depth=2
	s_or_b64 exec, exec, s[92:93]
	s_and_saveexec_b64 s[6:7], vcc
	s_cbranch_execz .LBB198_261
; %bb.265:                              ;   in Loop: Header=BB198_262 Depth=2
	s_waitcnt vmcnt(0)
	v_cmp_lt_i32_e32 vcc, -1, v19
	v_cndmask_b32_e32 v4, -1, v35, vcc
	v_xor_b32_e32 v4, v4, v19
	v_cmp_o_f32_e32 vcc, v19, v19
	v_cndmask_b32_e32 v4, -1, v4, vcc
	v_and_b32_e32 v4, v4, v24
	v_cmp_eq_u32_e32 vcc, v4, v20
	s_and_b64 exec, exec, vcc
	s_cbranch_execz .LBB198_261
; %bb.266:                              ;   in Loop: Header=BB198_262 Depth=2
	ds_write_b64 v15, v[18:19] offset:3072
	s_branch .LBB198_261
.LBB198_267:                            ;   in Loop: Header=BB198_18 Depth=1
	s_or_b64 exec, exec, s[12:13]
	s_and_b64 s[56:57], s[56:57], exec
.LBB198_268:                            ;   in Loop: Header=BB198_18 Depth=1
	s_or_b64 exec, exec, s[2:3]
	s_mov_b64 s[12:13], -1
	s_mov_b64 s[2:3], 0
	s_mov_b64 s[6:7], 0
.LBB198_269:                            ;   in Loop: Header=BB198_18 Depth=1
	v_readlane_b32 s94, v48, 3
	s_orn2_b64 s[92:93], s[56:57], exec
	v_readlane_b32 s95, v48, 4
.LBB198_270:                            ;   in Loop: Header=BB198_18 Depth=1
	s_or_b64 exec, exec, s[94:95]
	s_mov_b64 s[94:95], 0
                                        ; implicit-def: $vgpr8
                                        ; implicit-def: $vgpr6_vgpr7
	s_and_saveexec_b64 s[56:57], s[92:93]
	v_readlane_b32 vcc_lo, v49, 63
	v_readlane_b32 vcc_hi, v48, 0
	s_cbranch_execz .LBB198_282
; %bb.271:                              ;   in Loop: Header=BB198_18 Depth=1
	v_readlane_b32 s92, v48, 1
	v_readlane_b32 s93, v48, 2
	v_mov_b32_e32 v6, 1
	s_xor_b64 s[94:95], s[92:93], -1
	v_mov_b32_e32 v8, 1
	v_mov_b32_e32 v7, 0
	s_and_saveexec_b64 s[92:93], s[94:95]
	s_cbranch_execz .LBB198_281
; %bb.272:                              ;   in Loop: Header=BB198_18 Depth=1
	v_cmp_ge_u64_e32 vcc, s[24:25], v[2:3]
                                        ; implicit-def: $sgpr72
	s_and_saveexec_b64 s[94:95], vcc
	s_xor_b64 s[94:95], exec, s[94:95]
	s_cbranch_execz .LBB198_278
; %bb.273:                              ;   in Loop: Header=BB198_18 Depth=1
	ds_read_b64 v[6:7], v15 offset:5120
	s_waitcnt lgkmcnt(0)
	v_cmp_ne_u64_e32 vcc, 0, v[6:7]
	s_cbranch_vccnz .LBB198_277
; %bb.274:                              ;   in Loop: Header=BB198_18 Depth=1
	v_writelane_b32 v48, s10, 5
	v_writelane_b32 v48, s11, 6
	s_mov_b64 s[10:11], exec
	v_writelane_b32 v48, s10, 7
	v_writelane_b32 v48, s11, 8
	v_readlane_b32 vcc_lo, v49, 32
	v_readlane_b32 s10, v48, 7
	v_readlane_b32 vcc_hi, v49, 33
	v_readlane_b32 s11, v48, 8
	s_and_b64 vcc, s[10:11], vcc
	s_mov_b64 exec, vcc
	s_cbranch_execz .LBB198_276
; %bb.275:                              ;   in Loop: Header=BB198_18 Depth=1
	v_pk_mov_b32 v[6:7], s[24:25], s[24:25] op_sel:[0,1]
	ds_write_b64 v15, v[6:7] offset:5128
.LBB198_276:                            ;   in Loop: Header=BB198_18 Depth=1
	v_readlane_b32 vcc_lo, v48, 7
	v_readlane_b32 vcc_hi, v48, 8
	s_or_b64 exec, exec, vcc
	v_readlane_b32 s10, v48, 5
	v_readlane_b32 s11, v48, 6
	s_waitcnt lgkmcnt(0)
	s_barrier
.LBB198_277:                            ;   in Loop: Header=BB198_18 Depth=1
	v_or_b32_e32 v20, s90, v20
	v_or_b32_e32 v24, s90, v24
	s_mov_b32 s72, 8
.LBB198_278:                            ;   in Loop: Header=BB198_18 Depth=1
	s_or_saveexec_b64 s[94:95], s[94:95]
	v_mov_b32_e32 v8, s72
	s_xor_b64 exec, exec, s[94:95]
; %bb.279:                              ;   in Loop: Header=BB198_18 Depth=1
	v_mov_b32_e32 v4, s25
	v_subrev_co_u32_e32 v2, vcc, s24, v2
	v_subb_co_u32_e32 v3, vcc, v3, v4, vcc
	v_mov_b32_e32 v8, 8
; %bb.280:                              ;   in Loop: Header=BB198_18 Depth=1
	s_or_b64 exec, exec, s[94:95]
	v_readlane_b32 vcc_lo, v49, 63
	v_pk_mov_b32 v[6:7], v[2:3], v[2:3] op_sel:[0,1]
	v_readlane_b32 vcc_hi, v48, 0
.LBB198_281:                            ;   in Loop: Header=BB198_18 Depth=1
	s_or_b64 exec, exec, s[92:93]
	s_mov_b64 s[94:95], exec
.LBB198_282:                            ;   in Loop: Header=BB198_18 Depth=1
	s_or_b64 exec, exec, s[56:57]
	s_orn2_b64 s[56:57], s[94:95], exec
	v_pk_mov_b32 v[2:3], v[6:7], v[6:7] op_sel:[0,1]
.LBB198_283:                            ;   in Loop: Header=BB198_18 Depth=1
	s_or_b64 exec, exec, s[10:11]
	s_andn2_b64 s[8:9], s[8:9], exec
	s_and_b64 s[2:3], s[2:3], exec
	s_or_b64 s[8:9], s[8:9], s[2:3]
	s_andn2_b64 s[2:3], s[50:51], exec
	s_and_b64 s[10:11], s[12:13], exec
	s_or_b64 s[50:51], s[2:3], s[10:11]
	s_andn2_b64 s[2:3], vcc, exec
	s_and_b64 s[6:7], s[6:7], exec
	s_or_b64 vcc, s[2:3], s[6:7]
	s_and_b64 s[2:3], s[56:57], exec
	v_pk_mov_b32 v[6:7], v[2:3], v[2:3] op_sel:[0,1]
.LBB198_284:                            ;   in Loop: Header=BB198_18 Depth=1
	s_or_b64 exec, exec, s[54:55]
	s_and_b64 s[10:11], s[8:9], exec
	s_and_b64 s[8:9], s[50:51], exec
	s_and_b64 s[6:7], vcc, exec
	s_orn2_b64 s[2:3], s[2:3], exec
.LBB198_285:                            ;   in Loop: Header=BB198_18 Depth=1
	s_or_b64 exec, exec, s[52:53]
	s_andn2_b64 s[12:13], s[28:29], exec
	s_and_b64 s[10:11], s[10:11], exec
	s_or_b64 s[28:29], s[12:13], s[10:11]
	s_andn2_b64 s[10:11], s[44:45], exec
	s_and_b64 s[8:9], s[8:9], exec
	s_or_b64 s[44:45], s[10:11], s[8:9]
	;; [unrolled: 3-line block ×3, first 2 shown]
	s_and_b64 s[6:7], s[2:3], exec
	v_pk_mov_b32 v[2:3], v[6:7], v[6:7] op_sel:[0,1]
.LBB198_286:                            ;   in Loop: Header=BB198_18 Depth=1
	s_or_b64 exec, exec, s[46:47]
	s_and_b64 s[10:11], s[28:29], exec
	s_and_b64 s[8:9], s[44:45], exec
	;; [unrolled: 1-line block ×3, first 2 shown]
	s_orn2_b64 s[28:29], s[6:7], exec
.LBB198_287:                            ;   in Loop: Header=BB198_18 Depth=1
	s_or_b64 exec, exec, s[26:27]
	s_mov_b64 s[6:7], 0
	s_mov_b64 s[12:13], 0
	s_and_saveexec_b64 s[26:27], s[28:29]
	s_xor_b64 s[26:27], exec, s[26:27]
; %bb.288:                              ;   in Loop: Header=BB198_18 Depth=1
	v_cmp_eq_u32_e32 vcc, 8, v8
	v_cmp_ne_u32_e64 s[6:7], 8, v8
	s_andn2_b64 s[10:11], s[10:11], exec
	s_andn2_b64 s[8:9], s[8:9], exec
	;; [unrolled: 1-line block ×3, first 2 shown]
	s_and_b64 s[12:13], s[6:7], exec
	s_and_b64 s[6:7], vcc, exec
; %bb.289:                              ;   in Loop: Header=BB198_18 Depth=1
	s_or_b64 exec, exec, s[26:27]
	s_andn2_b64 s[20:21], s[20:21], exec
	s_and_b64 s[10:11], s[10:11], exec
	s_or_b64 s[20:21], s[20:21], s[10:11]
	s_andn2_b64 s[10:11], s[36:37], exec
	s_and_b64 s[8:9], s[8:9], exec
	s_or_b64 s[36:37], s[10:11], s[8:9]
	;; [unrolled: 3-line block ×3, first 2 shown]
	s_and_b64 s[26:27], s[12:13], exec
	s_and_b64 s[28:29], s[6:7], exec
.LBB198_290:                            ;   in Loop: Header=BB198_18 Depth=1
	s_or_b64 exec, exec, s[40:41]
	s_and_b64 vcc, exec, s[38:39]
	s_cbranch_vccz .LBB198_106
.LBB198_291:                            ;   in Loop: Header=BB198_18 Depth=1
	s_cmp_eq_u64 s[24:25], 1
	s_cselect_b64 s[2:3], -1, 0
	s_and_b64 s[8:9], s[2:3], s[14:15]
	s_mov_b64 s[2:3], -1
                                        ; implicit-def: $sgpr14_sgpr15
                                        ; implicit-def: $sgpr38_sgpr39
                                        ; implicit-def: $sgpr20_sgpr21
	s_and_saveexec_b64 s[10:11], s[8:9]
	s_cbranch_execz .LBB198_323
; %bb.292:                              ;   in Loop: Header=BB198_18 Depth=1
	ds_read_b64 v[2:3], v15 offset:5120
	s_waitcnt lgkmcnt(0)
	s_barrier
	v_readfirstlane_b32 s2, v2
	v_readfirstlane_b32 s3, v3
	s_mov_b64 s[6:7], exec
	v_readlane_b32 s12, v49, 48
	v_readlane_b32 s13, v49, 49
	s_and_b64 s[12:13], s[6:7], s[12:13]
	s_mov_b64 exec, s[12:13]
	s_cbranch_execz .LBB198_294
; %bb.293:                              ;   in Loop: Header=BB198_18 Depth=1
	ds_write_b32 v32, v15
.LBB198_294:                            ;   in Loop: Header=BB198_18 Depth=1
	s_or_b64 exec, exec, s[6:7]
	v_or_b32_e32 v38, s90, v38
	v_or_b32_e32 v37, s90, v37
	s_cmp_eq_u64 s[2:3], 0
	s_waitcnt lgkmcnt(0)
	s_barrier
	s_cbranch_scc1 .LBB198_306
; %bb.295:                              ;   in Loop: Header=BB198_18 Depth=1
	v_readlane_b32 s6, v49, 52
	s_add_u32 s14, s6, s2
	v_readlane_b32 s6, v49, 54
	s_addc_u32 s7, s6, s3
	s_mov_b32 s6, s91
	s_cmp_lg_u64 s[6:7], 0
	s_cbranch_scc0 .LBB198_350
; %bb.296:                              ;   in Loop: Header=BB198_18 Depth=1
	v_cvt_f32_u32_e32 v2, s89
	s_sub_u32 s6, 0, s89
	s_subb_u32 s12, 0, 0
	v_mac_f32_e32 v2, 0, v36
	v_rcp_f32_e32 v2, v2
	v_mul_f32_e32 v2, 0x5f7ffffc, v2
	v_mul_f32_e32 v3, 0x2f800000, v2
	v_trunc_f32_e32 v3, v3
	v_mac_f32_e32 v2, 0xcf800000, v3
	v_cvt_u32_f32_e32 v3, v3
	v_cvt_u32_f32_e32 v2, v2
	v_readfirstlane_b32 s13, v3
	v_readfirstlane_b32 s15, v2
	s_mul_i32 s20, s6, s13
	s_mul_hi_u32 s34, s6, s15
	s_mul_i32 s21, s12, s15
	s_add_i32 s20, s34, s20
	s_mul_i32 s35, s6, s15
	s_add_i32 s20, s20, s21
	s_mul_hi_u32 s34, s15, s35
	s_mul_hi_u32 s21, s15, s20
	s_mul_i32 s15, s15, s20
	s_add_u32 s15, s34, s15
	s_addc_u32 s21, 0, s21
	s_mul_hi_u32 s36, s13, s35
	s_mul_i32 s35, s13, s35
	s_add_u32 s15, s15, s35
	s_mul_hi_u32 s34, s13, s20
	s_addc_u32 s15, s21, s36
	s_addc_u32 s21, s34, 0
	s_mul_i32 s20, s13, s20
	s_add_u32 s15, s15, s20
	s_addc_u32 s20, 0, s21
	v_add_co_u32_e32 v2, vcc, s15, v2
	s_cmp_lg_u64 vcc, 0
	s_addc_u32 s13, s13, s20
	v_readfirstlane_b32 s20, v2
	s_mul_i32 s15, s6, s13
	s_mul_hi_u32 s21, s6, s20
	s_add_i32 s15, s21, s15
	s_mul_i32 s12, s12, s20
	s_add_i32 s15, s15, s12
	s_mul_i32 s6, s6, s20
	s_mul_hi_u32 s21, s13, s6
	s_mul_i32 s34, s13, s6
	s_mul_i32 s36, s20, s15
	s_mul_hi_u32 s6, s20, s6
	s_mul_hi_u32 s35, s20, s15
	s_add_u32 s6, s6, s36
	s_addc_u32 s20, 0, s35
	s_add_u32 s6, s6, s34
	s_mul_hi_u32 s12, s13, s15
	s_addc_u32 s6, s20, s21
	s_addc_u32 s12, s12, 0
	s_mul_i32 s15, s13, s15
	s_add_u32 s6, s6, s15
	s_addc_u32 s12, 0, s12
	v_add_co_u32_e32 v2, vcc, s6, v2
	s_cmp_lg_u64 vcc, 0
	s_addc_u32 s6, s13, s12
	v_readfirstlane_b32 s15, v2
	s_mul_i32 s13, s14, s6
	s_mul_hi_u32 s20, s14, s15
	s_mul_hi_u32 s12, s14, s6
	s_add_u32 s13, s20, s13
	s_addc_u32 s12, 0, s12
	s_mul_hi_u32 s21, s7, s15
	s_mul_i32 s15, s7, s15
	s_add_u32 s13, s13, s15
	s_mul_hi_u32 s20, s7, s6
	s_addc_u32 s12, s12, s21
	s_addc_u32 s13, s20, 0
	s_mul_i32 s6, s7, s6
	s_add_u32 s6, s12, s6
	s_addc_u32 s12, 0, s13
	s_mul_hi_u32 s13, s89, s6
	s_mul_i32 s6, s89, s6
	s_mul_i32 s12, s89, s12
	v_mov_b32_e32 v2, s6
	s_add_i32 s13, s13, s12
	v_sub_co_u32_e32 v2, vcc, s14, v2
	s_cmp_lg_u64 vcc, 0
	s_subb_u32 s6, s7, s13
	v_subrev_co_u32_e32 v3, vcc, s89, v2
	s_cmp_lg_u64 vcc, 0
	s_subb_u32 s12, s6, 0
	v_subrev_co_u32_e32 v4, vcc, s89, v3
	s_cmp_lg_u64 vcc, 0
	s_subb_u32 s13, s12, 0
	v_cmp_le_u32_e32 vcc, s89, v3
	s_cmp_eq_u32 s12, 0
	v_cndmask_b32_e64 v5, 0, -1, vcc
	s_cselect_b64 vcc, -1, 0
	v_cndmask_b32_e32 v5, -1, v5, vcc
	v_mov_b32_e32 v6, s12
	v_mov_b32_e32 v7, s13
	v_cmp_ne_u32_e32 vcc, 0, v5
	v_cndmask_b32_e32 v5, v6, v7, vcc
	v_cndmask_b32_e32 v4, v3, v4, vcc
	v_cmp_le_u32_e32 vcc, s89, v2
	s_cmp_eq_u32 s6, 0
	v_cndmask_b32_e64 v3, 0, -1, vcc
	s_cselect_b64 vcc, -1, 0
	v_cndmask_b32_e32 v3, -1, v3, vcc
	v_mov_b32_e32 v6, s6
	v_cmp_ne_u32_e32 vcc, 0, v3
	v_cndmask_b32_e32 v3, v6, v5, vcc
	v_cndmask_b32_e32 v2, v2, v4, vcc
	s_cbranch_execnz .LBB198_298
.LBB198_297:                            ;   in Loop: Header=BB198_18 Depth=1
	v_cvt_f32_u32_e32 v2, s89
	s_sub_i32 s6, 0, s89
	v_rcp_iflag_f32_e32 v2, v2
	v_mul_f32_e32 v2, 0x4f7ffffe, v2
	v_cvt_u32_f32_e32 v2, v2
	v_mul_lo_u32 v3, s6, v2
	v_mul_hi_u32 v3, v2, v3
	v_add_u32_e32 v2, v2, v3
	v_mul_hi_u32 v2, s14, v2
	v_mul_lo_u32 v2, v2, s89
	v_sub_u32_e32 v2, s14, v2
	v_subrev_u32_e32 v3, s89, v2
	v_cmp_le_u32_e32 vcc, s89, v2
	v_cndmask_b32_e32 v2, v2, v3, vcc
	v_subrev_u32_e32 v3, s89, v2
	v_cmp_le_u32_e32 vcc, s89, v2
	v_cndmask_b32_e32 v14, v2, v3, vcc
	v_pk_mov_b32 v[2:3], v[14:15], v[14:15] op_sel:[0,1]
.LBB198_298:                            ;   in Loop: Header=BB198_18 Depth=1
	v_mov_b32_e32 v4, s7
	v_sub_co_u32_e32 v2, vcc, s14, v2
	v_subb_co_u32_e32 v3, vcc, v4, v3, vcc
	v_cmp_gt_u64_e32 vcc, v[2:3], v[0:1]
	s_mov_b64 s[6:7], 0
                                        ; implicit-def: $vgpr21
	s_and_saveexec_b64 s[12:13], vcc
	s_cbranch_execz .LBB198_308
; %bb.299:                              ;   in Loop: Header=BB198_18 Depth=1
	s_mov_b64 s[14:15], 0
	v_mov_b32_e32 v6, v16
	v_pk_mov_b32 v[4:5], v[0:1], v[0:1] op_sel:[0,1]
                                        ; implicit-def: $sgpr20_sgpr21
	s_branch .LBB198_301
.LBB198_300:                            ;   in Loop: Header=BB198_301 Depth=2
	s_or_b64 exec, exec, s[6:7]
	s_waitcnt lgkmcnt(0)
	s_barrier
	ds_read_b64 v[20:21], v15 offset:3072
	v_mov_b32_e32 v7, s74
	v_add_co_u32_e64 v4, s[6:7], s89, v4
	v_addc_co_u32_e64 v5, s[6:7], v5, v7, s[6:7]
	s_waitcnt lgkmcnt(0)
	v_cmp_neq_f32_e32 vcc, 0, v20
	v_cmp_ge_u64_e64 s[6:7], v[4:5], v[2:3]
	s_or_b64 s[6:7], s[6:7], vcc
	s_and_b64 s[6:7], exec, s[6:7]
	s_or_b64 s[14:15], s[6:7], s[14:15]
	s_andn2_b64 s[6:7], s[20:21], exec
	s_and_b64 s[20:21], vcc, exec
	v_add_u32_e32 v6, s5, v6
	s_or_b64 s[20:21], s[6:7], s[20:21]
	s_barrier
	s_andn2_b64 exec, exec, s[14:15]
	s_cbranch_execz .LBB198_307
.LBB198_301:                            ;   Parent Loop BB198_18 Depth=1
                                        ; =>  This Inner Loop Header: Depth=2
	v_cmp_gt_u64_e32 vcc, s[2:3], v[4:5]
	s_waitcnt vmcnt(0)
	v_mov_b32_e32 v19, 0
	s_and_saveexec_b64 s[6:7], vcc
	s_cbranch_execz .LBB198_303
; %bb.302:                              ;   in Loop: Header=BB198_301 Depth=2
	ds_read_b32 v19, v6
.LBB198_303:                            ;   in Loop: Header=BB198_301 Depth=2
	s_or_b64 exec, exec, s[6:7]
	s_and_saveexec_b64 s[6:7], vcc
	s_cbranch_execz .LBB198_300
; %bb.304:                              ;   in Loop: Header=BB198_301 Depth=2
	s_waitcnt lgkmcnt(0)
	v_cmp_lt_i32_e32 vcc, -1, v19
	v_cndmask_b32_e32 v7, -1, v35, vcc
	v_xor_b32_e32 v7, v7, v19
	v_cmp_o_f32_e32 vcc, v19, v19
	v_cndmask_b32_e32 v7, -1, v7, vcc
	v_and_b32_e32 v7, v7, v37
	v_cmp_eq_u32_e32 vcc, v7, v38
	s_and_b64 exec, exec, vcc
	s_cbranch_execz .LBB198_300
; %bb.305:                              ;   in Loop: Header=BB198_301 Depth=2
	ds_write_b64 v15, v[18:19] offset:3072
	s_branch .LBB198_300
.LBB198_306:                            ;   in Loop: Header=BB198_18 Depth=1
	s_mov_b64 s[14:15], -1
	s_mov_b64 s[6:7], 0
                                        ; implicit-def: $sgpr38_sgpr39
                                        ; implicit-def: $vgpr21
	s_mov_b64 s[20:21], s[14:15]
	s_cbranch_execnz .LBB198_309
	s_branch .LBB198_322
.LBB198_307:                            ;   in Loop: Header=BB198_18 Depth=1
	s_or_b64 exec, exec, s[14:15]
	s_and_b64 s[6:7], s[20:21], exec
.LBB198_308:                            ;   in Loop: Header=BB198_18 Depth=1
	s_or_b64 exec, exec, s[12:13]
	s_mov_b64 s[14:15], 0
	s_mov_b64 s[38:39], -1
	s_mov_b64 s[20:21], s[14:15]
	s_branch .LBB198_322
.LBB198_309:                            ;   in Loop: Header=BB198_18 Depth=1
	s_mov_b32 s72, s91
	s_cmp_lg_u64 s[72:73], 0
	s_cbranch_scc0 .LBB198_351
; %bb.310:                              ;   in Loop: Header=BB198_18 Depth=1
	v_cvt_f32_u32_e32 v2, s89
	s_sub_u32 s2, 0, s89
	s_subb_u32 s3, 0, 0
	v_mac_f32_e32 v2, 0, v36
	v_rcp_f32_e32 v2, v2
	v_mul_f32_e32 v2, 0x5f7ffffc, v2
	v_mul_f32_e32 v3, 0x2f800000, v2
	v_trunc_f32_e32 v3, v3
	v_mac_f32_e32 v2, 0xcf800000, v3
	v_cvt_u32_f32_e32 v3, v3
	v_cvt_u32_f32_e32 v2, v2
	v_readfirstlane_b32 s6, v3
	v_readfirstlane_b32 s7, v2
	s_mul_i32 s12, s2, s6
	s_mul_hi_u32 s14, s2, s7
	s_mul_i32 s13, s3, s7
	s_add_i32 s12, s14, s12
	s_mul_i32 s15, s2, s7
	s_add_i32 s12, s12, s13
	s_mul_hi_u32 s14, s7, s15
	s_mul_hi_u32 s13, s7, s12
	s_mul_i32 s7, s7, s12
	s_add_u32 s7, s14, s7
	s_addc_u32 s13, 0, s13
	s_mul_hi_u32 s20, s6, s15
	s_mul_i32 s15, s6, s15
	s_add_u32 s7, s7, s15
	s_mul_hi_u32 s14, s6, s12
	s_addc_u32 s7, s13, s20
	s_addc_u32 s13, s14, 0
	s_mul_i32 s12, s6, s12
	s_add_u32 s7, s7, s12
	s_addc_u32 s12, 0, s13
	v_add_co_u32_e32 v2, vcc, s7, v2
	s_cmp_lg_u64 vcc, 0
	s_addc_u32 s6, s6, s12
	v_readfirstlane_b32 s12, v2
	s_mul_i32 s7, s2, s6
	s_mul_hi_u32 s13, s2, s12
	s_add_i32 s7, s13, s7
	s_mul_i32 s3, s3, s12
	s_add_i32 s7, s7, s3
	s_mul_i32 s2, s2, s12
	s_mul_hi_u32 s13, s6, s2
	s_mul_i32 s14, s6, s2
	s_mul_i32 s20, s12, s7
	s_mul_hi_u32 s2, s12, s2
	s_mul_hi_u32 s15, s12, s7
	s_add_u32 s2, s2, s20
	s_addc_u32 s12, 0, s15
	s_add_u32 s2, s2, s14
	s_mul_hi_u32 s3, s6, s7
	s_addc_u32 s2, s12, s13
	s_addc_u32 s3, s3, 0
	s_mul_i32 s7, s6, s7
	s_add_u32 s2, s2, s7
	s_addc_u32 s3, 0, s3
	v_add_co_u32_e32 v2, vcc, s2, v2
	s_cmp_lg_u64 vcc, 0
	s_addc_u32 s2, s6, s3
	v_readlane_b32 s14, v49, 53
	v_readfirstlane_b32 s7, v2
	s_mul_i32 s6, s14, s2
	s_mul_hi_u32 s12, s14, s7
	s_mul_hi_u32 s3, s14, s2
	s_add_u32 s6, s12, s6
	s_addc_u32 s3, 0, s3
	s_mul_hi_u32 s13, s73, s7
	s_mul_i32 s7, s73, s7
	s_add_u32 s6, s6, s7
	s_mul_hi_u32 s12, s73, s2
	s_addc_u32 s3, s3, s13
	s_addc_u32 s6, s12, 0
	s_mul_i32 s2, s73, s2
	s_add_u32 s2, s3, s2
	s_addc_u32 s3, 0, s6
	s_mul_hi_u32 s6, s89, s2
	s_mul_i32 s2, s89, s2
	s_mul_i32 s3, s89, s3
	v_mov_b32_e32 v2, s2
	s_add_i32 s6, s6, s3
	v_sub_co_u32_e32 v2, vcc, s14, v2
	s_cmp_lg_u64 vcc, 0
	s_subb_u32 s2, s73, s6
	v_subrev_co_u32_e32 v3, vcc, s89, v2
	s_cmp_lg_u64 vcc, 0
	s_subb_u32 s3, s2, 0
	v_subrev_co_u32_e32 v4, vcc, s89, v3
	s_cmp_lg_u64 vcc, 0
	s_subb_u32 s6, s3, 0
	v_cmp_le_u32_e32 vcc, s89, v3
	s_cmp_eq_u32 s3, 0
	v_cndmask_b32_e64 v5, 0, -1, vcc
	s_cselect_b64 vcc, -1, 0
	v_cndmask_b32_e32 v5, -1, v5, vcc
	v_mov_b32_e32 v6, s3
	v_mov_b32_e32 v7, s6
	v_cmp_ne_u32_e32 vcc, 0, v5
	v_cndmask_b32_e32 v5, v6, v7, vcc
	v_cndmask_b32_e32 v4, v3, v4, vcc
	v_cmp_le_u32_e32 vcc, s89, v2
	s_cmp_eq_u32 s2, 0
	v_cndmask_b32_e64 v3, 0, -1, vcc
	s_cselect_b64 vcc, -1, 0
	v_cndmask_b32_e32 v3, -1, v3, vcc
	v_mov_b32_e32 v6, s2
	v_cmp_ne_u32_e32 vcc, 0, v3
	v_cndmask_b32_e32 v3, v6, v5, vcc
	v_cndmask_b32_e32 v2, v2, v4, vcc
	s_cbranch_execnz .LBB198_312
.LBB198_311:                            ;   in Loop: Header=BB198_18 Depth=1
	v_cvt_f32_u32_e32 v2, s89
	s_sub_i32 s2, 0, s89
	v_rcp_iflag_f32_e32 v2, v2
	v_mul_f32_e32 v2, 0x4f7ffffe, v2
	v_cvt_u32_f32_e32 v2, v2
	v_mul_lo_u32 v3, s2, v2
	v_mul_hi_u32 v3, v2, v3
	v_add_u32_e32 v2, v2, v3
	v_readlane_b32 s2, v49, 53
	v_mul_hi_u32 v2, s2, v2
	v_mul_lo_u32 v2, v2, s89
	v_sub_u32_e32 v2, s2, v2
	v_subrev_u32_e32 v3, s89, v2
	v_cmp_le_u32_e32 vcc, s89, v2
	v_cndmask_b32_e32 v2, v2, v3, vcc
	v_subrev_u32_e32 v3, s89, v2
	v_cmp_le_u32_e32 vcc, s89, v2
	v_cndmask_b32_e32 v14, v2, v3, vcc
	v_pk_mov_b32 v[2:3], v[14:15], v[14:15] op_sel:[0,1]
.LBB198_312:                            ;   in Loop: Header=BB198_18 Depth=1
	v_readlane_b32 s2, v49, 53
	v_mov_b32_e32 v4, s73
	v_sub_co_u32_e32 v2, vcc, s2, v2
	v_subb_co_u32_e32 v3, vcc, v4, v3, vcc
	v_cmp_gt_u64_e32 vcc, v[2:3], v[0:1]
	s_mov_b64 s[6:7], 0
                                        ; implicit-def: $vgpr21
	s_and_saveexec_b64 s[2:3], vcc
	s_cbranch_execz .LBB198_321
; %bb.313:                              ;   in Loop: Header=BB198_18 Depth=1
	s_mov_b64 s[12:13], 0
	v_pk_mov_b32 v[4:5], v[0:1], v[0:1] op_sel:[0,1]
                                        ; implicit-def: $sgpr14_sgpr15
	s_branch .LBB198_315
.LBB198_314:                            ;   in Loop: Header=BB198_315 Depth=2
	s_or_b64 exec, exec, s[6:7]
	s_waitcnt lgkmcnt(0)
	s_barrier
	ds_read_b64 v[20:21], v15 offset:3072
	v_mov_b32_e32 v6, s74
	v_add_co_u32_e64 v4, s[6:7], s89, v4
	v_addc_co_u32_e64 v5, s[6:7], v5, v6, s[6:7]
	s_waitcnt lgkmcnt(0)
	v_cmp_neq_f32_e32 vcc, 0, v20
	v_cmp_ge_u64_e64 s[6:7], v[4:5], v[2:3]
	s_or_b64 s[6:7], s[6:7], vcc
	s_and_b64 s[6:7], exec, s[6:7]
	s_or_b64 s[12:13], s[6:7], s[12:13]
	s_andn2_b64 s[6:7], s[14:15], exec
	s_and_b64 s[14:15], vcc, exec
	s_or_b64 s[14:15], s[6:7], s[14:15]
	s_barrier
	s_andn2_b64 exec, exec, s[12:13]
	s_cbranch_execz .LBB198_320
.LBB198_315:                            ;   Parent Loop BB198_18 Depth=1
                                        ; =>  This Inner Loop Header: Depth=2
	v_cmp_gt_u64_e32 vcc, s[60:61], v[4:5]
	s_waitcnt vmcnt(0)
	v_mov_b32_e32 v19, 0
	s_and_saveexec_b64 s[20:21], vcc
	s_cbranch_execz .LBB198_317
; %bb.316:                              ;   in Loop: Header=BB198_315 Depth=2
	v_mul_lo_u32 v8, v5, s58
	v_mul_lo_u32 v9, v4, s59
	v_mad_u64_u32 v[6:7], s[6:7], v4, s58, 0
	v_add3_u32 v7, v7, v9, v8
	v_lshlrev_b64 v[6:7], 2, v[6:7]
	v_mov_b32_e32 v8, s88
	v_add_co_u32_e64 v6, s[6:7], s33, v6
	v_addc_co_u32_e64 v7, s[6:7], v8, v7, s[6:7]
	global_load_dword v19, v[6:7], off
.LBB198_317:                            ;   in Loop: Header=BB198_315 Depth=2
	s_or_b64 exec, exec, s[20:21]
	s_and_saveexec_b64 s[6:7], vcc
	s_cbranch_execz .LBB198_314
; %bb.318:                              ;   in Loop: Header=BB198_315 Depth=2
	s_waitcnt vmcnt(0)
	v_cmp_lt_i32_e32 vcc, -1, v19
	v_cndmask_b32_e32 v6, -1, v35, vcc
	v_xor_b32_e32 v6, v6, v19
	v_cmp_o_f32_e32 vcc, v19, v19
	v_cndmask_b32_e32 v6, -1, v6, vcc
	v_and_b32_e32 v6, v6, v37
	v_cmp_eq_u32_e32 vcc, v6, v38
	s_and_b64 exec, exec, vcc
	s_cbranch_execz .LBB198_314
; %bb.319:                              ;   in Loop: Header=BB198_315 Depth=2
	ds_write_b64 v15, v[18:19] offset:3072
	s_branch .LBB198_314
.LBB198_320:                            ;   in Loop: Header=BB198_18 Depth=1
	s_or_b64 exec, exec, s[12:13]
	s_and_b64 s[6:7], s[14:15], exec
.LBB198_321:                            ;   in Loop: Header=BB198_18 Depth=1
	s_or_b64 exec, exec, s[2:3]
	s_mov_b64 s[38:39], 0
	s_mov_b64 s[14:15], -1
	s_mov_b64 s[20:21], 0
.LBB198_322:                            ;   in Loop: Header=BB198_18 Depth=1
	s_orn2_b64 s[2:3], s[6:7], exec
.LBB198_323:                            ;   in Loop: Header=BB198_18 Depth=1
	s_or_b64 exec, exec, s[10:11]
                                        ; implicit-def: $vgpr8
                                        ; implicit-def: $vgpr2_vgpr3
                                        ; implicit-def: $vgpr20
                                        ; implicit-def: $vgpr24
                                        ; implicit-def: $vgpr5
	s_and_saveexec_b64 s[34:35], s[2:3]
	s_cbranch_execz .LBB198_486
; %bb.324:                              ;   in Loop: Header=BB198_18 Depth=1
	v_mov_b32_e32 v2, 1
	s_xor_b64 s[8:9], s[8:9], -1
	s_mov_b64 s[6:7], 0
	v_mov_b32_e32 v3, 0
	v_mov_b32_e32 v8, 1
	s_and_saveexec_b64 s[2:3], s[8:9]
	s_cbranch_execz .LBB198_334
; %bb.325:                              ;   in Loop: Header=BB198_18 Depth=1
	v_cmp_ge_u64_e32 vcc, s[24:25], v[22:23]
                                        ; implicit-def: $sgpr10
                                        ; implicit-def: $sgpr6_sgpr7
	s_and_saveexec_b64 s[8:9], vcc
	s_xor_b64 s[8:9], exec, s[8:9]
	s_cbranch_execz .LBB198_331
; %bb.326:                              ;   in Loop: Header=BB198_18 Depth=1
	ds_read_b64 v[2:3], v15 offset:5120
	s_waitcnt lgkmcnt(0)
	v_cmp_ne_u64_e32 vcc, 0, v[2:3]
	s_cbranch_vccnz .LBB198_330
; %bb.327:                              ;   in Loop: Header=BB198_18 Depth=1
	s_mov_b64 s[6:7], exec
	v_readlane_b32 s10, v49, 32
	v_readlane_b32 s11, v49, 33
	s_and_b64 s[10:11], s[6:7], s[10:11]
	s_mov_b64 exec, s[10:11]
	s_cbranch_execz .LBB198_329
; %bb.328:                              ;   in Loop: Header=BB198_18 Depth=1
	v_pk_mov_b32 v[2:3], s[24:25], s[24:25] op_sel:[0,1]
	ds_write_b64 v15, v[2:3] offset:5128
.LBB198_329:                            ;   in Loop: Header=BB198_18 Depth=1
	s_or_b64 exec, exec, s[6:7]
	s_waitcnt lgkmcnt(0)
	s_barrier
.LBB198_330:                            ;   in Loop: Header=BB198_18 Depth=1
	v_or_b32_e32 v38, s90, v38
	v_or_b32_e32 v37, s90, v37
	s_mov_b64 s[6:7], 0
	s_mov_b32 s10, 5
.LBB198_331:                            ;   in Loop: Header=BB198_18 Depth=1
	s_or_saveexec_b64 s[8:9], s[8:9]
	v_mov_b32_e32 v8, s10
	s_xor_b64 exec, exec, s[8:9]
; %bb.332:                              ;   in Loop: Header=BB198_18 Depth=1
	v_mov_b32_e32 v2, s25
	v_subrev_co_u32_e32 v22, vcc, s24, v22
	v_subb_co_u32_e32 v23, vcc, v23, v2, vcc
	v_mov_b32_e32 v8, 0
	s_or_b64 s[6:7], s[6:7], exec
; %bb.333:                              ;   in Loop: Header=BB198_18 Depth=1
	s_or_b64 exec, exec, s[8:9]
	s_and_b64 s[6:7], s[6:7], exec
	v_pk_mov_b32 v[2:3], v[22:23], v[22:23] op_sel:[0,1]
.LBB198_334:                            ;   in Loop: Header=BB198_18 Depth=1
	s_or_b64 exec, exec, s[2:3]
	s_mov_b64 s[36:37], -1
                                        ; implicit-def: $sgpr2_sgpr3
                                        ; implicit-def: $sgpr8_sgpr9
                                        ; implicit-def: $sgpr10_sgpr11
	s_and_saveexec_b64 s[12:13], s[6:7]
	s_xor_b64 s[24:25], exec, s[12:13]
	s_cbranch_execz .LBB198_483
; %bb.335:                              ;   in Loop: Header=BB198_18 Depth=1
	s_cmp_eq_u64 s[22:23], 1
	s_cselect_b64 s[2:3], -1, 0
	v_cmp_eq_u64_e32 vcc, 1, v[2:3]
	s_and_b64 s[8:9], s[2:3], vcc
	s_mov_b64 s[2:3], -1
                                        ; implicit-def: $sgpr36_sgpr37
                                        ; implicit-def: $sgpr40_sgpr41
                                        ; implicit-def: $sgpr42_sgpr43
	s_and_saveexec_b64 s[10:11], s[8:9]
	s_cbranch_execz .LBB198_369
; %bb.336:                              ;   in Loop: Header=BB198_18 Depth=1
	ds_read_b64 v[4:5], v15 offset:5120
	s_waitcnt lgkmcnt(0)
	s_barrier
	v_readfirstlane_b32 s2, v4
	v_readfirstlane_b32 s3, v5
	s_mov_b64 s[6:7], exec
	v_readlane_b32 s12, v49, 48
	v_readlane_b32 s13, v49, 49
	s_and_b64 s[12:13], s[6:7], s[12:13]
	s_mov_b64 exec, s[12:13]
	s_cbranch_execz .LBB198_338
; %bb.337:                              ;   in Loop: Header=BB198_18 Depth=1
	ds_write_b32 v32, v15
.LBB198_338:                            ;   in Loop: Header=BB198_18 Depth=1
	s_or_b64 exec, exec, s[6:7]
	v_and_b32_e32 v4, s48, v38
	v_lshl_or_b32 v38, 2, s49, v4
	v_or_b32_e32 v37, s90, v37
	s_cmp_eq_u64 s[2:3], 0
	s_waitcnt lgkmcnt(0)
	s_barrier
	s_cbranch_scc1 .LBB198_352
; %bb.339:                              ;   in Loop: Header=BB198_18 Depth=1
	v_readlane_b32 s6, v49, 52
	s_add_u32 s36, s6, s2
	v_readlane_b32 s6, v49, 54
	s_addc_u32 s7, s6, s3
	s_mov_b32 s6, s91
	s_cmp_lg_u64 s[6:7], 0
	s_cbranch_scc0 .LBB198_396
; %bb.340:                              ;   in Loop: Header=BB198_18 Depth=1
	v_cvt_f32_u32_e32 v4, s89
	s_sub_u32 s6, 0, s89
	s_subb_u32 s12, 0, 0
	v_mac_f32_e32 v4, 0, v36
	v_rcp_f32_e32 v4, v4
	v_mul_f32_e32 v4, 0x5f7ffffc, v4
	v_mul_f32_e32 v5, 0x2f800000, v4
	v_trunc_f32_e32 v5, v5
	v_mac_f32_e32 v4, 0xcf800000, v5
	v_cvt_u32_f32_e32 v5, v5
	v_cvt_u32_f32_e32 v4, v4
	v_readfirstlane_b32 s13, v5
	v_readfirstlane_b32 s37, v4
	s_mul_i32 s40, s6, s13
	s_mul_hi_u32 s42, s6, s37
	s_mul_i32 s41, s12, s37
	s_add_i32 s40, s42, s40
	s_mul_i32 s43, s6, s37
	s_add_i32 s40, s40, s41
	s_mul_hi_u32 s42, s37, s43
	s_mul_hi_u32 s41, s37, s40
	s_mul_i32 s37, s37, s40
	s_add_u32 s37, s42, s37
	s_addc_u32 s41, 0, s41
	s_mul_hi_u32 s44, s13, s43
	s_mul_i32 s43, s13, s43
	s_add_u32 s37, s37, s43
	s_mul_hi_u32 s42, s13, s40
	s_addc_u32 s37, s41, s44
	s_addc_u32 s41, s42, 0
	s_mul_i32 s40, s13, s40
	s_add_u32 s37, s37, s40
	s_addc_u32 s40, 0, s41
	v_add_co_u32_e32 v4, vcc, s37, v4
	s_cmp_lg_u64 vcc, 0
	s_addc_u32 s13, s13, s40
	v_readfirstlane_b32 s40, v4
	s_mul_i32 s37, s6, s13
	s_mul_hi_u32 s41, s6, s40
	s_add_i32 s37, s41, s37
	s_mul_i32 s12, s12, s40
	s_add_i32 s37, s37, s12
	s_mul_i32 s6, s6, s40
	s_mul_hi_u32 s41, s13, s6
	s_mul_i32 s42, s13, s6
	s_mul_i32 s44, s40, s37
	s_mul_hi_u32 s6, s40, s6
	s_mul_hi_u32 s43, s40, s37
	s_add_u32 s6, s6, s44
	s_addc_u32 s40, 0, s43
	s_add_u32 s6, s6, s42
	s_mul_hi_u32 s12, s13, s37
	s_addc_u32 s6, s40, s41
	s_addc_u32 s12, s12, 0
	s_mul_i32 s37, s13, s37
	s_add_u32 s6, s6, s37
	s_addc_u32 s12, 0, s12
	v_add_co_u32_e32 v4, vcc, s6, v4
	s_cmp_lg_u64 vcc, 0
	s_addc_u32 s6, s13, s12
	v_readfirstlane_b32 s37, v4
	s_mul_i32 s13, s36, s6
	s_mul_hi_u32 s40, s36, s37
	s_mul_hi_u32 s12, s36, s6
	s_add_u32 s13, s40, s13
	s_addc_u32 s12, 0, s12
	s_mul_hi_u32 s41, s7, s37
	s_mul_i32 s37, s7, s37
	s_add_u32 s13, s13, s37
	s_mul_hi_u32 s40, s7, s6
	s_addc_u32 s12, s12, s41
	s_addc_u32 s13, s40, 0
	s_mul_i32 s6, s7, s6
	s_add_u32 s6, s12, s6
	s_addc_u32 s12, 0, s13
	s_mul_hi_u32 s13, s89, s6
	s_mul_i32 s6, s89, s6
	s_mul_i32 s12, s89, s12
	v_mov_b32_e32 v4, s6
	s_add_i32 s13, s13, s12
	v_sub_co_u32_e32 v4, vcc, s36, v4
	s_cmp_lg_u64 vcc, 0
	s_subb_u32 s6, s7, s13
	v_subrev_co_u32_e32 v5, vcc, s89, v4
	s_cmp_lg_u64 vcc, 0
	s_subb_u32 s12, s6, 0
	v_subrev_co_u32_e32 v6, vcc, s89, v5
	s_cmp_lg_u64 vcc, 0
	s_subb_u32 s13, s12, 0
	v_cmp_le_u32_e32 vcc, s89, v5
	s_cmp_eq_u32 s12, 0
	v_cndmask_b32_e64 v7, 0, -1, vcc
	s_cselect_b64 vcc, -1, 0
	v_cndmask_b32_e32 v7, -1, v7, vcc
	v_mov_b32_e32 v8, s12
	v_mov_b32_e32 v9, s13
	v_cmp_ne_u32_e32 vcc, 0, v7
	v_cndmask_b32_e32 v7, v8, v9, vcc
	v_cndmask_b32_e32 v6, v5, v6, vcc
	v_cmp_le_u32_e32 vcc, s89, v4
	s_cmp_eq_u32 s6, 0
	v_cndmask_b32_e64 v5, 0, -1, vcc
	s_cselect_b64 vcc, -1, 0
	v_cndmask_b32_e32 v5, -1, v5, vcc
	v_mov_b32_e32 v8, s6
	v_cmp_ne_u32_e32 vcc, 0, v5
	v_cndmask_b32_e32 v5, v8, v7, vcc
	v_cndmask_b32_e32 v4, v4, v6, vcc
	s_cbranch_execnz .LBB198_342
.LBB198_341:                            ;   in Loop: Header=BB198_18 Depth=1
	v_cvt_f32_u32_e32 v4, s89
	s_sub_i32 s6, 0, s89
	v_rcp_iflag_f32_e32 v4, v4
	v_mul_f32_e32 v4, 0x4f7ffffe, v4
	v_cvt_u32_f32_e32 v4, v4
	v_mul_lo_u32 v5, s6, v4
	v_mul_hi_u32 v5, v4, v5
	v_add_u32_e32 v4, v4, v5
	v_mul_hi_u32 v4, s36, v4
	v_mul_lo_u32 v4, v4, s89
	v_sub_u32_e32 v4, s36, v4
	v_subrev_u32_e32 v5, s89, v4
	v_cmp_le_u32_e32 vcc, s89, v4
	v_cndmask_b32_e32 v4, v4, v5, vcc
	v_subrev_u32_e32 v5, s89, v4
	v_cmp_le_u32_e32 vcc, s89, v4
	v_cndmask_b32_e32 v14, v4, v5, vcc
	v_pk_mov_b32 v[4:5], v[14:15], v[14:15] op_sel:[0,1]
.LBB198_342:                            ;   in Loop: Header=BB198_18 Depth=1
	v_mov_b32_e32 v6, s7
	v_sub_co_u32_e32 v4, vcc, s36, v4
	v_subb_co_u32_e32 v5, vcc, v6, v5, vcc
	v_cmp_gt_u64_e32 vcc, v[4:5], v[0:1]
	s_mov_b64 s[6:7], 0
                                        ; implicit-def: $vgpr21
	s_and_saveexec_b64 s[12:13], vcc
	s_cbranch_execz .LBB198_354
; %bb.343:                              ;   in Loop: Header=BB198_18 Depth=1
	s_mov_b64 s[36:37], 0
	v_mov_b32_e32 v8, v16
	v_pk_mov_b32 v[6:7], v[0:1], v[0:1] op_sel:[0,1]
                                        ; implicit-def: $sgpr40_sgpr41
	s_branch .LBB198_345
.LBB198_344:                            ;   in Loop: Header=BB198_345 Depth=2
	s_or_b64 exec, exec, s[6:7]
	s_waitcnt lgkmcnt(0)
	s_barrier
	ds_read_b64 v[20:21], v15 offset:3072
	v_mov_b32_e32 v9, s74
	v_add_co_u32_e64 v6, s[6:7], s89, v6
	v_addc_co_u32_e64 v7, s[6:7], v7, v9, s[6:7]
	s_waitcnt lgkmcnt(0)
	v_cmp_neq_f32_e32 vcc, 0, v20
	v_cmp_ge_u64_e64 s[6:7], v[6:7], v[4:5]
	s_or_b64 s[6:7], s[6:7], vcc
	s_and_b64 s[6:7], exec, s[6:7]
	s_or_b64 s[36:37], s[6:7], s[36:37]
	s_andn2_b64 s[6:7], s[40:41], exec
	s_and_b64 s[40:41], vcc, exec
	v_add_u32_e32 v8, s5, v8
	s_or_b64 s[40:41], s[6:7], s[40:41]
	s_barrier
	s_andn2_b64 exec, exec, s[36:37]
	s_cbranch_execz .LBB198_353
.LBB198_345:                            ;   Parent Loop BB198_18 Depth=1
                                        ; =>  This Inner Loop Header: Depth=2
	v_cmp_gt_u64_e32 vcc, s[2:3], v[6:7]
	s_waitcnt vmcnt(0)
	v_mov_b32_e32 v19, 0
	s_and_saveexec_b64 s[6:7], vcc
	s_cbranch_execz .LBB198_347
; %bb.346:                              ;   in Loop: Header=BB198_345 Depth=2
	ds_read_b32 v19, v8
.LBB198_347:                            ;   in Loop: Header=BB198_345 Depth=2
	s_or_b64 exec, exec, s[6:7]
	s_and_saveexec_b64 s[6:7], vcc
	s_cbranch_execz .LBB198_344
; %bb.348:                              ;   in Loop: Header=BB198_345 Depth=2
	s_waitcnt lgkmcnt(0)
	v_cmp_lt_i32_e32 vcc, -1, v19
	v_cndmask_b32_e32 v9, -1, v35, vcc
	v_xor_b32_e32 v9, v9, v19
	v_cmp_o_f32_e32 vcc, v19, v19
	v_cndmask_b32_e32 v9, -1, v9, vcc
	v_and_b32_e32 v9, v9, v37
	v_cmp_eq_u32_e32 vcc, v9, v38
	s_and_b64 exec, exec, vcc
	s_cbranch_execz .LBB198_344
; %bb.349:                              ;   in Loop: Header=BB198_345 Depth=2
	ds_write_b64 v15, v[18:19] offset:3072
	s_branch .LBB198_344
.LBB198_350:                            ;   in Loop: Header=BB198_18 Depth=1
                                        ; implicit-def: $vgpr2_vgpr3
	s_branch .LBB198_297
.LBB198_351:                            ;   in Loop: Header=BB198_18 Depth=1
                                        ; implicit-def: $vgpr2_vgpr3
	s_branch .LBB198_311
.LBB198_352:                            ;   in Loop: Header=BB198_18 Depth=1
	s_mov_b64 s[36:37], -1
	s_mov_b64 s[6:7], 0
                                        ; implicit-def: $sgpr40_sgpr41
                                        ; implicit-def: $vgpr21
	s_mov_b64 s[42:43], s[36:37]
	s_cbranch_execnz .LBB198_355
	s_branch .LBB198_368
.LBB198_353:                            ;   in Loop: Header=BB198_18 Depth=1
	s_or_b64 exec, exec, s[36:37]
	s_and_b64 s[6:7], s[40:41], exec
.LBB198_354:                            ;   in Loop: Header=BB198_18 Depth=1
	s_or_b64 exec, exec, s[12:13]
	s_mov_b64 s[36:37], 0
	s_mov_b64 s[40:41], -1
	s_mov_b64 s[42:43], s[36:37]
	s_branch .LBB198_368
.LBB198_355:                            ;   in Loop: Header=BB198_18 Depth=1
	s_mov_b32 s72, s91
	s_cmp_lg_u64 s[72:73], 0
	s_cbranch_scc0 .LBB198_397
; %bb.356:                              ;   in Loop: Header=BB198_18 Depth=1
	v_cvt_f32_u32_e32 v4, s89
	s_sub_u32 s2, 0, s89
	s_subb_u32 s3, 0, 0
	v_mac_f32_e32 v4, 0, v36
	v_rcp_f32_e32 v4, v4
	v_mul_f32_e32 v4, 0x5f7ffffc, v4
	v_mul_f32_e32 v5, 0x2f800000, v4
	v_trunc_f32_e32 v5, v5
	v_mac_f32_e32 v4, 0xcf800000, v5
	v_cvt_u32_f32_e32 v5, v5
	v_cvt_u32_f32_e32 v4, v4
	v_readfirstlane_b32 s6, v5
	v_readfirstlane_b32 s7, v4
	s_mul_i32 s12, s2, s6
	s_mul_hi_u32 s36, s2, s7
	s_mul_i32 s13, s3, s7
	s_add_i32 s12, s36, s12
	s_mul_i32 s37, s2, s7
	s_add_i32 s12, s12, s13
	s_mul_hi_u32 s36, s7, s37
	s_mul_hi_u32 s13, s7, s12
	s_mul_i32 s7, s7, s12
	s_add_u32 s7, s36, s7
	s_addc_u32 s13, 0, s13
	s_mul_hi_u32 s40, s6, s37
	s_mul_i32 s37, s6, s37
	s_add_u32 s7, s7, s37
	s_mul_hi_u32 s36, s6, s12
	s_addc_u32 s7, s13, s40
	s_addc_u32 s13, s36, 0
	s_mul_i32 s12, s6, s12
	s_add_u32 s7, s7, s12
	s_addc_u32 s12, 0, s13
	v_add_co_u32_e32 v4, vcc, s7, v4
	s_cmp_lg_u64 vcc, 0
	s_addc_u32 s6, s6, s12
	v_readfirstlane_b32 s12, v4
	s_mul_i32 s7, s2, s6
	s_mul_hi_u32 s13, s2, s12
	s_add_i32 s7, s13, s7
	s_mul_i32 s3, s3, s12
	s_add_i32 s7, s7, s3
	s_mul_i32 s2, s2, s12
	s_mul_hi_u32 s13, s6, s2
	s_mul_i32 s36, s6, s2
	s_mul_i32 s40, s12, s7
	s_mul_hi_u32 s2, s12, s2
	s_mul_hi_u32 s37, s12, s7
	s_add_u32 s2, s2, s40
	s_addc_u32 s12, 0, s37
	s_add_u32 s2, s2, s36
	s_mul_hi_u32 s3, s6, s7
	s_addc_u32 s2, s12, s13
	s_addc_u32 s3, s3, 0
	s_mul_i32 s7, s6, s7
	s_add_u32 s2, s2, s7
	s_addc_u32 s3, 0, s3
	v_add_co_u32_e32 v4, vcc, s2, v4
	s_cmp_lg_u64 vcc, 0
	s_addc_u32 s2, s6, s3
	v_readlane_b32 s36, v49, 53
	v_readfirstlane_b32 s7, v4
	s_mul_i32 s6, s36, s2
	s_mul_hi_u32 s12, s36, s7
	s_mul_hi_u32 s3, s36, s2
	s_add_u32 s6, s12, s6
	s_addc_u32 s3, 0, s3
	s_mul_hi_u32 s13, s73, s7
	s_mul_i32 s7, s73, s7
	s_add_u32 s6, s6, s7
	s_mul_hi_u32 s12, s73, s2
	s_addc_u32 s3, s3, s13
	s_addc_u32 s6, s12, 0
	s_mul_i32 s2, s73, s2
	s_add_u32 s2, s3, s2
	s_addc_u32 s3, 0, s6
	s_mul_hi_u32 s6, s89, s2
	s_mul_i32 s2, s89, s2
	s_mul_i32 s3, s89, s3
	v_mov_b32_e32 v4, s2
	s_add_i32 s6, s6, s3
	v_sub_co_u32_e32 v4, vcc, s36, v4
	s_cmp_lg_u64 vcc, 0
	s_subb_u32 s2, s73, s6
	v_subrev_co_u32_e32 v5, vcc, s89, v4
	s_cmp_lg_u64 vcc, 0
	s_subb_u32 s3, s2, 0
	v_subrev_co_u32_e32 v6, vcc, s89, v5
	s_cmp_lg_u64 vcc, 0
	s_subb_u32 s6, s3, 0
	v_cmp_le_u32_e32 vcc, s89, v5
	s_cmp_eq_u32 s3, 0
	v_cndmask_b32_e64 v7, 0, -1, vcc
	s_cselect_b64 vcc, -1, 0
	v_cndmask_b32_e32 v7, -1, v7, vcc
	v_mov_b32_e32 v8, s3
	v_mov_b32_e32 v9, s6
	v_cmp_ne_u32_e32 vcc, 0, v7
	v_cndmask_b32_e32 v7, v8, v9, vcc
	v_cndmask_b32_e32 v6, v5, v6, vcc
	v_cmp_le_u32_e32 vcc, s89, v4
	s_cmp_eq_u32 s2, 0
	v_cndmask_b32_e64 v5, 0, -1, vcc
	s_cselect_b64 vcc, -1, 0
	v_cndmask_b32_e32 v5, -1, v5, vcc
	v_mov_b32_e32 v8, s2
	v_cmp_ne_u32_e32 vcc, 0, v5
	v_cndmask_b32_e32 v5, v8, v7, vcc
	v_cndmask_b32_e32 v4, v4, v6, vcc
	s_cbranch_execnz .LBB198_358
.LBB198_357:                            ;   in Loop: Header=BB198_18 Depth=1
	v_cvt_f32_u32_e32 v4, s89
	s_sub_i32 s2, 0, s89
	v_rcp_iflag_f32_e32 v4, v4
	v_mul_f32_e32 v4, 0x4f7ffffe, v4
	v_cvt_u32_f32_e32 v4, v4
	v_mul_lo_u32 v5, s2, v4
	v_mul_hi_u32 v5, v4, v5
	v_add_u32_e32 v4, v4, v5
	v_readlane_b32 s2, v49, 53
	v_mul_hi_u32 v4, s2, v4
	v_mul_lo_u32 v4, v4, s89
	v_sub_u32_e32 v4, s2, v4
	v_subrev_u32_e32 v5, s89, v4
	v_cmp_le_u32_e32 vcc, s89, v4
	v_cndmask_b32_e32 v4, v4, v5, vcc
	v_subrev_u32_e32 v5, s89, v4
	v_cmp_le_u32_e32 vcc, s89, v4
	v_cndmask_b32_e32 v14, v4, v5, vcc
	v_pk_mov_b32 v[4:5], v[14:15], v[14:15] op_sel:[0,1]
.LBB198_358:                            ;   in Loop: Header=BB198_18 Depth=1
	v_readlane_b32 s2, v49, 53
	v_mov_b32_e32 v6, s73
	v_sub_co_u32_e32 v4, vcc, s2, v4
	v_subb_co_u32_e32 v5, vcc, v6, v5, vcc
	v_cmp_gt_u64_e32 vcc, v[4:5], v[0:1]
	s_mov_b64 s[6:7], 0
                                        ; implicit-def: $vgpr21
	s_and_saveexec_b64 s[2:3], vcc
	s_cbranch_execz .LBB198_367
; %bb.359:                              ;   in Loop: Header=BB198_18 Depth=1
	s_mov_b64 s[12:13], 0
	v_pk_mov_b32 v[6:7], v[0:1], v[0:1] op_sel:[0,1]
                                        ; implicit-def: $sgpr36_sgpr37
	s_branch .LBB198_361
.LBB198_360:                            ;   in Loop: Header=BB198_361 Depth=2
	s_or_b64 exec, exec, s[6:7]
	s_waitcnt lgkmcnt(0)
	s_barrier
	ds_read_b64 v[20:21], v15 offset:3072
	v_mov_b32_e32 v8, s74
	v_add_co_u32_e64 v6, s[6:7], s89, v6
	v_addc_co_u32_e64 v7, s[6:7], v7, v8, s[6:7]
	s_waitcnt lgkmcnt(0)
	v_cmp_neq_f32_e32 vcc, 0, v20
	v_cmp_ge_u64_e64 s[6:7], v[6:7], v[4:5]
	s_or_b64 s[6:7], s[6:7], vcc
	s_and_b64 s[6:7], exec, s[6:7]
	s_or_b64 s[12:13], s[6:7], s[12:13]
	s_andn2_b64 s[6:7], s[36:37], exec
	s_and_b64 s[36:37], vcc, exec
	s_or_b64 s[36:37], s[6:7], s[36:37]
	s_barrier
	s_andn2_b64 exec, exec, s[12:13]
	s_cbranch_execz .LBB198_366
.LBB198_361:                            ;   Parent Loop BB198_18 Depth=1
                                        ; =>  This Inner Loop Header: Depth=2
	v_cmp_gt_u64_e32 vcc, s[60:61], v[6:7]
	s_waitcnt vmcnt(0)
	v_mov_b32_e32 v19, 0
	s_and_saveexec_b64 s[40:41], vcc
	s_cbranch_execz .LBB198_363
; %bb.362:                              ;   in Loop: Header=BB198_361 Depth=2
	v_mul_lo_u32 v14, v7, s58
	v_mul_lo_u32 v19, v6, s59
	v_mad_u64_u32 v[8:9], s[6:7], v6, s58, 0
	v_add3_u32 v9, v9, v19, v14
	v_lshlrev_b64 v[8:9], 2, v[8:9]
	v_mov_b32_e32 v14, s88
	v_add_co_u32_e64 v8, s[6:7], s33, v8
	v_addc_co_u32_e64 v9, s[6:7], v14, v9, s[6:7]
	global_load_dword v19, v[8:9], off
.LBB198_363:                            ;   in Loop: Header=BB198_361 Depth=2
	s_or_b64 exec, exec, s[40:41]
	s_and_saveexec_b64 s[6:7], vcc
	s_cbranch_execz .LBB198_360
; %bb.364:                              ;   in Loop: Header=BB198_361 Depth=2
	s_waitcnt vmcnt(0)
	v_cmp_lt_i32_e32 vcc, -1, v19
	v_cndmask_b32_e32 v8, -1, v35, vcc
	v_xor_b32_e32 v8, v8, v19
	v_cmp_o_f32_e32 vcc, v19, v19
	v_cndmask_b32_e32 v8, -1, v8, vcc
	v_and_b32_e32 v8, v8, v37
	v_cmp_eq_u32_e32 vcc, v8, v38
	s_and_b64 exec, exec, vcc
	s_cbranch_execz .LBB198_360
; %bb.365:                              ;   in Loop: Header=BB198_361 Depth=2
	ds_write_b64 v15, v[18:19] offset:3072
	s_branch .LBB198_360
.LBB198_366:                            ;   in Loop: Header=BB198_18 Depth=1
	s_or_b64 exec, exec, s[12:13]
	s_and_b64 s[6:7], s[36:37], exec
.LBB198_367:                            ;   in Loop: Header=BB198_18 Depth=1
	s_or_b64 exec, exec, s[2:3]
	s_mov_b64 s[40:41], 0
	s_mov_b64 s[36:37], -1
	s_mov_b64 s[42:43], 0
.LBB198_368:                            ;   in Loop: Header=BB198_18 Depth=1
	s_orn2_b64 s[2:3], s[6:7], exec
.LBB198_369:                            ;   in Loop: Header=BB198_18 Depth=1
	s_or_b64 exec, exec, s[10:11]
	s_mov_b64 s[6:7], 0
                                        ; implicit-def: $vgpr8
	s_and_saveexec_b64 s[44:45], s[2:3]
	s_cbranch_execz .LBB198_482
; %bb.370:                              ;   in Loop: Header=BB198_18 Depth=1
	v_mov_b32_e32 v4, 1
	s_xor_b64 s[6:7], s[8:9], -1
	s_mov_b64 s[12:13], 0
	v_mov_b32_e32 v5, 0
	v_mov_b32_e32 v8, 1
	s_and_saveexec_b64 s[2:3], s[6:7]
	s_cbranch_execz .LBB198_380
; %bb.371:                              ;   in Loop: Header=BB198_18 Depth=1
	v_cmp_ge_u64_e32 vcc, s[22:23], v[2:3]
                                        ; implicit-def: $sgpr10
                                        ; implicit-def: $sgpr6_sgpr7
	s_and_saveexec_b64 s[8:9], vcc
	s_xor_b64 s[8:9], exec, s[8:9]
	s_cbranch_execz .LBB198_377
; %bb.372:                              ;   in Loop: Header=BB198_18 Depth=1
	ds_read_b64 v[4:5], v15 offset:5120
	s_waitcnt lgkmcnt(0)
	v_cmp_ne_u64_e32 vcc, 0, v[4:5]
	s_cbranch_vccnz .LBB198_376
; %bb.373:                              ;   in Loop: Header=BB198_18 Depth=1
	s_mov_b64 s[6:7], exec
	v_readlane_b32 s10, v49, 32
	v_readlane_b32 s11, v49, 33
	s_and_b64 s[10:11], s[6:7], s[10:11]
	s_mov_b64 exec, s[10:11]
	s_cbranch_execz .LBB198_375
; %bb.374:                              ;   in Loop: Header=BB198_18 Depth=1
	v_pk_mov_b32 v[4:5], s[22:23], s[22:23] op_sel:[0,1]
	ds_write_b64 v15, v[4:5] offset:5128
.LBB198_375:                            ;   in Loop: Header=BB198_18 Depth=1
	s_or_b64 exec, exec, s[6:7]
	s_waitcnt lgkmcnt(0)
	s_barrier
.LBB198_376:                            ;   in Loop: Header=BB198_18 Depth=1
	v_and_b32_e32 v4, s48, v38
	v_lshl_or_b32 v38, 2, s49, v4
	v_or_b32_e32 v37, s90, v37
	s_mov_b64 s[6:7], 0
	s_mov_b32 s10, 5
.LBB198_377:                            ;   in Loop: Header=BB198_18 Depth=1
	s_or_saveexec_b64 s[8:9], s[8:9]
	v_mov_b32_e32 v8, s10
	s_xor_b64 exec, exec, s[8:9]
; %bb.378:                              ;   in Loop: Header=BB198_18 Depth=1
	v_mov_b32_e32 v4, s23
	v_subrev_co_u32_e32 v2, vcc, s22, v2
	v_subb_co_u32_e32 v3, vcc, v3, v4, vcc
	v_mov_b32_e32 v8, 0
	s_or_b64 s[6:7], s[6:7], exec
; %bb.379:                              ;   in Loop: Header=BB198_18 Depth=1
	s_or_b64 exec, exec, s[8:9]
	s_and_b64 s[12:13], s[6:7], exec
	v_pk_mov_b32 v[4:5], v[2:3], v[2:3] op_sel:[0,1]
.LBB198_380:                            ;   in Loop: Header=BB198_18 Depth=1
	s_or_b64 exec, exec, s[2:3]
	s_mov_b64 s[2:3], -1
                                        ; implicit-def: $sgpr6_sgpr7
                                        ; implicit-def: $sgpr8_sgpr9
                                        ; implicit-def: $sgpr10_sgpr11
	s_and_saveexec_b64 s[22:23], s[12:13]
	s_cbranch_execz .LBB198_481
; %bb.381:                              ;   in Loop: Header=BB198_18 Depth=1
	s_cmp_eq_u64 s[18:19], 1
	s_cselect_b64 s[2:3], -1, 0
	v_cmp_eq_u64_e32 vcc, 1, v[4:5]
	s_and_b64 s[10:11], s[2:3], vcc
	s_mov_b64 s[6:7], -1
                                        ; implicit-def: $sgpr8_sgpr9
                                        ; implicit-def: $sgpr46_sgpr47
                                        ; implicit-def: $sgpr92_sgpr93
	s_and_saveexec_b64 s[50:51], s[10:11]
	s_cbranch_execz .LBB198_415
; %bb.382:                              ;   in Loop: Header=BB198_18 Depth=1
	ds_read_b64 v[2:3], v15 offset:5120
	s_waitcnt lgkmcnt(0)
	s_barrier
	v_readfirstlane_b32 s2, v2
	v_readfirstlane_b32 s3, v3
	s_mov_b64 s[6:7], exec
	v_readlane_b32 s8, v49, 48
	v_readlane_b32 s9, v49, 49
	s_and_b64 s[8:9], s[6:7], s[8:9]
	s_mov_b64 exec, s[8:9]
	s_cbranch_execz .LBB198_384
; %bb.383:                              ;   in Loop: Header=BB198_18 Depth=1
	ds_write_b32 v32, v15
.LBB198_384:                            ;   in Loop: Header=BB198_18 Depth=1
	s_or_b64 exec, exec, s[6:7]
	v_and_b32_e32 v2, s48, v38
	v_lshl_or_b32 v38, 1, s49, v2
	v_or_b32_e32 v37, s90, v37
	s_cmp_eq_u64 s[2:3], 0
	s_waitcnt lgkmcnt(0)
	s_barrier
	s_cbranch_scc1 .LBB198_398
; %bb.385:                              ;   in Loop: Header=BB198_18 Depth=1
	v_readlane_b32 s6, v49, 52
	s_add_u32 s12, s6, s2
	v_readlane_b32 s6, v49, 54
	s_addc_u32 s7, s6, s3
	s_mov_b32 s6, s91
	s_cmp_lg_u64 s[6:7], 0
	s_cbranch_scc0 .LBB198_433
; %bb.386:                              ;   in Loop: Header=BB198_18 Depth=1
	v_cvt_f32_u32_e32 v2, s89
	s_sub_u32 s6, 0, s89
	s_subb_u32 s8, 0, 0
	v_mac_f32_e32 v2, 0, v36
	v_rcp_f32_e32 v2, v2
	v_mul_f32_e32 v2, 0x5f7ffffc, v2
	v_mul_f32_e32 v3, 0x2f800000, v2
	v_trunc_f32_e32 v3, v3
	v_mac_f32_e32 v2, 0xcf800000, v3
	v_cvt_u32_f32_e32 v3, v3
	v_cvt_u32_f32_e32 v2, v2
	v_readfirstlane_b32 s9, v3
	v_readfirstlane_b32 s13, v2
	s_mul_i32 s46, s6, s9
	s_mul_hi_u32 s52, s6, s13
	s_mul_i32 s47, s8, s13
	s_add_i32 s46, s52, s46
	s_mul_i32 s53, s6, s13
	s_add_i32 s46, s46, s47
	s_mul_hi_u32 s52, s13, s53
	s_mul_hi_u32 s47, s13, s46
	s_mul_i32 s13, s13, s46
	s_add_u32 s13, s52, s13
	s_addc_u32 s47, 0, s47
	s_mul_hi_u32 s54, s9, s53
	s_mul_i32 s53, s9, s53
	s_add_u32 s13, s13, s53
	s_mul_hi_u32 s52, s9, s46
	s_addc_u32 s13, s47, s54
	s_addc_u32 s47, s52, 0
	s_mul_i32 s46, s9, s46
	s_add_u32 s13, s13, s46
	s_addc_u32 s46, 0, s47
	v_add_co_u32_e32 v2, vcc, s13, v2
	s_cmp_lg_u64 vcc, 0
	s_addc_u32 s9, s9, s46
	v_readfirstlane_b32 s46, v2
	s_mul_i32 s13, s6, s9
	s_mul_hi_u32 s47, s6, s46
	s_add_i32 s13, s47, s13
	s_mul_i32 s8, s8, s46
	s_add_i32 s13, s13, s8
	s_mul_i32 s6, s6, s46
	s_mul_hi_u32 s47, s9, s6
	s_mul_i32 s52, s9, s6
	s_mul_i32 s54, s46, s13
	s_mul_hi_u32 s6, s46, s6
	s_mul_hi_u32 s53, s46, s13
	s_add_u32 s6, s6, s54
	s_addc_u32 s46, 0, s53
	s_add_u32 s6, s6, s52
	s_mul_hi_u32 s8, s9, s13
	s_addc_u32 s6, s46, s47
	s_addc_u32 s8, s8, 0
	s_mul_i32 s13, s9, s13
	s_add_u32 s6, s6, s13
	s_addc_u32 s8, 0, s8
	v_add_co_u32_e32 v2, vcc, s6, v2
	s_cmp_lg_u64 vcc, 0
	s_addc_u32 s6, s9, s8
	v_readfirstlane_b32 s13, v2
	s_mul_i32 s9, s12, s6
	s_mul_hi_u32 s46, s12, s13
	s_mul_hi_u32 s8, s12, s6
	s_add_u32 s9, s46, s9
	s_addc_u32 s8, 0, s8
	s_mul_hi_u32 s47, s7, s13
	s_mul_i32 s13, s7, s13
	s_add_u32 s9, s9, s13
	s_mul_hi_u32 s46, s7, s6
	s_addc_u32 s8, s8, s47
	s_addc_u32 s9, s46, 0
	s_mul_i32 s6, s7, s6
	s_add_u32 s6, s8, s6
	s_addc_u32 s8, 0, s9
	s_mul_hi_u32 s9, s89, s6
	s_mul_i32 s6, s89, s6
	s_mul_i32 s8, s89, s8
	v_mov_b32_e32 v2, s6
	s_add_i32 s9, s9, s8
	v_sub_co_u32_e32 v2, vcc, s12, v2
	s_cmp_lg_u64 vcc, 0
	s_subb_u32 s6, s7, s9
	v_subrev_co_u32_e32 v3, vcc, s89, v2
	s_cmp_lg_u64 vcc, 0
	s_subb_u32 s8, s6, 0
	v_subrev_co_u32_e32 v6, vcc, s89, v3
	s_cmp_lg_u64 vcc, 0
	s_subb_u32 s9, s8, 0
	v_cmp_le_u32_e32 vcc, s89, v3
	s_cmp_eq_u32 s8, 0
	v_cndmask_b32_e64 v7, 0, -1, vcc
	s_cselect_b64 vcc, -1, 0
	v_cndmask_b32_e32 v7, -1, v7, vcc
	v_mov_b32_e32 v8, s8
	v_mov_b32_e32 v9, s9
	v_cmp_ne_u32_e32 vcc, 0, v7
	v_cndmask_b32_e32 v7, v8, v9, vcc
	v_cndmask_b32_e32 v6, v3, v6, vcc
	v_cmp_le_u32_e32 vcc, s89, v2
	s_cmp_eq_u32 s6, 0
	v_cndmask_b32_e64 v3, 0, -1, vcc
	s_cselect_b64 vcc, -1, 0
	v_cndmask_b32_e32 v3, -1, v3, vcc
	v_mov_b32_e32 v8, s6
	v_cmp_ne_u32_e32 vcc, 0, v3
	v_cndmask_b32_e32 v3, v8, v7, vcc
	v_cndmask_b32_e32 v2, v2, v6, vcc
	s_cbranch_execnz .LBB198_388
.LBB198_387:                            ;   in Loop: Header=BB198_18 Depth=1
	v_cvt_f32_u32_e32 v2, s89
	s_sub_i32 s6, 0, s89
	v_rcp_iflag_f32_e32 v2, v2
	v_mul_f32_e32 v2, 0x4f7ffffe, v2
	v_cvt_u32_f32_e32 v2, v2
	v_mul_lo_u32 v3, s6, v2
	v_mul_hi_u32 v3, v2, v3
	v_add_u32_e32 v2, v2, v3
	v_mul_hi_u32 v2, s12, v2
	v_mul_lo_u32 v2, v2, s89
	v_sub_u32_e32 v2, s12, v2
	v_subrev_u32_e32 v3, s89, v2
	v_cmp_le_u32_e32 vcc, s89, v2
	v_cndmask_b32_e32 v2, v2, v3, vcc
	v_subrev_u32_e32 v3, s89, v2
	v_cmp_le_u32_e32 vcc, s89, v2
	v_cndmask_b32_e32 v14, v2, v3, vcc
	v_pk_mov_b32 v[2:3], v[14:15], v[14:15] op_sel:[0,1]
.LBB198_388:                            ;   in Loop: Header=BB198_18 Depth=1
	v_mov_b32_e32 v6, s7
	v_sub_co_u32_e32 v2, vcc, s12, v2
	v_subb_co_u32_e32 v3, vcc, v6, v3, vcc
	v_cmp_gt_u64_e32 vcc, v[2:3], v[0:1]
	s_mov_b64 s[6:7], 0
                                        ; implicit-def: $vgpr21
	s_and_saveexec_b64 s[8:9], vcc
	s_cbranch_execz .LBB198_400
; %bb.389:                              ;   in Loop: Header=BB198_18 Depth=1
	s_mov_b64 s[12:13], 0
	v_mov_b32_e32 v8, v16
	v_pk_mov_b32 v[6:7], v[0:1], v[0:1] op_sel:[0,1]
                                        ; implicit-def: $sgpr46_sgpr47
	s_branch .LBB198_391
.LBB198_390:                            ;   in Loop: Header=BB198_391 Depth=2
	s_or_b64 exec, exec, s[6:7]
	s_waitcnt lgkmcnt(0)
	s_barrier
	ds_read_b64 v[20:21], v15 offset:3072
	v_mov_b32_e32 v9, s74
	v_add_co_u32_e64 v6, s[6:7], s89, v6
	v_addc_co_u32_e64 v7, s[6:7], v7, v9, s[6:7]
	s_waitcnt lgkmcnt(0)
	v_cmp_neq_f32_e32 vcc, 0, v20
	v_cmp_ge_u64_e64 s[6:7], v[6:7], v[2:3]
	s_or_b64 s[6:7], s[6:7], vcc
	s_and_b64 s[6:7], exec, s[6:7]
	s_or_b64 s[12:13], s[6:7], s[12:13]
	s_andn2_b64 s[6:7], s[46:47], exec
	s_and_b64 s[46:47], vcc, exec
	v_add_u32_e32 v8, s5, v8
	s_or_b64 s[46:47], s[6:7], s[46:47]
	s_barrier
	s_andn2_b64 exec, exec, s[12:13]
	s_cbranch_execz .LBB198_399
.LBB198_391:                            ;   Parent Loop BB198_18 Depth=1
                                        ; =>  This Inner Loop Header: Depth=2
	v_cmp_gt_u64_e32 vcc, s[2:3], v[6:7]
	s_waitcnt vmcnt(0)
	v_mov_b32_e32 v19, 0
	s_and_saveexec_b64 s[6:7], vcc
	s_cbranch_execz .LBB198_393
; %bb.392:                              ;   in Loop: Header=BB198_391 Depth=2
	ds_read_b32 v19, v8
.LBB198_393:                            ;   in Loop: Header=BB198_391 Depth=2
	s_or_b64 exec, exec, s[6:7]
	s_and_saveexec_b64 s[6:7], vcc
	s_cbranch_execz .LBB198_390
; %bb.394:                              ;   in Loop: Header=BB198_391 Depth=2
	s_waitcnt lgkmcnt(0)
	v_cmp_lt_i32_e32 vcc, -1, v19
	v_cndmask_b32_e32 v9, -1, v35, vcc
	v_xor_b32_e32 v9, v9, v19
	v_cmp_o_f32_e32 vcc, v19, v19
	v_cndmask_b32_e32 v9, -1, v9, vcc
	v_and_b32_e32 v9, v9, v37
	v_cmp_eq_u32_e32 vcc, v9, v38
	s_and_b64 exec, exec, vcc
	s_cbranch_execz .LBB198_390
; %bb.395:                              ;   in Loop: Header=BB198_391 Depth=2
	ds_write_b64 v15, v[18:19] offset:3072
	s_branch .LBB198_390
.LBB198_396:                            ;   in Loop: Header=BB198_18 Depth=1
                                        ; implicit-def: $vgpr4_vgpr5
	s_branch .LBB198_341
.LBB198_397:                            ;   in Loop: Header=BB198_18 Depth=1
                                        ; implicit-def: $vgpr4_vgpr5
	s_branch .LBB198_357
.LBB198_398:                            ;   in Loop: Header=BB198_18 Depth=1
	s_mov_b64 s[8:9], -1
	s_mov_b64 s[6:7], 0
                                        ; implicit-def: $sgpr46_sgpr47
                                        ; implicit-def: $vgpr21
	s_mov_b64 s[92:93], s[8:9]
	s_cbranch_execnz .LBB198_401
	s_branch .LBB198_414
.LBB198_399:                            ;   in Loop: Header=BB198_18 Depth=1
	s_or_b64 exec, exec, s[12:13]
	s_and_b64 s[6:7], s[46:47], exec
.LBB198_400:                            ;   in Loop: Header=BB198_18 Depth=1
	s_or_b64 exec, exec, s[8:9]
	s_mov_b64 s[8:9], 0
	s_mov_b64 s[46:47], -1
	s_mov_b64 s[92:93], s[8:9]
	s_branch .LBB198_414
.LBB198_401:                            ;   in Loop: Header=BB198_18 Depth=1
	s_mov_b32 s72, s91
	s_cmp_lg_u64 s[72:73], 0
	s_cbranch_scc0 .LBB198_434
; %bb.402:                              ;   in Loop: Header=BB198_18 Depth=1
	v_cvt_f32_u32_e32 v2, s89
	s_sub_u32 s2, 0, s89
	s_subb_u32 s3, 0, 0
	v_mac_f32_e32 v2, 0, v36
	v_rcp_f32_e32 v2, v2
	v_mul_f32_e32 v2, 0x5f7ffffc, v2
	v_mul_f32_e32 v3, 0x2f800000, v2
	v_trunc_f32_e32 v3, v3
	v_mac_f32_e32 v2, 0xcf800000, v3
	v_cvt_u32_f32_e32 v3, v3
	v_cvt_u32_f32_e32 v2, v2
	v_readfirstlane_b32 s6, v3
	v_readfirstlane_b32 s7, v2
	s_mul_i32 s8, s2, s6
	s_mul_hi_u32 s12, s2, s7
	s_mul_i32 s9, s3, s7
	s_add_i32 s8, s12, s8
	s_mul_i32 s13, s2, s7
	s_add_i32 s8, s8, s9
	s_mul_hi_u32 s12, s7, s13
	s_mul_hi_u32 s9, s7, s8
	s_mul_i32 s7, s7, s8
	s_add_u32 s7, s12, s7
	s_addc_u32 s9, 0, s9
	s_mul_hi_u32 s46, s6, s13
	s_mul_i32 s13, s6, s13
	s_add_u32 s7, s7, s13
	s_mul_hi_u32 s12, s6, s8
	s_addc_u32 s7, s9, s46
	s_addc_u32 s9, s12, 0
	s_mul_i32 s8, s6, s8
	s_add_u32 s7, s7, s8
	s_addc_u32 s8, 0, s9
	v_add_co_u32_e32 v2, vcc, s7, v2
	s_cmp_lg_u64 vcc, 0
	s_addc_u32 s6, s6, s8
	v_readfirstlane_b32 s8, v2
	s_mul_i32 s7, s2, s6
	s_mul_hi_u32 s9, s2, s8
	s_add_i32 s7, s9, s7
	s_mul_i32 s3, s3, s8
	s_add_i32 s7, s7, s3
	s_mul_i32 s2, s2, s8
	s_mul_hi_u32 s9, s6, s2
	s_mul_i32 s12, s6, s2
	s_mul_i32 s46, s8, s7
	s_mul_hi_u32 s2, s8, s2
	s_mul_hi_u32 s13, s8, s7
	s_add_u32 s2, s2, s46
	s_addc_u32 s8, 0, s13
	s_add_u32 s2, s2, s12
	s_mul_hi_u32 s3, s6, s7
	s_addc_u32 s2, s8, s9
	s_addc_u32 s3, s3, 0
	s_mul_i32 s7, s6, s7
	s_add_u32 s2, s2, s7
	s_addc_u32 s3, 0, s3
	v_add_co_u32_e32 v2, vcc, s2, v2
	s_cmp_lg_u64 vcc, 0
	s_addc_u32 s2, s6, s3
	v_readlane_b32 s12, v49, 53
	v_readfirstlane_b32 s7, v2
	s_mul_i32 s6, s12, s2
	s_mul_hi_u32 s8, s12, s7
	s_mul_hi_u32 s3, s12, s2
	s_add_u32 s6, s8, s6
	s_addc_u32 s3, 0, s3
	s_mul_hi_u32 s9, s73, s7
	s_mul_i32 s7, s73, s7
	s_add_u32 s6, s6, s7
	s_mul_hi_u32 s8, s73, s2
	s_addc_u32 s3, s3, s9
	s_addc_u32 s6, s8, 0
	s_mul_i32 s2, s73, s2
	s_add_u32 s2, s3, s2
	s_addc_u32 s3, 0, s6
	s_mul_hi_u32 s6, s89, s2
	s_mul_i32 s2, s89, s2
	s_mul_i32 s3, s89, s3
	v_mov_b32_e32 v2, s2
	s_add_i32 s6, s6, s3
	v_sub_co_u32_e32 v2, vcc, s12, v2
	s_cmp_lg_u64 vcc, 0
	s_subb_u32 s2, s73, s6
	v_subrev_co_u32_e32 v3, vcc, s89, v2
	s_cmp_lg_u64 vcc, 0
	s_subb_u32 s3, s2, 0
	v_subrev_co_u32_e32 v6, vcc, s89, v3
	s_cmp_lg_u64 vcc, 0
	s_subb_u32 s6, s3, 0
	v_cmp_le_u32_e32 vcc, s89, v3
	s_cmp_eq_u32 s3, 0
	v_cndmask_b32_e64 v7, 0, -1, vcc
	s_cselect_b64 vcc, -1, 0
	v_cndmask_b32_e32 v7, -1, v7, vcc
	v_mov_b32_e32 v8, s3
	v_mov_b32_e32 v9, s6
	v_cmp_ne_u32_e32 vcc, 0, v7
	v_cndmask_b32_e32 v7, v8, v9, vcc
	v_cndmask_b32_e32 v6, v3, v6, vcc
	v_cmp_le_u32_e32 vcc, s89, v2
	s_cmp_eq_u32 s2, 0
	v_cndmask_b32_e64 v3, 0, -1, vcc
	s_cselect_b64 vcc, -1, 0
	v_cndmask_b32_e32 v3, -1, v3, vcc
	v_mov_b32_e32 v8, s2
	v_cmp_ne_u32_e32 vcc, 0, v3
	v_cndmask_b32_e32 v3, v8, v7, vcc
	v_cndmask_b32_e32 v2, v2, v6, vcc
	s_cbranch_execnz .LBB198_404
.LBB198_403:                            ;   in Loop: Header=BB198_18 Depth=1
	v_cvt_f32_u32_e32 v2, s89
	s_sub_i32 s2, 0, s89
	v_rcp_iflag_f32_e32 v2, v2
	v_mul_f32_e32 v2, 0x4f7ffffe, v2
	v_cvt_u32_f32_e32 v2, v2
	v_mul_lo_u32 v3, s2, v2
	v_mul_hi_u32 v3, v2, v3
	v_add_u32_e32 v2, v2, v3
	v_readlane_b32 s2, v49, 53
	v_mul_hi_u32 v2, s2, v2
	v_mul_lo_u32 v2, v2, s89
	v_sub_u32_e32 v2, s2, v2
	v_subrev_u32_e32 v3, s89, v2
	v_cmp_le_u32_e32 vcc, s89, v2
	v_cndmask_b32_e32 v2, v2, v3, vcc
	v_subrev_u32_e32 v3, s89, v2
	v_cmp_le_u32_e32 vcc, s89, v2
	v_cndmask_b32_e32 v14, v2, v3, vcc
	v_pk_mov_b32 v[2:3], v[14:15], v[14:15] op_sel:[0,1]
.LBB198_404:                            ;   in Loop: Header=BB198_18 Depth=1
	v_readlane_b32 s2, v49, 53
	v_mov_b32_e32 v6, s73
	v_sub_co_u32_e32 v2, vcc, s2, v2
	v_subb_co_u32_e32 v3, vcc, v6, v3, vcc
	v_cmp_gt_u64_e32 vcc, v[2:3], v[0:1]
	s_mov_b64 s[6:7], 0
                                        ; implicit-def: $vgpr21
	s_and_saveexec_b64 s[2:3], vcc
	s_cbranch_execz .LBB198_413
; %bb.405:                              ;   in Loop: Header=BB198_18 Depth=1
	s_mov_b64 s[8:9], 0
	v_pk_mov_b32 v[6:7], v[0:1], v[0:1] op_sel:[0,1]
                                        ; implicit-def: $sgpr12_sgpr13
	s_branch .LBB198_407
.LBB198_406:                            ;   in Loop: Header=BB198_407 Depth=2
	s_or_b64 exec, exec, s[6:7]
	s_waitcnt lgkmcnt(0)
	s_barrier
	ds_read_b64 v[20:21], v15 offset:3072
	v_mov_b32_e32 v8, s74
	v_add_co_u32_e64 v6, s[6:7], s89, v6
	v_addc_co_u32_e64 v7, s[6:7], v7, v8, s[6:7]
	s_waitcnt lgkmcnt(0)
	v_cmp_neq_f32_e32 vcc, 0, v20
	v_cmp_ge_u64_e64 s[6:7], v[6:7], v[2:3]
	s_or_b64 s[6:7], s[6:7], vcc
	s_and_b64 s[6:7], exec, s[6:7]
	s_or_b64 s[8:9], s[6:7], s[8:9]
	s_andn2_b64 s[6:7], s[12:13], exec
	s_and_b64 s[12:13], vcc, exec
	s_or_b64 s[12:13], s[6:7], s[12:13]
	s_barrier
	s_andn2_b64 exec, exec, s[8:9]
	s_cbranch_execz .LBB198_412
.LBB198_407:                            ;   Parent Loop BB198_18 Depth=1
                                        ; =>  This Inner Loop Header: Depth=2
	v_cmp_gt_u64_e32 vcc, s[60:61], v[6:7]
	s_waitcnt vmcnt(0)
	v_mov_b32_e32 v19, 0
	s_and_saveexec_b64 s[46:47], vcc
	s_cbranch_execz .LBB198_409
; %bb.408:                              ;   in Loop: Header=BB198_407 Depth=2
	v_mul_lo_u32 v14, v7, s58
	v_mul_lo_u32 v19, v6, s59
	v_mad_u64_u32 v[8:9], s[6:7], v6, s58, 0
	v_add3_u32 v9, v9, v19, v14
	v_lshlrev_b64 v[8:9], 2, v[8:9]
	v_mov_b32_e32 v14, s88
	v_add_co_u32_e64 v8, s[6:7], s33, v8
	v_addc_co_u32_e64 v9, s[6:7], v14, v9, s[6:7]
	global_load_dword v19, v[8:9], off
.LBB198_409:                            ;   in Loop: Header=BB198_407 Depth=2
	s_or_b64 exec, exec, s[46:47]
	s_and_saveexec_b64 s[6:7], vcc
	s_cbranch_execz .LBB198_406
; %bb.410:                              ;   in Loop: Header=BB198_407 Depth=2
	s_waitcnt vmcnt(0)
	v_cmp_lt_i32_e32 vcc, -1, v19
	v_cndmask_b32_e32 v8, -1, v35, vcc
	v_xor_b32_e32 v8, v8, v19
	v_cmp_o_f32_e32 vcc, v19, v19
	v_cndmask_b32_e32 v8, -1, v8, vcc
	v_and_b32_e32 v8, v8, v37
	v_cmp_eq_u32_e32 vcc, v8, v38
	s_and_b64 exec, exec, vcc
	s_cbranch_execz .LBB198_406
; %bb.411:                              ;   in Loop: Header=BB198_407 Depth=2
	ds_write_b64 v15, v[18:19] offset:3072
	s_branch .LBB198_406
.LBB198_412:                            ;   in Loop: Header=BB198_18 Depth=1
	s_or_b64 exec, exec, s[8:9]
	s_and_b64 s[6:7], s[12:13], exec
.LBB198_413:                            ;   in Loop: Header=BB198_18 Depth=1
	s_or_b64 exec, exec, s[2:3]
	s_mov_b64 s[46:47], 0
	s_mov_b64 s[8:9], -1
	s_mov_b64 s[92:93], 0
.LBB198_414:                            ;   in Loop: Header=BB198_18 Depth=1
	s_orn2_b64 s[6:7], s[6:7], exec
.LBB198_415:                            ;   in Loop: Header=BB198_18 Depth=1
	s_or_b64 exec, exec, s[50:51]
	s_mov_b64 s[2:3], 0
                                        ; implicit-def: $vgpr8
	s_and_saveexec_b64 s[50:51], s[6:7]
	s_cbranch_execz .LBB198_480
; %bb.416:                              ;   in Loop: Header=BB198_18 Depth=1
	v_mov_b32_e32 v2, 1
	s_xor_b64 s[6:7], s[10:11], -1
	s_mov_b64 s[52:53], 0
	v_mov_b32_e32 v3, 0
	v_mov_b32_e32 v8, 1
	s_and_saveexec_b64 s[2:3], s[6:7]
	s_cbranch_execz .LBB198_426
; %bb.417:                              ;   in Loop: Header=BB198_18 Depth=1
	v_cmp_ge_u64_e32 vcc, s[18:19], v[4:5]
                                        ; implicit-def: $sgpr12
                                        ; implicit-def: $sgpr6_sgpr7
	s_and_saveexec_b64 s[10:11], vcc
	s_xor_b64 s[10:11], exec, s[10:11]
	s_cbranch_execz .LBB198_423
; %bb.418:                              ;   in Loop: Header=BB198_18 Depth=1
	ds_read_b64 v[2:3], v15 offset:5120
	s_waitcnt lgkmcnt(0)
	v_cmp_ne_u64_e32 vcc, 0, v[2:3]
	s_cbranch_vccnz .LBB198_422
; %bb.419:                              ;   in Loop: Header=BB198_18 Depth=1
	s_mov_b64 s[6:7], exec
	v_readlane_b32 s12, v49, 32
	v_readlane_b32 s13, v49, 33
	s_and_b64 s[12:13], s[6:7], s[12:13]
	s_mov_b64 exec, s[12:13]
	s_cbranch_execz .LBB198_421
; %bb.420:                              ;   in Loop: Header=BB198_18 Depth=1
	v_pk_mov_b32 v[2:3], s[18:19], s[18:19] op_sel:[0,1]
	ds_write_b64 v15, v[2:3] offset:5128
.LBB198_421:                            ;   in Loop: Header=BB198_18 Depth=1
	s_or_b64 exec, exec, s[6:7]
	s_waitcnt lgkmcnt(0)
	s_barrier
.LBB198_422:                            ;   in Loop: Header=BB198_18 Depth=1
	v_and_b32_e32 v2, s48, v38
	v_lshl_or_b32 v38, 1, s49, v2
	v_or_b32_e32 v37, s90, v37
	s_mov_b64 s[6:7], 0
	s_mov_b32 s12, 5
.LBB198_423:                            ;   in Loop: Header=BB198_18 Depth=1
	s_or_saveexec_b64 s[10:11], s[10:11]
	v_mov_b32_e32 v8, s12
	s_xor_b64 exec, exec, s[10:11]
; %bb.424:                              ;   in Loop: Header=BB198_18 Depth=1
	v_mov_b32_e32 v2, s19
	v_subrev_co_u32_e32 v4, vcc, s18, v4
	v_subb_co_u32_e32 v5, vcc, v5, v2, vcc
	v_mov_b32_e32 v8, 0
	s_or_b64 s[6:7], s[6:7], exec
; %bb.425:                              ;   in Loop: Header=BB198_18 Depth=1
	s_or_b64 exec, exec, s[10:11]
	s_and_b64 s[52:53], s[6:7], exec
	v_pk_mov_b32 v[2:3], v[4:5], v[4:5] op_sel:[0,1]
.LBB198_426:                            ;   in Loop: Header=BB198_18 Depth=1
	s_or_b64 exec, exec, s[2:3]
	s_mov_b64 s[10:11], -1
                                        ; implicit-def: $sgpr2_sgpr3
                                        ; implicit-def: $sgpr6_sgpr7
                                        ; implicit-def: $sgpr12_sgpr13
	s_and_saveexec_b64 s[18:19], s[52:53]
	s_cbranch_execz .LBB198_479
; %bb.427:                              ;   in Loop: Header=BB198_18 Depth=1
	s_cmp_eq_u64 s[16:17], 1
	s_cselect_b64 s[2:3], -1, 0
	v_cmp_eq_u64_e32 vcc, 1, v[2:3]
	s_and_b64 s[10:11], s[2:3], vcc
	s_mov_b64 s[54:55], -1
                                        ; implicit-def: $sgpr2_sgpr3
                                        ; implicit-def: $sgpr6_sgpr7
                                        ; implicit-def: $sgpr12_sgpr13
	s_and_saveexec_b64 s[52:53], s[10:11]
	s_cbranch_execz .LBB198_466
; %bb.428:                              ;   in Loop: Header=BB198_18 Depth=1
	ds_read_b64 v[4:5], v15 offset:5120
	s_waitcnt lgkmcnt(0)
	s_barrier
	v_readfirstlane_b32 s2, v4
	v_readfirstlane_b32 s3, v5
	s_mov_b64 s[6:7], exec
	v_readlane_b32 s12, v49, 48
	v_readlane_b32 s13, v49, 49
	s_and_b64 s[12:13], s[6:7], s[12:13]
	s_mov_b64 exec, s[12:13]
	s_cbranch_execz .LBB198_430
; %bb.429:                              ;   in Loop: Header=BB198_18 Depth=1
	ds_write_b32 v32, v15
.LBB198_430:                            ;   in Loop: Header=BB198_18 Depth=1
	s_or_b64 exec, exec, s[6:7]
	v_and_b32_e32 v38, s48, v38
	v_or_b32_e32 v37, s90, v37
	s_cmp_eq_u64 s[2:3], 0
	s_waitcnt lgkmcnt(0)
	s_barrier
	s_cbranch_scc1 .LBB198_435
; %bb.431:                              ;   in Loop: Header=BB198_18 Depth=1
	v_readlane_b32 s6, v49, 52
	s_add_u32 s49, s6, s2
	v_readlane_b32 s6, v49, 54
	s_addc_u32 s7, s6, s3
	s_mov_b32 s6, s91
	s_cmp_lg_u64 s[6:7], 0
	s_cbranch_scc0 .LBB198_436
; %bb.432:                              ;   in Loop: Header=BB198_18 Depth=1
	v_cvt_f32_u32_e32 v4, s89
	s_sub_u32 s6, 0, s89
	s_subb_u32 s12, 0, 0
	v_mac_f32_e32 v4, 0, v36
	v_rcp_f32_e32 v4, v4
	v_mul_f32_e32 v4, 0x5f7ffffc, v4
	v_mul_f32_e32 v5, 0x2f800000, v4
	v_trunc_f32_e32 v5, v5
	v_mac_f32_e32 v4, 0xcf800000, v5
	v_cvt_u32_f32_e32 v5, v5
	v_cvt_u32_f32_e32 v4, v4
	v_readfirstlane_b32 s13, v5
	v_readfirstlane_b32 s54, v4
	s_mul_i32 s55, s6, s13
	s_mul_hi_u32 s57, s6, s54
	s_mul_i32 s56, s12, s54
	s_add_i32 s55, s57, s55
	s_mul_i32 s72, s6, s54
	s_add_i32 s55, s55, s56
	s_mul_hi_u32 s57, s54, s72
	s_mul_hi_u32 s56, s54, s55
	s_mul_i32 s54, s54, s55
	s_add_u32 s54, s57, s54
	s_addc_u32 s56, 0, s56
	s_mul_hi_u32 s94, s13, s72
	s_mul_i32 s72, s13, s72
	s_add_u32 s54, s54, s72
	s_mul_hi_u32 s57, s13, s55
	s_addc_u32 s54, s56, s94
	s_addc_u32 s56, s57, 0
	s_mul_i32 s55, s13, s55
	s_add_u32 s54, s54, s55
	s_addc_u32 s55, 0, s56
	v_add_co_u32_e32 v4, vcc, s54, v4
	s_cmp_lg_u64 vcc, 0
	s_addc_u32 s13, s13, s55
	v_readfirstlane_b32 s55, v4
	s_mul_i32 s54, s6, s13
	s_mul_hi_u32 s56, s6, s55
	s_add_i32 s54, s56, s54
	s_mul_i32 s12, s12, s55
	s_add_i32 s54, s54, s12
	s_mul_i32 s6, s6, s55
	s_mul_hi_u32 s56, s13, s6
	s_mul_i32 s57, s13, s6
	s_mul_i32 s94, s55, s54
	s_mul_hi_u32 s6, s55, s6
	s_mul_hi_u32 s72, s55, s54
	s_add_u32 s6, s6, s94
	s_addc_u32 s55, 0, s72
	s_add_u32 s6, s6, s57
	s_mul_hi_u32 s12, s13, s54
	s_addc_u32 s6, s55, s56
	s_addc_u32 s12, s12, 0
	s_mul_i32 s54, s13, s54
	s_add_u32 s6, s6, s54
	s_addc_u32 s12, 0, s12
	v_add_co_u32_e32 v4, vcc, s6, v4
	s_cmp_lg_u64 vcc, 0
	s_addc_u32 s6, s13, s12
	v_readfirstlane_b32 s54, v4
	s_mul_i32 s13, s49, s6
	s_mul_hi_u32 s55, s49, s54
	s_mul_hi_u32 s12, s49, s6
	s_add_u32 s13, s55, s13
	s_addc_u32 s12, 0, s12
	s_mul_hi_u32 s56, s7, s54
	s_mul_i32 s54, s7, s54
	s_add_u32 s13, s13, s54
	s_mul_hi_u32 s55, s7, s6
	s_addc_u32 s12, s12, s56
	s_addc_u32 s13, s55, 0
	s_mul_i32 s6, s7, s6
	s_add_u32 s6, s12, s6
	s_addc_u32 s12, 0, s13
	s_mul_hi_u32 s13, s89, s6
	s_mul_i32 s6, s89, s6
	s_mul_i32 s12, s89, s12
	v_mov_b32_e32 v4, s6
	s_add_i32 s13, s13, s12
	v_sub_co_u32_e32 v4, vcc, s49, v4
	s_cmp_lg_u64 vcc, 0
	s_subb_u32 s6, s7, s13
	v_subrev_co_u32_e32 v5, vcc, s89, v4
	s_cmp_lg_u64 vcc, 0
	s_subb_u32 s12, s6, 0
	v_subrev_co_u32_e32 v6, vcc, s89, v5
	s_cmp_lg_u64 vcc, 0
	s_subb_u32 s13, s12, 0
	v_cmp_le_u32_e32 vcc, s89, v5
	s_cmp_eq_u32 s12, 0
	v_cndmask_b32_e64 v7, 0, -1, vcc
	s_cselect_b64 vcc, -1, 0
	v_cndmask_b32_e32 v7, -1, v7, vcc
	v_mov_b32_e32 v8, s12
	v_mov_b32_e32 v9, s13
	v_cmp_ne_u32_e32 vcc, 0, v7
	v_cndmask_b32_e32 v7, v8, v9, vcc
	v_cndmask_b32_e32 v6, v5, v6, vcc
	v_cmp_le_u32_e32 vcc, s89, v4
	s_cmp_eq_u32 s6, 0
	v_cndmask_b32_e64 v5, 0, -1, vcc
	s_cselect_b64 vcc, -1, 0
	v_cndmask_b32_e32 v5, -1, v5, vcc
	v_mov_b32_e32 v8, s6
	v_cmp_ne_u32_e32 vcc, 0, v5
	v_cndmask_b32_e32 v5, v8, v7, vcc
	v_cndmask_b32_e32 v4, v4, v6, vcc
	s_mov_b64 s[12:13], 0
	s_branch .LBB198_437
.LBB198_433:                            ;   in Loop: Header=BB198_18 Depth=1
                                        ; implicit-def: $vgpr2_vgpr3
	s_branch .LBB198_387
.LBB198_434:                            ;   in Loop: Header=BB198_18 Depth=1
                                        ; implicit-def: $vgpr2_vgpr3
	s_branch .LBB198_403
.LBB198_435:                            ;   in Loop: Header=BB198_18 Depth=1
	s_mov_b64 s[2:3], -1
	s_mov_b64 s[54:55], 0
                                        ; implicit-def: $sgpr6_sgpr7
                                        ; implicit-def: $vgpr21
	s_branch .LBB198_449
.LBB198_436:                            ;   in Loop: Header=BB198_18 Depth=1
	s_mov_b64 s[12:13], -1
                                        ; implicit-def: $vgpr4_vgpr5
.LBB198_437:                            ;   in Loop: Header=BB198_18 Depth=1
	s_andn2_b64 vcc, exec, s[12:13]
	s_cbranch_vccnz .LBB198_439
; %bb.438:                              ;   in Loop: Header=BB198_18 Depth=1
	v_cvt_f32_u32_e32 v4, s89
	s_sub_i32 s6, 0, s89
	v_rcp_iflag_f32_e32 v4, v4
	v_mul_f32_e32 v4, 0x4f7ffffe, v4
	v_cvt_u32_f32_e32 v4, v4
	v_mul_lo_u32 v5, s6, v4
	v_mul_hi_u32 v5, v4, v5
	v_add_u32_e32 v4, v4, v5
	v_mul_hi_u32 v4, s49, v4
	v_mul_lo_u32 v4, v4, s89
	v_sub_u32_e32 v4, s49, v4
	v_subrev_u32_e32 v5, s89, v4
	v_cmp_le_u32_e32 vcc, s89, v4
	v_cndmask_b32_e32 v4, v4, v5, vcc
	v_subrev_u32_e32 v5, s89, v4
	v_cmp_le_u32_e32 vcc, s89, v4
	v_cndmask_b32_e32 v14, v4, v5, vcc
	v_pk_mov_b32 v[4:5], v[14:15], v[14:15] op_sel:[0,1]
.LBB198_439:                            ;   in Loop: Header=BB198_18 Depth=1
	v_mov_b32_e32 v6, s7
	v_sub_co_u32_e32 v4, vcc, s49, v4
	v_subb_co_u32_e32 v5, vcc, v6, v5, vcc
	v_cmp_gt_u64_e32 vcc, v[4:5], v[0:1]
	s_mov_b64 s[54:55], 0
                                        ; implicit-def: $vgpr21
	s_and_saveexec_b64 s[12:13], vcc
	s_cbranch_execz .LBB198_448
; %bb.440:                              ;   in Loop: Header=BB198_18 Depth=1
	v_mov_b32_e32 v8, v16
	v_pk_mov_b32 v[6:7], v[0:1], v[0:1] op_sel:[0,1]
                                        ; implicit-def: $sgpr56_sgpr57
	s_branch .LBB198_442
.LBB198_441:                            ;   in Loop: Header=BB198_442 Depth=2
	s_or_b64 exec, exec, s[6:7]
	s_waitcnt lgkmcnt(0)
	s_barrier
	ds_read_b64 v[20:21], v15 offset:3072
	v_mov_b32_e32 v9, s74
	v_add_co_u32_e64 v6, s[6:7], s89, v6
	v_addc_co_u32_e64 v7, s[6:7], v7, v9, s[6:7]
	s_waitcnt lgkmcnt(0)
	v_cmp_neq_f32_e32 vcc, 0, v20
	v_cmp_ge_u64_e64 s[6:7], v[6:7], v[4:5]
	s_or_b64 s[6:7], s[6:7], vcc
	s_and_b64 s[6:7], exec, s[6:7]
	s_or_b64 s[54:55], s[6:7], s[54:55]
	s_andn2_b64 s[6:7], s[56:57], exec
	s_and_b64 s[56:57], vcc, exec
	v_add_u32_e32 v8, s5, v8
	s_or_b64 s[56:57], s[6:7], s[56:57]
	s_barrier
	s_andn2_b64 exec, exec, s[54:55]
	s_cbranch_execz .LBB198_447
.LBB198_442:                            ;   Parent Loop BB198_18 Depth=1
                                        ; =>  This Inner Loop Header: Depth=2
	v_cmp_gt_u64_e32 vcc, s[2:3], v[6:7]
	s_waitcnt vmcnt(0)
	v_mov_b32_e32 v19, 0
	s_and_saveexec_b64 s[6:7], vcc
	s_cbranch_execz .LBB198_444
; %bb.443:                              ;   in Loop: Header=BB198_442 Depth=2
	ds_read_b32 v19, v8
.LBB198_444:                            ;   in Loop: Header=BB198_442 Depth=2
	s_or_b64 exec, exec, s[6:7]
	s_and_saveexec_b64 s[6:7], vcc
	s_cbranch_execz .LBB198_441
; %bb.445:                              ;   in Loop: Header=BB198_442 Depth=2
	s_waitcnt lgkmcnt(0)
	v_cmp_lt_i32_e32 vcc, -1, v19
	v_cndmask_b32_e32 v9, -1, v35, vcc
	v_xor_b32_e32 v9, v9, v19
	v_cmp_o_f32_e32 vcc, v19, v19
	v_cndmask_b32_e32 v9, -1, v9, vcc
	v_and_b32_e32 v9, v9, v37
	v_cmp_eq_u32_e32 vcc, v9, v38
	s_and_b64 exec, exec, vcc
	s_cbranch_execz .LBB198_441
; %bb.446:                              ;   in Loop: Header=BB198_442 Depth=2
	ds_write_b64 v15, v[18:19] offset:3072
	s_branch .LBB198_441
.LBB198_447:                            ;   in Loop: Header=BB198_18 Depth=1
	s_or_b64 exec, exec, s[54:55]
	s_and_b64 s[54:55], s[56:57], exec
.LBB198_448:                            ;   in Loop: Header=BB198_18 Depth=1
	s_or_b64 exec, exec, s[12:13]
	s_mov_b64 s[2:3], 0
	s_mov_b64 s[6:7], -1
.LBB198_449:                            ;   in Loop: Header=BB198_18 Depth=1
	s_and_b64 vcc, exec, s[2:3]
	s_mov_b64 s[12:13], s[2:3]
	s_cbranch_vccz .LBB198_465
; %bb.450:                              ;   in Loop: Header=BB198_18 Depth=1
	s_mov_b32 s72, s91
	s_cmp_lg_u64 s[72:73], 0
	s_cbranch_scc0 .LBB198_452
; %bb.451:                              ;   in Loop: Header=BB198_18 Depth=1
	v_cvt_f32_u32_e32 v4, s89
	s_sub_u32 s2, 0, s89
	s_subb_u32 s3, 0, 0
	v_mac_f32_e32 v4, 0, v36
	v_rcp_f32_e32 v4, v4
	v_mul_f32_e32 v4, 0x5f7ffffc, v4
	v_mul_f32_e32 v5, 0x2f800000, v4
	v_trunc_f32_e32 v5, v5
	v_mac_f32_e32 v4, 0xcf800000, v5
	v_cvt_u32_f32_e32 v5, v5
	v_cvt_u32_f32_e32 v4, v4
	v_readfirstlane_b32 s6, v5
	v_readfirstlane_b32 s7, v4
	s_mul_i32 s12, s2, s6
	s_mul_hi_u32 s49, s2, s7
	s_mul_i32 s13, s3, s7
	s_add_i32 s12, s49, s12
	s_mul_i32 s54, s2, s7
	s_add_i32 s12, s12, s13
	s_mul_hi_u32 s49, s7, s54
	s_mul_hi_u32 s13, s7, s12
	s_mul_i32 s7, s7, s12
	s_add_u32 s7, s49, s7
	s_addc_u32 s13, 0, s13
	s_mul_hi_u32 s55, s6, s54
	s_mul_i32 s54, s6, s54
	s_add_u32 s7, s7, s54
	s_mul_hi_u32 s49, s6, s12
	s_addc_u32 s7, s13, s55
	s_addc_u32 s13, s49, 0
	s_mul_i32 s12, s6, s12
	s_add_u32 s7, s7, s12
	s_addc_u32 s12, 0, s13
	v_add_co_u32_e32 v4, vcc, s7, v4
	s_cmp_lg_u64 vcc, 0
	s_addc_u32 s6, s6, s12
	v_readfirstlane_b32 s12, v4
	s_mul_i32 s7, s2, s6
	s_mul_hi_u32 s13, s2, s12
	s_add_i32 s7, s13, s7
	s_mul_i32 s3, s3, s12
	s_add_i32 s7, s7, s3
	s_mul_i32 s2, s2, s12
	s_mul_hi_u32 s13, s6, s2
	s_mul_i32 s49, s6, s2
	s_mul_i32 s55, s12, s7
	s_mul_hi_u32 s2, s12, s2
	s_mul_hi_u32 s54, s12, s7
	s_add_u32 s2, s2, s55
	s_addc_u32 s12, 0, s54
	s_add_u32 s2, s2, s49
	s_mul_hi_u32 s3, s6, s7
	s_addc_u32 s2, s12, s13
	s_addc_u32 s3, s3, 0
	s_mul_i32 s7, s6, s7
	s_add_u32 s2, s2, s7
	s_addc_u32 s3, 0, s3
	v_add_co_u32_e32 v4, vcc, s2, v4
	s_cmp_lg_u64 vcc, 0
	s_addc_u32 s2, s6, s3
	v_readlane_b32 s49, v49, 53
	v_readfirstlane_b32 s7, v4
	s_mul_i32 s6, s49, s2
	s_mul_hi_u32 s12, s49, s7
	s_mul_hi_u32 s3, s49, s2
	s_add_u32 s6, s12, s6
	s_addc_u32 s3, 0, s3
	s_mul_hi_u32 s13, s73, s7
	s_mul_i32 s7, s73, s7
	s_add_u32 s6, s6, s7
	s_mul_hi_u32 s12, s73, s2
	s_addc_u32 s3, s3, s13
	s_addc_u32 s6, s12, 0
	s_mul_i32 s2, s73, s2
	s_add_u32 s2, s3, s2
	s_addc_u32 s3, 0, s6
	s_mul_hi_u32 s6, s89, s2
	s_mul_i32 s2, s89, s2
	s_mul_i32 s3, s89, s3
	v_mov_b32_e32 v4, s2
	s_add_i32 s6, s6, s3
	v_sub_co_u32_e32 v4, vcc, s49, v4
	s_cmp_lg_u64 vcc, 0
	s_subb_u32 s2, s73, s6
	v_subrev_co_u32_e32 v5, vcc, s89, v4
	s_cmp_lg_u64 vcc, 0
	s_subb_u32 s3, s2, 0
	v_subrev_co_u32_e32 v6, vcc, s89, v5
	s_cmp_lg_u64 vcc, 0
	s_subb_u32 s6, s3, 0
	v_cmp_le_u32_e32 vcc, s89, v5
	s_cmp_eq_u32 s3, 0
	v_cndmask_b32_e64 v7, 0, -1, vcc
	s_cselect_b64 vcc, -1, 0
	v_cndmask_b32_e32 v7, -1, v7, vcc
	v_mov_b32_e32 v8, s3
	v_mov_b32_e32 v9, s6
	v_cmp_ne_u32_e32 vcc, 0, v7
	v_cndmask_b32_e32 v7, v8, v9, vcc
	v_cndmask_b32_e32 v6, v5, v6, vcc
	v_cmp_le_u32_e32 vcc, s89, v4
	s_cmp_eq_u32 s2, 0
	v_cndmask_b32_e64 v5, 0, -1, vcc
	s_cselect_b64 vcc, -1, 0
	v_cndmask_b32_e32 v5, -1, v5, vcc
	v_mov_b32_e32 v8, s2
	v_cmp_ne_u32_e32 vcc, 0, v5
	v_cndmask_b32_e32 v5, v8, v7, vcc
	v_cndmask_b32_e32 v4, v4, v6, vcc
	s_mov_b64 s[2:3], 0
	s_branch .LBB198_453
.LBB198_452:                            ;   in Loop: Header=BB198_18 Depth=1
	s_mov_b64 s[2:3], -1
                                        ; implicit-def: $vgpr4_vgpr5
.LBB198_453:                            ;   in Loop: Header=BB198_18 Depth=1
	s_andn2_b64 vcc, exec, s[2:3]
	s_cbranch_vccnz .LBB198_455
; %bb.454:                              ;   in Loop: Header=BB198_18 Depth=1
	v_cvt_f32_u32_e32 v4, s89
	s_sub_i32 s2, 0, s89
	v_rcp_iflag_f32_e32 v4, v4
	v_mul_f32_e32 v4, 0x4f7ffffe, v4
	v_cvt_u32_f32_e32 v4, v4
	v_mul_lo_u32 v5, s2, v4
	v_mul_hi_u32 v5, v4, v5
	v_add_u32_e32 v4, v4, v5
	v_readlane_b32 s2, v49, 53
	v_mul_hi_u32 v4, s2, v4
	v_mul_lo_u32 v4, v4, s89
	v_sub_u32_e32 v4, s2, v4
	v_subrev_u32_e32 v5, s89, v4
	v_cmp_le_u32_e32 vcc, s89, v4
	v_cndmask_b32_e32 v4, v4, v5, vcc
	v_subrev_u32_e32 v5, s89, v4
	v_cmp_le_u32_e32 vcc, s89, v4
	v_cndmask_b32_e32 v14, v4, v5, vcc
	v_pk_mov_b32 v[4:5], v[14:15], v[14:15] op_sel:[0,1]
.LBB198_455:                            ;   in Loop: Header=BB198_18 Depth=1
	v_readlane_b32 s2, v49, 53
	v_mov_b32_e32 v6, s73
	v_sub_co_u32_e32 v4, vcc, s2, v4
	v_subb_co_u32_e32 v5, vcc, v6, v5, vcc
	v_cmp_gt_u64_e32 vcc, v[4:5], v[0:1]
	s_mov_b64 s[54:55], 0
                                        ; implicit-def: $vgpr21
	s_and_saveexec_b64 s[2:3], vcc
	s_cbranch_execz .LBB198_464
; %bb.456:                              ;   in Loop: Header=BB198_18 Depth=1
	s_mov_b64 s[12:13], 0
	v_pk_mov_b32 v[6:7], v[0:1], v[0:1] op_sel:[0,1]
                                        ; implicit-def: $sgpr54_sgpr55
	s_branch .LBB198_458
.LBB198_457:                            ;   in Loop: Header=BB198_458 Depth=2
	s_or_b64 exec, exec, s[6:7]
	s_waitcnt lgkmcnt(0)
	s_barrier
	ds_read_b64 v[20:21], v15 offset:3072
	v_mov_b32_e32 v8, s74
	v_add_co_u32_e64 v6, s[6:7], s89, v6
	v_addc_co_u32_e64 v7, s[6:7], v7, v8, s[6:7]
	s_waitcnt lgkmcnt(0)
	v_cmp_neq_f32_e32 vcc, 0, v20
	v_cmp_ge_u64_e64 s[6:7], v[6:7], v[4:5]
	s_or_b64 s[6:7], s[6:7], vcc
	s_and_b64 s[6:7], exec, s[6:7]
	s_or_b64 s[12:13], s[6:7], s[12:13]
	s_andn2_b64 s[6:7], s[54:55], exec
	s_and_b64 s[54:55], vcc, exec
	s_or_b64 s[54:55], s[6:7], s[54:55]
	s_barrier
	s_andn2_b64 exec, exec, s[12:13]
	s_cbranch_execz .LBB198_463
.LBB198_458:                            ;   Parent Loop BB198_18 Depth=1
                                        ; =>  This Inner Loop Header: Depth=2
	v_cmp_gt_u64_e32 vcc, s[60:61], v[6:7]
	s_waitcnt vmcnt(0)
	v_mov_b32_e32 v19, 0
	s_and_saveexec_b64 s[56:57], vcc
	s_cbranch_execz .LBB198_460
; %bb.459:                              ;   in Loop: Header=BB198_458 Depth=2
	v_mul_lo_u32 v14, v7, s58
	v_mul_lo_u32 v19, v6, s59
	v_mad_u64_u32 v[8:9], s[6:7], v6, s58, 0
	v_add3_u32 v9, v9, v19, v14
	v_lshlrev_b64 v[8:9], 2, v[8:9]
	v_mov_b32_e32 v14, s88
	v_add_co_u32_e64 v8, s[6:7], s33, v8
	v_addc_co_u32_e64 v9, s[6:7], v14, v9, s[6:7]
	global_load_dword v19, v[8:9], off
.LBB198_460:                            ;   in Loop: Header=BB198_458 Depth=2
	s_or_b64 exec, exec, s[56:57]
	s_and_saveexec_b64 s[6:7], vcc
	s_cbranch_execz .LBB198_457
; %bb.461:                              ;   in Loop: Header=BB198_458 Depth=2
	s_waitcnt vmcnt(0)
	v_cmp_lt_i32_e32 vcc, -1, v19
	v_cndmask_b32_e32 v8, -1, v35, vcc
	v_xor_b32_e32 v8, v8, v19
	v_cmp_o_f32_e32 vcc, v19, v19
	v_cndmask_b32_e32 v8, -1, v8, vcc
	v_and_b32_e32 v8, v8, v37
	v_cmp_eq_u32_e32 vcc, v8, v38
	s_and_b64 exec, exec, vcc
	s_cbranch_execz .LBB198_457
; %bb.462:                              ;   in Loop: Header=BB198_458 Depth=2
	ds_write_b64 v15, v[18:19] offset:3072
	s_branch .LBB198_457
.LBB198_463:                            ;   in Loop: Header=BB198_18 Depth=1
	s_or_b64 exec, exec, s[12:13]
	s_and_b64 s[54:55], s[54:55], exec
.LBB198_464:                            ;   in Loop: Header=BB198_18 Depth=1
	s_or_b64 exec, exec, s[2:3]
	s_mov_b64 s[6:7], 0
	s_mov_b64 s[2:3], -1
	s_mov_b64 s[12:13], 0
.LBB198_465:                            ;   in Loop: Header=BB198_18 Depth=1
	s_orn2_b64 s[54:55], s[54:55], exec
.LBB198_466:                            ;   in Loop: Header=BB198_18 Depth=1
	s_or_b64 exec, exec, s[52:53]
	s_mov_b64 s[56:57], 0
                                        ; implicit-def: $vgpr8
                                        ; implicit-def: $vgpr4_vgpr5
	s_and_saveexec_b64 s[52:53], s[54:55]
	s_cbranch_execz .LBB198_478
; %bb.467:                              ;   in Loop: Header=BB198_18 Depth=1
	v_mov_b32_e32 v4, 1
	s_xor_b64 s[54:55], s[10:11], -1
	v_mov_b32_e32 v8, 1
	v_mov_b32_e32 v5, 0
	s_and_saveexec_b64 s[10:11], s[54:55]
	s_cbranch_execz .LBB198_477
; %bb.468:                              ;   in Loop: Header=BB198_18 Depth=1
	v_cmp_ge_u64_e32 vcc, s[16:17], v[2:3]
                                        ; implicit-def: $sgpr49
	s_and_saveexec_b64 s[54:55], vcc
	s_xor_b64 s[54:55], exec, s[54:55]
	s_cbranch_execz .LBB198_474
; %bb.469:                              ;   in Loop: Header=BB198_18 Depth=1
	ds_read_b64 v[4:5], v15 offset:5120
	s_waitcnt lgkmcnt(0)
	v_cmp_ne_u64_e32 vcc, 0, v[4:5]
	s_cbranch_vccnz .LBB198_473
; %bb.470:                              ;   in Loop: Header=BB198_18 Depth=1
	s_mov_b64 s[56:57], exec
	v_readlane_b32 s94, v49, 32
	v_readlane_b32 s95, v49, 33
	s_and_b64 s[94:95], s[56:57], s[94:95]
	s_mov_b64 exec, s[94:95]
	s_cbranch_execz .LBB198_472
; %bb.471:                              ;   in Loop: Header=BB198_18 Depth=1
	v_pk_mov_b32 v[4:5], s[16:17], s[16:17] op_sel:[0,1]
	ds_write_b64 v15, v[4:5] offset:5128
.LBB198_472:                            ;   in Loop: Header=BB198_18 Depth=1
	s_or_b64 exec, exec, s[56:57]
	s_waitcnt lgkmcnt(0)
	s_barrier
.LBB198_473:                            ;   in Loop: Header=BB198_18 Depth=1
	v_and_b32_e32 v38, s48, v38
	v_or_b32_e32 v37, s90, v37
	s_mov_b32 s49, 5
.LBB198_474:                            ;   in Loop: Header=BB198_18 Depth=1
	s_or_saveexec_b64 s[54:55], s[54:55]
	v_mov_b32_e32 v8, s49
	s_xor_b64 exec, exec, s[54:55]
; %bb.475:                              ;   in Loop: Header=BB198_18 Depth=1
	v_mov_b32_e32 v4, s17
	v_subrev_co_u32_e32 v2, vcc, s16, v2
	v_subb_co_u32_e32 v3, vcc, v3, v4, vcc
	v_mov_b32_e32 v8, 5
; %bb.476:                              ;   in Loop: Header=BB198_18 Depth=1
	s_or_b64 exec, exec, s[54:55]
	v_pk_mov_b32 v[4:5], v[2:3], v[2:3] op_sel:[0,1]
.LBB198_477:                            ;   in Loop: Header=BB198_18 Depth=1
	s_or_b64 exec, exec, s[10:11]
	s_mov_b64 s[56:57], exec
.LBB198_478:                            ;   in Loop: Header=BB198_18 Depth=1
	s_or_b64 exec, exec, s[52:53]
	s_orn2_b64 s[10:11], s[56:57], exec
	v_pk_mov_b32 v[2:3], v[4:5], v[4:5] op_sel:[0,1]
.LBB198_479:                            ;   in Loop: Header=BB198_18 Depth=1
	s_or_b64 exec, exec, s[18:19]
	s_andn2_b64 s[8:9], s[8:9], exec
	s_and_b64 s[2:3], s[2:3], exec
	s_or_b64 s[8:9], s[8:9], s[2:3]
	s_andn2_b64 s[2:3], s[46:47], exec
	s_and_b64 s[6:7], s[6:7], exec
	s_or_b64 s[46:47], s[2:3], s[6:7]
	;; [unrolled: 3-line block ×3, first 2 shown]
	s_and_b64 s[2:3], s[10:11], exec
	v_pk_mov_b32 v[4:5], v[2:3], v[2:3] op_sel:[0,1]
.LBB198_480:                            ;   in Loop: Header=BB198_18 Depth=1
	s_or_b64 exec, exec, s[50:51]
	s_and_b64 s[10:11], s[8:9], exec
	s_and_b64 s[8:9], s[46:47], exec
	s_and_b64 s[6:7], s[92:93], exec
	s_orn2_b64 s[2:3], s[2:3], exec
.LBB198_481:                            ;   in Loop: Header=BB198_18 Depth=1
	s_or_b64 exec, exec, s[22:23]
	s_andn2_b64 s[12:13], s[36:37], exec
	s_and_b64 s[10:11], s[10:11], exec
	s_or_b64 s[36:37], s[12:13], s[10:11]
	s_andn2_b64 s[10:11], s[40:41], exec
	s_and_b64 s[8:9], s[8:9], exec
	s_or_b64 s[40:41], s[10:11], s[8:9]
	;; [unrolled: 3-line block ×3, first 2 shown]
	s_and_b64 s[6:7], s[2:3], exec
	v_pk_mov_b32 v[2:3], v[4:5], v[4:5] op_sel:[0,1]
.LBB198_482:                            ;   in Loop: Header=BB198_18 Depth=1
	s_or_b64 exec, exec, s[44:45]
	s_and_b64 s[10:11], s[36:37], exec
	s_and_b64 s[8:9], s[40:41], exec
	;; [unrolled: 1-line block ×3, first 2 shown]
	s_orn2_b64 s[36:37], s[6:7], exec
.LBB198_483:                            ;   in Loop: Header=BB198_18 Depth=1
	s_or_b64 exec, exec, s[24:25]
	s_mov_b64 s[6:7], s[28:29]
	s_mov_b64 s[12:13], s[26:27]
	s_and_saveexec_b64 s[16:17], s[36:37]
; %bb.484:                              ;   in Loop: Header=BB198_18 Depth=1
	v_cmp_ne_u32_e64 s[6:7], 5, v8
	v_cmp_eq_u32_e32 vcc, 5, v8
	s_andn2_b64 s[12:13], s[26:27], exec
	s_and_b64 s[6:7], s[6:7], exec
	s_or_b64 s[12:13], s[12:13], s[6:7]
	s_andn2_b64 s[6:7], s[28:29], exec
	s_and_b64 s[18:19], vcc, exec
	s_andn2_b64 s[10:11], s[10:11], exec
	s_andn2_b64 s[8:9], s[8:9], exec
	s_andn2_b64 s[2:3], s[2:3], exec
	s_or_b64 s[6:7], s[6:7], s[18:19]
; %bb.485:                              ;   in Loop: Header=BB198_18 Depth=1
	s_or_b64 exec, exec, s[16:17]
	s_andn2_b64 s[14:15], s[14:15], exec
	s_and_b64 s[10:11], s[10:11], exec
	s_or_b64 s[14:15], s[14:15], s[10:11]
	s_andn2_b64 s[10:11], s[38:39], exec
	s_and_b64 s[8:9], s[8:9], exec
	s_or_b64 s[38:39], s[10:11], s[8:9]
	;; [unrolled: 3-line block ×5, first 2 shown]
	v_mov_b32_e32 v20, v38
	v_mov_b32_e32 v24, v37
	;; [unrolled: 1-line block ×3, first 2 shown]
.LBB198_486:                            ;   in Loop: Header=BB198_18 Depth=1
	s_or_b64 exec, exec, s[34:35]
	s_mov_b64 s[36:37], s[20:21]
	s_mov_b64 s[34:35], s[20:21]
	s_and_saveexec_b64 s[2:3], s[28:29]
.LBB198_487:                            ;   in Loop: Header=BB198_18 Depth=1
	v_mov_b32_e32 v8, 0
	s_andn2_b64 s[20:21], s[20:21], exec
	s_andn2_b64 s[14:15], s[14:15], exec
	;; [unrolled: 1-line block ×5, first 2 shown]
	s_or_b64 s[26:27], s[26:27], exec
.LBB198_488:                            ;   in Loop: Header=BB198_18 Depth=1
	s_or_b64 exec, exec, s[2:3]
	s_andn2_b64 s[2:3], s[78:79], exec
	s_and_b64 s[8:9], s[20:21], exec
	s_or_b64 s[78:79], s[2:3], s[8:9]
	s_andn2_b64 s[2:3], s[76:77], exec
	s_and_b64 s[8:9], s[14:15], exec
	s_or_b64 s[76:77], s[2:3], s[8:9]
	s_andn2_b64 s[2:3], s[86:87], exec
	s_and_b64 s[8:9], s[38:39], exec
	s_or_b64 s[86:87], s[2:3], s[8:9]
	s_andn2_b64 s[2:3], s[80:81], exec
	s_and_b64 s[8:9], s[36:37], exec
	s_or_b64 s[80:81], s[2:3], s[8:9]
	s_andn2_b64 s[2:3], s[70:71], exec
	s_and_b64 s[8:9], s[34:35], exec
	s_mov_b64 s[6:7], -1
	s_or_b64 s[70:71], s[2:3], s[8:9]
                                        ; implicit-def: $vgpr37
                                        ; implicit-def: $vgpr38
                                        ; implicit-def: $vgpr22_vgpr23
                                        ; implicit-def: $vgpr21
	s_and_saveexec_b64 s[2:3], s[26:27]
	s_xor_b64 s[2:3], exec, s[2:3]
	s_cbranch_execz .LBB198_17
; %bb.489:                              ;   in Loop: Header=BB198_18 Depth=1
	v_cmp_eq_u32_e32 vcc, 0, v8
	s_mov_b64 s[8:9], -1
	s_and_saveexec_b64 s[10:11], vcc
	s_cbranch_execz .LBB198_16
; %bb.490:                              ;   in Loop: Header=BB198_18 Depth=1
	v_readlane_b32 s6, v49, 62
	s_xor_b32 s6, s6, 1
	s_add_i32 s12, s75, -2
	s_cmp_eq_u32 s75, 0
	v_writelane_b32 v49, s6, 62
	s_cselect_b64 s[6:7], -1, 0
	s_xor_b64 s[8:9], exec, -1
	s_orn2_b64 s[6:7], s[6:7], exec
	s_mov_b32 s75, s12
	s_branch .LBB198_16
.LBB198_491:
	s_or_b64 exec, exec, s[82:83]
	s_xor_b64 s[4:5], s[68:69], -1
	s_xor_b64 s[14:15], s[66:67], -1
	;; [unrolled: 1-line block ×5, first 2 shown]
	s_mov_b64 s[8:9], 0
	s_and_saveexec_b64 s[10:11], s[6:7]
	s_xor_b64 s[6:7], exec, s[10:11]
	s_cbranch_execnz .LBB198_496
; %bb.492:
	s_andn2_saveexec_b64 s[0:1], s[6:7]
	s_cbranch_execnz .LBB198_515
.LBB198_493:
	s_or_b64 exec, exec, s[0:1]
	s_and_saveexec_b64 s[0:1], s[8:9]
.LBB198_494:
	; divergent unreachable
.LBB198_495:
	s_endpgm
.LBB198_496:
	s_mov_b64 s[10:11], 0
	s_and_saveexec_b64 s[8:9], s[12:13]
	s_xor_b64 s[8:9], exec, s[8:9]
	s_cbranch_execz .LBB198_513
; %bb.497:
	s_mov_b64 s[12:13], 0
	s_and_saveexec_b64 s[10:11], s[14:15]
	s_xor_b64 s[10:11], exec, s[10:11]
	s_cbranch_execz .LBB198_511
; %bb.498:
	;; [unrolled: 5-line block ×3, first 2 shown]
	s_and_saveexec_b64 s[4:5], s[2:3]
	s_xor_b64 s[2:3], exec, s[4:5]
; %bb.500:
	v_bfrev_b32_e32 v2, 1
	v_cmp_lt_i32_e32 vcc, -1, v20
	v_cndmask_b32_e64 v2, v2, -1, vcc
	v_xor_b32_e32 v5, v2, v20
; %bb.501:
	s_or_b64 exec, exec, s[2:3]
	s_mov_b64 s[2:3], exec
	v_readlane_b32 s4, v49, 32
	v_readlane_b32 s5, v49, 33
	;; [unrolled: 1-line block ×4, first 2 shown]
	s_and_b64 s[4:5], s[2:3], s[4:5]
	v_readlane_b32 s25, v49, 37
	v_readlane_b32 s20, v49, 34
	;; [unrolled: 1-line block ×4, first 2 shown]
	s_mov_b64 exec, s[4:5]
	s_cbranch_execz .LBB198_503
; %bb.502:
	v_mov_b32_e32 v2, 0
	v_mov_b32_e32 v3, v2
	ds_write_b64 v2, v[2:3] offset:5136
.LBB198_503:
	s_or_b64 exec, exec, s[2:3]
	v_mov_b32_e32 v18, 0
	s_waitcnt lgkmcnt(0)
	s_barrier
	s_mov_b64 s[2:3], exec
	v_readlane_b32 s4, v49, 46
	v_readlane_b32 s5, v49, 47
	s_and_b64 s[4:5], s[2:3], s[4:5]
	s_mov_b64 exec, s[4:5]
	s_cbranch_execz .LBB198_505
; %bb.504:
	global_load_dword v18, v[12:13], off
.LBB198_505:
	s_or_b64 exec, exec, s[2:3]
	v_readlane_b32 s40, v49, 24
	s_add_u32 s2, s60, 63
	v_readlane_b32 s42, v49, 26
	v_readlane_b32 s43, v49, 27
	;; [unrolled: 1-line block ×3, first 2 shown]
	s_addc_u32 s15, s61, 0
	s_and_b32 s14, s2, 0xffffffc0
	s_mul_i32 s2, s34, s43
	s_mul_hi_u32 s3, s34, s42
	s_add_i32 s3, s3, s2
	s_mul_i32 s2, s34, s42
	v_readlane_b32 s16, v49, 10
	s_sub_u32 s2, s20, s2
	v_readlane_b32 s17, v49, 11
	s_subb_u32 s3, 0, s3
	s_mul_i32 s4, s2, s17
	s_mul_hi_u32 s5, s2, s16
	s_add_i32 s4, s5, s4
	s_mul_i32 s3, s3, s16
	s_add_i32 s3, s4, s3
	v_readlane_b32 s28, v49, 2
	v_readlane_b32 s4, v49, 0
	;; [unrolled: 1-line block ×4, first 2 shown]
	s_mov_b32 s18, s4
	s_mul_i32 s4, s4, s29
	s_mul_hi_u32 s5, s18, s28
	s_add_i32 s5, s5, s4
	s_mul_i32 s4, s18, s28
	v_readlane_b32 s22, v49, 8
	v_readlane_b32 s44, v49, 18
	;; [unrolled: 1-line block ×3, first 2 shown]
	s_sub_u32 s4, s22, s4
	v_readlane_b32 s46, v49, 20
	v_readlane_b32 s47, v49, 21
	s_mul_i32 s2, s2, s16
	s_subb_u32 s5, s23, s5
	s_mul_i32 s16, s4, s47
	s_mul_hi_u32 s17, s4, s46
	v_readlane_b32 s45, v49, 19
	s_add_i32 s16, s17, s16
	s_mul_i32 s5, s5, s46
	v_readlane_b32 s30, v49, 4
	v_readlane_b32 s31, v49, 5
	s_add_i32 s5, s16, s5
	s_mul_i32 s16, s18, s45
	s_mul_hi_u32 s17, s18, s44
	s_add_i32 s17, s17, s16
	s_mul_i32 s16, s18, s44
	s_mul_i32 s18, s22, s31
	s_mul_hi_u32 s19, s22, s30
	s_add_i32 s19, s19, s18
	s_mul_i32 s18, s22, s30
	v_readlane_b32 s22, v49, 16
	s_sub_u32 s18, s20, s18
	v_readlane_b32 s23, v49, 17
	s_subb_u32 s19, 0, s19
	s_mul_i32 s20, s18, s23
	s_mul_hi_u32 s21, s18, s22
	s_add_i32 s20, s21, s20
	s_mul_i32 s19, s19, s22
	s_add_i32 s19, s20, s19
	v_readlane_b32 s20, v49, 6
	v_readlane_b32 s41, v49, 25
	v_readlane_b32 s21, v49, 7
	s_mov_b32 s26, s20
	s_mul_i32 s20, s20, s41
	s_mul_hi_u32 s21, s26, s40
	s_add_i32 s21, s21, s20
	s_mul_i32 s20, s26, s40
	v_readlane_b32 s28, v49, 12
	v_readlane_b32 s35, v49, 23
	s_sub_u32 s20, s34, s20
	v_readlane_b32 s30, v49, 14
	v_readlane_b32 s31, v49, 15
	s_mul_i32 s18, s18, s22
	s_subb_u32 s21, s35, s21
	s_mul_i32 s22, s20, s31
	s_mul_hi_u32 s23, s20, s30
	v_readlane_b32 s29, v49, 13
	s_add_i32 s22, s23, s22
	s_mul_i32 s21, s21, s30
	s_add_i32 s21, s22, s21
	s_mul_i32 s22, s26, s29
	s_mul_hi_u32 s23, s26, s28
	s_add_i32 s23, s23, s22
	s_mul_i32 s22, s26, s28
	s_lshl_b64 s[16:17], s[16:17], 2
	v_readlane_b32 s26, v49, 30
	s_mul_i32 s4, s4, s46
	v_readlane_b32 s27, v49, 31
	s_add_u32 s16, s26, s16
	s_addc_u32 s17, s27, s17
	s_lshl_b64 s[4:5], s[4:5], 2
	s_add_u32 s16, s16, s4
	s_addc_u32 s17, s17, s5
	s_lshl_b64 s[4:5], s[18:19], 2
	;; [unrolled: 3-line block ×3, first 2 shown]
	v_readlane_b32 s16, v49, 28
	s_mul_i32 s20, s20, s30
	v_readlane_b32 s17, v49, 29
	s_add_u32 s16, s16, s4
	s_addc_u32 s17, s17, s5
	s_lshl_b64 s[4:5], s[20:21], 3
	s_add_u32 s4, s16, s4
	s_addc_u32 s5, s17, s5
	s_load_dwordx2 s[16:17], s[24:25], 0x368
	s_load_dwordx2 s[18:19], s[24:25], 0x510
	v_bfrev_b32_e32 v17, 1
	v_cmp_lt_i32_e32 vcc, -1, v5
	v_cndmask_b32_e32 v2, -1, v17, vcc
	s_lshl_b64 s[2:3], s[2:3], 3
	v_xor_b32_e32 v2, v2, v5
	v_cmp_o_f32_e32 vcc, v5, v5
	s_add_u32 s48, s4, s2
	v_cndmask_b32_e32 v16, -1, v2, vcc
	s_addc_u32 s49, s5, s3
	v_cmp_gt_u64_e32 vcc, s[14:15], v[0:1]
	s_mov_b64 s[22:23], -1
	s_mov_b64 s[2:3], 0
	s_mov_b64 s[4:5], 0
	s_and_saveexec_b64 s[20:21], vcc
	s_cbranch_execnz .LBB198_516
; %bb.506:
	s_or_b64 exec, exec, s[20:21]
	s_and_saveexec_b64 s[20:21], s[22:23]
	s_cbranch_execnz .LBB198_533
.LBB198_507:
	s_or_b64 exec, exec, s[20:21]
	s_and_saveexec_b64 s[0:1], s[4:5]
	s_xor_b64 s[0:1], exec, s[0:1]
	s_cbranch_execnz .LBB198_555
.LBB198_508:
	s_or_b64 exec, exec, s[0:1]
	s_and_b64 s[14:15], s[2:3], exec
.LBB198_509:
	s_andn2_saveexec_b64 s[0:1], s[12:13]
	s_cbranch_execnz .LBB198_558
.LBB198_510:
	s_or_b64 exec, exec, s[0:1]
	s_and_b64 s[12:13], s[14:15], exec
.LBB198_511:
	s_andn2_saveexec_b64 s[0:1], s[10:11]
	s_cbranch_execnz .LBB198_557
.LBB198_512:
	s_or_b64 exec, exec, s[0:1]
	s_and_b64 s[10:11], s[12:13], exec
.LBB198_513:
	s_andn2_saveexec_b64 s[0:1], s[8:9]
	s_cbranch_execnz .LBB198_556
.LBB198_514:
	s_or_b64 exec, exec, s[0:1]
	s_and_b64 s[8:9], s[10:11], exec
	s_andn2_saveexec_b64 s[0:1], s[6:7]
	s_cbranch_execz .LBB198_493
.LBB198_515:
	s_or_b64 s[8:9], s[8:9], exec
	s_trap 2
	s_or_b64 exec, exec, s[0:1]
	s_and_saveexec_b64 s[0:1], s[8:9]
	s_cbranch_execnz .LBB198_494
	s_branch .LBB198_495
.LBB198_516:
	s_mov_b64 s[22:23], 0
	s_waitcnt vmcnt(0)
	v_mov_b32_e32 v19, s74
	v_mov_b32_e32 v3, 0
	v_pk_mov_b32 v[8:9], v[0:1], v[0:1] op_sel:[0,1]
                                        ; implicit-def: $sgpr24_sgpr25
                                        ; implicit-def: $vgpr6_vgpr7
	s_branch .LBB198_518
.LBB198_517:                            ;   in Loop: Header=BB198_518 Depth=1
	s_or_b64 exec, exec, s[26:27]
	s_xor_b64 s[26:27], s[30:31], -1
	s_and_b64 s[4:5], exec, s[4:5]
	s_or_b64 s[22:23], s[4:5], s[22:23]
	s_andn2_b64 s[4:5], s[24:25], exec
	s_and_b64 s[24:25], s[26:27], exec
	s_or_b64 s[24:25], s[4:5], s[24:25]
	s_waitcnt vmcnt(0)
	v_mov_b32_e32 v18, v20
	v_pk_mov_b32 v[8:9], v[4:5], v[4:5] op_sel:[0,1]
	s_andn2_b64 exec, exec, s[22:23]
	s_cbranch_execz .LBB198_532
.LBB198_518:                            ; =>This Inner Loop Header: Depth=1
	v_add_co_u32_e32 v4, vcc, s89, v8
	v_addc_co_u32_e32 v5, vcc, v9, v19, vcc
	v_cmp_gt_u64_e32 vcc, s[60:61], v[4:5]
	v_mov_b32_e32 v20, 0
	s_and_saveexec_b64 s[4:5], vcc
	s_cbranch_execz .LBB198_520
; %bb.519:                              ;   in Loop: Header=BB198_518 Depth=1
	v_mul_lo_u32 v2, v5, s58
	v_mul_lo_u32 v20, v4, s59
	v_mad_u64_u32 v[14:15], s[26:27], v4, s58, 0
	v_add3_u32 v15, v15, v20, v2
	v_lshlrev_b64 v[14:15], 2, v[14:15]
	v_mov_b32_e32 v2, s88
	v_add_co_u32_e32 v14, vcc, s33, v14
	v_addc_co_u32_e32 v15, vcc, v2, v15, vcc
	global_load_dword v20, v[14:15], off
.LBB198_520:                            ;   in Loop: Header=BB198_518 Depth=1
	s_or_b64 exec, exec, s[4:5]
	v_cmp_gt_u64_e32 vcc, s[60:61], v[8:9]
	s_mov_b64 s[26:27], 0
	s_and_saveexec_b64 s[4:5], vcc
	s_cbranch_execz .LBB198_522
; %bb.521:                              ;   in Loop: Header=BB198_518 Depth=1
	v_cmp_lt_i32_e32 vcc, -1, v18
	v_cndmask_b32_e32 v2, -1, v17, vcc
	v_xor_b32_e32 v2, v2, v18
	v_cmp_o_f32_e32 vcc, v18, v18
	v_cndmask_b32_e32 v2, -1, v2, vcc
	v_cmp_gt_u32_e32 vcc, v2, v16
	v_cndmask_b32_e64 v14, 0, 1, vcc
	v_cmp_lt_u32_e32 vcc, v2, v16
	v_cndmask_b32_e64 v2, 0, 1, vcc
	v_cndmask_b32_e64 v2, v2, v14, s[38:39]
	v_and_b32_e32 v2, 1, v2
	v_cmp_eq_u32_e32 vcc, 1, v2
	s_and_b64 s[26:27], vcc, exec
.LBB198_522:                            ;   in Loop: Header=BB198_518 Depth=1
	s_or_b64 exec, exec, s[4:5]
	v_cndmask_b32_e64 v2, 0, 1, s[26:27]
	v_cmp_ne_u32_e32 vcc, 0, v2
	s_cmp_lg_u64 vcc, 0
	s_cselect_b64 s[4:5], -1, 0
	s_and_b64 s[4:5], s[0:1], s[4:5]
	s_and_saveexec_b64 s[28:29], s[4:5]
	s_cbranch_execz .LBB198_526
; %bb.523:                              ;   in Loop: Header=BB198_518 Depth=1
	s_mov_b64 s[34:35], exec
	v_mbcnt_lo_u32_b32 v2, s34, 0
	v_mbcnt_hi_u32_b32 v14, s35, v2
	s_bcnt1_i32_b64 s36, vcc
	v_cmp_eq_u32_e64 s[4:5], 0, v14
                                        ; implicit-def: $vgpr6_vgpr7
	s_and_saveexec_b64 s[30:31], s[4:5]
	s_cbranch_execz .LBB198_525
; %bb.524:                              ;   in Loop: Header=BB198_518 Depth=1
	s_bcnt1_i32_b64 s4, s[34:35]
	s_mul_i32 s4, s36, s4
	v_mov_b32_e32 v2, s4
	s_waitcnt lgkmcnt(0)
	ds_add_rtn_u64 v[6:7], v3, v[2:3] offset:5136
.LBB198_525:                            ;   in Loop: Header=BB198_518 Depth=1
	s_or_b64 exec, exec, s[30:31]
	s_waitcnt lgkmcnt(0)
	v_readfirstlane_b32 s4, v7
	v_readfirstlane_b32 s5, v6
	v_mov_b32_e32 v6, s5
	v_mov_b32_e32 v7, s4
	v_mad_u64_u32 v[6:7], s[4:5], s36, v14, v[6:7]
.LBB198_526:                            ;   in Loop: Header=BB198_518 Depth=1
	s_or_b64 exec, exec, s[28:29]
	s_waitcnt lgkmcnt(0)
	ds_bpermute_b32 v6, v28, v6
	ds_bpermute_b32 v7, v28, v7
	s_mov_b64 s[4:5], -1
	s_mov_b64 s[34:35], -1
                                        ; implicit-def: $sgpr30_sgpr31
	s_and_saveexec_b64 s[28:29], s[26:27]
	s_cbranch_execz .LBB198_530
; %bb.527:                              ;   in Loop: Header=BB198_518 Depth=1
	v_and_b32_e32 v14, vcc_lo, v10
	v_and_b32_e32 v2, vcc_hi, v11
	v_bcnt_u32_b32 v14, v14, 0
	v_bcnt_u32_b32 v2, v2, v14
	s_waitcnt lgkmcnt(0)
	v_add_co_u32_e32 v14, vcc, v6, v2
	v_addc_co_u32_e32 v15, vcc, 0, v7, vcc
	v_cmp_gt_u64_e32 vcc, s[62:63], v[14:15]
	s_mov_b64 s[26:27], 0
	s_and_saveexec_b64 s[30:31], vcc
	s_cbranch_execz .LBB198_529
; %bb.528:                              ;   in Loop: Header=BB198_518 Depth=1
	v_mul_lo_u32 v2, v15, s16
	v_mul_lo_u32 v21, v14, s17
	v_mad_u64_u32 v[22:23], s[34:35], v14, s16, 0
	v_add3_u32 v23, v23, v21, v2
	v_mul_lo_u32 v2, v15, s18
	v_mul_lo_u32 v21, v14, s19
	v_mad_u64_u32 v[14:15], s[34:35], v14, s18, 0
	v_lshlrev_b64 v[22:23], 2, v[22:23]
	v_add3_u32 v15, v15, v21, v2
	v_mov_b32_e32 v2, s47
	v_add_co_u32_e32 v22, vcc, s46, v22
	v_addc_co_u32_e32 v23, vcc, v2, v23, vcc
	v_lshlrev_b64 v[14:15], 3, v[14:15]
	v_mov_b32_e32 v2, s49
	v_add_co_u32_e32 v14, vcc, s48, v14
	s_mov_b64 s[26:27], exec
	v_addc_co_u32_e32 v15, vcc, v2, v15, vcc
	global_store_dword v[22:23], v18, off
	global_store_dwordx2 v[14:15], v[8:9], off
.LBB198_529:                            ;   in Loop: Header=BB198_518 Depth=1
	s_or_b64 exec, exec, s[30:31]
	s_mov_b64 s[30:31], -1
	s_orn2_b64 s[34:35], s[26:27], exec
.LBB198_530:                            ;   in Loop: Header=BB198_518 Depth=1
	s_or_b64 exec, exec, s[28:29]
	s_and_saveexec_b64 s[26:27], s[34:35]
	s_cbranch_execz .LBB198_517
; %bb.531:                              ;   in Loop: Header=BB198_518 Depth=1
	v_cmp_le_u64_e32 vcc, s[14:15], v[4:5]
	s_andn2_b64 s[30:31], s[30:31], exec
	s_orn2_b64 s[4:5], vcc, exec
	s_branch .LBB198_517
.LBB198_532:
	s_or_b64 exec, exec, s[22:23]
	s_mov_b64 s[4:5], exec
	s_orn2_b64 s[22:23], s[24:25], exec
	s_or_b64 exec, exec, s[20:21]
	s_and_saveexec_b64 s[20:21], s[22:23]
	s_cbranch_execz .LBB198_507
.LBB198_533:
	v_mov_b32_e32 v3, 0
	v_mov_b32_e32 v14, 0
	s_waitcnt lgkmcnt(0)
	s_barrier
	s_mov_b64 s[2:3], exec
	v_readlane_b32 s22, v49, 46
	v_readlane_b32 s23, v49, 47
	s_and_b64 s[22:23], s[2:3], s[22:23]
	s_mov_b64 exec, s[22:23]
	s_cbranch_execz .LBB198_535
; %bb.534:
	global_load_dword v14, v[12:13], off
.LBB198_535:
	s_or_b64 exec, exec, s[2:3]
	s_mov_b64 s[22:23], 0
	v_bfrev_b32_e32 v12, 1
                                        ; implicit-def: $sgpr24_sgpr25
                                        ; implicit-def: $sgpr26_sgpr27
                                        ; implicit-def: $sgpr28_sgpr29
                                        ; implicit-def: $vgpr4_vgpr5
	s_branch .LBB198_538
.LBB198_536:                            ;   in Loop: Header=BB198_538 Depth=1
	s_or_b64 exec, exec, s[36:37]
	s_andn2_b64 s[28:29], s[28:29], exec
	s_and_b64 s[34:35], s[40:41], exec
	s_andn2_b64 s[26:27], s[26:27], exec
	s_and_b64 s[2:3], s[2:3], exec
	s_or_b64 s[28:29], s[28:29], s[34:35]
	s_or_b64 s[26:27], s[26:27], s[2:3]
	v_pk_mov_b32 v[0:1], v[6:7], v[6:7] op_sel:[0,1]
	v_mov_b32_e32 v14, v2
.LBB198_537:                            ;   in Loop: Header=BB198_538 Depth=1
	s_or_b64 exec, exec, s[30:31]
	s_xor_b64 s[2:3], s[28:29], -1
	s_and_b64 s[30:31], exec, s[26:27]
	s_or_b64 s[22:23], s[30:31], s[22:23]
	s_andn2_b64 s[24:25], s[24:25], exec
	s_and_b64 s[2:3], s[2:3], exec
	s_or_b64 s[24:25], s[24:25], s[2:3]
	s_andn2_b64 exec, exec, s[22:23]
	s_cbranch_execz .LBB198_553
.LBB198_538:                            ; =>This Inner Loop Header: Depth=1
	v_cmp_gt_u64_e32 vcc, s[14:15], v[0:1]
	s_or_b64 s[28:29], s[28:29], exec
	s_or_b64 s[26:27], s[26:27], exec
	s_and_saveexec_b64 s[30:31], vcc
	s_cbranch_execz .LBB198_537
; %bb.539:                              ;   in Loop: Header=BB198_538 Depth=1
	v_mov_b32_e32 v2, s74
	v_add_co_u32_e32 v6, vcc, s89, v0
	v_addc_co_u32_e32 v7, vcc, v1, v2, vcc
	v_cmp_gt_u64_e32 vcc, s[60:61], v[6:7]
	v_mov_b32_e32 v13, 0
	s_and_saveexec_b64 s[2:3], vcc
	s_cbranch_execz .LBB198_541
; %bb.540:                              ;   in Loop: Header=BB198_538 Depth=1
	v_mul_lo_u32 v2, v7, s58
	v_mul_lo_u32 v13, v6, s59
	v_mad_u64_u32 v[8:9], s[34:35], v6, s58, 0
	v_add3_u32 v9, v9, v13, v2
	v_lshlrev_b64 v[8:9], 2, v[8:9]
	v_mov_b32_e32 v2, s88
	v_add_co_u32_e32 v8, vcc, s33, v8
	v_addc_co_u32_e32 v9, vcc, v2, v9, vcc
	global_load_dword v13, v[8:9], off
.LBB198_541:                            ;   in Loop: Header=BB198_538 Depth=1
	s_or_b64 exec, exec, s[2:3]
	s_waitcnt vmcnt(0)
	v_cmp_lt_i32_e64 s[2:3], -1, v14
	v_cndmask_b32_e64 v2, -1, v12, s[2:3]
	v_xor_b32_e32 v2, v2, v14
	v_cmp_o_f32_e64 s[2:3], v14, v14
	v_cndmask_b32_e64 v2, -1, v2, s[2:3]
	v_cmp_gt_u64_e32 vcc, s[60:61], v[0:1]
	v_cmp_eq_u32_e64 s[2:3], v2, v16
	s_and_b64 s[36:37], vcc, s[2:3]
	v_cndmask_b32_e64 v2, 0, 1, s[36:37]
	v_cmp_ne_u32_e32 vcc, 0, v2
	s_cmp_lg_u64 vcc, 0
	s_cselect_b64 s[2:3], -1, 0
	s_and_b64 s[2:3], s[0:1], s[2:3]
	s_and_saveexec_b64 s[34:35], s[2:3]
	s_cbranch_execz .LBB198_545
; %bb.542:                              ;   in Loop: Header=BB198_538 Depth=1
	s_mov_b64 s[40:41], exec
	v_mbcnt_lo_u32_b32 v2, s40, 0
	v_mbcnt_hi_u32_b32 v8, s41, v2
	s_bcnt1_i32_b64 s42, vcc
	v_cmp_eq_u32_e64 s[2:3], 0, v8
                                        ; implicit-def: $vgpr4_vgpr5
	s_and_saveexec_b64 s[38:39], s[2:3]
	s_cbranch_execz .LBB198_544
; %bb.543:                              ;   in Loop: Header=BB198_538 Depth=1
	s_bcnt1_i32_b64 s2, s[40:41]
	s_mul_i32 s2, s42, s2
	v_mov_b32_e32 v2, s2
	ds_add_rtn_u64 v[4:5], v3, v[2:3] offset:5136
.LBB198_544:                            ;   in Loop: Header=BB198_538 Depth=1
	s_or_b64 exec, exec, s[38:39]
	s_waitcnt lgkmcnt(0)
	v_readfirstlane_b32 s2, v5
	v_readfirstlane_b32 s3, v4
	v_mov_b32_e32 v4, s3
	v_mov_b32_e32 v5, s2
	v_mad_u64_u32 v[4:5], s[2:3], s42, v8, v[4:5]
.LBB198_545:                            ;   in Loop: Header=BB198_538 Depth=1
	s_or_b64 exec, exec, s[34:35]
	ds_bpermute_b32 v4, v28, v4
	ds_bpermute_b32 v5, v28, v5
	s_cmp_eq_u64 vcc, 0
	s_cselect_b64 s[34:35], -1, 0
	s_mov_b64 s[38:39], -1
	s_mov_b64 s[40:41], -1
	s_waitcnt lgkmcnt(0)
	v_cmp_gt_u64_e64 s[2:3], s[62:63], v[4:5]
	s_or_b64 s[34:35], s[34:35], s[2:3]
	v_cndmask_b32_e64 v2, v14, v13, s[34:35]
	s_and_b64 s[42:43], s[36:37], s[34:35]
	s_mov_b64 s[2:3], -1
	s_and_saveexec_b64 s[36:37], s[42:43]
	s_cbranch_execz .LBB198_551
; %bb.546:                              ;   in Loop: Header=BB198_538 Depth=1
	v_and_b32_e32 v8, vcc_lo, v10
	v_and_b32_e32 v2, vcc_hi, v11
	v_bcnt_u32_b32 v8, v8, 0
	v_bcnt_u32_b32 v2, v2, v8
	v_mov_b32_e32 v9, s63
	v_sub_co_u32_e32 v8, vcc, s62, v4
	v_subb_co_u32_e32 v9, vcc, v9, v5, vcc
	v_cmp_le_u64_e64 s[38:39], v[8:9], v[2:3]
	v_cmp_gt_u64_e32 vcc, v[8:9], v[2:3]
	s_mov_b64 s[42:43], -1
	s_and_saveexec_b64 s[40:41], vcc
	s_cbranch_execz .LBB198_550
; %bb.547:                              ;   in Loop: Header=BB198_538 Depth=1
	v_add_co_u32_e32 v8, vcc, v4, v2
	v_addc_co_u32_e32 v9, vcc, 0, v5, vcc
	v_cmp_gt_u64_e32 vcc, s[62:63], v[8:9]
	s_mov_b64 s[44:45], s[38:39]
	s_and_saveexec_b64 s[42:43], vcc
	s_cbranch_execz .LBB198_549
; %bb.548:                              ;   in Loop: Header=BB198_538 Depth=1
	v_mul_lo_u32 v2, v9, s16
	v_mul_lo_u32 v15, v8, s17
	v_mad_u64_u32 v[18:19], s[44:45], v8, s16, 0
	v_add3_u32 v19, v19, v15, v2
	v_mul_lo_u32 v2, v9, s18
	v_mul_lo_u32 v15, v8, s19
	v_mad_u64_u32 v[8:9], s[44:45], v8, s18, 0
	v_lshlrev_b64 v[18:19], 2, v[18:19]
	v_add3_u32 v9, v9, v15, v2
	v_mov_b32_e32 v2, s47
	v_add_co_u32_e32 v18, vcc, s46, v18
	v_addc_co_u32_e32 v19, vcc, v2, v19, vcc
	v_lshlrev_b64 v[8:9], 3, v[8:9]
	v_mov_b32_e32 v2, s49
	v_add_co_u32_e32 v8, vcc, s48, v8
	v_addc_co_u32_e32 v9, vcc, v2, v9, vcc
	s_or_b64 s[44:45], s[38:39], exec
	global_store_dword v[18:19], v14, off
	global_store_dwordx2 v[8:9], v[0:1], off
.LBB198_549:                            ;   in Loop: Header=BB198_538 Depth=1
	s_or_b64 exec, exec, s[42:43]
	s_andn2_b64 s[38:39], s[38:39], exec
	s_and_b64 s[44:45], s[44:45], exec
	s_xor_b64 s[42:43], exec, -1
	s_or_b64 s[38:39], s[38:39], s[44:45]
.LBB198_550:                            ;   in Loop: Header=BB198_538 Depth=1
	s_or_b64 exec, exec, s[40:41]
	s_orn2_b64 s[40:41], s[42:43], exec
	s_or_b64 s[34:35], s[34:35], exec
	s_orn2_b64 s[38:39], s[38:39], exec
	v_mov_b32_e32 v2, v13
.LBB198_551:                            ;   in Loop: Header=BB198_538 Depth=1
	s_or_b64 exec, exec, s[36:37]
	s_and_saveexec_b64 s[36:37], s[38:39]
	s_cbranch_execz .LBB198_536
; %bb.552:                              ;   in Loop: Header=BB198_538 Depth=1
	s_xor_b64 s[2:3], s[34:35], -1
	s_or_b64 s[40:41], s[40:41], exec
	s_orn2_b64 s[2:3], s[2:3], exec
	s_branch .LBB198_536
.LBB198_553:
	s_or_b64 exec, exec, s[22:23]
	s_mov_b64 s[0:1], 0
	s_and_saveexec_b64 s[2:3], s[24:25]
	s_xor_b64 s[2:3], exec, s[2:3]
	s_cbranch_execnz .LBB198_559
.LBB198_554:
	s_or_b64 exec, exec, s[2:3]
	s_and_b64 s[2:3], s[0:1], exec
	s_andn2_b64 s[4:5], s[4:5], exec
	s_or_b64 exec, exec, s[20:21]
	s_and_saveexec_b64 s[0:1], s[4:5]
	s_xor_b64 s[0:1], exec, s[0:1]
	s_cbranch_execz .LBB198_508
.LBB198_555:
	s_or_b64 s[2:3], s[2:3], exec
	s_trap 2
	s_branch .LBB198_508
.LBB198_556:
	s_or_b64 s[10:11], s[10:11], exec
	s_trap 2
	s_branch .LBB198_514
.LBB198_557:
	s_or_b64 s[12:13], s[12:13], exec
	s_trap 2
	s_branch .LBB198_512
.LBB198_558:
	s_trap 2
	s_or_b64 s[14:15], s[14:15], exec
	s_branch .LBB198_510
.LBB198_559:
	s_mov_b64 s[0:1], exec
	s_trap 2
	s_branch .LBB198_554
	.section	.rodata,"a",@progbits
	.p2align	6, 0x0
	.amdhsa_kernel _ZN2at6native6sbtopk10gatherTopKIfmLi3ELb0EEEvNS_4cuda6detail10TensorInfoIKT_T0_EES8_S8_bS8_S8_NS5_IS6_S8_EES8_NS5_IlS8_EES8_PS6_
		.amdhsa_group_segment_fixed_size 5152
		.amdhsa_private_segment_fixed_size 0
		.amdhsa_kernarg_size 1568
		.amdhsa_user_sgpr_count 6
		.amdhsa_user_sgpr_private_segment_buffer 1
		.amdhsa_user_sgpr_dispatch_ptr 0
		.amdhsa_user_sgpr_queue_ptr 0
		.amdhsa_user_sgpr_kernarg_segment_ptr 1
		.amdhsa_user_sgpr_dispatch_id 0
		.amdhsa_user_sgpr_flat_scratch_init 0
		.amdhsa_user_sgpr_kernarg_preload_length 0
		.amdhsa_user_sgpr_kernarg_preload_offset 0
		.amdhsa_user_sgpr_private_segment_size 0
		.amdhsa_uses_dynamic_stack 0
		.amdhsa_system_sgpr_private_segment_wavefront_offset 0
		.amdhsa_system_sgpr_workgroup_id_x 1
		.amdhsa_system_sgpr_workgroup_id_y 1
		.amdhsa_system_sgpr_workgroup_id_z 1
		.amdhsa_system_sgpr_workgroup_info 0
		.amdhsa_system_vgpr_workitem_id 0
		.amdhsa_next_free_vgpr 50
		.amdhsa_next_free_sgpr 96
		.amdhsa_accum_offset 52
		.amdhsa_reserve_vcc 1
		.amdhsa_reserve_flat_scratch 0
		.amdhsa_float_round_mode_32 0
		.amdhsa_float_round_mode_16_64 0
		.amdhsa_float_denorm_mode_32 3
		.amdhsa_float_denorm_mode_16_64 3
		.amdhsa_dx10_clamp 1
		.amdhsa_ieee_mode 1
		.amdhsa_fp16_overflow 0
		.amdhsa_tg_split 0
		.amdhsa_exception_fp_ieee_invalid_op 0
		.amdhsa_exception_fp_denorm_src 0
		.amdhsa_exception_fp_ieee_div_zero 0
		.amdhsa_exception_fp_ieee_overflow 0
		.amdhsa_exception_fp_ieee_underflow 0
		.amdhsa_exception_fp_ieee_inexact 0
		.amdhsa_exception_int_div_zero 0
	.end_amdhsa_kernel
	.section	.text._ZN2at6native6sbtopk10gatherTopKIfmLi3ELb0EEEvNS_4cuda6detail10TensorInfoIKT_T0_EES8_S8_bS8_S8_NS5_IS6_S8_EES8_NS5_IlS8_EES8_PS6_,"axG",@progbits,_ZN2at6native6sbtopk10gatherTopKIfmLi3ELb0EEEvNS_4cuda6detail10TensorInfoIKT_T0_EES8_S8_bS8_S8_NS5_IS6_S8_EES8_NS5_IlS8_EES8_PS6_,comdat
.Lfunc_end198:
	.size	_ZN2at6native6sbtopk10gatherTopKIfmLi3ELb0EEEvNS_4cuda6detail10TensorInfoIKT_T0_EES8_S8_bS8_S8_NS5_IS6_S8_EES8_NS5_IlS8_EES8_PS6_, .Lfunc_end198-_ZN2at6native6sbtopk10gatherTopKIfmLi3ELb0EEEvNS_4cuda6detail10TensorInfoIKT_T0_EES8_S8_bS8_S8_NS5_IS6_S8_EES8_NS5_IlS8_EES8_PS6_
                                        ; -- End function
	.section	.AMDGPU.csdata,"",@progbits
; Kernel info:
; codeLenInByte = 28240
; NumSgprs: 100
; NumVgprs: 50
; NumAgprs: 0
; TotalNumVgprs: 50
; ScratchSize: 0
; MemoryBound: 0
; FloatMode: 240
; IeeeMode: 1
; LDSByteSize: 5152 bytes/workgroup (compile time only)
; SGPRBlocks: 12
; VGPRBlocks: 6
; NumSGPRsForWavesPerEU: 100
; NumVGPRsForWavesPerEU: 50
; AccumOffset: 52
; Occupancy: 8
; WaveLimiterHint : 1
; COMPUTE_PGM_RSRC2:SCRATCH_EN: 0
; COMPUTE_PGM_RSRC2:USER_SGPR: 6
; COMPUTE_PGM_RSRC2:TRAP_HANDLER: 0
; COMPUTE_PGM_RSRC2:TGID_X_EN: 1
; COMPUTE_PGM_RSRC2:TGID_Y_EN: 1
; COMPUTE_PGM_RSRC2:TGID_Z_EN: 1
; COMPUTE_PGM_RSRC2:TIDIG_COMP_CNT: 0
; COMPUTE_PGM_RSRC3_GFX90A:ACCUM_OFFSET: 12
; COMPUTE_PGM_RSRC3_GFX90A:TG_SPLIT: 0
	.section	.text._ZN2at6native6mbtopk23computeBlockDigitCountsIfmjLin1EEEvNS_4cuda6detail10TensorInfoIKT_T0_EEjPjjS8_iijT1_PSB_Ps,"axG",@progbits,_ZN2at6native6mbtopk23computeBlockDigitCountsIfmjLin1EEEvNS_4cuda6detail10TensorInfoIKT_T0_EEjPjjS8_iijT1_PSB_Ps,comdat
	.protected	_ZN2at6native6mbtopk23computeBlockDigitCountsIfmjLin1EEEvNS_4cuda6detail10TensorInfoIKT_T0_EEjPjjS8_iijT1_PSB_Ps ; -- Begin function _ZN2at6native6mbtopk23computeBlockDigitCountsIfmjLin1EEEvNS_4cuda6detail10TensorInfoIKT_T0_EEjPjjS8_iijT1_PSB_Ps
	.globl	_ZN2at6native6mbtopk23computeBlockDigitCountsIfmjLin1EEEvNS_4cuda6detail10TensorInfoIKT_T0_EEjPjjS8_iijT1_PSB_Ps
	.p2align	8
	.type	_ZN2at6native6mbtopk23computeBlockDigitCountsIfmjLin1EEEvNS_4cuda6detail10TensorInfoIKT_T0_EEjPjjS8_iijT1_PSB_Ps,@function
_ZN2at6native6mbtopk23computeBlockDigitCountsIfmjLin1EEEvNS_4cuda6detail10TensorInfoIKT_T0_EEjPjjS8_iijT1_PSB_Ps: ; @_ZN2at6native6mbtopk23computeBlockDigitCountsIfmjLin1EEEvNS_4cuda6detail10TensorInfoIKT_T0_EEjPjjS8_iijT1_PSB_Ps
; %bb.0:
	s_load_dwordx4 s[12:15], s[4:5], 0x1c0
	s_load_dword s2, s[4:5], 0x1b0
	s_load_dwordx2 s[0:1], s[4:5], 0x1e0
	s_mov_b32 s9, 0
	s_waitcnt lgkmcnt(0)
	v_cvt_f32_u32_e32 v1, s14
	s_sub_i32 s3, 0, s14
	s_mul_i32 s1, s1, s8
	s_add_i32 s1, s1, s7
	v_rcp_iflag_f32_e32 v1, v1
	s_mul_i32 s26, s1, s0
	s_add_i32 s26, s26, s6
	v_mul_f32_e32 v1, 0x4f7ffffe, v1
	v_cvt_u32_f32_e32 v1, v1
	v_readfirstlane_b32 s0, v1
	s_mul_i32 s3, s3, s0
	s_mul_hi_u32 s1, s0, s3
	s_add_i32 s0, s0, s1
	s_mul_hi_u32 s0, s26, s0
	s_mul_i32 s1, s0, s14
	s_sub_i32 s1, s26, s1
	s_add_i32 s3, s0, 1
	s_sub_i32 s6, s1, s14
	s_cmp_ge_u32 s1, s14
	s_cselect_b32 s0, s3, s0
	s_cselect_b32 s1, s6, s1
	s_add_i32 s3, s0, 1
	s_cmp_ge_u32 s1, s14
	s_cselect_b32 s8, s3, s0
	s_cmp_ge_u32 s8, s2
	s_cbranch_scc1 .LBB199_32
; %bb.1:
	s_load_dwordx4 s[0:3], s[4:5], 0x1d0
	s_load_dword s16, s[4:5], 0x198
	s_lshl_b64 s[6:7], s[8:9], 2
	s_mov_b64 s[20:21], s[8:9]
	s_waitcnt lgkmcnt(0)
	s_add_u32 s10, s0, s6
	s_addc_u32 s11, s1, s7
	s_cmp_lt_i32 s16, 2
	s_mov_b64 s[6:7], 0
	s_cbranch_scc1 .LBB199_9
; %bb.2:
	s_add_i32 s9, s16, 1
	s_add_i32 s0, s16, -1
	s_mov_b32 s16, 0
	s_mov_b32 s1, s16
	s_lshl_b64 s[0:1], s[0:1], 3
	s_add_u32 s0, s0, s4
	s_addc_u32 s1, s1, s5
	s_add_u32 s18, s0, 8
	s_addc_u32 s19, s1, 0
.LBB199_3:                              ; =>This Inner Loop Header: Depth=1
	s_load_dwordx2 s[22:23], s[18:19], 0x0
	s_waitcnt lgkmcnt(0)
	s_or_b64 s[0:1], s[20:21], s[22:23]
	s_mov_b32 s17, s1
	s_cmp_lg_u64 s[16:17], 0
	s_cbranch_scc0 .LBB199_8
; %bb.4:                                ;   in Loop: Header=BB199_3 Depth=1
	v_cvt_f32_u32_e32 v1, s22
	v_cvt_f32_u32_e32 v2, s23
	s_sub_u32 s0, 0, s22
	s_subb_u32 s1, 0, s23
	v_mac_f32_e32 v1, 0x4f800000, v2
	v_rcp_f32_e32 v1, v1
	v_mul_f32_e32 v1, 0x5f7ffffc, v1
	v_mul_f32_e32 v2, 0x2f800000, v1
	v_trunc_f32_e32 v2, v2
	v_mac_f32_e32 v1, 0xcf800000, v2
	v_cvt_u32_f32_e32 v2, v2
	v_cvt_u32_f32_e32 v1, v1
	v_readfirstlane_b32 s17, v2
	v_readfirstlane_b32 s24, v1
	s_mul_i32 s25, s0, s17
	s_mul_hi_u32 s28, s0, s24
	s_mul_i32 s27, s1, s24
	s_add_i32 s25, s28, s25
	s_mul_i32 s29, s0, s24
	s_add_i32 s25, s25, s27
	s_mul_hi_u32 s27, s24, s25
	s_mul_i32 s28, s24, s25
	s_mul_hi_u32 s24, s24, s29
	s_add_u32 s24, s24, s28
	s_addc_u32 s27, 0, s27
	s_mul_hi_u32 s30, s17, s29
	s_mul_i32 s29, s17, s29
	s_add_u32 s24, s24, s29
	s_mul_hi_u32 s28, s17, s25
	s_addc_u32 s24, s27, s30
	s_addc_u32 s27, s28, 0
	s_mul_i32 s25, s17, s25
	s_add_u32 s24, s24, s25
	s_addc_u32 s25, 0, s27
	v_add_co_u32_e32 v1, vcc, s24, v1
	s_cmp_lg_u64 vcc, 0
	s_addc_u32 s17, s17, s25
	v_readfirstlane_b32 s25, v1
	s_mul_i32 s24, s0, s17
	s_mul_hi_u32 s27, s0, s25
	s_add_i32 s24, s27, s24
	s_mul_i32 s1, s1, s25
	s_add_i32 s24, s24, s1
	s_mul_i32 s0, s0, s25
	s_mul_hi_u32 s27, s17, s0
	s_mul_i32 s28, s17, s0
	s_mul_i32 s30, s25, s24
	s_mul_hi_u32 s0, s25, s0
	s_mul_hi_u32 s29, s25, s24
	s_add_u32 s0, s0, s30
	s_addc_u32 s25, 0, s29
	s_add_u32 s0, s0, s28
	s_mul_hi_u32 s1, s17, s24
	s_addc_u32 s0, s25, s27
	s_addc_u32 s1, s1, 0
	s_mul_i32 s24, s17, s24
	s_add_u32 s0, s0, s24
	s_addc_u32 s1, 0, s1
	v_add_co_u32_e32 v1, vcc, s0, v1
	s_cmp_lg_u64 vcc, 0
	s_addc_u32 s0, s17, s1
	v_readfirstlane_b32 s24, v1
	s_mul_i32 s17, s20, s0
	s_mul_hi_u32 s25, s20, s24
	s_mul_hi_u32 s1, s20, s0
	s_add_u32 s17, s25, s17
	s_addc_u32 s1, 0, s1
	s_mul_hi_u32 s27, s21, s24
	s_mul_i32 s24, s21, s24
	s_add_u32 s17, s17, s24
	s_mul_hi_u32 s25, s21, s0
	s_addc_u32 s1, s1, s27
	s_addc_u32 s17, s25, 0
	s_mul_i32 s0, s21, s0
	s_add_u32 s24, s1, s0
	s_addc_u32 s17, 0, s17
	s_mul_i32 s0, s22, s17
	s_mul_hi_u32 s1, s22, s24
	s_add_i32 s0, s1, s0
	s_mul_i32 s1, s23, s24
	s_add_i32 s25, s0, s1
	s_mul_i32 s1, s22, s24
	v_mov_b32_e32 v1, s1
	s_sub_i32 s0, s21, s25
	v_sub_co_u32_e32 v1, vcc, s20, v1
	s_cmp_lg_u64 vcc, 0
	s_subb_u32 s27, s0, s23
	v_subrev_co_u32_e64 v2, s[0:1], s22, v1
	s_cmp_lg_u64 s[0:1], 0
	s_subb_u32 s0, s27, 0
	s_cmp_ge_u32 s0, s23
	v_readfirstlane_b32 s27, v2
	s_cselect_b32 s1, -1, 0
	s_cmp_ge_u32 s27, s22
	s_cselect_b32 s27, -1, 0
	s_cmp_eq_u32 s0, s23
	s_cselect_b32 s0, s27, s1
	s_add_u32 s1, s24, 1
	s_addc_u32 s27, s17, 0
	s_add_u32 s28, s24, 2
	s_addc_u32 s29, s17, 0
	s_cmp_lg_u32 s0, 0
	s_cselect_b32 s0, s28, s1
	s_cselect_b32 s1, s29, s27
	s_cmp_lg_u64 vcc, 0
	s_subb_u32 s25, s21, s25
	s_cmp_ge_u32 s25, s23
	v_readfirstlane_b32 s28, v1
	s_cselect_b32 s27, -1, 0
	s_cmp_ge_u32 s28, s22
	s_cselect_b32 s28, -1, 0
	s_cmp_eq_u32 s25, s23
	s_cselect_b32 s25, s28, s27
	s_cmp_lg_u32 s25, 0
	s_cselect_b32 s1, s1, s17
	s_cselect_b32 s0, s0, s24
	s_cbranch_execnz .LBB199_6
.LBB199_5:                              ;   in Loop: Header=BB199_3 Depth=1
	v_cvt_f32_u32_e32 v1, s22
	s_sub_i32 s0, 0, s22
	v_rcp_iflag_f32_e32 v1, v1
	v_mul_f32_e32 v1, 0x4f7ffffe, v1
	v_cvt_u32_f32_e32 v1, v1
	v_readfirstlane_b32 s1, v1
	s_mul_i32 s0, s0, s1
	s_mul_hi_u32 s0, s1, s0
	s_add_i32 s1, s1, s0
	s_mul_hi_u32 s0, s20, s1
	s_mul_i32 s17, s0, s22
	s_sub_i32 s17, s20, s17
	s_add_i32 s1, s0, 1
	s_sub_i32 s24, s17, s22
	s_cmp_ge_u32 s17, s22
	s_cselect_b32 s0, s1, s0
	s_cselect_b32 s17, s24, s17
	s_add_i32 s1, s0, 1
	s_cmp_ge_u32 s17, s22
	s_cselect_b32 s0, s1, s0
	s_mov_b32 s1, s16
.LBB199_6:                              ;   in Loop: Header=BB199_3 Depth=1
	s_mul_i32 s17, s0, s23
	s_mul_hi_u32 s23, s0, s22
	s_load_dwordx2 s[24:25], s[18:19], 0xc8
	s_add_i32 s17, s23, s17
	s_mul_i32 s23, s1, s22
	s_add_i32 s17, s17, s23
	s_mul_i32 s22, s0, s22
	s_sub_u32 s20, s20, s22
	s_subb_u32 s17, s21, s17
	s_waitcnt lgkmcnt(0)
	s_mul_i32 s17, s24, s17
	s_mul_hi_u32 s21, s24, s20
	s_add_i32 s17, s21, s17
	s_mul_i32 s21, s25, s20
	s_add_i32 s17, s17, s21
	s_mul_i32 s20, s24, s20
	s_add_u32 s6, s20, s6
	s_addc_u32 s7, s17, s7
	s_add_i32 s9, s9, -1
	s_add_u32 s18, s18, -8
	s_addc_u32 s19, s19, -1
	s_cmp_gt_u32 s9, 2
	s_cbranch_scc0 .LBB199_10
; %bb.7:                                ;   in Loop: Header=BB199_3 Depth=1
	s_mov_b64 s[20:21], s[0:1]
	s_branch .LBB199_3
.LBB199_8:                              ;   in Loop: Header=BB199_3 Depth=1
                                        ; implicit-def: $sgpr0_sgpr1
	s_branch .LBB199_5
.LBB199_9:
	s_mov_b64 s[0:1], s[20:21]
.LBB199_10:
	s_load_dword s16, s[10:11], 0x0
	s_movk_i32 s9, 0x100
	v_cmp_gt_u32_e32 vcc, s9, v0
	v_lshlrev_b32_e32 v1, 2, v0
	s_and_saveexec_b64 s[10:11], vcc
	s_cbranch_execz .LBB199_12
; %bb.11:
	v_mov_b32_e32 v2, 0
	ds_write_b32 v1, v2
.LBB199_12:
	s_or_b64 exec, exec, s[10:11]
	s_load_dword s10, s[4:5], 0x1a0
	s_mul_i32 s8, s8, s14
	s_sub_i32 s8, s26, s8
	s_add_i32 s9, s8, 1
	s_mul_i32 s8, s13, s8
	s_lshl_b32 s17, s8, 8
	s_waitcnt lgkmcnt(0)
	s_sub_i32 s8, s10, s17
	s_add_u32 s8, s8, 0xff
	s_addc_u32 s11, 0, 0
	v_mov_b32_e32 v2, s8
	v_alignbit_b32 v2, s11, v2, 8
	s_cmp_lt_u32 s9, s14
	v_readfirstlane_b32 s8, v2
	s_cselect_b32 s11, s13, s8
	s_cmp_lt_i32 s11, 1
	s_mov_b32 s14, 0
	s_barrier
	s_cbranch_scc1 .LBB199_28
; %bb.13:
	s_load_dwordx2 s[18:19], s[4:5], 0xd0
	s_load_dwordx2 s[8:9], s[4:5], 0x1b8
	;; [unrolled: 1-line block ×3, first 2 shown]
	v_add_u32_e32 v2, s17, v0
	s_waitcnt lgkmcnt(0)
	s_mul_i32 s1, s18, s1
	s_mul_hi_u32 s4, s18, s0
	s_mul_i32 s5, s19, s0
	s_add_i32 s1, s4, s1
	s_add_i32 s1, s1, s5
	s_mul_i32 s0, s18, s0
	s_lshl_b64 s[0:1], s[0:1], 2
	s_add_u32 s4, s20, s0
	s_addc_u32 s5, s21, s1
	s_lshl_b64 s[0:1], s[6:7], 2
	s_add_u32 s7, s4, s0
	s_addc_u32 s13, s5, s1
	s_and_b32 s6, s12, 0xff
	s_cmp_eq_u32 s11, 1
	s_cbranch_scc1 .LBB199_23
; %bb.14:
	s_and_b32 s12, s11, 0x7ffffffe
	v_mov_b32_e32 v3, 1
	v_bfrev_b32_e32 v4, 1
	v_mov_b32_e32 v5, v2
	s_branch .LBB199_16
.LBB199_15:                             ;   in Loop: Header=BB199_16 Depth=1
	s_or_b64 exec, exec, s[4:5]
	s_add_i32 s14, s14, 2
	s_cmp_eq_u32 s12, s14
	v_add_u32_e32 v5, 0x200, v5
	s_cbranch_scc1 .LBB199_22
.LBB199_16:                             ; =>This Inner Loop Header: Depth=1
	v_cmp_gt_u32_e64 s[0:1], s10, v5
	s_and_saveexec_b64 s[4:5], s[0:1]
	s_cbranch_execz .LBB199_19
; %bb.17:                               ;   in Loop: Header=BB199_16 Depth=1
	v_mad_u64_u32 v[6:7], s[0:1], v5, s8, 0
	v_mov_b32_e32 v8, v7
	v_mad_u64_u32 v[8:9], s[0:1], v5, s9, v[8:9]
	v_mov_b32_e32 v7, v8
	v_lshlrev_b64 v[6:7], 2, v[6:7]
	v_mov_b32_e32 v8, s13
	v_add_co_u32_e64 v6, s[0:1], s7, v6
	v_addc_co_u32_e64 v7, s[0:1], v8, v7, s[0:1]
	global_load_dword v6, v[6:7], off
	s_waitcnt vmcnt(0)
	v_cmp_lt_i32_e64 s[0:1], -1, v6
	v_cndmask_b32_e64 v7, -1, v4, s[0:1]
	v_xor_b32_e32 v7, v7, v6
	v_cmp_o_f32_e64 s[0:1], v6, v6
	v_cndmask_b32_e64 v6, -1, v7, s[0:1]
	v_xor_b32_e32 v7, s16, v6
	v_and_b32_e32 v7, s15, v7
	v_cmp_eq_u32_e64 s[0:1], 0, v7
	s_and_b64 exec, exec, s[0:1]
	s_cbranch_execz .LBB199_19
; %bb.18:                               ;   in Loop: Header=BB199_16 Depth=1
	v_bfe_u32 v6, v6, s6, 8
	v_lshlrev_b32_e32 v6, 2, v6
	ds_add_u32 v6, v3
.LBB199_19:                             ;   in Loop: Header=BB199_16 Depth=1
	s_or_b64 exec, exec, s[4:5]
	v_add_u32_e32 v6, 0x100, v5
	v_cmp_gt_u32_e64 s[0:1], s10, v6
	s_and_saveexec_b64 s[4:5], s[0:1]
	s_cbranch_execz .LBB199_15
; %bb.20:                               ;   in Loop: Header=BB199_16 Depth=1
	v_mad_u64_u32 v[8:9], s[0:1], v6, s8, 0
	v_mov_b32_e32 v10, v9
	v_mad_u64_u32 v[6:7], s[0:1], v6, s9, v[10:11]
	v_mov_b32_e32 v9, v6
	v_lshlrev_b64 v[6:7], 2, v[8:9]
	v_mov_b32_e32 v8, s13
	v_add_co_u32_e64 v6, s[0:1], s7, v6
	v_addc_co_u32_e64 v7, s[0:1], v8, v7, s[0:1]
	global_load_dword v6, v[6:7], off
	s_waitcnt vmcnt(0)
	v_cmp_lt_i32_e64 s[0:1], -1, v6
	v_cndmask_b32_e64 v7, -1, v4, s[0:1]
	v_xor_b32_e32 v7, v7, v6
	v_cmp_o_f32_e64 s[0:1], v6, v6
	v_cndmask_b32_e64 v6, -1, v7, s[0:1]
	v_xor_b32_e32 v7, s16, v6
	v_and_b32_e32 v7, s15, v7
	v_cmp_eq_u32_e64 s[0:1], 0, v7
	s_and_b64 exec, exec, s[0:1]
	s_cbranch_execz .LBB199_15
; %bb.21:                               ;   in Loop: Header=BB199_16 Depth=1
	v_bfe_u32 v6, v6, s6, 8
	v_lshlrev_b32_e32 v6, 2, v6
	ds_add_u32 v6, v3
	s_branch .LBB199_15
.LBB199_22:
	s_lshl_b32 s14, s12, 8
.LBB199_23:
	s_bitcmp0_b32 s11, 0
	s_cbranch_scc1 .LBB199_28
; %bb.24:
	v_add_u32_e32 v2, s14, v2
	v_cmp_gt_u32_e64 s[0:1], s10, v2
	s_and_saveexec_b64 s[4:5], s[0:1]
	s_cbranch_execz .LBB199_27
; %bb.25:
	v_mad_u64_u32 v[4:5], s[0:1], v2, s8, 0
	v_mov_b32_e32 v6, v5
	v_mad_u64_u32 v[2:3], s[0:1], v2, s9, v[6:7]
	v_mov_b32_e32 v5, v2
	v_lshlrev_b64 v[2:3], 2, v[4:5]
	v_mov_b32_e32 v4, s13
	v_add_co_u32_e64 v2, s[0:1], s7, v2
	v_addc_co_u32_e64 v3, s[0:1], v4, v3, s[0:1]
	global_load_dword v2, v[2:3], off
	v_bfrev_b32_e32 v3, 1
	s_waitcnt vmcnt(0)
	v_cmp_lt_i32_e64 s[0:1], -1, v2
	v_cndmask_b32_e64 v3, -1, v3, s[0:1]
	v_xor_b32_e32 v3, v3, v2
	v_cmp_o_f32_e64 s[0:1], v2, v2
	v_cndmask_b32_e64 v2, -1, v3, s[0:1]
	v_xor_b32_e32 v3, s16, v2
	v_and_b32_e32 v3, s15, v3
	v_cmp_eq_u32_e64 s[0:1], 0, v3
	s_and_b64 exec, exec, s[0:1]
	s_cbranch_execz .LBB199_27
; %bb.26:
	v_bfe_u32 v2, v2, s6, 8
	v_lshlrev_b32_e32 v2, 2, v2
	v_mov_b32_e32 v3, 1
	ds_add_u32 v2, v3
.LBB199_27:
	s_or_b64 exec, exec, s[4:5]
.LBB199_28:
	v_mov_b32_e32 v2, 0
	s_waitcnt lgkmcnt(0)
	s_barrier
	s_and_saveexec_b64 s[0:1], vcc
	s_cbranch_execz .LBB199_30
; %bb.29:
	ds_read_b32 v2, v1
.LBB199_30:
	s_or_b64 exec, exec, s[0:1]
	s_and_saveexec_b64 s[0:1], vcc
	s_cbranch_execz .LBB199_32
; %bb.31:
	v_lshl_or_b32 v0, s26, 8, v0
	v_mov_b32_e32 v1, 0
	v_lshlrev_b64 v[0:1], 1, v[0:1]
	v_mov_b32_e32 v3, s3
	v_add_co_u32_e32 v0, vcc, s2, v0
	v_addc_co_u32_e32 v1, vcc, v3, v1, vcc
	s_waitcnt lgkmcnt(0)
	global_store_short v[0:1], v2, off
.LBB199_32:
	s_endpgm
	.section	.rodata,"a",@progbits
	.p2align	6, 0x0
	.amdhsa_kernel _ZN2at6native6mbtopk23computeBlockDigitCountsIfmjLin1EEEvNS_4cuda6detail10TensorInfoIKT_T0_EEjPjjS8_iijT1_PSB_Ps
		.amdhsa_group_segment_fixed_size 1024
		.amdhsa_private_segment_fixed_size 0
		.amdhsa_kernarg_size 736
		.amdhsa_user_sgpr_count 6
		.amdhsa_user_sgpr_private_segment_buffer 1
		.amdhsa_user_sgpr_dispatch_ptr 0
		.amdhsa_user_sgpr_queue_ptr 0
		.amdhsa_user_sgpr_kernarg_segment_ptr 1
		.amdhsa_user_sgpr_dispatch_id 0
		.amdhsa_user_sgpr_flat_scratch_init 0
		.amdhsa_user_sgpr_kernarg_preload_length 0
		.amdhsa_user_sgpr_kernarg_preload_offset 0
		.amdhsa_user_sgpr_private_segment_size 0
		.amdhsa_uses_dynamic_stack 0
		.amdhsa_system_sgpr_private_segment_wavefront_offset 0
		.amdhsa_system_sgpr_workgroup_id_x 1
		.amdhsa_system_sgpr_workgroup_id_y 1
		.amdhsa_system_sgpr_workgroup_id_z 1
		.amdhsa_system_sgpr_workgroup_info 0
		.amdhsa_system_vgpr_workitem_id 0
		.amdhsa_next_free_vgpr 12
		.amdhsa_next_free_sgpr 31
		.amdhsa_accum_offset 12
		.amdhsa_reserve_vcc 1
		.amdhsa_reserve_flat_scratch 0
		.amdhsa_float_round_mode_32 0
		.amdhsa_float_round_mode_16_64 0
		.amdhsa_float_denorm_mode_32 3
		.amdhsa_float_denorm_mode_16_64 3
		.amdhsa_dx10_clamp 1
		.amdhsa_ieee_mode 1
		.amdhsa_fp16_overflow 0
		.amdhsa_tg_split 0
		.amdhsa_exception_fp_ieee_invalid_op 0
		.amdhsa_exception_fp_denorm_src 0
		.amdhsa_exception_fp_ieee_div_zero 0
		.amdhsa_exception_fp_ieee_overflow 0
		.amdhsa_exception_fp_ieee_underflow 0
		.amdhsa_exception_fp_ieee_inexact 0
		.amdhsa_exception_int_div_zero 0
	.end_amdhsa_kernel
	.section	.text._ZN2at6native6mbtopk23computeBlockDigitCountsIfmjLin1EEEvNS_4cuda6detail10TensorInfoIKT_T0_EEjPjjS8_iijT1_PSB_Ps,"axG",@progbits,_ZN2at6native6mbtopk23computeBlockDigitCountsIfmjLin1EEEvNS_4cuda6detail10TensorInfoIKT_T0_EEjPjjS8_iijT1_PSB_Ps,comdat
.Lfunc_end199:
	.size	_ZN2at6native6mbtopk23computeBlockDigitCountsIfmjLin1EEEvNS_4cuda6detail10TensorInfoIKT_T0_EEjPjjS8_iijT1_PSB_Ps, .Lfunc_end199-_ZN2at6native6mbtopk23computeBlockDigitCountsIfmjLin1EEEvNS_4cuda6detail10TensorInfoIKT_T0_EEjPjjS8_iijT1_PSB_Ps
                                        ; -- End function
	.section	.AMDGPU.csdata,"",@progbits
; Kernel info:
; codeLenInByte = 1828
; NumSgprs: 35
; NumVgprs: 12
; NumAgprs: 0
; TotalNumVgprs: 12
; ScratchSize: 0
; MemoryBound: 0
; FloatMode: 240
; IeeeMode: 1
; LDSByteSize: 1024 bytes/workgroup (compile time only)
; SGPRBlocks: 4
; VGPRBlocks: 1
; NumSGPRsForWavesPerEU: 35
; NumVGPRsForWavesPerEU: 12
; AccumOffset: 12
; Occupancy: 8
; WaveLimiterHint : 0
; COMPUTE_PGM_RSRC2:SCRATCH_EN: 0
; COMPUTE_PGM_RSRC2:USER_SGPR: 6
; COMPUTE_PGM_RSRC2:TRAP_HANDLER: 0
; COMPUTE_PGM_RSRC2:TGID_X_EN: 1
; COMPUTE_PGM_RSRC2:TGID_Y_EN: 1
; COMPUTE_PGM_RSRC2:TGID_Z_EN: 1
; COMPUTE_PGM_RSRC2:TIDIG_COMP_CNT: 0
; COMPUTE_PGM_RSRC3_GFX90A:ACCUM_OFFSET: 2
; COMPUTE_PGM_RSRC3_GFX90A:TG_SPLIT: 0
	.section	.text._ZN2at6native6mbtopk10gatherTopKIfmLin1EEEvNS_4cuda6detail10TensorInfoIKT_T0_EES8_S8_bjS8_NS5_IS6_S8_EES8_NS5_IlS8_EES8_jjPS6_PjSD_j,"axG",@progbits,_ZN2at6native6mbtopk10gatherTopKIfmLin1EEEvNS_4cuda6detail10TensorInfoIKT_T0_EES8_S8_bjS8_NS5_IS6_S8_EES8_NS5_IlS8_EES8_jjPS6_PjSD_j,comdat
	.protected	_ZN2at6native6mbtopk10gatherTopKIfmLin1EEEvNS_4cuda6detail10TensorInfoIKT_T0_EES8_S8_bjS8_NS5_IS6_S8_EES8_NS5_IlS8_EES8_jjPS6_PjSD_j ; -- Begin function _ZN2at6native6mbtopk10gatherTopKIfmLin1EEEvNS_4cuda6detail10TensorInfoIKT_T0_EES8_S8_bjS8_NS5_IS6_S8_EES8_NS5_IlS8_EES8_jjPS6_PjSD_j
	.globl	_ZN2at6native6mbtopk10gatherTopKIfmLin1EEEvNS_4cuda6detail10TensorInfoIKT_T0_EES8_S8_bjS8_NS5_IS6_S8_EES8_NS5_IlS8_EES8_jjPS6_PjSD_j
	.p2align	8
	.type	_ZN2at6native6mbtopk10gatherTopKIfmLin1EEEvNS_4cuda6detail10TensorInfoIKT_T0_EES8_S8_bjS8_NS5_IS6_S8_EES8_NS5_IlS8_EES8_jjPS6_PjSD_j,@function
_ZN2at6native6mbtopk10gatherTopKIfmLin1EEEvNS_4cuda6detail10TensorInfoIKT_T0_EES8_S8_bjS8_NS5_IS6_S8_EES8_NS5_IlS8_EES8_jjPS6_PjSD_j: ; @_ZN2at6native6mbtopk10gatherTopKIfmLin1EEEvNS_4cuda6detail10TensorInfoIKT_T0_EES8_S8_bjS8_NS5_IS6_S8_EES8_NS5_IlS8_EES8_jjPS6_PjSD_j
; %bb.0:
	s_load_dwordx2 s[0:1], s[4:5], 0x538
	s_load_dword s2, s[4:5], 0x530
	s_waitcnt lgkmcnt(0)
	s_mul_i32 s1, s1, s8
	s_add_i32 s1, s1, s7
	s_mul_i32 s0, s1, s0
	s_add_i32 s0, s0, s6
	s_cmp_ge_u32 s0, s2
	s_cbranch_scc1 .LBB200_67
; %bb.1:
	s_load_dwordx2 s[20:21], s[4:5], 0x510
	s_load_dwordx4 s[8:11], s[4:5], 0x1a0
	s_mov_b32 s3, 0
	s_waitcnt lgkmcnt(0)
	v_cvt_f32_u32_e32 v1, s21
	s_sub_i32 s2, 0, s21
	s_lshl_b32 s1, s20, 8
	v_rcp_iflag_f32_e32 v1, v1
	v_mul_f32_e32 v1, 0x4f7ffffe, v1
	v_cvt_u32_f32_e32 v1, v1
	v_readfirstlane_b32 s6, v1
	s_mul_i32 s2, s2, s6
	s_mul_hi_u32 s2, s6, s2
	s_add_i32 s6, s6, s2
	s_mul_hi_u32 s2, s0, s6
	s_mul_i32 s6, s2, s21
	s_sub_i32 s6, s0, s6
	s_add_i32 s7, s2, 1
	s_sub_i32 s12, s6, s21
	s_cmp_ge_u32 s6, s21
	s_cselect_b32 s2, s7, s2
	s_cselect_b32 s6, s12, s6
	s_add_i32 s7, s2, 1
	s_cmp_ge_u32 s6, s21
	s_cselect_b32 s2, s7, s2
	s_mul_i32 s22, s2, s21
	s_sub_i32 s54, s0, s22
	s_add_i32 s0, s54, 1
	s_cmp_lt_u32 s0, s21
	s_mul_i32 s33, s54, s1
	s_cbranch_scc1 .LBB200_3
; %bb.2:
	s_sub_u32 s0, s8, s33
	s_subb_u32 s1, s9, 0
	s_add_u32 s0, s0, 0xff
	s_addc_u32 s1, s1, 0
	s_ashr_i32 s6, s1, 31
	s_lshr_b32 s6, s6, 24
	s_add_u32 s0, s0, s6
	s_addc_u32 s1, s1, 0
	v_mov_b32_e32 v1, s0
	v_alignbit_b32 v1, s1, v1, 8
	v_readfirstlane_b32 s20, v1
.LBB200_3:
	s_load_dword s0, s[4:5], 0x198
	s_mov_b64 s[6:7], 0
	s_mov_b64 s[24:25], s[2:3]
	s_waitcnt lgkmcnt(0)
	s_cmp_lt_i32 s0, 2
	s_cbranch_scc1 .LBB200_11
; %bb.4:
	s_mov_b32 s12, 0
	s_add_i32 s23, s0, 1
	s_add_i32 s0, s0, -1
	s_mov_b32 s1, s12
	s_lshl_b64 s[0:1], s[0:1], 3
	s_add_u32 s0, s0, s4
	s_addc_u32 s1, s1, s5
	s_add_u32 s14, s0, 8
	s_addc_u32 s15, s1, 0
	s_mov_b64 s[16:17], s[2:3]
.LBB200_5:                              ; =>This Inner Loop Header: Depth=1
	s_load_dwordx2 s[18:19], s[14:15], 0x0
	s_waitcnt lgkmcnt(0)
	s_or_b64 s[0:1], s[16:17], s[18:19]
	s_mov_b32 s13, s1
	s_cmp_lg_u64 s[12:13], 0
	s_cbranch_scc0 .LBB200_10
; %bb.6:                                ;   in Loop: Header=BB200_5 Depth=1
	v_cvt_f32_u32_e32 v1, s18
	v_cvt_f32_u32_e32 v2, s19
	s_sub_u32 s0, 0, s18
	s_subb_u32 s1, 0, s19
	v_mac_f32_e32 v1, 0x4f800000, v2
	v_rcp_f32_e32 v1, v1
	v_mul_f32_e32 v1, 0x5f7ffffc, v1
	v_mul_f32_e32 v2, 0x2f800000, v1
	v_trunc_f32_e32 v2, v2
	v_mac_f32_e32 v1, 0xcf800000, v2
	v_cvt_u32_f32_e32 v2, v2
	v_cvt_u32_f32_e32 v1, v1
	v_readfirstlane_b32 s13, v2
	v_readfirstlane_b32 s24, v1
	s_mul_i32 s25, s0, s13
	s_mul_hi_u32 s27, s0, s24
	s_mul_i32 s26, s1, s24
	s_add_i32 s25, s27, s25
	s_mul_i32 s28, s0, s24
	s_add_i32 s25, s25, s26
	s_mul_hi_u32 s26, s24, s25
	s_mul_i32 s27, s24, s25
	s_mul_hi_u32 s24, s24, s28
	s_add_u32 s24, s24, s27
	s_addc_u32 s26, 0, s26
	s_mul_hi_u32 s29, s13, s28
	s_mul_i32 s28, s13, s28
	s_add_u32 s24, s24, s28
	s_mul_hi_u32 s27, s13, s25
	s_addc_u32 s24, s26, s29
	s_addc_u32 s26, s27, 0
	s_mul_i32 s25, s13, s25
	s_add_u32 s24, s24, s25
	s_addc_u32 s25, 0, s26
	v_add_co_u32_e32 v1, vcc, s24, v1
	s_cmp_lg_u64 vcc, 0
	s_addc_u32 s13, s13, s25
	v_readfirstlane_b32 s25, v1
	s_mul_i32 s24, s0, s13
	s_mul_hi_u32 s26, s0, s25
	s_add_i32 s24, s26, s24
	s_mul_i32 s1, s1, s25
	s_add_i32 s24, s24, s1
	s_mul_i32 s0, s0, s25
	s_mul_hi_u32 s26, s13, s0
	s_mul_i32 s27, s13, s0
	s_mul_i32 s29, s25, s24
	s_mul_hi_u32 s0, s25, s0
	s_mul_hi_u32 s28, s25, s24
	s_add_u32 s0, s0, s29
	s_addc_u32 s25, 0, s28
	s_add_u32 s0, s0, s27
	s_mul_hi_u32 s1, s13, s24
	s_addc_u32 s0, s25, s26
	s_addc_u32 s1, s1, 0
	s_mul_i32 s24, s13, s24
	s_add_u32 s0, s0, s24
	s_addc_u32 s1, 0, s1
	v_add_co_u32_e32 v1, vcc, s0, v1
	s_cmp_lg_u64 vcc, 0
	s_addc_u32 s0, s13, s1
	v_readfirstlane_b32 s24, v1
	s_mul_i32 s13, s16, s0
	s_mul_hi_u32 s25, s16, s24
	s_mul_hi_u32 s1, s16, s0
	s_add_u32 s13, s25, s13
	s_addc_u32 s1, 0, s1
	s_mul_hi_u32 s26, s17, s24
	s_mul_i32 s24, s17, s24
	s_add_u32 s13, s13, s24
	s_mul_hi_u32 s25, s17, s0
	s_addc_u32 s1, s1, s26
	s_addc_u32 s13, s25, 0
	s_mul_i32 s0, s17, s0
	s_add_u32 s24, s1, s0
	s_addc_u32 s13, 0, s13
	s_mul_i32 s0, s18, s13
	s_mul_hi_u32 s1, s18, s24
	s_add_i32 s0, s1, s0
	s_mul_i32 s1, s19, s24
	s_add_i32 s25, s0, s1
	s_mul_i32 s1, s18, s24
	v_mov_b32_e32 v1, s1
	s_sub_i32 s0, s17, s25
	v_sub_co_u32_e32 v1, vcc, s16, v1
	s_cmp_lg_u64 vcc, 0
	s_subb_u32 s26, s0, s19
	v_subrev_co_u32_e64 v2, s[0:1], s18, v1
	s_cmp_lg_u64 s[0:1], 0
	s_subb_u32 s0, s26, 0
	s_cmp_ge_u32 s0, s19
	v_readfirstlane_b32 s26, v2
	s_cselect_b32 s1, -1, 0
	s_cmp_ge_u32 s26, s18
	s_cselect_b32 s26, -1, 0
	s_cmp_eq_u32 s0, s19
	s_cselect_b32 s0, s26, s1
	s_add_u32 s1, s24, 1
	s_addc_u32 s26, s13, 0
	s_add_u32 s27, s24, 2
	s_addc_u32 s28, s13, 0
	s_cmp_lg_u32 s0, 0
	s_cselect_b32 s0, s27, s1
	s_cselect_b32 s1, s28, s26
	s_cmp_lg_u64 vcc, 0
	s_subb_u32 s25, s17, s25
	s_cmp_ge_u32 s25, s19
	v_readfirstlane_b32 s27, v1
	s_cselect_b32 s26, -1, 0
	s_cmp_ge_u32 s27, s18
	s_cselect_b32 s27, -1, 0
	s_cmp_eq_u32 s25, s19
	s_cselect_b32 s25, s27, s26
	s_cmp_lg_u32 s25, 0
	s_cselect_b32 s25, s1, s13
	s_cselect_b32 s24, s0, s24
	s_cbranch_execnz .LBB200_8
.LBB200_7:                              ;   in Loop: Header=BB200_5 Depth=1
	v_cvt_f32_u32_e32 v1, s18
	s_sub_i32 s0, 0, s18
	s_mov_b32 s25, s12
	v_rcp_iflag_f32_e32 v1, v1
	v_mul_f32_e32 v1, 0x4f7ffffe, v1
	v_cvt_u32_f32_e32 v1, v1
	v_readfirstlane_b32 s1, v1
	s_mul_i32 s0, s0, s1
	s_mul_hi_u32 s0, s1, s0
	s_add_i32 s1, s1, s0
	s_mul_hi_u32 s0, s16, s1
	s_mul_i32 s13, s0, s18
	s_sub_i32 s13, s16, s13
	s_add_i32 s1, s0, 1
	s_sub_i32 s24, s13, s18
	s_cmp_ge_u32 s13, s18
	s_cselect_b32 s0, s1, s0
	s_cselect_b32 s13, s24, s13
	s_add_i32 s1, s0, 1
	s_cmp_ge_u32 s13, s18
	s_cselect_b32 s24, s1, s0
.LBB200_8:                              ;   in Loop: Header=BB200_5 Depth=1
	s_mul_i32 s0, s24, s19
	s_mul_hi_u32 s1, s24, s18
	s_add_i32 s13, s1, s0
	s_load_dwordx2 s[0:1], s[14:15], 0xc8
	s_mul_i32 s19, s25, s18
	s_add_i32 s13, s13, s19
	s_mul_i32 s18, s24, s18
	s_sub_u32 s16, s16, s18
	s_subb_u32 s13, s17, s13
	s_waitcnt lgkmcnt(0)
	s_mul_i32 s13, s0, s13
	s_mul_hi_u32 s17, s0, s16
	s_add_i32 s13, s17, s13
	s_mul_i32 s1, s1, s16
	s_add_i32 s13, s13, s1
	s_mul_i32 s0, s0, s16
	s_add_u32 s6, s0, s6
	s_addc_u32 s7, s13, s7
	s_add_i32 s23, s23, -1
	s_add_u32 s14, s14, -8
	s_addc_u32 s15, s15, -1
	s_cmp_gt_u32 s23, 2
	s_cbranch_scc0 .LBB200_11
; %bb.9:                                ;   in Loop: Header=BB200_5 Depth=1
	s_mov_b64 s[16:17], s[24:25]
	s_branch .LBB200_5
.LBB200_10:                             ;   in Loop: Header=BB200_5 Depth=1
                                        ; implicit-def: $sgpr24_sgpr25
	s_branch .LBB200_7
.LBB200_11:
	s_load_dword s0, s[4:5], 0x358
	s_load_dwordx2 s[28:29], s[4:5], 0xd0
	s_add_u32 s12, s4, 0x1c0
	s_addc_u32 s13, s5, 0
	s_mov_b64 s[26:27], 0
	s_waitcnt lgkmcnt(0)
	s_cmp_lt_i32 s0, 2
	s_mov_b64 s[30:31], s[2:3]
	s_cbranch_scc1 .LBB200_19
; %bb.12:
	s_mov_b32 s14, 0
	s_add_i32 s23, s0, 1
	s_add_i32 s0, s0, -1
	s_mov_b32 s1, s14
	s_lshl_b64 s[0:1], s[0:1], 3
	s_add_u32 s0, s0, s12
	s_addc_u32 s1, s1, s13
	s_add_u32 s16, s0, 8
	s_addc_u32 s17, s1, 0
	s_mov_b64 s[18:19], s[2:3]
.LBB200_13:                             ; =>This Inner Loop Header: Depth=1
	s_load_dwordx2 s[34:35], s[16:17], 0x0
	s_waitcnt lgkmcnt(0)
	s_or_b64 s[0:1], s[18:19], s[34:35]
	s_mov_b32 s15, s1
	s_cmp_lg_u64 s[14:15], 0
	s_cbranch_scc0 .LBB200_18
; %bb.14:                               ;   in Loop: Header=BB200_13 Depth=1
	v_cvt_f32_u32_e32 v1, s34
	v_cvt_f32_u32_e32 v2, s35
	s_sub_u32 s0, 0, s34
	s_subb_u32 s1, 0, s35
	v_mac_f32_e32 v1, 0x4f800000, v2
	v_rcp_f32_e32 v1, v1
	v_mul_f32_e32 v1, 0x5f7ffffc, v1
	v_mul_f32_e32 v2, 0x2f800000, v1
	v_trunc_f32_e32 v2, v2
	v_mac_f32_e32 v1, 0xcf800000, v2
	v_cvt_u32_f32_e32 v2, v2
	v_cvt_u32_f32_e32 v1, v1
	v_readfirstlane_b32 s15, v2
	v_readfirstlane_b32 s30, v1
	s_mul_i32 s31, s0, s15
	s_mul_hi_u32 s37, s0, s30
	s_mul_i32 s36, s1, s30
	s_add_i32 s31, s37, s31
	s_mul_i32 s38, s0, s30
	s_add_i32 s31, s31, s36
	s_mul_hi_u32 s36, s30, s31
	s_mul_i32 s37, s30, s31
	s_mul_hi_u32 s30, s30, s38
	s_add_u32 s30, s30, s37
	s_addc_u32 s36, 0, s36
	s_mul_hi_u32 s39, s15, s38
	s_mul_i32 s38, s15, s38
	s_add_u32 s30, s30, s38
	s_mul_hi_u32 s37, s15, s31
	s_addc_u32 s30, s36, s39
	s_addc_u32 s36, s37, 0
	s_mul_i32 s31, s15, s31
	s_add_u32 s30, s30, s31
	s_addc_u32 s31, 0, s36
	v_add_co_u32_e32 v1, vcc, s30, v1
	s_cmp_lg_u64 vcc, 0
	s_addc_u32 s15, s15, s31
	v_readfirstlane_b32 s31, v1
	s_mul_i32 s30, s0, s15
	s_mul_hi_u32 s36, s0, s31
	s_add_i32 s30, s36, s30
	s_mul_i32 s1, s1, s31
	s_add_i32 s30, s30, s1
	s_mul_i32 s0, s0, s31
	s_mul_hi_u32 s36, s15, s0
	s_mul_i32 s37, s15, s0
	s_mul_i32 s39, s31, s30
	s_mul_hi_u32 s0, s31, s0
	s_mul_hi_u32 s38, s31, s30
	s_add_u32 s0, s0, s39
	s_addc_u32 s31, 0, s38
	s_add_u32 s0, s0, s37
	s_mul_hi_u32 s1, s15, s30
	s_addc_u32 s0, s31, s36
	s_addc_u32 s1, s1, 0
	s_mul_i32 s30, s15, s30
	s_add_u32 s0, s0, s30
	s_addc_u32 s1, 0, s1
	v_add_co_u32_e32 v1, vcc, s0, v1
	s_cmp_lg_u64 vcc, 0
	s_addc_u32 s0, s15, s1
	v_readfirstlane_b32 s30, v1
	s_mul_i32 s15, s18, s0
	s_mul_hi_u32 s31, s18, s30
	s_mul_hi_u32 s1, s18, s0
	s_add_u32 s15, s31, s15
	s_addc_u32 s1, 0, s1
	s_mul_hi_u32 s36, s19, s30
	s_mul_i32 s30, s19, s30
	s_add_u32 s15, s15, s30
	s_mul_hi_u32 s31, s19, s0
	s_addc_u32 s1, s1, s36
	s_addc_u32 s15, s31, 0
	s_mul_i32 s0, s19, s0
	s_add_u32 s30, s1, s0
	s_addc_u32 s15, 0, s15
	s_mul_i32 s0, s34, s15
	s_mul_hi_u32 s1, s34, s30
	s_add_i32 s0, s1, s0
	s_mul_i32 s1, s35, s30
	s_add_i32 s31, s0, s1
	s_mul_i32 s1, s34, s30
	v_mov_b32_e32 v1, s1
	s_sub_i32 s0, s19, s31
	v_sub_co_u32_e32 v1, vcc, s18, v1
	s_cmp_lg_u64 vcc, 0
	s_subb_u32 s36, s0, s35
	v_subrev_co_u32_e64 v2, s[0:1], s34, v1
	s_cmp_lg_u64 s[0:1], 0
	s_subb_u32 s0, s36, 0
	s_cmp_ge_u32 s0, s35
	v_readfirstlane_b32 s36, v2
	s_cselect_b32 s1, -1, 0
	s_cmp_ge_u32 s36, s34
	s_cselect_b32 s36, -1, 0
	s_cmp_eq_u32 s0, s35
	s_cselect_b32 s0, s36, s1
	s_add_u32 s1, s30, 1
	s_addc_u32 s36, s15, 0
	s_add_u32 s37, s30, 2
	s_addc_u32 s38, s15, 0
	s_cmp_lg_u32 s0, 0
	s_cselect_b32 s0, s37, s1
	s_cselect_b32 s1, s38, s36
	s_cmp_lg_u64 vcc, 0
	s_subb_u32 s31, s19, s31
	s_cmp_ge_u32 s31, s35
	v_readfirstlane_b32 s37, v1
	s_cselect_b32 s36, -1, 0
	s_cmp_ge_u32 s37, s34
	s_cselect_b32 s37, -1, 0
	s_cmp_eq_u32 s31, s35
	s_cselect_b32 s31, s37, s36
	s_cmp_lg_u32 s31, 0
	s_cselect_b32 s31, s1, s15
	s_cselect_b32 s30, s0, s30
	s_cbranch_execnz .LBB200_16
.LBB200_15:                             ;   in Loop: Header=BB200_13 Depth=1
	v_cvt_f32_u32_e32 v1, s34
	s_sub_i32 s0, 0, s34
	s_mov_b32 s31, s14
	v_rcp_iflag_f32_e32 v1, v1
	v_mul_f32_e32 v1, 0x4f7ffffe, v1
	v_cvt_u32_f32_e32 v1, v1
	v_readfirstlane_b32 s1, v1
	s_mul_i32 s0, s0, s1
	s_mul_hi_u32 s0, s1, s0
	s_add_i32 s1, s1, s0
	s_mul_hi_u32 s0, s18, s1
	s_mul_i32 s15, s0, s34
	s_sub_i32 s15, s18, s15
	s_add_i32 s1, s0, 1
	s_sub_i32 s30, s15, s34
	s_cmp_ge_u32 s15, s34
	s_cselect_b32 s0, s1, s0
	s_cselect_b32 s15, s30, s15
	s_add_i32 s1, s0, 1
	s_cmp_ge_u32 s15, s34
	s_cselect_b32 s30, s1, s0
.LBB200_16:                             ;   in Loop: Header=BB200_13 Depth=1
	s_mul_i32 s0, s30, s35
	s_mul_hi_u32 s1, s30, s34
	s_add_i32 s15, s1, s0
	s_load_dwordx2 s[0:1], s[16:17], 0xc8
	s_mul_i32 s35, s31, s34
	s_add_i32 s15, s15, s35
	s_mul_i32 s34, s30, s34
	s_sub_u32 s18, s18, s34
	s_subb_u32 s15, s19, s15
	s_waitcnt lgkmcnt(0)
	s_mul_i32 s15, s0, s15
	s_mul_hi_u32 s19, s0, s18
	s_add_i32 s15, s19, s15
	s_mul_i32 s1, s1, s18
	s_add_i32 s15, s15, s1
	s_mul_i32 s0, s0, s18
	s_add_u32 s26, s0, s26
	s_addc_u32 s27, s15, s27
	s_add_i32 s23, s23, -1
	s_add_u32 s16, s16, -8
	s_addc_u32 s17, s17, -1
	s_cmp_gt_u32 s23, 2
	s_cbranch_scc0 .LBB200_19
; %bb.17:                               ;   in Loop: Header=BB200_13 Depth=1
	s_mov_b64 s[18:19], s[30:31]
	s_branch .LBB200_13
.LBB200_18:                             ;   in Loop: Header=BB200_13 Depth=1
                                        ; implicit-def: $sgpr30_sgpr31
	s_branch .LBB200_15
.LBB200_19:
	s_load_dword s14, s[4:5], 0x500
	s_load_dwordx2 s[36:37], s[12:13], 0xd0
	s_add_u32 s0, s4, 0x368
	s_addc_u32 s1, s5, 0
	s_mov_b64 s[34:35], 0
	s_waitcnt lgkmcnt(0)
	s_cmp_lt_i32 s14, 2
	s_cbranch_scc1 .LBB200_27
; %bb.20:
	s_mov_b32 s12, 0
	s_add_i32 s23, s14, 1
	s_add_i32 s14, s14, -1
	s_mov_b32 s15, s12
	s_lshl_b64 s[14:15], s[14:15], 3
	s_add_u32 s0, s14, s0
	s_addc_u32 s1, s15, s1
	s_add_u32 s14, s0, 8
	s_addc_u32 s15, s1, 0
	s_mov_b64 s[16:17], s[2:3]
.LBB200_21:                             ; =>This Inner Loop Header: Depth=1
	s_load_dwordx2 s[18:19], s[14:15], 0x0
	s_waitcnt lgkmcnt(0)
	s_or_b64 s[0:1], s[16:17], s[18:19]
	s_mov_b32 s13, s1
	s_cmp_lg_u64 s[12:13], 0
	s_cbranch_scc0 .LBB200_26
; %bb.22:                               ;   in Loop: Header=BB200_21 Depth=1
	v_cvt_f32_u32_e32 v1, s18
	v_cvt_f32_u32_e32 v2, s19
	s_sub_u32 s0, 0, s18
	s_subb_u32 s1, 0, s19
	v_mac_f32_e32 v1, 0x4f800000, v2
	v_rcp_f32_e32 v1, v1
	v_mul_f32_e32 v1, 0x5f7ffffc, v1
	v_mul_f32_e32 v2, 0x2f800000, v1
	v_trunc_f32_e32 v2, v2
	v_mac_f32_e32 v1, 0xcf800000, v2
	v_cvt_u32_f32_e32 v2, v2
	v_cvt_u32_f32_e32 v1, v1
	v_readfirstlane_b32 s13, v2
	v_readfirstlane_b32 s38, v1
	s_mul_i32 s39, s0, s13
	s_mul_hi_u32 s41, s0, s38
	s_mul_i32 s40, s1, s38
	s_add_i32 s39, s41, s39
	s_mul_i32 s42, s0, s38
	s_add_i32 s39, s39, s40
	s_mul_hi_u32 s40, s38, s39
	s_mul_i32 s41, s38, s39
	s_mul_hi_u32 s38, s38, s42
	s_add_u32 s38, s38, s41
	s_addc_u32 s40, 0, s40
	s_mul_hi_u32 s43, s13, s42
	s_mul_i32 s42, s13, s42
	s_add_u32 s38, s38, s42
	s_mul_hi_u32 s41, s13, s39
	s_addc_u32 s38, s40, s43
	s_addc_u32 s40, s41, 0
	s_mul_i32 s39, s13, s39
	s_add_u32 s38, s38, s39
	s_addc_u32 s39, 0, s40
	v_add_co_u32_e32 v1, vcc, s38, v1
	s_cmp_lg_u64 vcc, 0
	s_addc_u32 s13, s13, s39
	v_readfirstlane_b32 s39, v1
	s_mul_i32 s38, s0, s13
	s_mul_hi_u32 s40, s0, s39
	s_add_i32 s38, s40, s38
	s_mul_i32 s1, s1, s39
	s_add_i32 s38, s38, s1
	s_mul_i32 s0, s0, s39
	s_mul_hi_u32 s40, s13, s0
	s_mul_i32 s41, s13, s0
	s_mul_i32 s43, s39, s38
	s_mul_hi_u32 s0, s39, s0
	s_mul_hi_u32 s42, s39, s38
	s_add_u32 s0, s0, s43
	s_addc_u32 s39, 0, s42
	s_add_u32 s0, s0, s41
	s_mul_hi_u32 s1, s13, s38
	s_addc_u32 s0, s39, s40
	s_addc_u32 s1, s1, 0
	s_mul_i32 s38, s13, s38
	s_add_u32 s0, s0, s38
	s_addc_u32 s1, 0, s1
	v_add_co_u32_e32 v1, vcc, s0, v1
	s_cmp_lg_u64 vcc, 0
	s_addc_u32 s0, s13, s1
	v_readfirstlane_b32 s38, v1
	s_mul_i32 s13, s16, s0
	s_mul_hi_u32 s39, s16, s38
	s_mul_hi_u32 s1, s16, s0
	s_add_u32 s13, s39, s13
	s_addc_u32 s1, 0, s1
	s_mul_hi_u32 s40, s17, s38
	s_mul_i32 s38, s17, s38
	s_add_u32 s13, s13, s38
	s_mul_hi_u32 s39, s17, s0
	s_addc_u32 s1, s1, s40
	s_addc_u32 s13, s39, 0
	s_mul_i32 s0, s17, s0
	s_add_u32 s38, s1, s0
	s_addc_u32 s13, 0, s13
	s_mul_i32 s0, s18, s13
	s_mul_hi_u32 s1, s18, s38
	s_add_i32 s0, s1, s0
	s_mul_i32 s1, s19, s38
	s_add_i32 s39, s0, s1
	s_mul_i32 s1, s18, s38
	v_mov_b32_e32 v1, s1
	s_sub_i32 s0, s17, s39
	v_sub_co_u32_e32 v1, vcc, s16, v1
	s_cmp_lg_u64 vcc, 0
	s_subb_u32 s40, s0, s19
	v_subrev_co_u32_e64 v2, s[0:1], s18, v1
	s_cmp_lg_u64 s[0:1], 0
	s_subb_u32 s0, s40, 0
	s_cmp_ge_u32 s0, s19
	v_readfirstlane_b32 s40, v2
	s_cselect_b32 s1, -1, 0
	s_cmp_ge_u32 s40, s18
	s_cselect_b32 s40, -1, 0
	s_cmp_eq_u32 s0, s19
	s_cselect_b32 s0, s40, s1
	s_add_u32 s1, s38, 1
	s_addc_u32 s40, s13, 0
	s_add_u32 s41, s38, 2
	s_addc_u32 s42, s13, 0
	s_cmp_lg_u32 s0, 0
	s_cselect_b32 s0, s41, s1
	s_cselect_b32 s1, s42, s40
	s_cmp_lg_u64 vcc, 0
	s_subb_u32 s39, s17, s39
	s_cmp_ge_u32 s39, s19
	v_readfirstlane_b32 s41, v1
	s_cselect_b32 s40, -1, 0
	s_cmp_ge_u32 s41, s18
	s_cselect_b32 s41, -1, 0
	s_cmp_eq_u32 s39, s19
	s_cselect_b32 s39, s41, s40
	s_cmp_lg_u32 s39, 0
	s_cselect_b32 s39, s1, s13
	s_cselect_b32 s38, s0, s38
	s_cbranch_execnz .LBB200_24
.LBB200_23:                             ;   in Loop: Header=BB200_21 Depth=1
	v_cvt_f32_u32_e32 v1, s18
	s_sub_i32 s0, 0, s18
	s_mov_b32 s39, s12
	v_rcp_iflag_f32_e32 v1, v1
	v_mul_f32_e32 v1, 0x4f7ffffe, v1
	v_cvt_u32_f32_e32 v1, v1
	v_readfirstlane_b32 s1, v1
	s_mul_i32 s0, s0, s1
	s_mul_hi_u32 s0, s1, s0
	s_add_i32 s1, s1, s0
	s_mul_hi_u32 s0, s16, s1
	s_mul_i32 s13, s0, s18
	s_sub_i32 s13, s16, s13
	s_add_i32 s1, s0, 1
	s_sub_i32 s38, s13, s18
	s_cmp_ge_u32 s13, s18
	s_cselect_b32 s0, s1, s0
	s_cselect_b32 s13, s38, s13
	s_add_i32 s1, s0, 1
	s_cmp_ge_u32 s13, s18
	s_cselect_b32 s38, s1, s0
.LBB200_24:                             ;   in Loop: Header=BB200_21 Depth=1
	s_mul_i32 s0, s38, s19
	s_mul_hi_u32 s1, s38, s18
	s_add_i32 s13, s1, s0
	s_load_dwordx2 s[0:1], s[14:15], 0xc8
	s_mul_i32 s19, s39, s18
	s_add_i32 s13, s13, s19
	s_mul_i32 s18, s38, s18
	s_sub_u32 s16, s16, s18
	s_subb_u32 s13, s17, s13
	s_waitcnt lgkmcnt(0)
	s_mul_i32 s13, s0, s13
	s_mul_hi_u32 s17, s0, s16
	s_add_i32 s13, s17, s13
	s_mul_i32 s1, s1, s16
	s_add_i32 s13, s13, s1
	s_mul_i32 s0, s0, s16
	s_add_u32 s34, s0, s34
	s_addc_u32 s35, s13, s35
	s_add_i32 s23, s23, -1
	s_add_u32 s14, s14, -8
	s_addc_u32 s15, s15, -1
	s_cmp_gt_u32 s23, 2
	s_cbranch_scc0 .LBB200_28
; %bb.25:                               ;   in Loop: Header=BB200_21 Depth=1
	s_mov_b64 s[16:17], s[38:39]
	s_branch .LBB200_21
.LBB200_26:                             ;   in Loop: Header=BB200_21 Depth=1
                                        ; implicit-def: $sgpr38_sgpr39
	s_branch .LBB200_23
.LBB200_27:
	s_mov_b64 s[38:39], s[2:3]
.LBB200_28:
	s_load_dwordx4 s[12:15], s[4:5], 0x518
	s_load_dwordx2 s[44:45], s[4:5], 0x0
	s_load_dwordx2 s[42:43], s[4:5], 0x1c0
	;; [unrolled: 1-line block ×4, first 2 shown]
	s_lshl_b64 s[0:1], s[2:3], 2
	s_waitcnt lgkmcnt(0)
	s_add_u32 s0, s12, s0
	s_addc_u32 s1, s13, s1
	s_load_dword s55, s[0:1], 0x0
	s_mov_b32 s23, 0
	v_cmp_ne_u32_e64 s[0:1], 0, v0
	v_cmp_eq_u32_e64 s[2:3], 0, v0
	s_and_saveexec_b64 s[12:13], s[2:3]
	s_cbranch_execz .LBB200_44
; %bb.29:
	s_load_dwordx2 s[48:49], s[4:5], 0x528
	s_lshl_b64 s[50:51], s[22:23], 2
	s_add_u32 s16, s14, s50
	s_addc_u32 s17, s15, s51
	s_mov_b32 s22, 0
	s_waitcnt lgkmcnt(0)
	s_add_u32 s18, s48, s50
	s_addc_u32 s19, s49, s51
	s_mov_b32 s56, 0
	s_cmp_lt_u32 s21, 4
	s_cbranch_scc1 .LBB200_41
; %bb.30:
	s_mov_b32 s57, 0
.LBB200_31:                             ; =>This Inner Loop Header: Depth=1
	s_add_u32 s16, s14, s50
	s_addc_u32 s17, s15, s51
	s_load_dwordx4 s[16:19], s[16:17], 0x0
	s_add_u32 s52, s48, s50
	s_addc_u32 s53, s49, s51
	s_cmp_ge_u32 s57, s54
	s_cbranch_scc0 .LBB200_38
; %bb.32:                               ;   in Loop: Header=BB200_31 Depth=1
	s_add_i32 s58, s57, 1
	s_cmp_ge_u32 s58, s54
	s_cbranch_scc0 .LBB200_39
.LBB200_33:                             ;   in Loop: Header=BB200_31 Depth=1
	s_add_i32 s58, s58, 1
	s_cmp_ge_u32 s58, s54
	s_cbranch_scc0 .LBB200_40
.LBB200_34:                             ;   in Loop: Header=BB200_31 Depth=1
	s_add_i32 s58, s58, 1
	s_cmp_ge_u32 s58, s54
	s_cbranch_scc1 .LBB200_36
.LBB200_35:                             ;   in Loop: Header=BB200_31 Depth=1
	s_load_dword s52, s[52:53], 0xc
	s_waitcnt lgkmcnt(0)
	s_add_i32 s23, s23, s19
	s_add_i32 s22, s52, s22
.LBB200_36:                             ;   in Loop: Header=BB200_31 Depth=1
	s_waitcnt lgkmcnt(0)
	s_add_i32 s16, s16, s56
	s_add_i32 s16, s16, s17
	s_add_i32 s16, s16, s18
	s_add_i32 s56, s16, s19
	s_add_u32 s14, s14, 16
	s_addc_u32 s15, s15, 0
	s_add_u32 s48, s48, 16
	s_addc_u32 s49, s49, 0
	s_add_i32 s53, s58, 4
	s_add_u32 s18, s48, s50
	s_addc_u32 s19, s49, s51
	s_add_u32 s16, s14, s50
	s_addc_u32 s17, s15, s51
	s_add_i32 s52, s58, 1
	s_cmp_ge_u32 s53, s21
	s_cbranch_scc1 .LBB200_42
; %bb.37:                               ;   in Loop: Header=BB200_31 Depth=1
	s_mov_b32 s57, s52
	s_branch .LBB200_31
.LBB200_38:                             ;   in Loop: Header=BB200_31 Depth=1
	s_load_dword s58, s[52:53], 0x0
	s_waitcnt lgkmcnt(0)
	s_add_i32 s23, s16, s23
	s_add_i32 s22, s58, s22
	;; [unrolled: 1-line block ×3, first 2 shown]
	s_cmp_ge_u32 s58, s54
	s_cbranch_scc1 .LBB200_33
.LBB200_39:                             ;   in Loop: Header=BB200_31 Depth=1
	s_load_dword s59, s[52:53], 0x4
	s_waitcnt lgkmcnt(0)
	s_add_i32 s23, s23, s17
	s_add_i32 s22, s59, s22
	;; [unrolled: 1-line block ×3, first 2 shown]
	s_cmp_ge_u32 s58, s54
	s_cbranch_scc1 .LBB200_34
.LBB200_40:                             ;   in Loop: Header=BB200_31 Depth=1
	s_load_dword s59, s[52:53], 0x8
	s_waitcnt lgkmcnt(0)
	s_add_i32 s23, s23, s18
	s_add_i32 s22, s59, s22
	;; [unrolled: 1-line block ×3, first 2 shown]
	s_cmp_ge_u32 s58, s54
	s_cbranch_scc0 .LBB200_35
	s_branch .LBB200_36
.LBB200_41:
	s_mov_b32 s14, 0
	s_cmp_ge_u32 s14, s21
	s_cbranch_scc0 .LBB200_65
	s_branch .LBB200_43
.LBB200_42:
	s_add_i32 s14, s57, 4
	s_cmp_ge_u32 s14, s21
	s_cbranch_scc0 .LBB200_65
.LBB200_43:
	v_mov_b32_e32 v2, s22
	v_mov_b32_e32 v3, s56
	;; [unrolled: 1-line block ×4, first 2 shown]
	ds_write_b96 v1, v[2:4] offset:1056
.LBB200_44:
	s_or_b64 exec, exec, s[12:13]
	s_cmp_eq_u32 s20, 0
	s_waitcnt lgkmcnt(0)
	s_barrier
	s_cbranch_scc1 .LBB200_67
; %bb.45:
	s_mul_i32 s14, s28, s25
	s_mul_hi_u32 s15, s28, s24
	s_mul_i32 s12, s36, s31
	s_mul_hi_u32 s13, s36, s30
	s_add_i32 s14, s15, s14
	s_mul_i32 s15, s29, s24
	s_mul_i32 s16, s46, s39
	s_mul_hi_u32 s17, s46, s38
	s_add_i32 s12, s13, s12
	s_mul_i32 s13, s37, s30
	s_add_i32 s15, s14, s15
	s_mul_i32 s14, s28, s24
	;; [unrolled: 2-line block ×3, first 2 shown]
	s_add_i32 s13, s12, s13
	s_add_i32 s17, s16, s17
	s_lshl_b64 s[14:15], s[14:15], 2
	s_add_u32 s14, s44, s14
	s_addc_u32 s15, s45, s15
	s_lshl_b64 s[6:7], s[6:7], 2
	s_mul_i32 s12, s36, s30
	s_add_u32 s21, s14, s6
	s_addc_u32 s22, s15, s7
	s_lshl_b64 s[6:7], s[12:13], 2
	s_add_u32 s12, s42, s6
	s_addc_u32 s13, s43, s7
	s_lshl_b64 s[6:7], s[26:27], 2
	s_mul_i32 s16, s46, s38
	s_add_u32 s23, s12, s6
	s_addc_u32 s24, s13, s7
	s_lshl_b64 s[6:7], s[16:17], 3
	s_add_u32 s12, s40, s6
	s_addc_u32 s13, s41, s7
	s_lshl_b64 s[6:7], s[34:35], 3
	s_add_u32 s25, s12, s6
	v_mov_b32_e32 v1, 0
	s_addc_u32 s26, s13, s7
	ds_read_b96 v[2:4], v1 offset:1056
	s_cmp_gt_i32 s55, -1
	s_cselect_b32 s12, 0x80000000, -1
	v_cmp_o_f32_e64 s[6:7], s55, s55
	s_xor_b32 s12, s12, s55
	s_and_b64 s[6:7], s[6:7], exec
	s_load_dword s6, s[4:5], 0x1b0
	s_waitcnt lgkmcnt(0)
	v_add_u32_e32 v2, v2, v3
	v_lshrrev_b32_e32 v3, 5, v0
	s_cselect_b32 s27, s12, -1
	s_load_dwordx2 s[12:13], s[4:5], 0x1b8
	s_load_dwordx2 s[14:15], s[4:5], 0x360
	;; [unrolled: 1-line block ×3, first 2 shown]
	v_add_lshl_u32 v5, v3, v0, 2
	v_lshlrev_b32_e32 v3, 2, v0
	v_lshrrev_b32_e32 v6, 3, v0
	v_add_lshl_u32 v8, v6, v3, 2
	v_add_u32_e32 v3, -1, v0
	v_lshrrev_b32_e32 v6, 5, v3
	v_add_lshl_u32 v9, v6, v3, 2
	v_mbcnt_lo_u32_b32 v3, -1, 0
	s_bitcmp1_b32 s6, 0
	v_mbcnt_hi_u32_b32 v11, -1, v3
	s_cselect_b64 s[4:5], -1, 0
	v_cmp_gt_u32_e64 s[6:7], 64, v0
	v_add_u32_e32 v0, s33, v0
	v_bfrev_b32_e32 v10, 1
	v_and_b32_e32 v12, 15, v11
	v_bfe_i32 v13, v11, 4, 1
	v_add_u32_e32 v14, -1, v11
	v_and_b32_e32 v15, 64, v11
                                        ; implicit-def: $vgpr16
	s_branch .LBB200_48
.LBB200_46:                             ;   in Loop: Header=BB200_48 Depth=1
	s_or_b64 exec, exec, s[18:19]
	v_add_u32_e32 v2, v3, v2
.LBB200_47:                             ;   in Loop: Header=BB200_48 Depth=1
	s_add_i32 s20, s20, -1
	v_add_u32_e32 v4, v17, v4
	s_cmp_lg_u32 s20, 0
	v_add_u32_e32 v0, 0x100, v0
	s_cbranch_scc0 .LBB200_67
.LBB200_48:                             ; =>This Inner Loop Header: Depth=1
	v_cmp_gt_u64_e32 vcc, s[8:9], v[0:1]
	v_mov_b32_e32 v3, v1
	v_mov_b32_e32 v6, v1
	s_and_saveexec_b64 s[18:19], vcc
	s_cbranch_execz .LBB200_50
; %bb.49:                               ;   in Loop: Header=BB200_48 Depth=1
	s_waitcnt lgkmcnt(0)
	v_mad_u64_u32 v[6:7], s[28:29], v0, s12, 0
	v_mov_b32_e32 v16, v7
	v_mad_u64_u32 v[16:17], s[28:29], v0, s13, v[16:17]
	v_mov_b32_e32 v7, v16
	v_lshlrev_b64 v[6:7], 2, v[6:7]
	v_mov_b32_e32 v3, s22
	v_add_co_u32_e32 v6, vcc, s21, v6
	v_addc_co_u32_e32 v7, vcc, v3, v7, vcc
	global_load_dword v16, v[6:7], off
	s_waitcnt vmcnt(0)
	v_cmp_lt_i32_e32 vcc, -1, v16
	v_cndmask_b32_e32 v3, -1, v10, vcc
	v_xor_b32_e32 v3, v3, v16
	v_cmp_o_f32_e32 vcc, v16, v16
	v_cndmask_b32_e32 v6, -1, v3, vcc
	v_cmp_lt_u32_e32 vcc, s27, v6
	v_cndmask_b32_e64 v3, 0, 1, vcc
	v_cmp_gt_u32_e32 vcc, s27, v6
	v_cndmask_b32_e64 v7, 0, 1, vcc
	v_cndmask_b32_e64 v3, v7, v3, s[4:5]
	v_cmp_eq_u32_e32 vcc, s27, v6
	v_and_b32_e32 v3, 1, v3
	v_cndmask_b32_e64 v6, 0, 1, vcc
.LBB200_50:                             ;   in Loop: Header=BB200_48 Depth=1
	s_or_b64 exec, exec, s[18:19]
	ds_write_b32 v5, v3
	s_waitcnt lgkmcnt(0)
	s_barrier
	s_and_saveexec_b64 s[18:19], s[6:7]
	s_cbranch_execz .LBB200_52
; %bb.51:                               ;   in Loop: Header=BB200_48 Depth=1
	ds_read2_b32 v[18:19], v8 offset1:1
	ds_read2_b32 v[20:21], v8 offset0:2 offset1:3
	v_cmp_ne_u32_e32 vcc, 0, v12
	; wave barrier
	s_waitcnt lgkmcnt(1)
	v_add_u32_e32 v7, v19, v18
	s_waitcnt lgkmcnt(0)
	v_add3_u32 v7, v7, v20, v21
	s_nop 1
	v_mov_b32_dpp v17, v7 row_shr:1 row_mask:0xf bank_mask:0xf
	v_cndmask_b32_e32 v17, 0, v17, vcc
	v_add_u32_e32 v7, v17, v7
	v_cmp_lt_u32_e32 vcc, 1, v12
	s_nop 0
	v_mov_b32_dpp v17, v7 row_shr:2 row_mask:0xf bank_mask:0xf
	v_cndmask_b32_e32 v17, 0, v17, vcc
	v_add_u32_e32 v7, v7, v17
	v_cmp_lt_u32_e32 vcc, 3, v12
	;; [unrolled: 5-line block ×4, first 2 shown]
	s_nop 0
	v_mov_b32_dpp v17, v7 row_bcast:15 row_mask:0xf bank_mask:0xf
	v_and_b32_e32 v17, v13, v17
	v_add_u32_e32 v7, v7, v17
	s_nop 1
	v_mov_b32_dpp v17, v7 row_bcast:31 row_mask:0xf bank_mask:0xf
	v_cndmask_b32_e32 v17, 0, v17, vcc
	v_cmp_lt_i32_e32 vcc, v14, v15
	v_add_u32_e32 v7, v7, v17
	v_cndmask_b32_e32 v17, v14, v11, vcc
	v_lshlrev_b32_e32 v17, 2, v17
	ds_bpermute_b32 v7, v17, v7
	s_waitcnt lgkmcnt(0)
	v_add_u32_e32 v7, v7, v18
	v_cndmask_b32_e64 v7, v7, v3, s[2:3]
	ds_write_b32 v8, v7
	; wave barrier
	ds_read2_b32 v[18:19], v8 offset0:1 offset1:2
	ds_read_b32 v17, v8 offset:12
	s_waitcnt lgkmcnt(1)
	v_add_u32_e32 v7, v18, v7
	v_add_u32_e32 v18, v19, v7
	ds_write2_b32 v8, v7, v18 offset0:1 offset1:2
	s_waitcnt lgkmcnt(1)
	v_add_u32_e32 v7, v17, v18
	ds_write_b32 v8, v7 offset:12
.LBB200_52:                             ;   in Loop: Header=BB200_48 Depth=1
	s_or_b64 exec, exec, s[18:19]
	v_mov_b32_e32 v7, 0
	s_waitcnt lgkmcnt(0)
	s_barrier
	s_and_saveexec_b64 s[18:19], s[0:1]
	s_cbranch_execz .LBB200_54
; %bb.53:                               ;   in Loop: Header=BB200_48 Depth=1
	ds_read_b32 v7, v9
.LBB200_54:                             ;   in Loop: Header=BB200_48 Depth=1
	s_or_b64 exec, exec, s[18:19]
	ds_read_b32 v17, v1 offset:1048
	v_cmp_ne_u32_e32 vcc, 0, v3
	s_waitcnt lgkmcnt(0)
	s_barrier
	s_and_saveexec_b64 s[18:19], vcc
	s_cbranch_execz .LBB200_56
; %bb.55:                               ;   in Loop: Header=BB200_48 Depth=1
	v_add_u32_e32 v3, v7, v4
	v_mad_u64_u32 v[18:19], s[28:29], v3, s14, 0
	v_mov_b32_e32 v20, v19
	v_mad_u64_u32 v[20:21], s[28:29], v3, s15, v[20:21]
	v_mov_b32_e32 v19, v20
	v_lshlrev_b64 v[18:19], 2, v[18:19]
	v_mov_b32_e32 v7, s24
	v_add_co_u32_e32 v18, vcc, s23, v18
	v_addc_co_u32_e32 v19, vcc, v7, v19, vcc
	global_store_dword v[18:19], v16, off
	v_mad_u64_u32 v[18:19], s[28:29], v3, s16, 0
	v_mov_b32_e32 v20, v19
	v_mad_u64_u32 v[20:21], s[28:29], v3, s17, v[20:21]
	v_mov_b32_e32 v19, v20
	v_lshlrev_b64 v[18:19], 3, v[18:19]
	v_mov_b32_e32 v3, s26
	v_add_co_u32_e32 v18, vcc, s25, v18
	v_addc_co_u32_e32 v19, vcc, v3, v19, vcc
	global_store_dwordx2 v[18:19], v[0:1], off
.LBB200_56:                             ;   in Loop: Header=BB200_48 Depth=1
	s_or_b64 exec, exec, s[18:19]
	v_mov_b32_e32 v3, v1
	v_cmp_le_u64_e32 vcc, s[10:11], v[2:3]
	s_cbranch_vccnz .LBB200_47
; %bb.57:                               ;   in Loop: Header=BB200_48 Depth=1
	ds_write_b32 v5, v6
	s_waitcnt lgkmcnt(0)
	s_barrier
	s_and_saveexec_b64 s[18:19], s[6:7]
	s_cbranch_execz .LBB200_59
; %bb.58:                               ;   in Loop: Header=BB200_48 Depth=1
	ds_read2_b32 v[18:19], v8 offset1:1
	ds_read2_b32 v[20:21], v8 offset0:2 offset1:3
	v_cmp_ne_u32_e32 vcc, 0, v12
	; wave barrier
	s_waitcnt lgkmcnt(1)
	v_add_u32_e32 v3, v19, v18
	s_waitcnt lgkmcnt(0)
	v_add3_u32 v3, v3, v20, v21
	s_nop 1
	v_mov_b32_dpp v7, v3 row_shr:1 row_mask:0xf bank_mask:0xf
	v_cndmask_b32_e32 v7, 0, v7, vcc
	v_add_u32_e32 v3, v7, v3
	v_cmp_lt_u32_e32 vcc, 1, v12
	s_nop 0
	v_mov_b32_dpp v7, v3 row_shr:2 row_mask:0xf bank_mask:0xf
	v_cndmask_b32_e32 v7, 0, v7, vcc
	v_add_u32_e32 v3, v3, v7
	v_cmp_lt_u32_e32 vcc, 3, v12
	;; [unrolled: 5-line block ×4, first 2 shown]
	s_nop 0
	v_mov_b32_dpp v7, v3 row_bcast:15 row_mask:0xf bank_mask:0xf
	v_and_b32_e32 v7, v13, v7
	v_add_u32_e32 v3, v3, v7
	s_nop 1
	v_mov_b32_dpp v7, v3 row_bcast:31 row_mask:0xf bank_mask:0xf
	v_cndmask_b32_e32 v7, 0, v7, vcc
	v_cmp_lt_i32_e32 vcc, v14, v15
	v_add_u32_e32 v3, v3, v7
	v_cndmask_b32_e32 v7, v14, v11, vcc
	v_lshlrev_b32_e32 v7, 2, v7
	ds_bpermute_b32 v3, v7, v3
	s_waitcnt lgkmcnt(0)
	v_add_u32_e32 v3, v3, v18
	v_cndmask_b32_e64 v3, v3, v6, s[2:3]
	ds_write_b32 v8, v3
	; wave barrier
	ds_read2_b32 v[18:19], v8 offset0:1 offset1:2
	ds_read_b32 v7, v8 offset:12
	s_waitcnt lgkmcnt(1)
	v_add_u32_e32 v3, v18, v3
	v_add_u32_e32 v18, v19, v3
	ds_write2_b32 v8, v3, v18 offset0:1 offset1:2
	s_waitcnt lgkmcnt(1)
	v_add_u32_e32 v3, v7, v18
	ds_write_b32 v8, v3 offset:12
.LBB200_59:                             ;   in Loop: Header=BB200_48 Depth=1
	s_or_b64 exec, exec, s[18:19]
	v_mov_b32_e32 v7, 0
	s_waitcnt lgkmcnt(0)
	s_barrier
	s_and_saveexec_b64 s[18:19], s[0:1]
	s_cbranch_execz .LBB200_61
; %bb.60:                               ;   in Loop: Header=BB200_48 Depth=1
	ds_read_b32 v7, v9
.LBB200_61:                             ;   in Loop: Header=BB200_48 Depth=1
	s_or_b64 exec, exec, s[18:19]
	ds_read_b32 v3, v1 offset:1048
	v_cmp_ne_u32_e32 vcc, 0, v6
	s_waitcnt lgkmcnt(0)
	s_barrier
	s_and_saveexec_b64 s[18:19], vcc
	s_cbranch_execz .LBB200_46
; %bb.62:                               ;   in Loop: Header=BB200_48 Depth=1
	v_add_u32_e32 v6, v7, v2
	v_mov_b32_e32 v7, v1
	v_cmp_gt_u64_e32 vcc, s[10:11], v[6:7]
	s_and_b64 exec, exec, vcc
	s_cbranch_execz .LBB200_46
; %bb.63:                               ;   in Loop: Header=BB200_48 Depth=1
	v_mad_u64_u32 v[18:19], s[28:29], v6, s14, 0
	v_mov_b32_e32 v20, v19
	v_mad_u64_u32 v[20:21], s[28:29], v6, s15, v[20:21]
	v_mov_b32_e32 v19, v20
	v_lshlrev_b64 v[18:19], 2, v[18:19]
	v_mov_b32_e32 v7, s24
	v_add_co_u32_e32 v18, vcc, s23, v18
	v_addc_co_u32_e32 v19, vcc, v7, v19, vcc
	global_store_dword v[18:19], v16, off
	v_mad_u64_u32 v[18:19], s[28:29], v6, s16, 0
	v_mov_b32_e32 v20, v19
	v_mad_u64_u32 v[6:7], s[28:29], v6, s17, v[20:21]
	v_mov_b32_e32 v19, v6
	v_lshlrev_b64 v[6:7], 3, v[18:19]
	v_mov_b32_e32 v18, s26
	v_add_co_u32_e32 v6, vcc, s25, v6
	v_addc_co_u32_e32 v7, vcc, v18, v7, vcc
	global_store_dwordx2 v[6:7], v[0:1], off
	s_branch .LBB200_46
.LBB200_64:                             ;   in Loop: Header=BB200_65 Depth=1
	s_add_u32 s16, s16, 4
	s_addc_u32 s17, s17, 0
	s_waitcnt lgkmcnt(0)
	s_add_i32 s56, s15, s56
	s_add_u32 s18, s18, 4
	s_addc_u32 s19, s19, 0
	s_add_i32 s14, s14, 1
	s_cmp_lt_u32 s14, s21
	s_cbranch_scc0 .LBB200_43
.LBB200_65:                             ; =>This Inner Loop Header: Depth=1
	s_load_dword s15, s[16:17], 0x0
	s_cmp_ge_u32 s14, s54
	s_cbranch_scc1 .LBB200_64
; %bb.66:                               ;   in Loop: Header=BB200_65 Depth=1
	s_load_dword s48, s[18:19], 0x0
	s_waitcnt lgkmcnt(0)
	s_add_i32 s23, s15, s23
	s_add_i32 s22, s48, s22
	s_branch .LBB200_64
.LBB200_67:
	s_endpgm
	.section	.rodata,"a",@progbits
	.p2align	6, 0x0
	.amdhsa_kernel _ZN2at6native6mbtopk10gatherTopKIfmLin1EEEvNS_4cuda6detail10TensorInfoIKT_T0_EES8_S8_bjS8_NS5_IS6_S8_EES8_NS5_IlS8_EES8_jjPS6_PjSD_j
		.amdhsa_group_segment_fixed_size 1068
		.amdhsa_private_segment_fixed_size 0
		.amdhsa_kernarg_size 1592
		.amdhsa_user_sgpr_count 6
		.amdhsa_user_sgpr_private_segment_buffer 1
		.amdhsa_user_sgpr_dispatch_ptr 0
		.amdhsa_user_sgpr_queue_ptr 0
		.amdhsa_user_sgpr_kernarg_segment_ptr 1
		.amdhsa_user_sgpr_dispatch_id 0
		.amdhsa_user_sgpr_flat_scratch_init 0
		.amdhsa_user_sgpr_kernarg_preload_length 0
		.amdhsa_user_sgpr_kernarg_preload_offset 0
		.amdhsa_user_sgpr_private_segment_size 0
		.amdhsa_uses_dynamic_stack 0
		.amdhsa_system_sgpr_private_segment_wavefront_offset 0
		.amdhsa_system_sgpr_workgroup_id_x 1
		.amdhsa_system_sgpr_workgroup_id_y 1
		.amdhsa_system_sgpr_workgroup_id_z 1
		.amdhsa_system_sgpr_workgroup_info 0
		.amdhsa_system_vgpr_workitem_id 0
		.amdhsa_next_free_vgpr 22
		.amdhsa_next_free_sgpr 60
		.amdhsa_accum_offset 24
		.amdhsa_reserve_vcc 1
		.amdhsa_reserve_flat_scratch 0
		.amdhsa_float_round_mode_32 0
		.amdhsa_float_round_mode_16_64 0
		.amdhsa_float_denorm_mode_32 3
		.amdhsa_float_denorm_mode_16_64 3
		.amdhsa_dx10_clamp 1
		.amdhsa_ieee_mode 1
		.amdhsa_fp16_overflow 0
		.amdhsa_tg_split 0
		.amdhsa_exception_fp_ieee_invalid_op 0
		.amdhsa_exception_fp_denorm_src 0
		.amdhsa_exception_fp_ieee_div_zero 0
		.amdhsa_exception_fp_ieee_overflow 0
		.amdhsa_exception_fp_ieee_underflow 0
		.amdhsa_exception_fp_ieee_inexact 0
		.amdhsa_exception_int_div_zero 0
	.end_amdhsa_kernel
	.section	.text._ZN2at6native6mbtopk10gatherTopKIfmLin1EEEvNS_4cuda6detail10TensorInfoIKT_T0_EES8_S8_bjS8_NS5_IS6_S8_EES8_NS5_IlS8_EES8_jjPS6_PjSD_j,"axG",@progbits,_ZN2at6native6mbtopk10gatherTopKIfmLin1EEEvNS_4cuda6detail10TensorInfoIKT_T0_EES8_S8_bjS8_NS5_IS6_S8_EES8_NS5_IlS8_EES8_jjPS6_PjSD_j,comdat
.Lfunc_end200:
	.size	_ZN2at6native6mbtopk10gatherTopKIfmLin1EEEvNS_4cuda6detail10TensorInfoIKT_T0_EES8_S8_bjS8_NS5_IS6_S8_EES8_NS5_IlS8_EES8_jjPS6_PjSD_j, .Lfunc_end200-_ZN2at6native6mbtopk10gatherTopKIfmLin1EEEvNS_4cuda6detail10TensorInfoIKT_T0_EES8_S8_bjS8_NS5_IS6_S8_EES8_NS5_IlS8_EES8_jjPS6_PjSD_j
                                        ; -- End function
	.section	.AMDGPU.csdata,"",@progbits
; Kernel info:
; codeLenInByte = 4664
; NumSgprs: 64
; NumVgprs: 22
; NumAgprs: 0
; TotalNumVgprs: 22
; ScratchSize: 0
; MemoryBound: 0
; FloatMode: 240
; IeeeMode: 1
; LDSByteSize: 1068 bytes/workgroup (compile time only)
; SGPRBlocks: 7
; VGPRBlocks: 2
; NumSGPRsForWavesPerEU: 64
; NumVGPRsForWavesPerEU: 22
; AccumOffset: 24
; Occupancy: 8
; WaveLimiterHint : 1
; COMPUTE_PGM_RSRC2:SCRATCH_EN: 0
; COMPUTE_PGM_RSRC2:USER_SGPR: 6
; COMPUTE_PGM_RSRC2:TRAP_HANDLER: 0
; COMPUTE_PGM_RSRC2:TGID_X_EN: 1
; COMPUTE_PGM_RSRC2:TGID_Y_EN: 1
; COMPUTE_PGM_RSRC2:TGID_Z_EN: 1
; COMPUTE_PGM_RSRC2:TIDIG_COMP_CNT: 0
; COMPUTE_PGM_RSRC3_GFX90A:ACCUM_OFFSET: 5
; COMPUTE_PGM_RSRC3_GFX90A:TG_SPLIT: 0
	.section	.text._ZN2at6native6sbtopk10gatherTopKIfmLin1ELb0EEEvNS_4cuda6detail10TensorInfoIKT_T0_EES8_S8_bS8_S8_NS5_IS6_S8_EES8_NS5_IlS8_EES8_PS6_,"axG",@progbits,_ZN2at6native6sbtopk10gatherTopKIfmLin1ELb0EEEvNS_4cuda6detail10TensorInfoIKT_T0_EES8_S8_bS8_S8_NS5_IS6_S8_EES8_NS5_IlS8_EES8_PS6_,comdat
	.protected	_ZN2at6native6sbtopk10gatherTopKIfmLin1ELb0EEEvNS_4cuda6detail10TensorInfoIKT_T0_EES8_S8_bS8_S8_NS5_IS6_S8_EES8_NS5_IlS8_EES8_PS6_ ; -- Begin function _ZN2at6native6sbtopk10gatherTopKIfmLin1ELb0EEEvNS_4cuda6detail10TensorInfoIKT_T0_EES8_S8_bS8_S8_NS5_IS6_S8_EES8_NS5_IlS8_EES8_PS6_
	.globl	_ZN2at6native6sbtopk10gatherTopKIfmLin1ELb0EEEvNS_4cuda6detail10TensorInfoIKT_T0_EES8_S8_bS8_S8_NS5_IS6_S8_EES8_NS5_IlS8_EES8_PS6_
	.p2align	8
	.type	_ZN2at6native6sbtopk10gatherTopKIfmLin1ELb0EEEvNS_4cuda6detail10TensorInfoIKT_T0_EES8_S8_bS8_S8_NS5_IS6_S8_EES8_NS5_IlS8_EES8_PS6_,@function
_ZN2at6native6sbtopk10gatherTopKIfmLin1ELb0EEEvNS_4cuda6detail10TensorInfoIKT_T0_EES8_S8_bS8_S8_NS5_IS6_S8_EES8_NS5_IlS8_EES8_PS6_: ; @_ZN2at6native6sbtopk10gatherTopKIfmLin1ELb0EEEvNS_4cuda6detail10TensorInfoIKT_T0_EES8_S8_bS8_S8_NS5_IS6_S8_EES8_NS5_IlS8_EES8_PS6_
; %bb.0:
	s_load_dwordx4 s[56:59], s[4:5], 0x1b8
	s_load_dwordx2 s[10:11], s[4:5], 0x520
	s_add_u32 s34, s4, 0x520
	s_addc_u32 s35, s5, 0
	s_mov_b32 s9, 0
	s_waitcnt lgkmcnt(0)
	v_mov_b32_e32 v2, s56
	s_mul_i32 s0, s11, s8
	s_add_i32 s0, s0, s7
	s_mul_i32 s0, s0, s10
	v_mov_b32_e32 v3, s57
	s_add_i32 s8, s0, s6
	v_cmp_ge_u64_e32 vcc, s[8:9], v[2:3]
	s_cbranch_vccnz .LBB201_508
; %bb.1:
	s_load_dword s0, s[4:5], 0x198
	s_mov_b64 s[2:3], 0
	s_mov_b64 s[12:13], s[8:9]
	s_waitcnt lgkmcnt(0)
	s_cmp_lt_i32 s0, 2
	s_cbranch_scc1 .LBB201_9
; %bb.2:
	s_mov_b32 s14, 0
	s_add_i32 s7, s0, 1
	s_add_i32 s0, s0, -1
	s_mov_b32 s1, s14
	s_lshl_b64 s[0:1], s[0:1], 3
	s_add_u32 s0, s0, s4
	s_addc_u32 s1, s1, s5
	s_add_u32 s16, s0, 8
	s_addc_u32 s17, s1, 0
	s_mov_b64 s[18:19], s[8:9]
.LBB201_3:                              ; =>This Inner Loop Header: Depth=1
	s_load_dwordx2 s[20:21], s[16:17], 0x0
	s_waitcnt lgkmcnt(0)
	s_or_b64 s[0:1], s[18:19], s[20:21]
	s_mov_b32 s15, s1
	s_cmp_lg_u64 s[14:15], 0
	s_cbranch_scc0 .LBB201_8
; %bb.4:                                ;   in Loop: Header=BB201_3 Depth=1
	v_cvt_f32_u32_e32 v1, s20
	v_cvt_f32_u32_e32 v2, s21
	s_sub_u32 s0, 0, s20
	s_subb_u32 s1, 0, s21
	v_mac_f32_e32 v1, 0x4f800000, v2
	v_rcp_f32_e32 v1, v1
	v_mul_f32_e32 v1, 0x5f7ffffc, v1
	v_mul_f32_e32 v2, 0x2f800000, v1
	v_trunc_f32_e32 v2, v2
	v_mac_f32_e32 v1, 0xcf800000, v2
	v_cvt_u32_f32_e32 v2, v2
	v_cvt_u32_f32_e32 v1, v1
	v_readfirstlane_b32 s11, v2
	v_readfirstlane_b32 s12, v1
	s_mul_i32 s13, s0, s11
	s_mul_hi_u32 s22, s0, s12
	s_mul_i32 s15, s1, s12
	s_add_i32 s13, s22, s13
	s_mul_i32 s23, s0, s12
	s_add_i32 s13, s13, s15
	s_mul_hi_u32 s15, s12, s13
	s_mul_i32 s22, s12, s13
	s_mul_hi_u32 s12, s12, s23
	s_add_u32 s12, s12, s22
	s_addc_u32 s15, 0, s15
	s_mul_hi_u32 s24, s11, s23
	s_mul_i32 s23, s11, s23
	s_add_u32 s12, s12, s23
	s_mul_hi_u32 s22, s11, s13
	s_addc_u32 s12, s15, s24
	s_addc_u32 s15, s22, 0
	s_mul_i32 s13, s11, s13
	s_add_u32 s12, s12, s13
	s_addc_u32 s13, 0, s15
	v_add_co_u32_e32 v1, vcc, s12, v1
	s_cmp_lg_u64 vcc, 0
	s_addc_u32 s11, s11, s13
	v_readfirstlane_b32 s13, v1
	s_mul_i32 s12, s0, s11
	s_mul_hi_u32 s15, s0, s13
	s_add_i32 s12, s15, s12
	s_mul_i32 s1, s1, s13
	s_add_i32 s12, s12, s1
	s_mul_i32 s0, s0, s13
	s_mul_hi_u32 s15, s11, s0
	s_mul_i32 s22, s11, s0
	s_mul_i32 s24, s13, s12
	s_mul_hi_u32 s0, s13, s0
	s_mul_hi_u32 s23, s13, s12
	s_add_u32 s0, s0, s24
	s_addc_u32 s13, 0, s23
	s_add_u32 s0, s0, s22
	s_mul_hi_u32 s1, s11, s12
	s_addc_u32 s0, s13, s15
	s_addc_u32 s1, s1, 0
	s_mul_i32 s12, s11, s12
	s_add_u32 s0, s0, s12
	s_addc_u32 s1, 0, s1
	v_add_co_u32_e32 v1, vcc, s0, v1
	s_cmp_lg_u64 vcc, 0
	s_addc_u32 s0, s11, s1
	v_readfirstlane_b32 s12, v1
	s_mul_i32 s11, s18, s0
	s_mul_hi_u32 s13, s18, s12
	s_mul_hi_u32 s1, s18, s0
	s_add_u32 s11, s13, s11
	s_addc_u32 s1, 0, s1
	s_mul_hi_u32 s15, s19, s12
	s_mul_i32 s12, s19, s12
	s_add_u32 s11, s11, s12
	s_mul_hi_u32 s13, s19, s0
	s_addc_u32 s1, s1, s15
	s_addc_u32 s11, s13, 0
	s_mul_i32 s0, s19, s0
	s_add_u32 s12, s1, s0
	s_addc_u32 s11, 0, s11
	s_mul_i32 s0, s20, s11
	s_mul_hi_u32 s1, s20, s12
	s_add_i32 s0, s1, s0
	s_mul_i32 s1, s21, s12
	s_add_i32 s13, s0, s1
	s_mul_i32 s1, s20, s12
	v_mov_b32_e32 v1, s1
	s_sub_i32 s0, s19, s13
	v_sub_co_u32_e32 v1, vcc, s18, v1
	s_cmp_lg_u64 vcc, 0
	s_subb_u32 s15, s0, s21
	v_subrev_co_u32_e64 v2, s[0:1], s20, v1
	s_cmp_lg_u64 s[0:1], 0
	s_subb_u32 s0, s15, 0
	s_cmp_ge_u32 s0, s21
	v_readfirstlane_b32 s15, v2
	s_cselect_b32 s1, -1, 0
	s_cmp_ge_u32 s15, s20
	s_cselect_b32 s15, -1, 0
	s_cmp_eq_u32 s0, s21
	s_cselect_b32 s0, s15, s1
	s_add_u32 s1, s12, 1
	s_addc_u32 s15, s11, 0
	s_add_u32 s22, s12, 2
	s_addc_u32 s23, s11, 0
	s_cmp_lg_u32 s0, 0
	s_cselect_b32 s0, s22, s1
	s_cselect_b32 s1, s23, s15
	s_cmp_lg_u64 vcc, 0
	s_subb_u32 s13, s19, s13
	s_cmp_ge_u32 s13, s21
	v_readfirstlane_b32 s22, v1
	s_cselect_b32 s15, -1, 0
	s_cmp_ge_u32 s22, s20
	s_cselect_b32 s22, -1, 0
	s_cmp_eq_u32 s13, s21
	s_cselect_b32 s13, s22, s15
	s_cmp_lg_u32 s13, 0
	s_cselect_b32 s13, s1, s11
	s_cselect_b32 s12, s0, s12
	s_cbranch_execnz .LBB201_6
.LBB201_5:                              ;   in Loop: Header=BB201_3 Depth=1
	v_cvt_f32_u32_e32 v1, s20
	s_sub_i32 s0, 0, s20
	s_mov_b32 s13, s14
	v_rcp_iflag_f32_e32 v1, v1
	v_mul_f32_e32 v1, 0x4f7ffffe, v1
	v_cvt_u32_f32_e32 v1, v1
	v_readfirstlane_b32 s1, v1
	s_mul_i32 s0, s0, s1
	s_mul_hi_u32 s0, s1, s0
	s_add_i32 s1, s1, s0
	s_mul_hi_u32 s0, s18, s1
	s_mul_i32 s11, s0, s20
	s_sub_i32 s11, s18, s11
	s_add_i32 s1, s0, 1
	s_sub_i32 s12, s11, s20
	s_cmp_ge_u32 s11, s20
	s_cselect_b32 s0, s1, s0
	s_cselect_b32 s11, s12, s11
	s_add_i32 s1, s0, 1
	s_cmp_ge_u32 s11, s20
	s_cselect_b32 s12, s1, s0
.LBB201_6:                              ;   in Loop: Header=BB201_3 Depth=1
	s_mul_i32 s0, s12, s21
	s_mul_hi_u32 s1, s12, s20
	s_add_i32 s11, s1, s0
	s_load_dwordx2 s[0:1], s[16:17], 0xc8
	s_mul_i32 s15, s13, s20
	s_add_i32 s11, s11, s15
	s_mul_i32 s15, s12, s20
	s_sub_u32 s15, s18, s15
	s_subb_u32 s11, s19, s11
	s_waitcnt lgkmcnt(0)
	s_mul_i32 s11, s0, s11
	s_mul_hi_u32 s18, s0, s15
	s_add_i32 s11, s18, s11
	s_mul_i32 s1, s1, s15
	s_add_i32 s11, s11, s1
	s_mul_i32 s0, s0, s15
	s_add_u32 s2, s0, s2
	s_addc_u32 s3, s11, s3
	s_add_i32 s7, s7, -1
	s_add_u32 s16, s16, -8
	s_addc_u32 s17, s17, -1
	s_cmp_gt_u32 s7, 2
	s_cbranch_scc0 .LBB201_9
; %bb.7:                                ;   in Loop: Header=BB201_3 Depth=1
	s_mov_b64 s[18:19], s[12:13]
	s_branch .LBB201_3
.LBB201_8:                              ;   in Loop: Header=BB201_3 Depth=1
                                        ; implicit-def: $sgpr12_sgpr13
	s_branch .LBB201_5
.LBB201_9:
	s_load_dword s0, s[4:5], 0x360
	s_load_dwordx2 s[14:15], s[4:5], 0xd0
	s_add_u32 s16, s4, 0x1c8
	s_addc_u32 s17, s5, 0
	s_mov_b64 s[56:57], 0
	s_waitcnt lgkmcnt(0)
	s_cmp_lt_i32 s0, 2
	s_mov_b64 s[28:29], s[8:9]
	s_cbranch_scc1 .LBB201_17
; %bb.10:
	s_mov_b32 s18, 0
	s_add_i32 s7, s0, 1
	s_add_i32 s0, s0, -1
	s_mov_b32 s1, s18
	s_lshl_b64 s[0:1], s[0:1], 3
	s_add_u32 s0, s0, s16
	s_addc_u32 s1, s1, s17
	s_add_u32 s20, s0, 8
	s_addc_u32 s21, s1, 0
	s_mov_b64 s[22:23], s[8:9]
.LBB201_11:                             ; =>This Inner Loop Header: Depth=1
	s_load_dwordx2 s[24:25], s[20:21], 0x0
	s_waitcnt lgkmcnt(0)
	s_or_b64 s[0:1], s[22:23], s[24:25]
	s_mov_b32 s19, s1
	s_cmp_lg_u64 s[18:19], 0
	s_cbranch_scc0 .LBB201_16
; %bb.12:                               ;   in Loop: Header=BB201_11 Depth=1
	v_cvt_f32_u32_e32 v1, s24
	v_cvt_f32_u32_e32 v2, s25
	s_sub_u32 s0, 0, s24
	s_subb_u32 s1, 0, s25
	v_mac_f32_e32 v1, 0x4f800000, v2
	v_rcp_f32_e32 v1, v1
	v_mul_f32_e32 v1, 0x5f7ffffc, v1
	v_mul_f32_e32 v2, 0x2f800000, v1
	v_trunc_f32_e32 v2, v2
	v_mac_f32_e32 v1, 0xcf800000, v2
	v_cvt_u32_f32_e32 v2, v2
	v_cvt_u32_f32_e32 v1, v1
	v_readfirstlane_b32 s11, v2
	v_readfirstlane_b32 s19, v1
	s_mul_i32 s26, s0, s11
	s_mul_hi_u32 s28, s0, s19
	s_mul_i32 s27, s1, s19
	s_add_i32 s26, s28, s26
	s_mul_i32 s29, s0, s19
	s_add_i32 s26, s26, s27
	s_mul_hi_u32 s27, s19, s26
	s_mul_i32 s28, s19, s26
	s_mul_hi_u32 s19, s19, s29
	s_add_u32 s19, s19, s28
	s_addc_u32 s27, 0, s27
	s_mul_hi_u32 s30, s11, s29
	s_mul_i32 s29, s11, s29
	s_add_u32 s19, s19, s29
	s_mul_hi_u32 s28, s11, s26
	s_addc_u32 s19, s27, s30
	s_addc_u32 s27, s28, 0
	s_mul_i32 s26, s11, s26
	s_add_u32 s19, s19, s26
	s_addc_u32 s26, 0, s27
	v_add_co_u32_e32 v1, vcc, s19, v1
	s_cmp_lg_u64 vcc, 0
	s_addc_u32 s11, s11, s26
	v_readfirstlane_b32 s26, v1
	s_mul_i32 s19, s0, s11
	s_mul_hi_u32 s27, s0, s26
	s_add_i32 s19, s27, s19
	s_mul_i32 s1, s1, s26
	s_add_i32 s19, s19, s1
	s_mul_i32 s0, s0, s26
	s_mul_hi_u32 s27, s11, s0
	s_mul_i32 s28, s11, s0
	s_mul_i32 s30, s26, s19
	s_mul_hi_u32 s0, s26, s0
	s_mul_hi_u32 s29, s26, s19
	s_add_u32 s0, s0, s30
	s_addc_u32 s26, 0, s29
	s_add_u32 s0, s0, s28
	s_mul_hi_u32 s1, s11, s19
	s_addc_u32 s0, s26, s27
	s_addc_u32 s1, s1, 0
	s_mul_i32 s19, s11, s19
	s_add_u32 s0, s0, s19
	s_addc_u32 s1, 0, s1
	v_add_co_u32_e32 v1, vcc, s0, v1
	s_cmp_lg_u64 vcc, 0
	s_addc_u32 s0, s11, s1
	v_readfirstlane_b32 s19, v1
	s_mul_i32 s11, s22, s0
	s_mul_hi_u32 s26, s22, s19
	s_mul_hi_u32 s1, s22, s0
	s_add_u32 s11, s26, s11
	s_addc_u32 s1, 0, s1
	s_mul_hi_u32 s27, s23, s19
	s_mul_i32 s19, s23, s19
	s_add_u32 s11, s11, s19
	s_mul_hi_u32 s26, s23, s0
	s_addc_u32 s1, s1, s27
	s_addc_u32 s11, s26, 0
	s_mul_i32 s0, s23, s0
	s_add_u32 s19, s1, s0
	s_addc_u32 s11, 0, s11
	s_mul_i32 s0, s24, s11
	s_mul_hi_u32 s1, s24, s19
	s_add_i32 s0, s1, s0
	s_mul_i32 s1, s25, s19
	s_add_i32 s26, s0, s1
	s_mul_i32 s1, s24, s19
	v_mov_b32_e32 v1, s1
	s_sub_i32 s0, s23, s26
	v_sub_co_u32_e32 v1, vcc, s22, v1
	s_cmp_lg_u64 vcc, 0
	s_subb_u32 s27, s0, s25
	v_subrev_co_u32_e64 v2, s[0:1], s24, v1
	s_cmp_lg_u64 s[0:1], 0
	s_subb_u32 s0, s27, 0
	s_cmp_ge_u32 s0, s25
	v_readfirstlane_b32 s27, v2
	s_cselect_b32 s1, -1, 0
	s_cmp_ge_u32 s27, s24
	s_cselect_b32 s27, -1, 0
	s_cmp_eq_u32 s0, s25
	s_cselect_b32 s0, s27, s1
	s_add_u32 s1, s19, 1
	s_addc_u32 s27, s11, 0
	s_add_u32 s28, s19, 2
	s_addc_u32 s29, s11, 0
	s_cmp_lg_u32 s0, 0
	s_cselect_b32 s0, s28, s1
	s_cselect_b32 s1, s29, s27
	s_cmp_lg_u64 vcc, 0
	s_subb_u32 s26, s23, s26
	s_cmp_ge_u32 s26, s25
	v_readfirstlane_b32 s28, v1
	s_cselect_b32 s27, -1, 0
	s_cmp_ge_u32 s28, s24
	s_cselect_b32 s28, -1, 0
	s_cmp_eq_u32 s26, s25
	s_cselect_b32 s26, s28, s27
	s_cmp_lg_u32 s26, 0
	s_cselect_b32 s29, s1, s11
	s_cselect_b32 s28, s0, s19
	s_cbranch_execnz .LBB201_14
.LBB201_13:                             ;   in Loop: Header=BB201_11 Depth=1
	v_cvt_f32_u32_e32 v1, s24
	s_sub_i32 s0, 0, s24
	s_mov_b32 s29, s18
	v_rcp_iflag_f32_e32 v1, v1
	v_mul_f32_e32 v1, 0x4f7ffffe, v1
	v_cvt_u32_f32_e32 v1, v1
	v_readfirstlane_b32 s1, v1
	s_mul_i32 s0, s0, s1
	s_mul_hi_u32 s0, s1, s0
	s_add_i32 s1, s1, s0
	s_mul_hi_u32 s0, s22, s1
	s_mul_i32 s11, s0, s24
	s_sub_i32 s11, s22, s11
	s_add_i32 s1, s0, 1
	s_sub_i32 s19, s11, s24
	s_cmp_ge_u32 s11, s24
	s_cselect_b32 s0, s1, s0
	s_cselect_b32 s11, s19, s11
	s_add_i32 s1, s0, 1
	s_cmp_ge_u32 s11, s24
	s_cselect_b32 s28, s1, s0
.LBB201_14:                             ;   in Loop: Header=BB201_11 Depth=1
	s_mul_i32 s0, s28, s25
	s_mul_hi_u32 s1, s28, s24
	s_add_i32 s11, s1, s0
	s_load_dwordx2 s[0:1], s[20:21], 0xc8
	s_mul_i32 s19, s29, s24
	s_add_i32 s11, s11, s19
	s_mul_i32 s19, s28, s24
	s_sub_u32 s19, s22, s19
	s_subb_u32 s11, s23, s11
	s_waitcnt lgkmcnt(0)
	s_mul_i32 s11, s0, s11
	s_mul_hi_u32 s22, s0, s19
	s_add_i32 s11, s22, s11
	s_mul_i32 s1, s1, s19
	s_add_i32 s11, s11, s1
	s_mul_i32 s0, s0, s19
	s_add_u32 s56, s0, s56
	s_addc_u32 s57, s11, s57
	s_add_i32 s7, s7, -1
	s_add_u32 s20, s20, -8
	s_addc_u32 s21, s21, -1
	s_cmp_gt_u32 s7, 2
	s_cbranch_scc0 .LBB201_17
; %bb.15:                               ;   in Loop: Header=BB201_11 Depth=1
	s_mov_b64 s[22:23], s[28:29]
	s_branch .LBB201_11
.LBB201_16:                             ;   in Loop: Header=BB201_11 Depth=1
                                        ; implicit-def: $sgpr28_sgpr29
	s_branch .LBB201_13
.LBB201_17:
	s_load_dword s11, s[4:5], 0x508
	s_load_dwordx2 s[0:1], s[16:17], 0xd0
                                        ; implicit-def: $vgpr57 : SGPR spill to VGPR lane
	s_mov_b64 s[74:75], 0
                                        ; kill: killed $sgpr16 killed $sgpr17
	s_waitcnt lgkmcnt(0)
	v_writelane_b32 v57, s0, 0
	v_writelane_b32 v57, s1, 1
	s_add_u32 s0, s4, 0x370
	s_addc_u32 s1, s5, 0
	s_cmp_lt_i32 s11, 2
	s_cbranch_scc1 .LBB201_25
; %bb.18:
	s_mov_b32 s16, 0
	s_add_i32 s18, s11, -1
	s_mov_b32 s19, s16
	s_add_i32 s7, s11, 1
	s_lshl_b64 s[18:19], s[18:19], 3
	s_add_u32 s0, s18, s0
	s_addc_u32 s1, s19, s1
	s_add_u32 s18, s0, 8
	s_addc_u32 s19, s1, 0
.LBB201_19:                             ; =>This Inner Loop Header: Depth=1
	s_load_dwordx2 s[20:21], s[18:19], 0x0
	s_waitcnt lgkmcnt(0)
	s_or_b64 s[0:1], s[8:9], s[20:21]
	s_mov_b32 s17, s1
	s_cmp_lg_u64 s[16:17], 0
	s_cbranch_scc0 .LBB201_24
; %bb.20:                               ;   in Loop: Header=BB201_19 Depth=1
	v_cvt_f32_u32_e32 v1, s20
	v_cvt_f32_u32_e32 v2, s21
	s_sub_u32 s0, 0, s20
	s_subb_u32 s1, 0, s21
	v_mac_f32_e32 v1, 0x4f800000, v2
	v_rcp_f32_e32 v1, v1
	v_mul_f32_e32 v1, 0x5f7ffffc, v1
	v_mul_f32_e32 v2, 0x2f800000, v1
	v_trunc_f32_e32 v2, v2
	v_mac_f32_e32 v1, 0xcf800000, v2
	v_cvt_u32_f32_e32 v2, v2
	v_cvt_u32_f32_e32 v1, v1
	v_readfirstlane_b32 s11, v2
	v_readfirstlane_b32 s17, v1
	s_mul_i32 s22, s0, s11
	s_mul_hi_u32 s24, s0, s17
	s_mul_i32 s23, s1, s17
	s_add_i32 s22, s24, s22
	s_mul_i32 s25, s0, s17
	s_add_i32 s22, s22, s23
	s_mul_hi_u32 s23, s17, s22
	s_mul_i32 s24, s17, s22
	s_mul_hi_u32 s17, s17, s25
	s_add_u32 s17, s17, s24
	s_addc_u32 s23, 0, s23
	s_mul_hi_u32 s26, s11, s25
	s_mul_i32 s25, s11, s25
	s_add_u32 s17, s17, s25
	s_mul_hi_u32 s24, s11, s22
	s_addc_u32 s17, s23, s26
	s_addc_u32 s23, s24, 0
	s_mul_i32 s22, s11, s22
	s_add_u32 s17, s17, s22
	s_addc_u32 s22, 0, s23
	v_add_co_u32_e32 v1, vcc, s17, v1
	s_cmp_lg_u64 vcc, 0
	s_addc_u32 s11, s11, s22
	v_readfirstlane_b32 s22, v1
	s_mul_i32 s17, s0, s11
	s_mul_hi_u32 s23, s0, s22
	s_add_i32 s17, s23, s17
	s_mul_i32 s1, s1, s22
	s_add_i32 s17, s17, s1
	s_mul_i32 s0, s0, s22
	s_mul_hi_u32 s23, s11, s0
	s_mul_i32 s24, s11, s0
	s_mul_i32 s26, s22, s17
	s_mul_hi_u32 s0, s22, s0
	s_mul_hi_u32 s25, s22, s17
	s_add_u32 s0, s0, s26
	s_addc_u32 s22, 0, s25
	s_add_u32 s0, s0, s24
	s_mul_hi_u32 s1, s11, s17
	s_addc_u32 s0, s22, s23
	s_addc_u32 s1, s1, 0
	s_mul_i32 s17, s11, s17
	s_add_u32 s0, s0, s17
	s_addc_u32 s1, 0, s1
	v_add_co_u32_e32 v1, vcc, s0, v1
	s_cmp_lg_u64 vcc, 0
	s_addc_u32 s0, s11, s1
	v_readfirstlane_b32 s17, v1
	s_mul_i32 s11, s8, s0
	s_mul_hi_u32 s22, s8, s17
	s_mul_hi_u32 s1, s8, s0
	s_add_u32 s11, s22, s11
	s_addc_u32 s1, 0, s1
	s_mul_hi_u32 s23, s9, s17
	s_mul_i32 s17, s9, s17
	s_add_u32 s11, s11, s17
	s_mul_hi_u32 s22, s9, s0
	s_addc_u32 s1, s1, s23
	s_addc_u32 s11, s22, 0
	s_mul_i32 s0, s9, s0
	s_add_u32 s17, s1, s0
	s_addc_u32 s11, 0, s11
	s_mul_i32 s0, s20, s11
	s_mul_hi_u32 s1, s20, s17
	s_add_i32 s0, s1, s0
	s_mul_i32 s1, s21, s17
	s_add_i32 s22, s0, s1
	s_mul_i32 s1, s20, s17
	v_mov_b32_e32 v1, s1
	s_sub_i32 s0, s9, s22
	v_sub_co_u32_e32 v1, vcc, s8, v1
	s_cmp_lg_u64 vcc, 0
	s_subb_u32 s23, s0, s21
	v_subrev_co_u32_e64 v2, s[0:1], s20, v1
	s_cmp_lg_u64 s[0:1], 0
	s_subb_u32 s0, s23, 0
	s_cmp_ge_u32 s0, s21
	v_readfirstlane_b32 s23, v2
	s_cselect_b32 s1, -1, 0
	s_cmp_ge_u32 s23, s20
	s_cselect_b32 s23, -1, 0
	s_cmp_eq_u32 s0, s21
	s_cselect_b32 s0, s23, s1
	s_add_u32 s1, s17, 1
	s_addc_u32 s23, s11, 0
	s_add_u32 s24, s17, 2
	s_addc_u32 s25, s11, 0
	s_cmp_lg_u32 s0, 0
	s_cselect_b32 s0, s24, s1
	s_cselect_b32 s1, s25, s23
	s_cmp_lg_u64 vcc, 0
	s_subb_u32 s22, s9, s22
	s_cmp_ge_u32 s22, s21
	v_readfirstlane_b32 s24, v1
	s_cselect_b32 s23, -1, 0
	s_cmp_ge_u32 s24, s20
	s_cselect_b32 s24, -1, 0
	s_cmp_eq_u32 s22, s21
	s_cselect_b32 s22, s24, s23
	s_cmp_lg_u32 s22, 0
	s_cselect_b32 s79, s1, s11
	s_cselect_b32 s78, s0, s17
	s_cbranch_execnz .LBB201_22
.LBB201_21:                             ;   in Loop: Header=BB201_19 Depth=1
	v_cvt_f32_u32_e32 v1, s20
	s_sub_i32 s0, 0, s20
	s_mov_b32 s79, s16
	v_rcp_iflag_f32_e32 v1, v1
	v_mul_f32_e32 v1, 0x4f7ffffe, v1
	v_cvt_u32_f32_e32 v1, v1
	v_readfirstlane_b32 s1, v1
	s_mul_i32 s0, s0, s1
	s_mul_hi_u32 s0, s1, s0
	s_add_i32 s1, s1, s0
	s_mul_hi_u32 s0, s8, s1
	s_mul_i32 s11, s0, s20
	s_sub_i32 s11, s8, s11
	s_add_i32 s1, s0, 1
	s_sub_i32 s17, s11, s20
	s_cmp_ge_u32 s11, s20
	s_cselect_b32 s0, s1, s0
	s_cselect_b32 s11, s17, s11
	s_add_i32 s1, s0, 1
	s_cmp_ge_u32 s11, s20
	s_cselect_b32 s78, s1, s0
.LBB201_22:                             ;   in Loop: Header=BB201_19 Depth=1
	s_mul_i32 s0, s78, s21
	s_mul_hi_u32 s1, s78, s20
	s_add_i32 s11, s1, s0
	s_load_dwordx2 s[0:1], s[18:19], 0xc8
	s_mul_i32 s17, s79, s20
	s_add_i32 s11, s11, s17
	s_mul_i32 s17, s78, s20
	s_sub_u32 s8, s8, s17
	s_subb_u32 s9, s9, s11
	s_waitcnt lgkmcnt(0)
	s_mul_i32 s9, s0, s9
	s_mul_hi_u32 s11, s0, s8
	s_add_i32 s9, s11, s9
	s_mul_i32 s1, s1, s8
	s_add_i32 s9, s9, s1
	s_mul_i32 s0, s0, s8
	s_add_u32 s74, s0, s74
	s_addc_u32 s75, s9, s75
	s_add_i32 s7, s7, -1
	s_add_u32 s18, s18, -8
	s_addc_u32 s19, s19, -1
	s_cmp_gt_u32 s7, 2
	s_cbranch_scc0 .LBB201_26
; %bb.23:                               ;   in Loop: Header=BB201_19 Depth=1
	s_mov_b64 s[8:9], s[78:79]
	s_branch .LBB201_19
.LBB201_24:                             ;   in Loop: Header=BB201_19 Depth=1
                                        ; implicit-def: $sgpr78_sgpr79
	s_branch .LBB201_21
.LBB201_25:
	s_mov_b64 s[78:79], s[8:9]
.LBB201_26:
	s_load_dwordx4 s[60:63], s[4:5], 0x1a0
	s_load_dwordx2 s[16:17], s[4:5], 0x0
	s_load_dwordx2 s[0:1], s[4:5], 0x1c8
	v_writelane_b32 v57, s28, 2
	v_writelane_b32 v57, s29, 3
	s_mov_b32 s87, 0
	v_cmp_eq_u32_e64 s[8:9], 0, v0
	s_waitcnt lgkmcnt(0)
	v_writelane_b32 v57, s0, 4
	v_writelane_b32 v57, s1, 5
	s_load_dwordx2 s[0:1], s[4:5], 0x440
	s_waitcnt lgkmcnt(0)
	v_writelane_b32 v57, s0, 6
	v_writelane_b32 v57, s1, 7
	s_load_dwordx2 s[0:1], s[4:5], 0x370
	s_waitcnt lgkmcnt(0)
	v_writelane_b32 v57, s0, 8
	v_writelane_b32 v57, s1, 9
	s_mov_b64 s[0:1], exec
	v_writelane_b32 v57, s8, 10
	v_writelane_b32 v57, s9, 11
	s_and_b64 s[8:9], s[0:1], s[8:9]
	s_mov_b64 exec, s[8:9]
	s_cbranch_execz .LBB201_28
; %bb.27:
	v_mov_b32_e32 v2, 0
	v_mov_b32_e32 v4, s60
	;; [unrolled: 1-line block ×4, first 2 shown]
	ds_write_b32 v2, v2 offset:5144
	ds_write_b128 v2, v[2:5] offset:5120
.LBB201_28:
	s_or_b64 exec, exec, s[0:1]
	s_mul_i32 s0, s14, s13
	s_mul_hi_u32 s1, s14, s12
	s_add_i32 s0, s1, s0
	s_mul_i32 s1, s15, s12
	s_add_i32 s1, s0, s1
	s_mul_i32 s0, s14, s12
	s_lshl_b64 s[8:9], s[0:1], 2
	s_lshl_b64 s[72:73], s[2:3], 2
	v_writelane_b32 v57, s4, 12
	s_load_dword s2, s[4:5], 0x1b0
	s_add_u32 s0, s16, s8
	s_addc_u32 s1, s17, s9
	s_add_u32 s93, s0, s72
	s_addc_u32 s12, s1, s73
	s_waitcnt lgkmcnt(0)
	s_bitcmp1_b32 s2, 0
	v_writelane_b32 v57, s5, 13
	s_cselect_b64 s[2:3], -1, 0
	v_writelane_b32 v57, s2, 14
	v_writelane_b32 v57, s3, 15
	s_xor_b64 s[2:3], s[2:3], -1
	v_mbcnt_lo_u32_b32 v1, -1, 0
	v_writelane_b32 v57, s2, 16
	v_mbcnt_hi_u32_b32 v47, -1, v1
	v_writelane_b32 v57, s3, 17
	v_cmp_gt_u32_e32 vcc, 64, v0
	v_cmp_gt_i32_e64 s[2:3], 4, v47
	s_and_b64 s[2:3], vcc, s[2:3]
	v_mov_b32_e32 v2, 0x300
	v_writelane_b32 v57, s2, 18
	v_mov_b32_e32 v3, 0
	v_mov_b32_e32 v15, 0
	v_writelane_b32 v57, s3, 19
	v_cmp_gt_u64_e64 s[2:3], s[60:61], v[2:3]
	v_writelane_b32 v57, s2, 20
	v_mov_b32_e32 v1, v15
	v_writelane_b32 v57, s3, 21
	v_cmp_gt_u64_e64 s[2:3], s[60:61], v[0:1]
	v_writelane_b32 v57, s2, 22
	v_writelane_b32 v57, s3, 23
	v_mad_u64_u32 v[2:3], s[2:3], v0, s58, 0
	v_mov_b32_e32 v4, v3
	v_mad_u64_u32 v[4:5], s[2:3], v0, s59, v[4:5]
	v_cmp_gt_u32_e64 s[2:3], 2, v0
	v_writelane_b32 v57, s2, 24
	s_barrier
	v_writelane_b32 v57, s3, 25
	s_load_dword s2, s[34:35], 0xc
	v_mov_b32_e32 v3, v4
	v_lshlrev_b64 v[4:5], 2, v[2:3]
	v_mov_b32_e32 v6, s12
	v_add_co_u32_e32 v12, vcc, s93, v4
	s_waitcnt lgkmcnt(0)
	s_and_b32 s33, s2, 0xffff
	s_bfe_u32 s3, s2, 0xa0006
	v_cmp_gt_u16_e64 s[4:5], s2, 63
	v_writelane_b32 v57, s4, 26
	s_add_u32 s2, s33, -1
	v_writelane_b32 v57, s5, 27
	s_addc_u32 s4, 0, -1
	v_writelane_b32 v57, s2, 28
	s_add_u32 s2, s2, s60
	v_writelane_b32 v57, s2, 29
	s_addc_u32 s5, s4, s61
	v_writelane_b32 v57, s4, 30
	s_cmp_lt_u32 s6, s10
	v_writelane_b32 v57, s4, 31
	s_cselect_b32 s2, 12, 18
	v_writelane_b32 v57, s5, 32
	s_add_u32 s4, s34, s2
	s_addc_u32 s5, s35, 0
	v_writelane_b32 v57, s4, 33
	v_writelane_b32 v57, s5, 34
	s_add_i32 s2, s3, -1
	s_bfe_u32 s4, s33, 0x30006
	s_cmp_gt_u32 s2, 6
	s_cselect_b64 s[6:7], -1, 0
	v_writelane_b32 v57, s6, 35
	s_and_b32 s13, s3, 0x3f8
	v_writelane_b32 v57, s7, 36
	s_cmp_lg_u32 s4, 0
	v_writelane_b32 v57, s4, 37
	s_cselect_b64 s[2:3], -1, 0
	v_writelane_b32 v57, s2, 38
	v_writelane_b32 v57, s3, 39
	s_add_u32 s2, s8, s72
	s_addc_u32 s3, s9, s73
	s_add_u32 s2, s16, s2
	v_addc_co_u32_e32 v13, vcc, v6, v5, vcc
	v_lshrrev_b32_e32 v6, 4, v0
	s_addc_u32 s3, s17, s3
	v_and_b32_e32 v48, 60, v6
	v_lshlrev_b32_e32 v6, 2, v47
	v_writelane_b32 v57, s2, 40
	v_and_b32_e32 v46, 0x100, v6
	v_lshlrev_b64 v[6:7], v47, -1
	v_writelane_b32 v57, s3, 41
	s_lshl_b64 s[2:3], s[58:59], 2
	v_lshlrev_b32_e32 v50, 4, v0
	v_not_b32_e32 v11, v7
	v_not_b32_e32 v10, v6
	v_writelane_b32 v57, s2, 42
	v_or_b32_e32 v9, 12, v50
	v_pk_mov_b32 v[6:7], s[0:1], s[0:1] op_sel:[0,1]
	v_writelane_b32 v57, s3, 43
	v_mad_u64_u32 v[18:19], s[2:3], s58, v9, v[6:7]
	v_mov_b32_e32 v8, v19
	v_mad_u64_u32 v[8:9], s[2:3], s59, v9, v[8:9]
	s_lshl_b64 s[2:3], s[58:59], 4
	v_writelane_b32 v57, s2, 44
	v_or_b32_e32 v9, 8, v50
	v_writelane_b32 v57, s3, 45
	v_mad_u64_u32 v[20:21], s[2:3], s58, v9, v[6:7]
	v_mov_b32_e32 v19, v8
	v_mov_b32_e32 v8, v21
	v_mad_u64_u32 v[8:9], s[2:3], s59, v9, v[8:9]
	v_mov_b32_e32 v21, v8
	v_or_b32_e32 v8, 4, v50
	v_mad_u64_u32 v[22:23], s[2:3], s58, v8, v[6:7]
	v_mov_b32_e32 v6, v23
	v_mad_u64_u32 v[6:7], s[2:3], s59, v8, v[6:7]
	v_lshlrev_b64 v[2:3], 4, v[2:3]
	s_lshl_b32 s2, s33, 2
	v_add_co_u32_e32 v24, vcc, s0, v2
	s_add_u32 s0, s16, s72
	v_mov_b32_e32 v23, v6
	v_mov_b32_e32 v6, s1
	v_writelane_b32 v57, s16, 46
	s_addc_u32 s1, s17, s73
	v_writelane_b32 v57, s17, 47
	s_add_u32 s0, s0, s8
	v_addc_co_u32_e32 v25, vcc, v6, v3, vcc
	v_mov_b32_e32 v2, 0xc00
	v_writelane_b32 v57, s8, 48
	s_addc_u32 s1, s1, s9
	v_lshl_or_b32 v51, v47, 3, v2
	v_mov_b32_e32 v2, s1
	v_add_co_u32_e32 v26, vcc, s0, v4
	s_mul_i32 s0, s59, s33
	s_mul_hi_u32 s1, s58, s33
	s_add_i32 s1, s1, s0
	s_mul_i32 s0, s58, s33
	v_writelane_b32 v57, s9, 49
	s_lshl_b64 s[64:65], s[0:1], 2
	s_mov_b32 s0, 30
	v_writelane_b32 v57, s0, 50
	s_mov_b32 s0, 0
	v_cmp_eq_u32_e64 s[90:91], 0, v47
	v_lshlrev_b32_e32 v16, 2, v0
	v_writelane_b32 v57, s0, 51
	v_mov_b32_e32 v17, v15
	v_add_u32_e32 v49, 0xc00, v16
	s_mov_b32 s92, s87
	v_addc_co_u32_e32 v27, vcc, v2, v5, vcc
	s_mov_b64 s[70:71], 0
	v_pk_mov_b32 v[32:33], s[62:63], s[62:63] op_sel:[0,1]
	v_mov_b32_e32 v28, 1.0
	v_bfrev_b32_e32 v52, 1
	v_mov_b32_e32 v53, 0x4f800000
	v_mov_b32_e32 v31, 0
	;; [unrolled: 1-line block ×4, first 2 shown]
	v_writelane_b32 v57, s90, 52
                                        ; implicit-def: $sgpr84_sgpr85
                                        ; implicit-def: $sgpr82_sgpr83
                                        ; implicit-def: $sgpr8_sgpr9
                                        ; implicit-def: $sgpr10_sgpr11
                                        ; implicit-def: $sgpr76_sgpr77
                                        ; implicit-def: $sgpr28_sgpr29
                                        ; implicit-def: $sgpr30_sgpr31
                                        ; implicit-def: $sgpr26_sgpr27
                                        ; implicit-def: $sgpr34_sgpr35
                                        ; implicit-def: $sgpr4_sgpr5
	v_writelane_b32 v57, s91, 53
	s_branch .LBB201_31
.LBB201_29:                             ;   in Loop: Header=BB201_31 Depth=1
	s_or_b64 exec, exec, s[16:17]
	s_andn2_b64 s[4:5], s[4:5], exec
	s_and_b64 s[14:15], s[14:15], exec
	s_or_b64 s[4:5], s[4:5], s[14:15]
	s_andn2_b64 s[34:35], s[34:35], exec
	s_andn2_b64 s[26:27], s[26:27], exec
	;; [unrolled: 1-line block ×4, first 2 shown]
	s_orn2_b64 s[6:7], s[6:7], exec
	v_mov_b32_e32 v54, v36
	v_mov_b32_e32 v55, v30
	v_pk_mov_b32 v[32:33], v[2:3], v[2:3] op_sel:[0,1]
	v_mov_b32_e32 v31, v5
.LBB201_30:                             ;   in Loop: Header=BB201_31 Depth=1
	s_or_b64 exec, exec, s[0:1]
	s_and_b64 s[0:1], exec, s[6:7]
	s_or_b64 s[70:71], s[0:1], s[70:71]
	s_andn2_b64 s[0:1], s[76:77], exec
	s_and_b64 s[6:7], s[4:5], exec
	s_or_b64 s[76:77], s[0:1], s[6:7]
	s_andn2_b64 s[0:1], s[10:11], exec
	s_and_b64 s[6:7], s[34:35], exec
	;; [unrolled: 3-line block ×5, first 2 shown]
	s_or_b64 s[84:85], s[0:1], s[6:7]
	s_andn2_b64 exec, exec, s[70:71]
	s_cbranch_execz .LBB201_504
.LBB201_31:                             ; =>This Loop Header: Depth=1
                                        ;     Child Loop BB201_39 Depth 2
                                        ;     Child Loop BB201_54 Depth 2
	;; [unrolled: 1-line block ×24, first 2 shown]
	ds_read_b128 v[2:5], v15 offset:5120
	s_waitcnt lgkmcnt(0)
	v_readfirstlane_b32 s69, v3
	v_readfirstlane_b32 s68, v2
	s_cmp_lg_u64 s[68:69], 0
	s_cbranch_scc1 .LBB201_61
; %bb.32:                               ;   in Loop: Header=BB201_31 Depth=1
	v_readlane_b32 s0, v57, 20
	v_readlane_b32 s1, v57, 21
	s_and_b64 vcc, exec, s[0:1]
	s_cbranch_vccz .LBB201_47
; %bb.33:                               ;   in Loop: Header=BB201_31 Depth=1
	s_mov_b64 s[0:1], 0x301
	v_cmp_gt_u64_e32 vcc, s[0:1], v[4:5]
	s_mov_b64 s[68:69], 0
	s_mov_b64 s[0:1], 0
	s_cbranch_vccz .LBB201_48
; %bb.34:                               ;   in Loop: Header=BB201_31 Depth=1
	v_mov_b32_e32 v6, 0
	s_mov_b64 s[0:1], exec
	v_readlane_b32 s6, v57, 22
	v_readlane_b32 s7, v57, 23
	s_and_b64 s[6:7], s[0:1], s[6:7]
	s_mov_b64 exec, s[6:7]
	s_cbranch_execz .LBB201_36
; %bb.35:                               ;   in Loop: Header=BB201_31 Depth=1
	global_load_dword v6, v[12:13], off
.LBB201_36:                             ;   in Loop: Header=BB201_31 Depth=1
	s_or_b64 exec, exec, s[0:1]
	s_mov_b64 s[0:1], exec
	v_readlane_b32 s6, v57, 22
	v_readlane_b32 s7, v57, 23
	s_and_b64 s[6:7], s[0:1], s[6:7]
	s_mov_b64 exec, s[6:7]
	s_cbranch_execz .LBB201_120
; %bb.37:                               ;   in Loop: Header=BB201_31 Depth=1
	v_readlane_b32 s6, v57, 33
	v_readlane_b32 s7, v57, 34
	;; [unrolled: 1-line block ×4, first 2 shown]
	s_mov_b64 s[16:17], 0
	s_nop 1
	global_load_ushort v7, v15, s[6:7]
	v_readlane_b32 s6, v57, 40
	v_readlane_b32 s7, v57, 41
	v_pk_mov_b32 v[2:3], s[6:7], s[6:7] op_sel:[0,1]
	s_waitcnt vmcnt(0)
	v_readfirstlane_b32 s3, v7
	s_and_b32 s3, 0xffff, s3
	v_add_u32_e32 v5, s3, v0
	v_mad_u64_u32 v[2:3], s[6:7], s18, v5, v[2:3]
	v_mov_b32_e32 v4, v3
	s_mul_i32 s14, s19, s3
	s_mul_hi_u32 s15, s18, s3
	v_mad_u64_u32 v[4:5], s[6:7], s19, v5, v[4:5]
	s_mul_i32 s3, s18, s3
	s_add_i32 s24, s15, s14
	v_mov_b32_e32 v3, v4
	v_pk_mov_b32 v[4:5], v[0:1], v[0:1] op_sel:[0,1]
	s_branch .LBB201_39
.LBB201_38:                             ;   in Loop: Header=BB201_39 Depth=2
	s_or_b64 exec, exec, s[6:7]
	v_mov_b32_e32 v6, s24
	v_add_co_u32_e32 v2, vcc, s3, v2
	v_addc_co_u32_e32 v3, vcc, v3, v6, vcc
	s_waitcnt vmcnt(0)
	v_mov_b32_e32 v6, v8
	s_andn2_b64 exec, exec, s[16:17]
	s_cbranch_execz .LBB201_120
.LBB201_39:                             ;   Parent Loop BB201_31 Depth=1
                                        ; =>  This Inner Loop Header: Depth=2
	v_add_co_u32_sdwa v4, vcc, v4, v7 dst_sel:DWORD dst_unused:UNUSED_PAD src0_sel:DWORD src1_sel:WORD_0
	v_addc_co_u32_e32 v5, vcc, 0, v5, vcc
	v_cmp_gt_u64_e64 s[6:7], s[60:61], v[4:5]
	v_cmp_le_u64_e32 vcc, s[60:61], v[4:5]
	s_waitcnt lgkmcnt(0)
	v_mov_b32_e32 v9, 0
	v_mov_b32_e32 v8, 0
	s_and_saveexec_b64 s[14:15], s[6:7]
	s_cbranch_execz .LBB201_41
; %bb.40:                               ;   in Loop: Header=BB201_39 Depth=2
	global_load_dword v8, v[2:3], off
.LBB201_41:                             ;   in Loop: Header=BB201_39 Depth=2
	s_or_b64 exec, exec, s[14:15]
	v_cmp_lt_i32_e64 s[6:7], -1, v6
	v_cndmask_b32_e64 v14, -1, v52, s[6:7]
	v_xor_b32_e32 v14, v14, v6
	v_cmp_o_f32_e64 s[6:7], v6, v6
	v_cndmask_b32_e64 v14, -1, v14, s[6:7]
	v_and_b32_e32 v14, v14, v54
	v_cmp_eq_u32_e64 s[14:15], v14, v55
	s_cmp_lg_u64 s[14:15], 0
	s_cselect_b64 s[6:7], -1, 0
	s_and_b64 s[6:7], s[90:91], s[6:7]
	s_and_saveexec_b64 s[18:19], s[6:7]
	s_cbranch_execz .LBB201_45
; %bb.42:                               ;   in Loop: Header=BB201_39 Depth=2
	s_mov_b64 s[22:23], exec
	v_mbcnt_lo_u32_b32 v9, s22, 0
	v_mbcnt_hi_u32_b32 v9, s23, v9
	s_bcnt1_i32_b64 s25, s[14:15]
	v_cmp_eq_u32_e64 s[6:7], 0, v9
                                        ; implicit-def: $vgpr14
	s_and_saveexec_b64 s[20:21], s[6:7]
	s_cbranch_execz .LBB201_44
; %bb.43:                               ;   in Loop: Header=BB201_39 Depth=2
	s_bcnt1_i32_b64 s6, s[22:23]
	s_mul_i32 s6, s25, s6
	v_mov_b32_e32 v14, s6
	ds_add_rtn_u32 v14, v15, v14 offset:5144
.LBB201_44:                             ;   in Loop: Header=BB201_39 Depth=2
	s_or_b64 exec, exec, s[20:21]
	s_waitcnt lgkmcnt(0)
	v_readfirstlane_b32 s6, v14
	v_mov_b32_e32 v14, s6
	v_mad_u32_u24 v9, s25, v9, v14
.LBB201_45:                             ;   in Loop: Header=BB201_39 Depth=2
	s_or_b64 exec, exec, s[18:19]
	ds_bpermute_b32 v9, v46, v9
	s_and_b64 s[6:7], exec, vcc
	s_or_b64 s[16:17], s[6:7], s[16:17]
	s_and_saveexec_b64 s[6:7], s[14:15]
	s_cbranch_execz .LBB201_38
; %bb.46:                               ;   in Loop: Header=BB201_39 Depth=2
	v_and_b32_e32 v29, s14, v10
	v_and_b32_e32 v14, s15, v11
	v_bcnt_u32_b32 v29, v29, 0
	v_bcnt_u32_b32 v14, v14, v29
	v_lshlrev_b32_e32 v14, 2, v14
	s_waitcnt lgkmcnt(0)
	v_lshl_add_u32 v9, v9, 2, v14
	ds_write_b32 v9, v6
	s_branch .LBB201_38
.LBB201_47:                             ;   in Loop: Header=BB201_31 Depth=1
	s_mov_b64 s[68:69], -1
	s_mov_b64 s[0:1], 0
.LBB201_48:                             ;   in Loop: Header=BB201_31 Depth=1
	s_and_b64 vcc, exec, s[68:69]
	s_cbranch_vccz .LBB201_59
.LBB201_49:                             ;   in Loop: Header=BB201_31 Depth=1
	s_waitcnt vmcnt(0)
	v_mov_b32_e32 v6, 0
	s_mov_b64 s[0:1], exec
	v_readlane_b32 s6, v57, 22
	v_readlane_b32 s7, v57, 23
	s_and_b64 s[6:7], s[0:1], s[6:7]
	s_mov_b64 exec, s[6:7]
	s_cbranch_execz .LBB201_51
; %bb.50:                               ;   in Loop: Header=BB201_31 Depth=1
	global_load_dword v6, v[12:13], off
.LBB201_51:                             ;   in Loop: Header=BB201_31 Depth=1
	s_or_b64 exec, exec, s[0:1]
	s_mov_b64 s[0:1], exec
	v_readlane_b32 s6, v57, 22
	v_readlane_b32 s7, v57, 23
	s_and_b64 s[6:7], s[0:1], s[6:7]
	s_mov_b64 exec, s[6:7]
	s_cbranch_execz .LBB201_56
; %bb.52:                               ;   in Loop: Header=BB201_31 Depth=1
	v_readlane_b32 s6, v57, 33
	v_readlane_b32 s7, v57, 34
	;; [unrolled: 1-line block ×4, first 2 shown]
	s_mov_b64 s[14:15], 0
	v_mov_b32_e32 v8, v16
	s_nop 0
	global_load_ushort v7, v15, s[6:7]
	v_readlane_b32 s6, v57, 40
	v_readlane_b32 s7, v57, 41
	v_pk_mov_b32 v[2:3], s[6:7], s[6:7] op_sel:[0,1]
	s_waitcnt vmcnt(0)
	v_readfirstlane_b32 s3, v7
	s_and_b32 s6, 0xffff, s3
	v_add_u32_e32 v5, s6, v0
	s_lshl_b32 s3, s6, 2
	s_mul_i32 s16, s21, s6
	s_mul_hi_u32 s17, s20, s6
	s_mul_i32 s18, s20, s6
	v_mad_u64_u32 v[2:3], s[6:7], s20, v5, v[2:3]
	v_mov_b32_e32 v4, v3
	v_mad_u64_u32 v[4:5], s[6:7], s21, v5, v[4:5]
	s_add_i32 s19, s17, s16
	v_mov_b32_e32 v3, v4
	v_pk_mov_b32 v[4:5], v[0:1], v[0:1] op_sel:[0,1]
	s_branch .LBB201_54
.LBB201_53:                             ;   in Loop: Header=BB201_54 Depth=2
	s_or_b64 exec, exec, s[16:17]
	s_and_b64 s[6:7], exec, vcc
	ds_write_b32 v8, v6
	v_mov_b32_e32 v6, s19
	v_add_co_u32_e32 v2, vcc, s18, v2
	s_or_b64 s[14:15], s[6:7], s[14:15]
	v_add_u32_e32 v8, s3, v8
	v_addc_co_u32_e32 v3, vcc, v3, v6, vcc
	s_waitcnt vmcnt(0)
	v_mov_b32_e32 v6, v9
	s_andn2_b64 exec, exec, s[14:15]
	s_cbranch_execz .LBB201_56
.LBB201_54:                             ;   Parent Loop BB201_31 Depth=1
                                        ; =>  This Inner Loop Header: Depth=2
	v_add_co_u32_sdwa v4, vcc, v4, v7 dst_sel:DWORD dst_unused:UNUSED_PAD src0_sel:DWORD src1_sel:WORD_0
	v_addc_co_u32_e32 v5, vcc, 0, v5, vcc
	v_cmp_gt_u64_e64 s[6:7], s[60:61], v[4:5]
	v_cmp_le_u64_e32 vcc, s[60:61], v[4:5]
	v_mov_b32_e32 v9, 0
	s_and_saveexec_b64 s[16:17], s[6:7]
	s_cbranch_execz .LBB201_53
; %bb.55:                               ;   in Loop: Header=BB201_54 Depth=2
	global_load_dword v9, v[2:3], off
	s_branch .LBB201_53
.LBB201_56:                             ;   in Loop: Header=BB201_31 Depth=1
	s_or_b64 exec, exec, s[0:1]
	s_waitcnt lgkmcnt(0)
	s_barrier
	s_mov_b64 s[0:1], exec
	v_readlane_b32 s6, v57, 10
	v_readlane_b32 s7, v57, 11
	s_and_b64 s[6:7], s[0:1], s[6:7]
	s_mov_b64 exec, s[6:7]
	s_cbranch_execz .LBB201_58
; %bb.57:                               ;   in Loop: Header=BB201_31 Depth=1
	v_pk_mov_b32 v[2:3], s[60:61], s[60:61] op_sel:[0,1]
	ds_write_b64 v15, v[2:3] offset:5120
.LBB201_58:                             ;   in Loop: Header=BB201_31 Depth=1
	s_or_b64 exec, exec, s[0:1]
	s_mov_b64 s[0:1], -1
	s_waitcnt lgkmcnt(0)
	s_barrier
                                        ; implicit-def: $sgpr68_sgpr69
.LBB201_59:                             ;   in Loop: Header=BB201_31 Depth=1
	s_and_b64 vcc, exec, s[0:1]
	s_cbranch_vccz .LBB201_61
; %bb.60:                               ;   in Loop: Header=BB201_31 Depth=1
	ds_read_b64 v[2:3], v15 offset:5120
	s_waitcnt lgkmcnt(0)
	v_readfirstlane_b32 s68, v2
.LBB201_61:                             ;   in Loop: Header=BB201_31 Depth=1
	v_writelane_b32 v57, s28, 54
	v_writelane_b32 v57, s29, 55
	;; [unrolled: 1-line block ×6, first 2 shown]
	s_cmp_lt_i32 s68, 1
	v_writelane_b32 v57, s34, 60
	v_writelane_b32 v57, s35, 61
	s_cbranch_scc0 .LBB201_76
; %bb.62:                               ;   in Loop: Header=BB201_31 Depth=1
	v_readlane_b32 s0, v57, 33
	v_readlane_b32 s1, v57, 34
	s_nop 4
	global_load_ushort v2, v15, s[0:1]
	s_mov_b32 s0, s87
	s_waitcnt vmcnt(0)
	v_readfirstlane_b32 s1, v2
	s_and_b32 s69, s1, 0xffff
	s_lshl_b32 s86, s69, 2
	s_mov_b32 s1, s61
	s_cmp_lg_u64 s[0:1], 0
	s_cbranch_scc0 .LBB201_96
; %bb.63:                               ;   in Loop: Header=BB201_31 Depth=1
	v_cvt_f32_u32_e32 v2, s86
	s_sub_u32 s0, 0, s86
	s_subb_u32 s1, 0, 0
	v_mac_f32_e32 v2, 0, v53
	v_rcp_f32_e32 v2, v2
	v_mul_f32_e32 v2, 0x5f7ffffc, v2
	v_mul_f32_e32 v3, 0x2f800000, v2
	v_trunc_f32_e32 v3, v3
	v_mac_f32_e32 v2, 0xcf800000, v3
	v_cvt_u32_f32_e32 v3, v3
	v_cvt_u32_f32_e32 v2, v2
	v_readfirstlane_b32 s3, v3
	v_readfirstlane_b32 s6, v2
	s_mul_i32 s7, s0, s3
	s_mul_hi_u32 s15, s0, s6
	s_mul_i32 s14, s1, s6
	s_add_i32 s7, s15, s7
	s_mul_i32 s16, s0, s6
	s_add_i32 s7, s7, s14
	s_mul_hi_u32 s15, s6, s16
	s_mul_hi_u32 s14, s6, s7
	s_mul_i32 s6, s6, s7
	s_add_u32 s6, s15, s6
	s_addc_u32 s14, 0, s14
	s_mul_hi_u32 s17, s3, s16
	s_mul_i32 s16, s3, s16
	s_add_u32 s6, s6, s16
	s_mul_hi_u32 s15, s3, s7
	s_addc_u32 s6, s14, s17
	s_addc_u32 s14, s15, 0
	s_mul_i32 s7, s3, s7
	s_add_u32 s6, s6, s7
	s_addc_u32 s7, 0, s14
	v_add_co_u32_e32 v2, vcc, s6, v2
	s_cmp_lg_u64 vcc, 0
	s_addc_u32 s3, s3, s7
	v_readfirstlane_b32 s7, v2
	s_mul_i32 s6, s0, s3
	s_mul_hi_u32 s14, s0, s7
	s_add_i32 s6, s14, s6
	s_mul_i32 s1, s1, s7
	s_add_i32 s6, s6, s1
	s_mul_i32 s0, s0, s7
	s_mul_hi_u32 s14, s3, s0
	s_mul_i32 s15, s3, s0
	s_mul_i32 s17, s7, s6
	s_mul_hi_u32 s0, s7, s0
	s_mul_hi_u32 s16, s7, s6
	s_add_u32 s0, s0, s17
	s_addc_u32 s7, 0, s16
	s_add_u32 s0, s0, s15
	s_mul_hi_u32 s1, s3, s6
	s_addc_u32 s0, s7, s14
	s_addc_u32 s1, s1, 0
	s_mul_i32 s6, s3, s6
	s_add_u32 s0, s0, s6
	s_addc_u32 s1, 0, s1
	v_add_co_u32_e32 v2, vcc, s0, v2
	s_cmp_lg_u64 vcc, 0
	s_addc_u32 s0, s3, s1
	v_readfirstlane_b32 s6, v2
	s_mul_i32 s3, s60, s0
	s_mul_hi_u32 s7, s60, s6
	s_mul_hi_u32 s1, s60, s0
	s_add_u32 s3, s7, s3
	s_addc_u32 s1, 0, s1
	s_mul_hi_u32 s14, s61, s6
	s_mul_i32 s6, s61, s6
	s_add_u32 s3, s3, s6
	s_mul_hi_u32 s7, s61, s0
	s_addc_u32 s1, s1, s14
	s_addc_u32 s3, s7, 0
	s_mul_i32 s0, s61, s0
	s_add_u32 s0, s1, s0
	s_addc_u32 s1, 0, s3
	s_mul_hi_u32 s3, s86, s0
	s_mul_i32 s0, s86, s0
	s_mul_i32 s1, s86, s1
	v_mov_b32_e32 v2, s0
	s_add_i32 s3, s3, s1
	v_sub_co_u32_e32 v2, vcc, s60, v2
	s_cmp_lg_u64 vcc, 0
	s_subb_u32 s0, s61, s3
	v_subrev_co_u32_e32 v3, vcc, s86, v2
	s_cmp_lg_u64 vcc, 0
	s_subb_u32 s1, s0, 0
	v_subrev_co_u32_e32 v4, vcc, s86, v3
	s_cmp_lg_u64 vcc, 0
	s_subb_u32 s3, s1, 0
	v_cmp_le_u32_e32 vcc, s86, v3
	s_cmp_eq_u32 s1, 0
	v_cndmask_b32_e64 v5, 0, -1, vcc
	s_cselect_b64 vcc, -1, 0
	v_cndmask_b32_e32 v5, -1, v5, vcc
	v_mov_b32_e32 v6, s1
	v_mov_b32_e32 v7, s3
	v_cmp_ne_u32_e32 vcc, 0, v5
	v_cndmask_b32_e32 v5, v6, v7, vcc
	v_cndmask_b32_e32 v4, v3, v4, vcc
	v_cmp_le_u32_e32 vcc, s86, v2
	s_cmp_eq_u32 s0, 0
	v_cndmask_b32_e64 v3, 0, -1, vcc
	s_cselect_b64 vcc, -1, 0
	v_cndmask_b32_e32 v3, -1, v3, vcc
	v_mov_b32_e32 v6, s0
	v_cmp_ne_u32_e32 vcc, 0, v3
	v_cndmask_b32_e32 v3, v6, v5, vcc
	v_cndmask_b32_e32 v2, v2, v4, vcc
	s_cbranch_execnz .LBB201_65
.LBB201_64:                             ;   in Loop: Header=BB201_31 Depth=1
	v_cvt_f32_u32_e32 v2, s86
	s_sub_i32 s0, 0, s86
	v_rcp_iflag_f32_e32 v2, v2
	v_mul_f32_e32 v2, 0x4f7ffffe, v2
	v_cvt_u32_f32_e32 v2, v2
	v_mul_lo_u32 v3, s0, v2
	v_mul_hi_u32 v3, v2, v3
	v_add_u32_e32 v2, v2, v3
	v_mul_hi_u32 v2, s60, v2
	v_mul_lo_u32 v2, v2, s86
	v_sub_u32_e32 v2, s60, v2
	v_subrev_u32_e32 v3, s86, v2
	v_cmp_le_u32_e32 vcc, s86, v2
	v_cndmask_b32_e32 v2, v2, v3, vcc
	v_subrev_u32_e32 v3, s86, v2
	v_cmp_le_u32_e32 vcc, s86, v2
	v_cndmask_b32_e32 v14, v2, v3, vcc
	v_pk_mov_b32 v[2:3], v[14:15], v[14:15] op_sel:[0,1]
.LBB201_65:                             ;   in Loop: Header=BB201_31 Depth=1
	v_mov_b32_e32 v4, s61
	v_sub_co_u32_e32 v34, vcc, s60, v2
	v_subb_co_u32_e32 v35, vcc, v4, v3, vcc
	v_pk_mov_b32 v[2:3], 0, 0
	v_cmp_gt_u64_e32 vcc, v[34:35], v[16:17]
	s_mov_b64 s[90:91], 0
	v_pk_mov_b32 v[4:5], v[2:3], v[2:3] op_sel:[0,1]
	v_pk_mov_b32 v[6:7], v[2:3], v[2:3] op_sel:[0,1]
	;; [unrolled: 1-line block ×3, first 2 shown]
	s_and_saveexec_b64 s[88:89], vcc
	s_cbranch_execz .LBB201_69
; %bb.66:                               ;   in Loop: Header=BB201_31 Depth=1
	v_readlane_b32 s6, v57, 44
	v_readlane_b32 s0, v57, 50
	;; [unrolled: 1-line block ×3, first 2 shown]
	s_and_b32 s3, s0, 0xfe
	s_mul_i32 s0, s7, s69
	s_mul_hi_u32 s1, s6, s69
	s_add_i32 s30, s1, s0
	s_mul_i32 s31, s6, s69
	v_pk_mov_b32 v[36:37], v[24:25], v[24:25] op_sel:[0,1]
	v_pk_mov_b32 v[38:39], v[22:23], v[22:23] op_sel:[0,1]
	;; [unrolled: 1-line block ×4, first 2 shown]
	s_mov_b64 s[80:81], 0
	s_mov_b64 s[0:1], 0
	;; [unrolled: 1-line block ×4, first 2 shown]
	v_pk_mov_b32 v[44:45], v[16:17], v[16:17] op_sel:[0,1]
.LBB201_67:                             ;   Parent Loop BB201_31 Depth=1
                                        ; =>  This Inner Loop Header: Depth=2
	v_mov_b32_e32 v7, s73
	v_add_co_u32_e32 v2, vcc, s72, v38
	v_add_co_u32_e64 v8, s[22:23], s72, v36
	v_add_co_u32_e64 v4, s[14:15], s72, v40
	;; [unrolled: 1-line block ×3, first 2 shown]
	v_addc_co_u32_e64 v9, s[22:23], v37, v7, s[22:23]
	v_addc_co_u32_e32 v3, vcc, v39, v7, vcc
	v_addc_co_u32_e64 v5, vcc, v41, v7, s[14:15]
	v_addc_co_u32_e64 v7, vcc, v43, v7, s[16:17]
	global_load_dword v8, v[8:9], off
	s_nop 0
	global_load_dword v2, v[2:3], off
	s_nop 0
	;; [unrolled: 2-line block ×3, first 2 shown]
	global_load_dword v4, v[6:7], off
	v_mov_b32_e32 v14, s30
	v_add_co_u32_e64 v42, s[6:7], s31, v42
	v_addc_co_u32_e64 v43, vcc, v43, v14, s[6:7]
	v_add_co_u32_e64 v40, s[18:19], s31, v40
	v_addc_co_u32_e64 v41, vcc, v41, v14, s[18:19]
	;; [unrolled: 2-line block ×4, first 2 shown]
	v_add_co_u32_e64 v44, s[26:27], s86, v44
	v_addc_co_u32_e64 v45, s[26:27], 0, v45, s[26:27]
	v_cmp_ge_u64_e32 vcc, v[44:45], v[34:35]
	s_waitcnt vmcnt(3)
	v_cmp_lt_i32_e64 s[6:7], -1, v8
	v_cndmask_b32_e64 v5, -1, v52, s[6:7]
	s_waitcnt vmcnt(2)
	v_cmp_lt_i32_e64 s[6:7], -1, v2
	v_cndmask_b32_e64 v6, -1, v52, s[6:7]
	;; [unrolled: 3-line block ×4, first 2 shown]
	v_xor_b32_e32 v6, v6, v2
	v_cmp_o_f32_e64 s[6:7], v2, v2
	v_xor_b32_e32 v2, v7, v3
	v_cmp_o_f32_e64 s[14:15], v3, v3
	;; [unrolled: 2-line block ×4, first 2 shown]
	v_cndmask_b32_e64 v4, -1, v4, s[18:19]
	v_cndmask_b32_e64 v5, -1, v6, s[6:7]
	v_and_b32_e32 v6, v4, v54
	v_bfe_u32 v4, v4, s3, 2
	v_cndmask_b32_e64 v2, -1, v2, s[14:15]
	v_and_b32_e32 v7, v5, v54
	v_bfe_u32 v5, v5, s3, 2
	v_cmp_eq_u32_e64 s[20:21], v6, v55
	v_cmp_eq_u32_e64 s[6:7], 0, v4
	v_cndmask_b32_e64 v3, -1, v3, s[16:17]
	v_and_b32_e32 v8, v2, v54
	v_bfe_u32 v2, v2, s3, 2
	v_cmp_eq_u32_e64 s[18:19], v7, v55
	v_cmp_eq_u32_e64 s[34:35], 0, v5
	s_and_b64 s[6:7], s[20:21], s[6:7]
	v_and_b32_e32 v9, v3, v54
	v_bfe_u32 v3, v3, s3, 2
	v_cmp_eq_u32_e64 s[16:17], v8, v55
	v_cmp_eq_u32_e64 s[36:37], 0, v2
	;; [unrolled: 1-line block ×5, first 2 shown]
	v_cndmask_b32_e64 v2, 0, 1, s[6:7]
	s_and_b64 s[6:7], s[18:19], s[34:35]
	v_cmp_eq_u32_e64 s[14:15], v9, v55
	v_cmp_eq_u32_e64 s[38:39], 0, v3
	;; [unrolled: 1-line block ×5, first 2 shown]
	v_cndmask_b32_e64 v3, 0, 1, s[6:7]
	s_and_b64 s[6:7], s[16:17], s[36:37]
	v_cmp_eq_u32_e64 s[40:41], 1, v4
	v_cmp_eq_u32_e64 s[48:49], 2, v4
	;; [unrolled: 1-line block ×3, first 2 shown]
	v_cndmask_b32_e64 v4, 0, 1, s[6:7]
	s_and_b64 s[6:7], s[14:15], s[38:39]
	v_cmp_eq_u32_e64 s[42:43], 1, v5
	v_cmp_eq_u32_e64 s[50:51], 2, v5
	;; [unrolled: 1-line block ×3, first 2 shown]
	v_cndmask_b32_e64 v5, 0, 1, s[6:7]
	v_cmp_ne_u32_e64 s[6:7], 0, v2
	v_cmp_ne_u32_e64 s[34:35], 0, v3
	v_cmp_ne_u32_e64 s[36:37], 0, v4
	v_cmp_ne_u32_e64 s[38:39], 0, v5
	s_bcnt1_i32_b64 s6, s[6:7]
	s_bcnt1_i32_b64 s7, s[34:35]
	s_bcnt1_i32_b64 s34, s[36:37]
	s_bcnt1_i32_b64 s35, s[38:39]
	s_add_u32 s6, s6, s66
	s_addc_u32 s36, 0, s67
	s_add_u32 s6, s6, s7
	s_addc_u32 s7, s36, 0
	s_add_u32 s6, s6, s34
	s_addc_u32 s7, s7, 0
	s_add_u32 s66, s6, s35
	s_addc_u32 s67, s7, 0
	s_and_b64 s[6:7], s[20:21], s[40:41]
	v_cndmask_b32_e64 v4, 0, 1, s[6:7]
	s_and_b64 s[6:7], s[18:19], s[42:43]
	v_cndmask_b32_e64 v5, 0, 1, s[6:7]
	s_and_b64 s[6:7], s[16:17], s[44:45]
	v_cndmask_b32_e64 v6, 0, 1, s[6:7]
	s_and_b64 s[6:7], s[14:15], s[46:47]
	v_cndmask_b32_e64 v7, 0, 1, s[6:7]
	v_cmp_ne_u32_e64 s[6:7], 0, v4
	v_cmp_ne_u32_e64 s[34:35], 0, v5
	v_cmp_ne_u32_e64 s[36:37], 0, v6
	v_cmp_ne_u32_e64 s[38:39], 0, v7
	s_bcnt1_i32_b64 s6, s[6:7]
	s_bcnt1_i32_b64 s7, s[34:35]
	s_bcnt1_i32_b64 s34, s[36:37]
	s_bcnt1_i32_b64 s35, s[38:39]
	s_add_u32 s6, s6, s94
	s_addc_u32 s36, 0, s95
	s_add_u32 s6, s6, s7
	s_addc_u32 s7, s36, 0
	s_add_u32 s6, s6, s34
	s_addc_u32 s7, s7, 0
	s_add_u32 s94, s6, s35
	s_addc_u32 s95, s7, 0
	s_and_b64 s[6:7], s[20:21], s[48:49]
	v_cndmask_b32_e64 v6, 0, 1, s[6:7]
	s_and_b64 s[6:7], s[18:19], s[50:51]
	v_cndmask_b32_e64 v7, 0, 1, s[6:7]
	s_and_b64 s[6:7], s[16:17], s[52:53]
	v_cndmask_b32_e64 v8, 0, 1, s[6:7]
	s_and_b64 s[6:7], s[14:15], s[54:55]
	;; [unrolled: 24-line block ×3, first 2 shown]
	v_cndmask_b32_e64 v29, 0, 1, s[6:7]
	v_cmp_ne_u32_e64 s[6:7], 0, v8
	v_cmp_ne_u32_e64 s[14:15], 0, v9
	;; [unrolled: 1-line block ×4, first 2 shown]
	s_bcnt1_i32_b64 s6, s[6:7]
	s_bcnt1_i32_b64 s7, s[14:15]
	;; [unrolled: 1-line block ×4, first 2 shown]
	s_add_u32 s6, s6, s80
	s_addc_u32 s16, 0, s81
	s_add_u32 s6, s6, s7
	s_addc_u32 s7, s16, 0
	;; [unrolled: 2-line block ×4, first 2 shown]
	v_pk_mov_b32 v[2:3], s[66:67], s[66:67] op_sel:[0,1]
	v_pk_mov_b32 v[4:5], s[94:95], s[94:95] op_sel:[0,1]
	;; [unrolled: 1-line block ×3, first 2 shown]
	s_or_b64 s[90:91], vcc, s[90:91]
	v_pk_mov_b32 v[8:9], s[80:81], s[80:81] op_sel:[0,1]
	s_andn2_b64 exec, exec, s[90:91]
	s_cbranch_execnz .LBB201_67
; %bb.68:                               ;   in Loop: Header=BB201_31 Depth=1
	s_or_b64 exec, exec, s[90:91]
.LBB201_69:                             ;   in Loop: Header=BB201_31 Depth=1
	s_or_b64 exec, exec, s[88:89]
	v_add_co_u32_e32 v34, vcc, v34, v0
	v_readlane_b32 s90, v57, 52
	v_addc_co_u32_e32 v35, vcc, 0, v35, vcc
	v_readlane_b32 s91, v57, 53
	v_cmp_gt_u64_e32 vcc, s[60:61], v[34:35]
	v_mov_b32_e32 v14, 0
	s_and_saveexec_b64 s[0:1], vcc
	s_cbranch_execz .LBB201_71
; %bb.70:                               ;   in Loop: Header=BB201_31 Depth=1
	v_mul_lo_u32 v14, v35, s58
	v_mul_lo_u32 v29, v34, s59
	v_mad_u64_u32 v[36:37], s[6:7], v34, s58, 0
	v_add3_u32 v37, v37, v29, v14
	v_lshlrev_b64 v[36:37], 2, v[36:37]
	v_mov_b32_e32 v14, s12
	v_add_co_u32_e64 v36, s[6:7], s93, v36
	v_addc_co_u32_e64 v37, s[6:7], v14, v37, s[6:7]
	global_load_dword v14, v[36:37], off
.LBB201_71:                             ;   in Loop: Header=BB201_31 Depth=1
	s_or_b64 exec, exec, s[0:1]
	s_and_saveexec_b64 s[0:1], vcc
	s_cbranch_execz .LBB201_78
; %bb.72:                               ;   in Loop: Header=BB201_31 Depth=1
	v_readlane_b32 s3, v57, 50
	s_and_b32 s3, s3, 0xfe
	s_mov_b64 s[14:15], 0
	s_branch .LBB201_74
.LBB201_73:                             ;   in Loop: Header=BB201_74 Depth=2
	s_or_b64 exec, exec, s[16:17]
	s_and_b64 s[6:7], exec, vcc
	s_waitcnt vmcnt(0)
	v_cmp_lt_i32_e32 vcc, -1, v14
	v_cndmask_b32_e32 v30, -1, v52, vcc
	v_xor_b32_e32 v30, v30, v14
	v_cmp_o_f32_e32 vcc, v14, v14
	v_cndmask_b32_e32 v14, -1, v30, vcc
	v_and_b32_e32 v30, v14, v54
	v_bfe_u32 v14, v14, s3, 2
	s_or_b64 s[14:15], s[6:7], s[14:15]
	v_cmp_eq_u32_e32 vcc, v30, v55
	v_cmp_eq_u32_e64 s[6:7], 0, v14
	s_and_b64 s[6:7], vcc, s[6:7]
	v_cndmask_b32_e64 v30, 0, 1, s[6:7]
	v_cmp_ne_u32_e64 s[6:7], 0, v30
	s_bcnt1_i32_b64 s6, s[6:7]
	v_add_co_u32_e64 v2, s[6:7], s6, v2
	v_addc_co_u32_e64 v3, s[6:7], 0, v3, s[6:7]
	v_cmp_eq_u32_e64 s[6:7], 1, v14
	s_and_b64 s[6:7], vcc, s[6:7]
	v_cndmask_b32_e64 v30, 0, 1, s[6:7]
	v_cmp_ne_u32_e64 s[6:7], 0, v30
	s_bcnt1_i32_b64 s6, s[6:7]
	v_add_co_u32_e64 v4, s[6:7], s6, v4
	v_addc_co_u32_e64 v5, s[6:7], 0, v5, s[6:7]
	;; [unrolled: 7-line block ×3, first 2 shown]
	v_cmp_eq_u32_e64 s[6:7], 3, v14
	s_and_b64 s[6:7], vcc, s[6:7]
	v_cndmask_b32_e64 v14, 0, 1, s[6:7]
	v_cmp_ne_u32_e32 vcc, 0, v14
	s_bcnt1_i32_b64 s6, vcc
	v_add_co_u32_e32 v8, vcc, s6, v8
	v_addc_co_u32_e32 v9, vcc, 0, v9, vcc
	v_mov_b32_e32 v14, v29
	s_andn2_b64 exec, exec, s[14:15]
	s_cbranch_execz .LBB201_77
.LBB201_74:                             ;   Parent Loop BB201_31 Depth=1
                                        ; =>  This Inner Loop Header: Depth=2
	v_mov_b32_e32 v29, s87
	v_add_co_u32_e32 v34, vcc, s69, v34
	v_addc_co_u32_e32 v35, vcc, v35, v29, vcc
	v_cmp_gt_u64_e64 s[6:7], s[60:61], v[34:35]
	v_cmp_le_u64_e32 vcc, s[60:61], v[34:35]
	v_mov_b32_e32 v29, 0
	s_and_saveexec_b64 s[16:17], s[6:7]
	s_cbranch_execz .LBB201_73
; %bb.75:                               ;   in Loop: Header=BB201_74 Depth=2
	v_mul_lo_u32 v29, v35, s58
	v_mul_lo_u32 v30, v34, s59
	v_mad_u64_u32 v[36:37], s[6:7], v34, s58, 0
	v_add3_u32 v37, v37, v30, v29
	v_lshlrev_b64 v[36:37], 2, v[36:37]
	v_mov_b32_e32 v29, s12
	v_add_co_u32_e64 v36, s[6:7], s93, v36
	v_addc_co_u32_e64 v37, s[6:7], v29, v37, s[6:7]
	global_load_dword v29, v[36:37], off
	s_branch .LBB201_73
.LBB201_76:                             ;   in Loop: Header=BB201_31 Depth=1
                                        ; implicit-def: $vgpr8_vgpr9
                                        ; implicit-def: $vgpr4_vgpr5
	s_cbranch_execnz .LBB201_79
	s_branch .LBB201_88
.LBB201_77:                             ;   in Loop: Header=BB201_31 Depth=1
	s_or_b64 exec, exec, s[14:15]
.LBB201_78:                             ;   in Loop: Header=BB201_31 Depth=1
	s_or_b64 exec, exec, s[0:1]
	s_branch .LBB201_88
.LBB201_79:                             ;   in Loop: Header=BB201_31 Depth=1
	v_readlane_b32 s0, v57, 33
	v_readlane_b32 s1, v57, 34
	s_nop 4
	global_load_ushort v8, v15, s[0:1]
	s_waitcnt vmcnt(0)
	v_readfirstlane_b32 s0, v8
	s_and_b32 s0, 0xffff, s0
	s_lshl_b32 s69, s0, 2
	v_cvt_f32_u32_e32 v2, s69
	s_sub_i32 s3, 0, s69
	s_mov_b64 s[0:1], 0
	v_and_b32_e32 v29, 0xffff, v8
	v_rcp_iflag_f32_e32 v6, v2
	v_pk_mov_b32 v[2:3], 0, 0
	v_pk_mov_b32 v[4:5], v[2:3], v[2:3] op_sel:[0,1]
	v_mul_f32_e32 v6, 0x4f7ffffe, v6
	v_cvt_u32_f32_e32 v9, v6
	v_pk_mov_b32 v[6:7], v[2:3], v[2:3] op_sel:[0,1]
	v_readfirstlane_b32 s6, v9
	s_mul_i32 s3, s3, s6
	s_mul_hi_u32 s3, s6, s3
	s_add_i32 s6, s6, s3
	s_mul_hi_u32 s3, s68, s6
	s_mul_i32 s3, s3, s69
	s_sub_i32 s3, s68, s3
	s_sub_i32 s6, s3, s69
	s_cmp_ge_u32 s3, s69
	s_cselect_b32 s3, s6, s3
	s_sub_i32 s6, s3, s69
	s_cmp_ge_u32 s3, s69
	s_cselect_b32 s3, s6, s3
	s_sub_i32 s86, s68, s3
	v_cmp_gt_u32_e32 vcc, s86, v16
	v_pk_mov_b32 v[8:9], v[2:3], v[2:3] op_sel:[0,1]
	s_and_saveexec_b64 s[66:67], vcc
	s_cbranch_execz .LBB201_83
; %bb.80:                               ;   in Loop: Header=BB201_31 Depth=1
	v_readlane_b32 s3, v57, 50
	s_and_b32 s3, s3, 0xfe
	v_lshlrev_b32_e32 v14, 4, v29
	v_mov_b32_e32 v30, v50
	s_mov_b64 s[80:81], 0
	s_mov_b64 s[88:89], 0
	;; [unrolled: 1-line block ×4, first 2 shown]
	v_pk_mov_b32 v[34:35], v[16:17], v[16:17] op_sel:[0,1]
.LBB201_81:                             ;   Parent Loop BB201_31 Depth=1
                                        ; =>  This Inner Loop Header: Depth=2
	ds_read_b128 v[2:5], v30
	v_add_co_u32_e32 v34, vcc, s69, v34
	v_addc_co_u32_e32 v35, vcc, 0, v35, vcc
	s_waitcnt lgkmcnt(0)
	v_cmp_lt_i32_e64 s[6:7], -1, v2
	v_cndmask_b32_e64 v6, -1, v52, s[6:7]
	v_cmp_lt_i32_e64 s[6:7], -1, v3
	v_cndmask_b32_e64 v7, -1, v52, s[6:7]
	v_cmp_lt_i32_e64 s[6:7], -1, v4
	v_cndmask_b32_e64 v8, -1, v52, s[6:7]
	v_cmp_lt_i32_e64 s[6:7], -1, v5
	v_cndmask_b32_e64 v9, -1, v52, s[6:7]
	v_xor_b32_e32 v7, v7, v3
	v_cmp_o_f32_e64 s[6:7], v3, v3
	v_xor_b32_e32 v3, v8, v4
	v_cmp_o_f32_e64 s[14:15], v4, v4
	;; [unrolled: 2-line block ×4, first 2 shown]
	v_cndmask_b32_e64 v2, -1, v5, s[18:19]
	v_cndmask_b32_e64 v5, -1, v7, s[6:7]
	v_and_b32_e32 v6, v2, v54
	v_bfe_u32 v2, v2, s3, 2
	v_cndmask_b32_e64 v3, -1, v3, s[14:15]
	v_and_b32_e32 v7, v5, v54
	v_bfe_u32 v5, v5, s3, 2
	v_cmp_eq_u32_e64 s[20:21], v6, v55
	v_cmp_eq_u32_e64 s[6:7], 0, v2
	v_cndmask_b32_e64 v4, -1, v4, s[16:17]
	v_and_b32_e32 v8, v3, v54
	v_bfe_u32 v3, v3, s3, 2
	v_cmp_eq_u32_e64 s[18:19], v7, v55
	v_cmp_eq_u32_e64 s[34:35], 0, v5
	s_and_b64 s[6:7], s[20:21], s[6:7]
	v_and_b32_e32 v9, v4, v54
	v_bfe_u32 v4, v4, s3, 2
	v_cmp_eq_u32_e64 s[16:17], v8, v55
	v_cmp_eq_u32_e64 s[36:37], 0, v3
	;; [unrolled: 1-line block ×5, first 2 shown]
	v_cndmask_b32_e64 v2, 0, 1, s[6:7]
	s_and_b64 s[6:7], s[18:19], s[34:35]
	v_cmp_eq_u32_e64 s[14:15], v9, v55
	v_cmp_eq_u32_e64 s[38:39], 0, v4
	;; [unrolled: 1-line block ×5, first 2 shown]
	v_cndmask_b32_e64 v3, 0, 1, s[6:7]
	s_and_b64 s[6:7], s[16:17], s[36:37]
	v_cmp_eq_u32_e64 s[46:47], 1, v4
	v_cmp_eq_u32_e64 s[54:55], 2, v4
	;; [unrolled: 1-line block ×3, first 2 shown]
	v_cndmask_b32_e64 v4, 0, 1, s[6:7]
	s_and_b64 s[6:7], s[14:15], s[38:39]
	v_cmp_eq_u32_e64 s[42:43], 1, v5
	v_cmp_eq_u32_e64 s[50:51], 2, v5
	;; [unrolled: 1-line block ×3, first 2 shown]
	v_cndmask_b32_e64 v5, 0, 1, s[6:7]
	v_cmp_ne_u32_e64 s[6:7], 0, v2
	v_cmp_ne_u32_e64 s[34:35], 0, v3
	v_cmp_ne_u32_e64 s[36:37], 0, v4
	v_cmp_ne_u32_e64 s[38:39], 0, v5
	s_bcnt1_i32_b64 s6, s[6:7]
	s_bcnt1_i32_b64 s7, s[34:35]
	s_bcnt1_i32_b64 s30, s[36:37]
	s_bcnt1_i32_b64 s31, s[38:39]
	s_add_u32 s6, s6, s94
	s_addc_u32 s34, 0, s95
	s_add_u32 s6, s6, s7
	s_addc_u32 s7, s34, 0
	s_add_u32 s6, s6, s30
	s_addc_u32 s7, s7, 0
	s_add_u32 s94, s6, s31
	s_addc_u32 s95, s7, 0
	s_and_b64 s[6:7], s[20:21], s[40:41]
	v_cndmask_b32_e64 v4, 0, 1, s[6:7]
	s_and_b64 s[6:7], s[18:19], s[42:43]
	v_cndmask_b32_e64 v5, 0, 1, s[6:7]
	s_and_b64 s[6:7], s[16:17], s[44:45]
	v_cndmask_b32_e64 v6, 0, 1, s[6:7]
	s_and_b64 s[6:7], s[14:15], s[46:47]
	v_cndmask_b32_e64 v7, 0, 1, s[6:7]
	v_cmp_ne_u32_e64 s[6:7], 0, v4
	v_cmp_ne_u32_e64 s[34:35], 0, v5
	v_cmp_ne_u32_e64 s[36:37], 0, v6
	v_cmp_ne_u32_e64 s[38:39], 0, v7
	s_bcnt1_i32_b64 s6, s[6:7]
	s_bcnt1_i32_b64 s7, s[34:35]
	s_bcnt1_i32_b64 s30, s[36:37]
	s_bcnt1_i32_b64 s31, s[38:39]
	s_add_u32 s6, s6, s90
	s_addc_u32 s34, 0, s91
	s_add_u32 s6, s6, s7
	s_addc_u32 s7, s34, 0
	s_add_u32 s6, s6, s30
	s_addc_u32 s7, s7, 0
	s_add_u32 s90, s6, s31
	s_addc_u32 s91, s7, 0
	s_and_b64 s[6:7], s[20:21], s[48:49]
	v_cndmask_b32_e64 v6, 0, 1, s[6:7]
	s_and_b64 s[6:7], s[18:19], s[50:51]
	v_cndmask_b32_e64 v7, 0, 1, s[6:7]
	s_and_b64 s[6:7], s[16:17], s[52:53]
	v_cndmask_b32_e64 v8, 0, 1, s[6:7]
	s_and_b64 s[6:7], s[14:15], s[54:55]
	;; [unrolled: 24-line block ×3, first 2 shown]
	v_cndmask_b32_e64 v37, 0, 1, s[6:7]
	v_cmp_ne_u32_e64 s[6:7], 0, v8
	v_cmp_ne_u32_e64 s[14:15], 0, v9
	;; [unrolled: 1-line block ×4, first 2 shown]
	s_bcnt1_i32_b64 s6, s[6:7]
	s_bcnt1_i32_b64 s7, s[14:15]
	;; [unrolled: 1-line block ×4, first 2 shown]
	s_add_u32 s6, s6, s80
	s_addc_u32 s16, 0, s81
	s_add_u32 s6, s6, s7
	s_addc_u32 s7, s16, 0
	;; [unrolled: 2-line block ×3, first 2 shown]
	s_add_u32 s80, s6, s15
	v_cmp_le_u64_e32 vcc, s[86:87], v[34:35]
	s_addc_u32 s81, s7, 0
	v_add_u32_e32 v30, v30, v14
	v_pk_mov_b32 v[2:3], s[94:95], s[94:95] op_sel:[0,1]
	v_pk_mov_b32 v[4:5], s[90:91], s[90:91] op_sel:[0,1]
	;; [unrolled: 1-line block ×3, first 2 shown]
	s_or_b64 s[0:1], vcc, s[0:1]
	v_pk_mov_b32 v[8:9], s[80:81], s[80:81] op_sel:[0,1]
	s_andn2_b64 exec, exec, s[0:1]
	s_cbranch_execnz .LBB201_81
; %bb.82:                               ;   in Loop: Header=BB201_31 Depth=1
	s_or_b64 exec, exec, s[0:1]
	v_readlane_b32 s90, v57, 52
	v_readlane_b32 s91, v57, 53
.LBB201_83:                             ;   in Loop: Header=BB201_31 Depth=1
	s_or_b64 exec, exec, s[66:67]
	v_add_u32_e32 v14, s86, v0
	v_cmp_gt_u32_e32 vcc, s68, v14
	s_and_saveexec_b64 s[0:1], vcc
	s_cbranch_execz .LBB201_87
; %bb.84:                               ;   in Loop: Header=BB201_31 Depth=1
	v_readlane_b32 s3, v57, 50
	s_and_b32 s86, s68, 0x7fffffff
	s_and_b32 s3, s3, 0xfe
	v_lshlrev_b32_e32 v30, 2, v14
	s_mov_b64 s[22:23], 0
	v_pk_mov_b32 v[34:35], v[14:15], v[14:15] op_sel:[0,1]
.LBB201_85:                             ;   Parent Loop BB201_31 Depth=1
                                        ; =>  This Inner Loop Header: Depth=2
	ds_read_b32 v14, v30
	v_add_co_u32_e32 v34, vcc, v34, v29
	v_addc_co_u32_e32 v35, vcc, 0, v35, vcc
	s_waitcnt lgkmcnt(0)
	v_cmp_lt_i32_e64 s[6:7], -1, v14
	v_cndmask_b32_e64 v36, -1, v52, s[6:7]
	v_xor_b32_e32 v36, v36, v14
	v_cmp_o_f32_e64 s[6:7], v14, v14
	v_cndmask_b32_e64 v14, -1, v36, s[6:7]
	v_and_b32_e32 v36, v14, v54
	v_bfe_u32 v14, v14, s3, 2
	v_cmp_eq_u32_e64 s[6:7], v36, v55
	v_cmp_eq_u32_e64 s[14:15], 0, v14
	;; [unrolled: 1-line block ×3, first 2 shown]
	s_and_b64 s[14:15], s[6:7], s[14:15]
	v_cmp_eq_u32_e64 s[18:19], 2, v14
	v_cmp_eq_u32_e64 s[20:21], 3, v14
	v_cndmask_b32_e64 v14, 0, 1, s[14:15]
	s_and_b64 s[14:15], s[6:7], s[16:17]
	v_cndmask_b32_e64 v36, 0, 1, s[14:15]
	s_and_b64 s[14:15], s[6:7], s[18:19]
	s_and_b64 s[6:7], s[6:7], s[20:21]
	v_cndmask_b32_e64 v37, 0, 1, s[14:15]
	v_cndmask_b32_e64 v38, 0, 1, s[6:7]
	v_cmp_ne_u32_e64 s[6:7], 0, v14
	v_cmp_ne_u32_e64 s[14:15], 0, v36
	;; [unrolled: 1-line block ×4, first 2 shown]
	v_cmp_le_u64_e32 vcc, s[86:87], v[34:35]
	s_bcnt1_i32_b64 s6, s[6:7]
	s_bcnt1_i32_b64 s7, s[14:15]
	;; [unrolled: 1-line block ×4, first 2 shown]
	s_or_b64 s[22:23], vcc, s[22:23]
	v_add_co_u32_e32 v2, vcc, s6, v2
	v_addc_co_u32_e32 v3, vcc, 0, v3, vcc
	v_add_co_u32_e32 v4, vcc, s7, v4
	v_addc_co_u32_e32 v5, vcc, 0, v5, vcc
	v_add_co_u32_e32 v6, vcc, s14, v6
	v_addc_co_u32_e32 v7, vcc, 0, v7, vcc
	v_add_co_u32_e32 v8, vcc, s15, v8
	v_add_u32_e32 v30, s69, v30
	v_addc_co_u32_e32 v9, vcc, 0, v9, vcc
	s_andn2_b64 exec, exec, s[22:23]
	s_cbranch_execnz .LBB201_85
; %bb.86:                               ;   in Loop: Header=BB201_31 Depth=1
	s_or_b64 exec, exec, s[22:23]
.LBB201_87:                             ;   in Loop: Header=BB201_31 Depth=1
	s_or_b64 exec, exec, s[0:1]
.LBB201_88:                             ;   in Loop: Header=BB201_31 Depth=1
	v_readlane_b32 s0, v57, 51
	s_lshl_b32 s3, s0, 6
	s_and_saveexec_b64 s[0:1], s[90:91]
	s_cbranch_execz .LBB201_90
; %bb.89:                               ;   in Loop: Header=BB201_31 Depth=1
	s_waitcnt vmcnt(0)
	v_or_b32_e32 v14, s3, v48
	v_lshlrev_b32_e32 v14, 3, v14
	ds_write_b128 v14, v[2:5] offset:3072
	ds_write_b128 v14, v[6:9] offset:3088
.LBB201_90:                             ;   in Loop: Header=BB201_31 Depth=1
	s_or_b64 exec, exec, s[0:1]
	s_waitcnt lgkmcnt(0)
	s_barrier
	s_mov_b64 s[0:1], exec
	v_readlane_b32 s6, v57, 18
	v_readlane_b32 s7, v57, 19
	s_and_b64 s[6:7], s[0:1], s[6:7]
	s_mov_b64 exec, s[6:7]
	s_cbranch_execz .LBB201_102
; %bb.91:                               ;   in Loop: Header=BB201_31 Depth=1
	v_readlane_b32 s6, v57, 26
	v_readlane_b32 s7, v57, 27
	s_andn2_b64 vcc, exec, s[6:7]
	v_pk_mov_b32 v[2:3], 0, 0
	s_cbranch_vccnz .LBB201_101
; %bb.92:                               ;   in Loop: Header=BB201_31 Depth=1
	v_readlane_b32 s6, v57, 35
	v_readlane_b32 s7, v57, 36
	s_andn2_b64 vcc, exec, s[6:7]
	s_cbranch_vccnz .LBB201_97
; %bb.93:                               ;   in Loop: Header=BB201_31 Depth=1
	v_readlane_b32 s6, v57, 51
	v_lshl_add_u32 v4, s6, 9, v51
	s_mov_b32 s6, 0
	v_pk_mov_b32 v[2:3], 0, 0
.LBB201_94:                             ;   Parent Loop BB201_31 Depth=1
                                        ; =>  This Inner Loop Header: Depth=2
	s_waitcnt vmcnt(0)
	ds_read2_b64 v[6:9], v4 offset1:4
	ds_read2_b64 v[34:37], v4 offset0:8 offset1:12
	ds_read2_b64 v[38:41], v4 offset0:16 offset1:20
	;; [unrolled: 1-line block ×3, first 2 shown]
	s_add_i32 s6, s6, 8
	s_waitcnt lgkmcnt(3)
	v_add_co_u32_e32 v2, vcc, v6, v2
	v_addc_co_u32_e32 v3, vcc, v7, v3, vcc
	v_add_co_u32_e32 v2, vcc, v8, v2
	v_addc_co_u32_e32 v3, vcc, v9, v3, vcc
	s_waitcnt lgkmcnt(2)
	v_add_co_u32_e32 v2, vcc, v34, v2
	v_addc_co_u32_e32 v3, vcc, v35, v3, vcc
	v_add_co_u32_e32 v2, vcc, v36, v2
	v_addc_co_u32_e32 v3, vcc, v37, v3, vcc
	;; [unrolled: 5-line block ×3, first 2 shown]
	s_waitcnt lgkmcnt(0)
	v_add_co_u32_e32 v2, vcc, v42, v2
	v_addc_co_u32_e32 v3, vcc, v43, v3, vcc
	v_add_co_u32_e32 v2, vcc, v44, v2
	v_add_u32_e32 v4, 0x100, v4
	s_cmp_eq_u32 s13, s6
	v_addc_co_u32_e32 v3, vcc, v45, v3, vcc
	s_cbranch_scc0 .LBB201_94
; %bb.95:                               ;   in Loop: Header=BB201_31 Depth=1
	s_mov_b32 s6, s13
	s_branch .LBB201_98
.LBB201_96:                             ;   in Loop: Header=BB201_31 Depth=1
                                        ; implicit-def: $vgpr2_vgpr3
	s_branch .LBB201_64
.LBB201_97:                             ;   in Loop: Header=BB201_31 Depth=1
	s_mov_b32 s6, 0
	v_pk_mov_b32 v[2:3], 0, 0
.LBB201_98:                             ;   in Loop: Header=BB201_31 Depth=1
	v_readlane_b32 s14, v57, 38
	v_readlane_b32 s15, v57, 39
	s_andn2_b64 vcc, exec, s[14:15]
	s_cbranch_vccnz .LBB201_101
; %bb.99:                               ;   in Loop: Header=BB201_31 Depth=1
	v_readlane_b32 s7, v57, 51
	s_lshl_b32 s7, s7, 9
	s_lshl_b32 s6, s6, 5
	s_add_i32 s7, s7, s6
	v_add_u32_e32 v4, s7, v51
	v_readlane_b32 s6, v57, 37
.LBB201_100:                            ;   Parent Loop BB201_31 Depth=1
                                        ; =>  This Inner Loop Header: Depth=2
	s_waitcnt vmcnt(0)
	ds_read_b64 v[6:7], v4
	s_add_i32 s6, s6, -1
	v_add_u32_e32 v4, 32, v4
	s_cmp_lg_u32 s6, 0
	s_waitcnt lgkmcnt(0)
	v_add_co_u32_e32 v2, vcc, v6, v2
	v_addc_co_u32_e32 v3, vcc, v7, v3, vcc
	s_cbranch_scc1 .LBB201_100
.LBB201_101:                            ;   in Loop: Header=BB201_31 Depth=1
	v_add_lshl_u32 v4, s3, v47, 3
	ds_write_b64 v4, v[2:3] offset:3072
.LBB201_102:                            ;   in Loop: Header=BB201_31 Depth=1
	s_or_b64 exec, exec, s[0:1]
	s_lshl_b32 s0, s3, 3
	s_waitcnt vmcnt(0)
	v_mov_b32_e32 v6, s0
	s_waitcnt lgkmcnt(0)
	s_barrier
	ds_read_b128 v[2:5], v6 offset:3072
	ds_read_b128 v[6:9], v6 offset:3088
	v_readlane_b32 s0, v57, 50
	s_and_b32 s95, s0, 0xfe
	v_readlane_b32 s0, v57, 16
	s_lshl_b32 s86, 3, s95
	v_readlane_b32 s1, v57, 17
	s_waitcnt lgkmcnt(1)
	v_readfirstlane_b32 s17, v3
	v_readfirstlane_b32 s16, v2
	;; [unrolled: 1-line block ×4, first 2 shown]
	s_waitcnt lgkmcnt(0)
	v_readfirstlane_b32 s23, v7
	v_readfirstlane_b32 s22, v6
	;; [unrolled: 1-line block ×4, first 2 shown]
	s_not_b32 s94, s86
	s_andn2_b64 vcc, exec, s[0:1]
	v_cmp_eq_u64_e64 s[14:15], 1, v[32:33]
	s_cbranch_vccnz .LBB201_118
; %bb.103:                              ;   in Loop: Header=BB201_31 Depth=1
	s_cmp_eq_u64 s[16:17], 1
	s_cselect_b64 s[0:1], -1, 0
	s_and_b64 s[42:43], s[0:1], s[14:15]
	s_mov_b64 s[0:1], -1
	v_mov_b32_e32 v30, v55
	v_mov_b32_e32 v36, v54
	;; [unrolled: 1-line block ×3, first 2 shown]
                                        ; implicit-def: $sgpr20_sgpr21
                                        ; implicit-def: $sgpr36_sgpr37
                                        ; implicit-def: $sgpr34_sgpr35
	s_and_saveexec_b64 s[26:27], s[42:43]
	s_cbranch_execz .LBB201_140
; %bb.104:                              ;   in Loop: Header=BB201_31 Depth=1
	ds_read_b64 v[2:3], v15 offset:5120
	s_waitcnt lgkmcnt(0)
	s_barrier
	v_readfirstlane_b32 s0, v2
	v_readfirstlane_b32 s1, v3
	s_mov_b64 s[6:7], exec
	v_readlane_b32 s20, v57, 24
	v_readlane_b32 s21, v57, 25
	s_and_b64 s[20:21], s[6:7], s[20:21]
	s_mov_b64 exec, s[20:21]
	s_cbranch_execz .LBB201_106
; %bb.105:                              ;   in Loop: Header=BB201_31 Depth=1
	ds_write_b32 v49, v15
.LBB201_106:                            ;   in Loop: Header=BB201_31 Depth=1
	s_or_b64 exec, exec, s[6:7]
	v_and_b32_e32 v30, s94, v55
	v_or_b32_e32 v36, s86, v54
	s_cmp_eq_u64 s[0:1], 0
	s_waitcnt lgkmcnt(0)
	s_barrier
	s_cbranch_scc1 .LBB201_123
; %bb.107:                              ;   in Loop: Header=BB201_31 Depth=1
	v_readlane_b32 s3, v57, 28
	s_add_u32 s3, s3, s0
	v_readlane_b32 s6, v57, 30
	s_addc_u32 s7, s6, s1
	s_mov_b32 s6, s87
	s_cmp_lg_u64 s[6:7], 0
	s_cbranch_scc0 .LBB201_167
; %bb.108:                              ;   in Loop: Header=BB201_31 Depth=1
	v_cvt_f32_u32_e32 v2, s33
	s_sub_u32 s6, 0, s33
	s_subb_u32 s20, 0, 0
	v_mac_f32_e32 v2, 0, v53
	v_rcp_f32_e32 v2, v2
	v_mul_f32_e32 v2, 0x5f7ffffc, v2
	v_mul_f32_e32 v3, 0x2f800000, v2
	v_trunc_f32_e32 v3, v3
	v_mac_f32_e32 v2, 0xcf800000, v3
	v_cvt_u32_f32_e32 v3, v3
	v_cvt_u32_f32_e32 v2, v2
	v_readfirstlane_b32 s21, v3
	v_readfirstlane_b32 s28, v2
	s_mul_i32 s29, s6, s21
	s_mul_hi_u32 s31, s6, s28
	s_mul_i32 s30, s20, s28
	s_add_i32 s29, s31, s29
	s_mul_i32 s34, s6, s28
	s_add_i32 s29, s29, s30
	s_mul_hi_u32 s31, s28, s34
	s_mul_hi_u32 s30, s28, s29
	s_mul_i32 s28, s28, s29
	s_add_u32 s28, s31, s28
	s_addc_u32 s30, 0, s30
	s_mul_hi_u32 s35, s21, s34
	s_mul_i32 s34, s21, s34
	s_add_u32 s28, s28, s34
	s_mul_hi_u32 s31, s21, s29
	s_addc_u32 s28, s30, s35
	s_addc_u32 s30, s31, 0
	s_mul_i32 s29, s21, s29
	s_add_u32 s28, s28, s29
	s_addc_u32 s29, 0, s30
	v_add_co_u32_e32 v2, vcc, s28, v2
	s_cmp_lg_u64 vcc, 0
	s_addc_u32 s21, s21, s29
	v_readfirstlane_b32 s29, v2
	s_mul_i32 s28, s6, s21
	s_mul_hi_u32 s30, s6, s29
	s_add_i32 s28, s30, s28
	s_mul_i32 s20, s20, s29
	s_add_i32 s28, s28, s20
	s_mul_i32 s6, s6, s29
	s_mul_hi_u32 s30, s21, s6
	s_mul_i32 s31, s21, s6
	s_mul_i32 s35, s29, s28
	s_mul_hi_u32 s6, s29, s6
	s_mul_hi_u32 s34, s29, s28
	s_add_u32 s6, s6, s35
	s_addc_u32 s29, 0, s34
	s_add_u32 s6, s6, s31
	s_mul_hi_u32 s20, s21, s28
	s_addc_u32 s6, s29, s30
	s_addc_u32 s20, s20, 0
	s_mul_i32 s28, s21, s28
	s_add_u32 s6, s6, s28
	s_addc_u32 s20, 0, s20
	v_add_co_u32_e32 v2, vcc, s6, v2
	s_cmp_lg_u64 vcc, 0
	s_addc_u32 s6, s21, s20
	v_readfirstlane_b32 s28, v2
	s_mul_i32 s21, s3, s6
	s_mul_hi_u32 s29, s3, s28
	s_mul_hi_u32 s20, s3, s6
	s_add_u32 s21, s29, s21
	s_addc_u32 s20, 0, s20
	s_mul_hi_u32 s30, s7, s28
	s_mul_i32 s28, s7, s28
	s_add_u32 s21, s21, s28
	s_mul_hi_u32 s29, s7, s6
	s_addc_u32 s20, s20, s30
	s_addc_u32 s21, s29, 0
	s_mul_i32 s6, s7, s6
	s_add_u32 s6, s20, s6
	s_addc_u32 s20, 0, s21
	s_mul_hi_u32 s21, s33, s6
	s_mul_i32 s6, s33, s6
	s_mul_i32 s20, s33, s20
	v_mov_b32_e32 v2, s6
	s_add_i32 s21, s21, s20
	v_sub_co_u32_e32 v2, vcc, s3, v2
	s_cmp_lg_u64 vcc, 0
	s_subb_u32 s6, s7, s21
	v_subrev_co_u32_e32 v3, vcc, s33, v2
	s_cmp_lg_u64 vcc, 0
	s_subb_u32 s20, s6, 0
	v_subrev_co_u32_e32 v4, vcc, s33, v3
	s_cmp_lg_u64 vcc, 0
	s_subb_u32 s21, s20, 0
	v_cmp_le_u32_e32 vcc, s33, v3
	s_cmp_eq_u32 s20, 0
	v_cndmask_b32_e64 v5, 0, -1, vcc
	s_cselect_b64 vcc, -1, 0
	v_cndmask_b32_e32 v5, -1, v5, vcc
	v_mov_b32_e32 v6, s20
	v_mov_b32_e32 v7, s21
	v_cmp_ne_u32_e32 vcc, 0, v5
	v_cndmask_b32_e32 v5, v6, v7, vcc
	v_cndmask_b32_e32 v4, v3, v4, vcc
	v_cmp_le_u32_e32 vcc, s33, v2
	s_cmp_eq_u32 s6, 0
	v_cndmask_b32_e64 v3, 0, -1, vcc
	s_cselect_b64 vcc, -1, 0
	v_cndmask_b32_e32 v3, -1, v3, vcc
	v_mov_b32_e32 v6, s6
	v_cmp_ne_u32_e32 vcc, 0, v3
	v_cndmask_b32_e32 v3, v6, v5, vcc
	v_cndmask_b32_e32 v2, v2, v4, vcc
	s_cbranch_execnz .LBB201_110
.LBB201_109:                            ;   in Loop: Header=BB201_31 Depth=1
	v_cvt_f32_u32_e32 v2, s33
	s_sub_i32 s6, 0, s33
	v_rcp_iflag_f32_e32 v2, v2
	v_mul_f32_e32 v2, 0x4f7ffffe, v2
	v_cvt_u32_f32_e32 v2, v2
	v_mul_lo_u32 v3, s6, v2
	v_mul_hi_u32 v3, v2, v3
	v_add_u32_e32 v2, v2, v3
	v_mul_hi_u32 v2, s3, v2
	v_mul_lo_u32 v2, v2, s33
	v_sub_u32_e32 v2, s3, v2
	v_subrev_u32_e32 v3, s33, v2
	v_cmp_le_u32_e32 vcc, s33, v2
	v_cndmask_b32_e32 v2, v2, v3, vcc
	v_subrev_u32_e32 v3, s33, v2
	v_cmp_le_u32_e32 vcc, s33, v2
	v_cndmask_b32_e32 v14, v2, v3, vcc
	v_pk_mov_b32 v[2:3], v[14:15], v[14:15] op_sel:[0,1]
.LBB201_110:                            ;   in Loop: Header=BB201_31 Depth=1
	v_mov_b32_e32 v4, s7
	v_sub_co_u32_e32 v2, vcc, s3, v2
	v_subb_co_u32_e32 v3, vcc, v4, v3, vcc
	v_cmp_gt_u64_e32 vcc, v[2:3], v[0:1]
	s_mov_b64 s[6:7], 0
                                        ; implicit-def: $vgpr5
	s_and_saveexec_b64 s[20:21], vcc
	s_cbranch_execz .LBB201_125
; %bb.111:                              ;   in Loop: Header=BB201_31 Depth=1
	s_mov_b64 s[28:29], 0
	v_mov_b32_e32 v8, v16
	v_pk_mov_b32 v[6:7], v[0:1], v[0:1] op_sel:[0,1]
                                        ; implicit-def: $sgpr34_sgpr35
	s_branch .LBB201_113
.LBB201_112:                            ;   in Loop: Header=BB201_113 Depth=2
	s_or_b64 exec, exec, s[6:7]
	s_waitcnt lgkmcnt(0)
	s_barrier
	ds_read_b64 v[4:5], v15 offset:3072
	v_add_co_u32_e64 v6, s[6:7], s33, v6
	v_add_u32_e32 v8, s2, v8
	s_waitcnt lgkmcnt(0)
	v_cmp_neq_f32_e32 vcc, 0, v4
	v_mov_b32_e32 v4, s92
	v_addc_co_u32_e64 v7, s[6:7], v7, v4, s[6:7]
	v_cmp_ge_u64_e64 s[6:7], v[6:7], v[2:3]
	s_or_b64 s[6:7], s[6:7], vcc
	s_and_b64 s[6:7], exec, s[6:7]
	s_or_b64 s[28:29], s[6:7], s[28:29]
	s_andn2_b64 s[6:7], s[34:35], exec
	s_and_b64 s[30:31], vcc, exec
	s_or_b64 s[34:35], s[6:7], s[30:31]
	s_barrier
	s_andn2_b64 exec, exec, s[28:29]
	s_cbranch_execz .LBB201_124
.LBB201_113:                            ;   Parent Loop BB201_31 Depth=1
                                        ; =>  This Inner Loop Header: Depth=2
	v_cmp_gt_u64_e32 vcc, s[0:1], v[6:7]
	v_mov_b32_e32 v29, 0
	s_and_saveexec_b64 s[6:7], vcc
	s_cbranch_execz .LBB201_115
; %bb.114:                              ;   in Loop: Header=BB201_113 Depth=2
	ds_read_b32 v29, v8
.LBB201_115:                            ;   in Loop: Header=BB201_113 Depth=2
	s_or_b64 exec, exec, s[6:7]
	s_and_saveexec_b64 s[6:7], vcc
	s_cbranch_execz .LBB201_112
; %bb.116:                              ;   in Loop: Header=BB201_113 Depth=2
	s_waitcnt lgkmcnt(0)
	v_cmp_lt_i32_e32 vcc, -1, v29
	v_cndmask_b32_e32 v4, -1, v52, vcc
	v_xor_b32_e32 v4, v4, v29
	v_cmp_o_f32_e32 vcc, v29, v29
	v_cndmask_b32_e32 v4, -1, v4, vcc
	v_and_b32_e32 v4, v4, v36
	v_cmp_eq_u32_e32 vcc, v4, v30
	s_and_b64 exec, exec, vcc
	s_cbranch_execz .LBB201_112
; %bb.117:                              ;   in Loop: Header=BB201_113 Depth=2
	ds_write_b64 v15, v[28:29] offset:3072
	s_branch .LBB201_112
.LBB201_118:                            ;   in Loop: Header=BB201_31 Depth=1
	s_mov_b64 s[28:29], 0
	s_mov_b64 s[26:27], 0
                                        ; implicit-def: $sgpr34_sgpr35
                                        ; implicit-def: $sgpr36_sgpr37
                                        ; implicit-def: $sgpr20_sgpr21
                                        ; implicit-def: $vgpr8
                                        ; implicit-def: $vgpr2_vgpr3
                                        ; implicit-def: $vgpr30
                                        ; implicit-def: $vgpr36
                                        ; implicit-def: $vgpr5
	s_cbranch_execnz .LBB201_304
.LBB201_119:                            ;   in Loop: Header=BB201_31 Depth=1
	s_mov_b64 s[14:15], s[20:21]
	s_mov_b64 s[38:39], s[20:21]
	s_and_saveexec_b64 s[0:1], s[28:29]
	s_cbranch_execnz .LBB201_500
	s_branch .LBB201_501
.LBB201_120:                            ;   in Loop: Header=BB201_31 Depth=1
	s_or_b64 exec, exec, s[0:1]
	s_waitcnt lgkmcnt(0)
	s_barrier
	s_mov_b64 s[0:1], exec
	v_readlane_b32 s6, v57, 10
	v_readlane_b32 s7, v57, 11
	s_and_b64 s[6:7], s[0:1], s[6:7]
	s_mov_b64 exec, s[6:7]
	s_cbranch_execz .LBB201_122
; %bb.121:                              ;   in Loop: Header=BB201_31 Depth=1
	ds_read_b32 v2, v15 offset:5144
	s_waitcnt lgkmcnt(0)
	v_ashrrev_i32_e32 v3, 31, v2
	ds_write_b64 v15, v[2:3] offset:5120
.LBB201_122:                            ;   in Loop: Header=BB201_31 Depth=1
	s_or_b64 exec, exec, s[0:1]
	s_waitcnt lgkmcnt(0)
	s_barrier
	s_mov_b64 s[0:1], -1
	s_and_b64 vcc, exec, s[68:69]
	s_cbranch_vccnz .LBB201_49
	s_branch .LBB201_59
.LBB201_123:                            ;   in Loop: Header=BB201_31 Depth=1
	s_mov_b64 s[20:21], -1
	s_mov_b64 s[6:7], 0
                                        ; implicit-def: $sgpr34_sgpr35
                                        ; implicit-def: $vgpr5
	s_mov_b64 s[36:37], s[20:21]
	s_cbranch_execnz .LBB201_126
	s_branch .LBB201_139
.LBB201_124:                            ;   in Loop: Header=BB201_31 Depth=1
	s_or_b64 exec, exec, s[28:29]
	s_and_b64 s[6:7], s[34:35], exec
.LBB201_125:                            ;   in Loop: Header=BB201_31 Depth=1
	s_or_b64 exec, exec, s[20:21]
	s_mov_b64 s[34:35], -1
	s_mov_b64 s[20:21], 0
	s_mov_b64 s[36:37], s[20:21]
	s_branch .LBB201_139
.LBB201_126:                            ;   in Loop: Header=BB201_31 Depth=1
	v_readlane_b32 s6, v57, 31
	v_readlane_b32 s7, v57, 32
	s_mov_b32 s6, s87
	s_mov_b32 s1, s7
	s_cmp_lg_u64 s[6:7], 0
	v_writelane_b32 v57, s0, 31
	v_writelane_b32 v57, s1, 32
	s_cbranch_scc0 .LBB201_168
; %bb.127:                              ;   in Loop: Header=BB201_31 Depth=1
	v_cvt_f32_u32_e32 v2, s33
	s_sub_u32 s0, 0, s33
	s_subb_u32 s1, 0, 0
	v_mac_f32_e32 v2, 0, v53
	v_rcp_f32_e32 v2, v2
	v_mul_f32_e32 v2, 0x5f7ffffc, v2
	v_mul_f32_e32 v3, 0x2f800000, v2
	v_trunc_f32_e32 v3, v3
	v_mac_f32_e32 v2, 0xcf800000, v3
	v_cvt_u32_f32_e32 v3, v3
	v_cvt_u32_f32_e32 v2, v2
	v_readfirstlane_b32 s3, v3
	v_readfirstlane_b32 s6, v2
	s_mul_i32 s7, s0, s3
	s_mul_hi_u32 s21, s0, s6
	s_mul_i32 s20, s1, s6
	s_add_i32 s7, s21, s7
	s_mul_i32 s28, s0, s6
	s_add_i32 s7, s7, s20
	s_mul_hi_u32 s21, s6, s28
	s_mul_hi_u32 s20, s6, s7
	s_mul_i32 s6, s6, s7
	s_add_u32 s6, s21, s6
	s_addc_u32 s20, 0, s20
	s_mul_hi_u32 s29, s3, s28
	s_mul_i32 s28, s3, s28
	s_add_u32 s6, s6, s28
	s_mul_hi_u32 s21, s3, s7
	s_addc_u32 s6, s20, s29
	s_addc_u32 s20, s21, 0
	s_mul_i32 s7, s3, s7
	s_add_u32 s6, s6, s7
	s_addc_u32 s7, 0, s20
	v_add_co_u32_e32 v2, vcc, s6, v2
	s_cmp_lg_u64 vcc, 0
	s_addc_u32 s3, s3, s7
	v_readfirstlane_b32 s7, v2
	s_mul_i32 s6, s0, s3
	s_mul_hi_u32 s20, s0, s7
	s_add_i32 s6, s20, s6
	s_mul_i32 s1, s1, s7
	s_add_i32 s6, s6, s1
	s_mul_i32 s0, s0, s7
	s_mul_hi_u32 s20, s3, s0
	s_mul_i32 s21, s3, s0
	s_mul_i32 s29, s7, s6
	s_mul_hi_u32 s0, s7, s0
	s_mul_hi_u32 s28, s7, s6
	s_add_u32 s0, s0, s29
	s_addc_u32 s7, 0, s28
	s_add_u32 s0, s0, s21
	s_mul_hi_u32 s1, s3, s6
	s_addc_u32 s0, s7, s20
	s_addc_u32 s1, s1, 0
	s_mul_i32 s6, s3, s6
	s_add_u32 s0, s0, s6
	s_addc_u32 s1, 0, s1
	v_add_co_u32_e32 v2, vcc, s0, v2
	s_cmp_lg_u64 vcc, 0
	s_addc_u32 s0, s3, s1
	v_readlane_b32 s21, v57, 29
	v_readfirstlane_b32 s6, v2
	v_readlane_b32 s28, v57, 31
	s_mul_i32 s3, s21, s0
	s_mul_hi_u32 s7, s21, s6
	v_readlane_b32 s29, v57, 32
	s_add_u32 s3, s7, s3
	s_mul_hi_u32 s7, s29, s0
	v_readlane_b32 s28, v57, 31
	v_readlane_b32 s29, v57, 32
	s_mul_hi_u32 s20, s29, s6
	v_readlane_b32 s28, v57, 31
	s_mul_hi_u32 s1, s21, s0
	v_readlane_b32 s29, v57, 32
	s_addc_u32 s1, 0, s1
	s_mul_i32 s6, s29, s6
	s_add_u32 s3, s3, s6
	s_addc_u32 s1, s1, s20
	s_addc_u32 s3, s7, 0
	v_readlane_b32 s6, v57, 31
	v_readlane_b32 s7, v57, 32
	s_mul_i32 s0, s7, s0
	s_add_u32 s0, s1, s0
	s_addc_u32 s1, 0, s3
	s_mul_hi_u32 s3, s33, s0
	s_mul_i32 s0, s33, s0
	s_mul_i32 s1, s33, s1
	v_mov_b32_e32 v2, s0
	s_add_i32 s3, s3, s1
	v_sub_co_u32_e32 v2, vcc, s21, v2
	s_cmp_lg_u64 vcc, 0
	s_subb_u32 s0, s7, s3
	v_subrev_co_u32_e32 v3, vcc, s33, v2
	s_cmp_lg_u64 vcc, 0
	s_subb_u32 s1, s0, 0
	v_subrev_co_u32_e32 v4, vcc, s33, v3
	s_cmp_lg_u64 vcc, 0
	s_subb_u32 s3, s1, 0
	v_cmp_le_u32_e32 vcc, s33, v3
	s_cmp_eq_u32 s1, 0
	v_cndmask_b32_e64 v5, 0, -1, vcc
	s_cselect_b64 vcc, -1, 0
	v_cndmask_b32_e32 v5, -1, v5, vcc
	v_mov_b32_e32 v6, s1
	v_mov_b32_e32 v7, s3
	v_cmp_ne_u32_e32 vcc, 0, v5
	v_cndmask_b32_e32 v5, v6, v7, vcc
	v_cndmask_b32_e32 v4, v3, v4, vcc
	v_cmp_le_u32_e32 vcc, s33, v2
	s_cmp_eq_u32 s0, 0
	v_cndmask_b32_e64 v3, 0, -1, vcc
	s_cselect_b64 vcc, -1, 0
	v_cndmask_b32_e32 v3, -1, v3, vcc
	v_mov_b32_e32 v6, s0
	v_cmp_ne_u32_e32 vcc, 0, v3
	v_cndmask_b32_e32 v3, v6, v5, vcc
	v_cndmask_b32_e32 v2, v2, v4, vcc
	s_cbranch_execnz .LBB201_129
.LBB201_128:                            ;   in Loop: Header=BB201_31 Depth=1
	v_cvt_f32_u32_e32 v2, s33
	s_sub_i32 s0, 0, s33
	v_rcp_iflag_f32_e32 v2, v2
	v_mul_f32_e32 v2, 0x4f7ffffe, v2
	v_cvt_u32_f32_e32 v2, v2
	v_mul_lo_u32 v3, s0, v2
	v_mul_hi_u32 v3, v2, v3
	v_add_u32_e32 v2, v2, v3
	v_readlane_b32 s0, v57, 29
	v_mul_hi_u32 v2, s0, v2
	v_mul_lo_u32 v2, v2, s33
	v_sub_u32_e32 v2, s0, v2
	v_subrev_u32_e32 v3, s33, v2
	v_cmp_le_u32_e32 vcc, s33, v2
	v_cndmask_b32_e32 v2, v2, v3, vcc
	v_subrev_u32_e32 v3, s33, v2
	v_cmp_le_u32_e32 vcc, s33, v2
	v_cndmask_b32_e32 v14, v2, v3, vcc
	v_pk_mov_b32 v[2:3], v[14:15], v[14:15] op_sel:[0,1]
.LBB201_129:                            ;   in Loop: Header=BB201_31 Depth=1
	v_readlane_b32 s0, v57, 29
	v_mov_b32_e32 v4, s7
	v_sub_co_u32_e32 v2, vcc, s0, v2
	v_subb_co_u32_e32 v3, vcc, v4, v3, vcc
	v_cmp_gt_u64_e32 vcc, v[2:3], v[0:1]
	s_mov_b64 s[6:7], 0
                                        ; implicit-def: $vgpr5
	s_and_saveexec_b64 s[0:1], vcc
	s_cbranch_execz .LBB201_138
; %bb.130:                              ;   in Loop: Header=BB201_31 Depth=1
	s_mov_b64 s[20:21], 0
	v_pk_mov_b32 v[6:7], v[26:27], v[26:27] op_sel:[0,1]
	v_pk_mov_b32 v[8:9], v[0:1], v[0:1] op_sel:[0,1]
                                        ; implicit-def: $sgpr28_sgpr29
	s_branch .LBB201_132
.LBB201_131:                            ;   in Loop: Header=BB201_132 Depth=2
	s_or_b64 exec, exec, s[6:7]
	s_waitcnt lgkmcnt(0)
	s_barrier
	ds_read_b64 v[4:5], v15 offset:3072
	v_add_co_u32_e64 v8, s[6:7], s33, v8
	s_waitcnt lgkmcnt(0)
	s_barrier
	v_cmp_neq_f32_e32 vcc, 0, v4
	v_mov_b32_e32 v4, s92
	v_addc_co_u32_e64 v9, s[6:7], v9, v4, s[6:7]
	v_cmp_ge_u64_e64 s[6:7], v[8:9], v[2:3]
	s_or_b64 s[30:31], s[6:7], vcc
	v_mov_b32_e32 v4, s65
	v_add_co_u32_e64 v6, s[6:7], s64, v6
	v_addc_co_u32_e64 v7, s[6:7], v7, v4, s[6:7]
	s_and_b64 s[6:7], exec, s[30:31]
	s_or_b64 s[20:21], s[6:7], s[20:21]
	s_andn2_b64 s[6:7], s[28:29], exec
	s_and_b64 s[28:29], vcc, exec
	s_or_b64 s[28:29], s[6:7], s[28:29]
	s_andn2_b64 exec, exec, s[20:21]
	s_cbranch_execz .LBB201_137
.LBB201_132:                            ;   Parent Loop BB201_31 Depth=1
                                        ; =>  This Inner Loop Header: Depth=2
	v_cmp_gt_u64_e32 vcc, s[60:61], v[8:9]
	s_waitcnt vmcnt(0)
	v_mov_b32_e32 v29, 0
	s_and_saveexec_b64 s[6:7], vcc
	s_cbranch_execz .LBB201_134
; %bb.133:                              ;   in Loop: Header=BB201_132 Depth=2
	global_load_dword v29, v[6:7], off
.LBB201_134:                            ;   in Loop: Header=BB201_132 Depth=2
	s_or_b64 exec, exec, s[6:7]
	s_and_saveexec_b64 s[6:7], vcc
	s_cbranch_execz .LBB201_131
; %bb.135:                              ;   in Loop: Header=BB201_132 Depth=2
	s_waitcnt vmcnt(0)
	v_cmp_lt_i32_e32 vcc, -1, v29
	v_cndmask_b32_e32 v4, -1, v52, vcc
	v_xor_b32_e32 v4, v4, v29
	v_cmp_o_f32_e32 vcc, v29, v29
	v_cndmask_b32_e32 v4, -1, v4, vcc
	v_and_b32_e32 v4, v4, v36
	v_cmp_eq_u32_e32 vcc, v4, v30
	s_and_b64 exec, exec, vcc
	s_cbranch_execz .LBB201_131
; %bb.136:                              ;   in Loop: Header=BB201_132 Depth=2
	ds_write_b64 v15, v[28:29] offset:3072
	s_branch .LBB201_131
.LBB201_137:                            ;   in Loop: Header=BB201_31 Depth=1
	s_or_b64 exec, exec, s[20:21]
	s_and_b64 s[6:7], s[28:29], exec
.LBB201_138:                            ;   in Loop: Header=BB201_31 Depth=1
	s_or_b64 exec, exec, s[0:1]
	s_mov_b64 s[36:37], -1
	s_mov_b64 s[20:21], 0
	s_mov_b64 s[34:35], 0
.LBB201_139:                            ;   in Loop: Header=BB201_31 Depth=1
	s_orn2_b64 s[0:1], s[6:7], exec
.LBB201_140:                            ;   in Loop: Header=BB201_31 Depth=1
	s_or_b64 exec, exec, s[26:27]
	s_mov_b64 s[38:39], 0
	s_mov_b64 s[28:29], 0
	;; [unrolled: 1-line block ×3, first 2 shown]
                                        ; implicit-def: $vgpr8
                                        ; implicit-def: $vgpr2_vgpr3
	s_and_saveexec_b64 s[40:41], s[0:1]
	s_cbranch_execz .LBB201_303
; %bb.141:                              ;   in Loop: Header=BB201_31 Depth=1
	v_mov_b32_e32 v2, 1
	s_xor_b64 s[26:27], s[42:43], -1
	s_mov_b64 s[6:7], 0
	v_mov_b32_e32 v3, 0
	v_mov_b32_e32 v8, 1
	s_and_saveexec_b64 s[0:1], s[26:27]
	s_cbranch_execz .LBB201_151
; %bb.142:                              ;   in Loop: Header=BB201_31 Depth=1
	v_cmp_ge_u64_e32 vcc, s[16:17], v[32:33]
                                        ; implicit-def: $sgpr3
                                        ; implicit-def: $sgpr6_sgpr7
	s_and_saveexec_b64 s[26:27], vcc
	s_xor_b64 s[26:27], exec, s[26:27]
	s_cbranch_execz .LBB201_148
; %bb.143:                              ;   in Loop: Header=BB201_31 Depth=1
	ds_read_b64 v[2:3], v15 offset:5120
	s_waitcnt lgkmcnt(0)
	v_cmp_ne_u64_e32 vcc, 0, v[2:3]
	s_cbranch_vccnz .LBB201_147
; %bb.144:                              ;   in Loop: Header=BB201_31 Depth=1
	s_mov_b64 s[6:7], exec
	v_readlane_b32 s28, v57, 10
	v_readlane_b32 s29, v57, 11
	s_and_b64 s[28:29], s[6:7], s[28:29]
	s_mov_b64 exec, s[28:29]
	s_cbranch_execz .LBB201_146
; %bb.145:                              ;   in Loop: Header=BB201_31 Depth=1
	v_pk_mov_b32 v[2:3], s[16:17], s[16:17] op_sel:[0,1]
	ds_write_b64 v15, v[2:3] offset:5128
.LBB201_146:                            ;   in Loop: Header=BB201_31 Depth=1
	s_or_b64 exec, exec, s[6:7]
	s_waitcnt lgkmcnt(0)
	s_barrier
.LBB201_147:                            ;   in Loop: Header=BB201_31 Depth=1
	v_and_b32_e32 v30, s94, v30
	v_or_b32_e32 v36, s86, v36
	s_mov_b64 s[6:7], 0
	s_mov_b32 s3, 8
.LBB201_148:                            ;   in Loop: Header=BB201_31 Depth=1
	s_or_saveexec_b64 s[26:27], s[26:27]
	v_mov_b32_e32 v8, s3
	v_pk_mov_b32 v[2:3], v[32:33], v[32:33] op_sel:[0,1]
	s_xor_b64 exec, exec, s[26:27]
; %bb.149:                              ;   in Loop: Header=BB201_31 Depth=1
	v_mov_b32_e32 v3, s17
	v_subrev_co_u32_e32 v2, vcc, s16, v32
	v_subb_co_u32_e32 v3, vcc, v33, v3, vcc
	v_mov_b32_e32 v8, 0
	s_or_b64 s[6:7], s[6:7], exec
; %bb.150:                              ;   in Loop: Header=BB201_31 Depth=1
	s_or_b64 exec, exec, s[26:27]
	s_and_b64 s[6:7], s[6:7], exec
.LBB201_151:                            ;   in Loop: Header=BB201_31 Depth=1
	s_or_b64 exec, exec, s[0:1]
	s_mov_b64 s[42:43], -1
                                        ; implicit-def: $sgpr0_sgpr1
                                        ; implicit-def: $sgpr28_sgpr29
                                        ; implicit-def: $sgpr46_sgpr47
	s_and_saveexec_b64 s[26:27], s[6:7]
	s_xor_b64 s[26:27], exec, s[26:27]
	s_cbranch_execz .LBB201_300
; %bb.152:                              ;   in Loop: Header=BB201_31 Depth=1
	s_cmp_eq_u64 s[18:19], 1
	s_cselect_b64 s[0:1], -1, 0
	v_cmp_eq_u64_e32 vcc, 1, v[2:3]
	s_and_b64 s[48:49], s[0:1], vcc
	s_mov_b64 s[0:1], -1
                                        ; implicit-def: $sgpr28_sgpr29
                                        ; implicit-def: $sgpr44_sgpr45
                                        ; implicit-def: $sgpr42_sgpr43
	s_and_saveexec_b64 s[46:47], s[48:49]
	s_cbranch_execz .LBB201_186
; %bb.153:                              ;   in Loop: Header=BB201_31 Depth=1
	ds_read_b64 v[4:5], v15 offset:5120
	s_waitcnt lgkmcnt(0)
	s_barrier
	v_readfirstlane_b32 s0, v4
	v_readfirstlane_b32 s1, v5
	s_mov_b64 s[6:7], exec
	v_readlane_b32 s28, v57, 24
	v_readlane_b32 s29, v57, 25
	s_and_b64 s[28:29], s[6:7], s[28:29]
	s_mov_b64 exec, s[28:29]
	s_cbranch_execz .LBB201_155
; %bb.154:                              ;   in Loop: Header=BB201_31 Depth=1
	ds_write_b32 v49, v15
.LBB201_155:                            ;   in Loop: Header=BB201_31 Depth=1
	s_or_b64 exec, exec, s[6:7]
	v_and_b32_e32 v4, s94, v30
	v_lshl_or_b32 v30, 1, s95, v4
	v_or_b32_e32 v36, s86, v36
	s_cmp_eq_u64 s[0:1], 0
	s_waitcnt lgkmcnt(0)
	s_barrier
	s_cbranch_scc1 .LBB201_169
; %bb.156:                              ;   in Loop: Header=BB201_31 Depth=1
	v_readlane_b32 s3, v57, 28
	s_add_u32 s3, s3, s0
	v_readlane_b32 s6, v57, 30
	s_addc_u32 s7, s6, s1
	s_mov_b32 s6, s87
	s_cmp_lg_u64 s[6:7], 0
	s_cbranch_scc0 .LBB201_213
; %bb.157:                              ;   in Loop: Header=BB201_31 Depth=1
	v_cvt_f32_u32_e32 v4, s33
	s_sub_u32 s6, 0, s33
	s_subb_u32 s28, 0, 0
	v_mac_f32_e32 v4, 0, v53
	v_rcp_f32_e32 v4, v4
	v_mul_f32_e32 v4, 0x5f7ffffc, v4
	v_mul_f32_e32 v5, 0x2f800000, v4
	v_trunc_f32_e32 v5, v5
	v_mac_f32_e32 v4, 0xcf800000, v5
	v_cvt_u32_f32_e32 v5, v5
	v_cvt_u32_f32_e32 v4, v4
	v_readfirstlane_b32 s29, v5
	v_readfirstlane_b32 s30, v4
	s_mul_i32 s31, s6, s29
	s_mul_hi_u32 s43, s6, s30
	s_mul_i32 s42, s28, s30
	s_add_i32 s31, s43, s31
	s_mul_i32 s44, s6, s30
	s_add_i32 s31, s31, s42
	s_mul_hi_u32 s43, s30, s44
	s_mul_hi_u32 s42, s30, s31
	s_mul_i32 s30, s30, s31
	s_add_u32 s30, s43, s30
	s_addc_u32 s42, 0, s42
	s_mul_hi_u32 s45, s29, s44
	s_mul_i32 s44, s29, s44
	s_add_u32 s30, s30, s44
	s_mul_hi_u32 s43, s29, s31
	s_addc_u32 s30, s42, s45
	s_addc_u32 s42, s43, 0
	s_mul_i32 s31, s29, s31
	s_add_u32 s30, s30, s31
	s_addc_u32 s31, 0, s42
	v_add_co_u32_e32 v4, vcc, s30, v4
	s_cmp_lg_u64 vcc, 0
	s_addc_u32 s29, s29, s31
	v_readfirstlane_b32 s31, v4
	s_mul_i32 s30, s6, s29
	s_mul_hi_u32 s42, s6, s31
	s_add_i32 s30, s42, s30
	s_mul_i32 s28, s28, s31
	s_add_i32 s30, s30, s28
	s_mul_i32 s6, s6, s31
	s_mul_hi_u32 s42, s29, s6
	s_mul_i32 s43, s29, s6
	s_mul_i32 s45, s31, s30
	s_mul_hi_u32 s6, s31, s6
	s_mul_hi_u32 s44, s31, s30
	s_add_u32 s6, s6, s45
	s_addc_u32 s31, 0, s44
	s_add_u32 s6, s6, s43
	s_mul_hi_u32 s28, s29, s30
	s_addc_u32 s6, s31, s42
	s_addc_u32 s28, s28, 0
	s_mul_i32 s30, s29, s30
	s_add_u32 s6, s6, s30
	s_addc_u32 s28, 0, s28
	v_add_co_u32_e32 v4, vcc, s6, v4
	s_cmp_lg_u64 vcc, 0
	s_addc_u32 s6, s29, s28
	v_readfirstlane_b32 s30, v4
	s_mul_i32 s29, s3, s6
	s_mul_hi_u32 s31, s3, s30
	s_mul_hi_u32 s28, s3, s6
	s_add_u32 s29, s31, s29
	s_addc_u32 s28, 0, s28
	s_mul_hi_u32 s42, s7, s30
	s_mul_i32 s30, s7, s30
	s_add_u32 s29, s29, s30
	s_mul_hi_u32 s31, s7, s6
	s_addc_u32 s28, s28, s42
	s_addc_u32 s29, s31, 0
	s_mul_i32 s6, s7, s6
	s_add_u32 s6, s28, s6
	s_addc_u32 s28, 0, s29
	s_mul_hi_u32 s29, s33, s6
	s_mul_i32 s6, s33, s6
	s_mul_i32 s28, s33, s28
	v_mov_b32_e32 v4, s6
	s_add_i32 s29, s29, s28
	v_sub_co_u32_e32 v4, vcc, s3, v4
	s_cmp_lg_u64 vcc, 0
	s_subb_u32 s6, s7, s29
	v_subrev_co_u32_e32 v5, vcc, s33, v4
	s_cmp_lg_u64 vcc, 0
	s_subb_u32 s28, s6, 0
	v_subrev_co_u32_e32 v6, vcc, s33, v5
	s_cmp_lg_u64 vcc, 0
	s_subb_u32 s29, s28, 0
	v_cmp_le_u32_e32 vcc, s33, v5
	s_cmp_eq_u32 s28, 0
	v_cndmask_b32_e64 v7, 0, -1, vcc
	s_cselect_b64 vcc, -1, 0
	v_cndmask_b32_e32 v7, -1, v7, vcc
	v_mov_b32_e32 v8, s28
	v_mov_b32_e32 v9, s29
	v_cmp_ne_u32_e32 vcc, 0, v7
	v_cndmask_b32_e32 v7, v8, v9, vcc
	v_cndmask_b32_e32 v6, v5, v6, vcc
	v_cmp_le_u32_e32 vcc, s33, v4
	s_cmp_eq_u32 s6, 0
	v_cndmask_b32_e64 v5, 0, -1, vcc
	s_cselect_b64 vcc, -1, 0
	v_cndmask_b32_e32 v5, -1, v5, vcc
	v_mov_b32_e32 v8, s6
	v_cmp_ne_u32_e32 vcc, 0, v5
	v_cndmask_b32_e32 v5, v8, v7, vcc
	v_cndmask_b32_e32 v4, v4, v6, vcc
	s_cbranch_execnz .LBB201_159
.LBB201_158:                            ;   in Loop: Header=BB201_31 Depth=1
	v_cvt_f32_u32_e32 v4, s33
	s_sub_i32 s6, 0, s33
	v_rcp_iflag_f32_e32 v4, v4
	v_mul_f32_e32 v4, 0x4f7ffffe, v4
	v_cvt_u32_f32_e32 v4, v4
	v_mul_lo_u32 v5, s6, v4
	v_mul_hi_u32 v5, v4, v5
	v_add_u32_e32 v4, v4, v5
	v_mul_hi_u32 v4, s3, v4
	v_mul_lo_u32 v4, v4, s33
	v_sub_u32_e32 v4, s3, v4
	v_subrev_u32_e32 v5, s33, v4
	v_cmp_le_u32_e32 vcc, s33, v4
	v_cndmask_b32_e32 v4, v4, v5, vcc
	v_subrev_u32_e32 v5, s33, v4
	v_cmp_le_u32_e32 vcc, s33, v4
	v_cndmask_b32_e32 v14, v4, v5, vcc
	v_pk_mov_b32 v[4:5], v[14:15], v[14:15] op_sel:[0,1]
.LBB201_159:                            ;   in Loop: Header=BB201_31 Depth=1
	v_mov_b32_e32 v7, s7
	v_sub_co_u32_e32 v6, vcc, s3, v4
	v_subb_co_u32_e32 v7, vcc, v7, v5, vcc
	v_cmp_gt_u64_e32 vcc, v[6:7], v[0:1]
	s_mov_b64 s[6:7], 0
                                        ; implicit-def: $vgpr5
	s_and_saveexec_b64 s[28:29], vcc
	s_cbranch_execz .LBB201_171
; %bb.160:                              ;   in Loop: Header=BB201_31 Depth=1
	s_mov_b64 s[42:43], 0
	v_mov_b32_e32 v14, v16
	v_pk_mov_b32 v[8:9], v[0:1], v[0:1] op_sel:[0,1]
                                        ; implicit-def: $sgpr44_sgpr45
	s_branch .LBB201_162
.LBB201_161:                            ;   in Loop: Header=BB201_162 Depth=2
	s_or_b64 exec, exec, s[6:7]
	s_waitcnt lgkmcnt(0)
	s_barrier
	ds_read_b64 v[4:5], v15 offset:3072
	v_add_co_u32_e64 v8, s[6:7], s33, v8
	v_add_u32_e32 v14, s2, v14
	s_waitcnt lgkmcnt(0)
	v_cmp_neq_f32_e32 vcc, 0, v4
	v_mov_b32_e32 v4, s92
	v_addc_co_u32_e64 v9, s[6:7], v9, v4, s[6:7]
	v_cmp_ge_u64_e64 s[6:7], v[8:9], v[6:7]
	s_or_b64 s[6:7], s[6:7], vcc
	s_and_b64 s[6:7], exec, s[6:7]
	s_or_b64 s[42:43], s[6:7], s[42:43]
	s_andn2_b64 s[6:7], s[44:45], exec
	s_and_b64 s[30:31], vcc, exec
	s_or_b64 s[44:45], s[6:7], s[30:31]
	s_barrier
	s_andn2_b64 exec, exec, s[42:43]
	s_cbranch_execz .LBB201_170
.LBB201_162:                            ;   Parent Loop BB201_31 Depth=1
                                        ; =>  This Inner Loop Header: Depth=2
	v_cmp_gt_u64_e32 vcc, s[0:1], v[8:9]
	s_waitcnt vmcnt(0)
	v_mov_b32_e32 v29, 0
	s_and_saveexec_b64 s[6:7], vcc
	s_cbranch_execz .LBB201_164
; %bb.163:                              ;   in Loop: Header=BB201_162 Depth=2
	ds_read_b32 v29, v14
.LBB201_164:                            ;   in Loop: Header=BB201_162 Depth=2
	s_or_b64 exec, exec, s[6:7]
	s_and_saveexec_b64 s[6:7], vcc
	s_cbranch_execz .LBB201_161
; %bb.165:                              ;   in Loop: Header=BB201_162 Depth=2
	s_waitcnt lgkmcnt(0)
	v_cmp_lt_i32_e32 vcc, -1, v29
	v_cndmask_b32_e32 v4, -1, v52, vcc
	v_xor_b32_e32 v4, v4, v29
	v_cmp_o_f32_e32 vcc, v29, v29
	v_cndmask_b32_e32 v4, -1, v4, vcc
	v_and_b32_e32 v4, v4, v36
	v_cmp_eq_u32_e32 vcc, v4, v30
	s_and_b64 exec, exec, vcc
	s_cbranch_execz .LBB201_161
; %bb.166:                              ;   in Loop: Header=BB201_162 Depth=2
	ds_write_b64 v15, v[28:29] offset:3072
	s_branch .LBB201_161
.LBB201_167:                            ;   in Loop: Header=BB201_31 Depth=1
                                        ; implicit-def: $vgpr2_vgpr3
	s_branch .LBB201_109
.LBB201_168:                            ;   in Loop: Header=BB201_31 Depth=1
                                        ; implicit-def: $vgpr2_vgpr3
	s_branch .LBB201_128
.LBB201_169:                            ;   in Loop: Header=BB201_31 Depth=1
	s_mov_b64 s[28:29], -1
	s_mov_b64 s[6:7], 0
                                        ; implicit-def: $sgpr42_sgpr43
                                        ; implicit-def: $vgpr5
	s_mov_b64 s[44:45], s[28:29]
	s_cbranch_execnz .LBB201_172
	s_branch .LBB201_185
.LBB201_170:                            ;   in Loop: Header=BB201_31 Depth=1
	s_or_b64 exec, exec, s[42:43]
	s_and_b64 s[6:7], s[44:45], exec
.LBB201_171:                            ;   in Loop: Header=BB201_31 Depth=1
	s_or_b64 exec, exec, s[28:29]
	s_mov_b64 s[42:43], -1
	s_mov_b64 s[28:29], 0
	s_mov_b64 s[44:45], s[28:29]
	s_branch .LBB201_185
.LBB201_172:                            ;   in Loop: Header=BB201_31 Depth=1
	v_readlane_b32 s6, v57, 31
	v_readlane_b32 s7, v57, 32
	s_mov_b32 s6, s87
	s_mov_b32 s1, s7
	s_cmp_lg_u64 s[6:7], 0
	v_writelane_b32 v57, s0, 31
	v_writelane_b32 v57, s1, 32
	s_cbranch_scc0 .LBB201_214
; %bb.173:                              ;   in Loop: Header=BB201_31 Depth=1
	v_cvt_f32_u32_e32 v4, s33
	s_sub_u32 s0, 0, s33
	s_subb_u32 s1, 0, 0
	v_mac_f32_e32 v4, 0, v53
	v_rcp_f32_e32 v4, v4
	v_mul_f32_e32 v4, 0x5f7ffffc, v4
	v_mul_f32_e32 v5, 0x2f800000, v4
	v_trunc_f32_e32 v5, v5
	v_mac_f32_e32 v4, 0xcf800000, v5
	v_cvt_u32_f32_e32 v5, v5
	v_cvt_u32_f32_e32 v4, v4
	v_readfirstlane_b32 s3, v5
	v_readfirstlane_b32 s6, v4
	s_mul_i32 s7, s0, s3
	s_mul_hi_u32 s29, s0, s6
	s_mul_i32 s28, s1, s6
	s_add_i32 s7, s29, s7
	s_mul_i32 s30, s0, s6
	s_add_i32 s7, s7, s28
	s_mul_hi_u32 s29, s6, s30
	s_mul_hi_u32 s28, s6, s7
	s_mul_i32 s6, s6, s7
	s_add_u32 s6, s29, s6
	s_addc_u32 s28, 0, s28
	s_mul_hi_u32 s31, s3, s30
	s_mul_i32 s30, s3, s30
	s_add_u32 s6, s6, s30
	s_mul_hi_u32 s29, s3, s7
	s_addc_u32 s6, s28, s31
	s_addc_u32 s28, s29, 0
	s_mul_i32 s7, s3, s7
	s_add_u32 s6, s6, s7
	s_addc_u32 s7, 0, s28
	v_add_co_u32_e32 v4, vcc, s6, v4
	s_cmp_lg_u64 vcc, 0
	s_addc_u32 s3, s3, s7
	v_readfirstlane_b32 s7, v4
	s_mul_i32 s6, s0, s3
	s_mul_hi_u32 s28, s0, s7
	s_add_i32 s6, s28, s6
	s_mul_i32 s1, s1, s7
	s_add_i32 s6, s6, s1
	s_mul_i32 s0, s0, s7
	s_mul_hi_u32 s28, s3, s0
	s_mul_i32 s29, s3, s0
	s_mul_i32 s31, s7, s6
	s_mul_hi_u32 s0, s7, s0
	s_mul_hi_u32 s30, s7, s6
	s_add_u32 s0, s0, s31
	s_addc_u32 s7, 0, s30
	s_add_u32 s0, s0, s29
	s_mul_hi_u32 s1, s3, s6
	s_addc_u32 s0, s7, s28
	s_addc_u32 s1, s1, 0
	s_mul_i32 s6, s3, s6
	s_add_u32 s0, s0, s6
	s_addc_u32 s1, 0, s1
	v_add_co_u32_e32 v4, vcc, s0, v4
	s_cmp_lg_u64 vcc, 0
	s_addc_u32 s0, s3, s1
	v_readlane_b32 s29, v57, 29
	v_readfirstlane_b32 s6, v4
	v_readlane_b32 s30, v57, 31
	s_mul_i32 s3, s29, s0
	s_mul_hi_u32 s7, s29, s6
	v_readlane_b32 s31, v57, 32
	s_add_u32 s3, s7, s3
	s_mul_hi_u32 s7, s31, s0
	v_readlane_b32 s30, v57, 31
	v_readlane_b32 s31, v57, 32
	s_mul_hi_u32 s28, s31, s6
	v_readlane_b32 s30, v57, 31
	s_mul_hi_u32 s1, s29, s0
	v_readlane_b32 s31, v57, 32
	s_addc_u32 s1, 0, s1
	s_mul_i32 s6, s31, s6
	s_add_u32 s3, s3, s6
	s_addc_u32 s1, s1, s28
	s_addc_u32 s3, s7, 0
	v_readlane_b32 s6, v57, 31
	v_readlane_b32 s7, v57, 32
	s_mul_i32 s0, s7, s0
	s_add_u32 s0, s1, s0
	s_addc_u32 s1, 0, s3
	s_mul_hi_u32 s3, s33, s0
	s_mul_i32 s0, s33, s0
	s_mul_i32 s1, s33, s1
	v_mov_b32_e32 v4, s0
	s_add_i32 s3, s3, s1
	v_sub_co_u32_e32 v4, vcc, s29, v4
	s_cmp_lg_u64 vcc, 0
	s_subb_u32 s0, s7, s3
	v_subrev_co_u32_e32 v5, vcc, s33, v4
	s_cmp_lg_u64 vcc, 0
	s_subb_u32 s1, s0, 0
	v_subrev_co_u32_e32 v6, vcc, s33, v5
	s_cmp_lg_u64 vcc, 0
	s_subb_u32 s3, s1, 0
	v_cmp_le_u32_e32 vcc, s33, v5
	s_cmp_eq_u32 s1, 0
	v_cndmask_b32_e64 v7, 0, -1, vcc
	s_cselect_b64 vcc, -1, 0
	v_cndmask_b32_e32 v7, -1, v7, vcc
	v_mov_b32_e32 v8, s1
	v_mov_b32_e32 v9, s3
	v_cmp_ne_u32_e32 vcc, 0, v7
	v_cndmask_b32_e32 v7, v8, v9, vcc
	v_cndmask_b32_e32 v6, v5, v6, vcc
	v_cmp_le_u32_e32 vcc, s33, v4
	s_cmp_eq_u32 s0, 0
	v_cndmask_b32_e64 v5, 0, -1, vcc
	s_cselect_b64 vcc, -1, 0
	v_cndmask_b32_e32 v5, -1, v5, vcc
	v_mov_b32_e32 v8, s0
	v_cmp_ne_u32_e32 vcc, 0, v5
	v_cndmask_b32_e32 v5, v8, v7, vcc
	v_cndmask_b32_e32 v4, v4, v6, vcc
	s_cbranch_execnz .LBB201_175
.LBB201_174:                            ;   in Loop: Header=BB201_31 Depth=1
	v_cvt_f32_u32_e32 v4, s33
	s_sub_i32 s0, 0, s33
	v_rcp_iflag_f32_e32 v4, v4
	v_mul_f32_e32 v4, 0x4f7ffffe, v4
	v_cvt_u32_f32_e32 v4, v4
	v_mul_lo_u32 v5, s0, v4
	v_mul_hi_u32 v5, v4, v5
	v_add_u32_e32 v4, v4, v5
	v_readlane_b32 s0, v57, 29
	v_mul_hi_u32 v4, s0, v4
	v_mul_lo_u32 v4, v4, s33
	v_sub_u32_e32 v4, s0, v4
	v_subrev_u32_e32 v5, s33, v4
	v_cmp_le_u32_e32 vcc, s33, v4
	v_cndmask_b32_e32 v4, v4, v5, vcc
	v_subrev_u32_e32 v5, s33, v4
	v_cmp_le_u32_e32 vcc, s33, v4
	v_cndmask_b32_e32 v14, v4, v5, vcc
	v_pk_mov_b32 v[4:5], v[14:15], v[14:15] op_sel:[0,1]
.LBB201_175:                            ;   in Loop: Header=BB201_31 Depth=1
	v_readlane_b32 s0, v57, 29
	v_mov_b32_e32 v7, s7
	v_sub_co_u32_e32 v6, vcc, s0, v4
	v_subb_co_u32_e32 v7, vcc, v7, v5, vcc
	v_cmp_gt_u64_e32 vcc, v[6:7], v[0:1]
	s_mov_b64 s[6:7], 0
                                        ; implicit-def: $vgpr5
	s_and_saveexec_b64 s[0:1], vcc
	s_cbranch_execz .LBB201_184
; %bb.176:                              ;   in Loop: Header=BB201_31 Depth=1
	s_mov_b64 s[28:29], 0
	v_pk_mov_b32 v[8:9], v[26:27], v[26:27] op_sel:[0,1]
	v_pk_mov_b32 v[34:35], v[0:1], v[0:1] op_sel:[0,1]
                                        ; implicit-def: $sgpr42_sgpr43
	s_branch .LBB201_178
.LBB201_177:                            ;   in Loop: Header=BB201_178 Depth=2
	s_or_b64 exec, exec, s[6:7]
	s_waitcnt lgkmcnt(0)
	s_barrier
	ds_read_b64 v[4:5], v15 offset:3072
	v_add_co_u32_e64 v34, s[6:7], s33, v34
	s_waitcnt lgkmcnt(0)
	s_barrier
	v_cmp_neq_f32_e32 vcc, 0, v4
	v_mov_b32_e32 v4, s92
	v_addc_co_u32_e64 v35, s[6:7], v35, v4, s[6:7]
	v_cmp_ge_u64_e64 s[6:7], v[34:35], v[6:7]
	s_or_b64 s[30:31], s[6:7], vcc
	v_mov_b32_e32 v4, s65
	v_add_co_u32_e64 v8, s[6:7], s64, v8
	v_addc_co_u32_e64 v9, s[6:7], v9, v4, s[6:7]
	s_and_b64 s[6:7], exec, s[30:31]
	s_or_b64 s[28:29], s[6:7], s[28:29]
	s_andn2_b64 s[6:7], s[42:43], exec
	s_and_b64 s[30:31], vcc, exec
	s_or_b64 s[42:43], s[6:7], s[30:31]
	s_andn2_b64 exec, exec, s[28:29]
	s_cbranch_execz .LBB201_183
.LBB201_178:                            ;   Parent Loop BB201_31 Depth=1
                                        ; =>  This Inner Loop Header: Depth=2
	v_cmp_gt_u64_e32 vcc, s[60:61], v[34:35]
	s_waitcnt vmcnt(0)
	v_mov_b32_e32 v29, 0
	s_and_saveexec_b64 s[6:7], vcc
	s_cbranch_execz .LBB201_180
; %bb.179:                              ;   in Loop: Header=BB201_178 Depth=2
	global_load_dword v29, v[8:9], off
.LBB201_180:                            ;   in Loop: Header=BB201_178 Depth=2
	s_or_b64 exec, exec, s[6:7]
	s_and_saveexec_b64 s[6:7], vcc
	s_cbranch_execz .LBB201_177
; %bb.181:                              ;   in Loop: Header=BB201_178 Depth=2
	s_waitcnt vmcnt(0)
	v_cmp_lt_i32_e32 vcc, -1, v29
	v_cndmask_b32_e32 v4, -1, v52, vcc
	v_xor_b32_e32 v4, v4, v29
	v_cmp_o_f32_e32 vcc, v29, v29
	v_cndmask_b32_e32 v4, -1, v4, vcc
	v_and_b32_e32 v4, v4, v36
	v_cmp_eq_u32_e32 vcc, v4, v30
	s_and_b64 exec, exec, vcc
	s_cbranch_execz .LBB201_177
; %bb.182:                              ;   in Loop: Header=BB201_178 Depth=2
	ds_write_b64 v15, v[28:29] offset:3072
	s_branch .LBB201_177
.LBB201_183:                            ;   in Loop: Header=BB201_31 Depth=1
	s_or_b64 exec, exec, s[28:29]
	s_and_b64 s[6:7], s[42:43], exec
.LBB201_184:                            ;   in Loop: Header=BB201_31 Depth=1
	s_or_b64 exec, exec, s[0:1]
	s_mov_b64 s[44:45], -1
	s_mov_b64 s[28:29], 0
	s_mov_b64 s[42:43], 0
.LBB201_185:                            ;   in Loop: Header=BB201_31 Depth=1
	s_orn2_b64 s[0:1], s[6:7], exec
.LBB201_186:                            ;   in Loop: Header=BB201_31 Depth=1
	s_or_b64 exec, exec, s[46:47]
	s_mov_b64 s[6:7], 0
                                        ; implicit-def: $vgpr8
	s_and_saveexec_b64 s[46:47], s[0:1]
	s_cbranch_execz .LBB201_299
; %bb.187:                              ;   in Loop: Header=BB201_31 Depth=1
	v_mov_b32_e32 v6, 1
	s_xor_b64 s[6:7], s[48:49], -1
	s_mov_b64 s[54:55], 0
	v_mov_b32_e32 v7, 0
	v_mov_b32_e32 v8, 1
	s_and_saveexec_b64 s[0:1], s[6:7]
	s_cbranch_execz .LBB201_197
; %bb.188:                              ;   in Loop: Header=BB201_31 Depth=1
	v_cmp_ge_u64_e32 vcc, s[18:19], v[2:3]
                                        ; implicit-def: $sgpr3
                                        ; implicit-def: $sgpr6_sgpr7
	s_and_saveexec_b64 s[30:31], vcc
	s_xor_b64 s[48:49], exec, s[30:31]
	s_cbranch_execz .LBB201_194
; %bb.189:                              ;   in Loop: Header=BB201_31 Depth=1
	ds_read_b64 v[6:7], v15 offset:5120
	s_waitcnt lgkmcnt(0)
	v_cmp_ne_u64_e32 vcc, 0, v[6:7]
	s_cbranch_vccnz .LBB201_193
; %bb.190:                              ;   in Loop: Header=BB201_31 Depth=1
	s_mov_b64 s[6:7], exec
	v_readlane_b32 s30, v57, 10
	v_readlane_b32 s31, v57, 11
	s_and_b64 s[30:31], s[6:7], s[30:31]
	s_mov_b64 exec, s[30:31]
	s_cbranch_execz .LBB201_192
; %bb.191:                              ;   in Loop: Header=BB201_31 Depth=1
	v_pk_mov_b32 v[6:7], s[18:19], s[18:19] op_sel:[0,1]
	ds_write_b64 v15, v[6:7] offset:5128
.LBB201_192:                            ;   in Loop: Header=BB201_31 Depth=1
	s_or_b64 exec, exec, s[6:7]
	s_waitcnt lgkmcnt(0)
	s_barrier
.LBB201_193:                            ;   in Loop: Header=BB201_31 Depth=1
	v_and_b32_e32 v4, s94, v30
	v_lshl_or_b32 v30, 1, s95, v4
	v_or_b32_e32 v36, s86, v36
	s_mov_b64 s[6:7], 0
	s_mov_b32 s3, 8
.LBB201_194:                            ;   in Loop: Header=BB201_31 Depth=1
	s_or_saveexec_b64 s[48:49], s[48:49]
	v_mov_b32_e32 v8, s3
	s_xor_b64 exec, exec, s[48:49]
; %bb.195:                              ;   in Loop: Header=BB201_31 Depth=1
	v_mov_b32_e32 v4, s19
	v_subrev_co_u32_e32 v2, vcc, s18, v2
	v_subb_co_u32_e32 v3, vcc, v3, v4, vcc
	v_mov_b32_e32 v8, 0
	s_or_b64 s[6:7], s[6:7], exec
; %bb.196:                              ;   in Loop: Header=BB201_31 Depth=1
	s_or_b64 exec, exec, s[48:49]
	s_and_b64 s[54:55], s[6:7], exec
	v_pk_mov_b32 v[6:7], v[2:3], v[2:3] op_sel:[0,1]
.LBB201_197:                            ;   in Loop: Header=BB201_31 Depth=1
	s_or_b64 exec, exec, s[0:1]
	s_mov_b64 s[0:1], -1
                                        ; implicit-def: $sgpr6_sgpr7
                                        ; implicit-def: $sgpr50_sgpr51
                                        ; implicit-def: $sgpr52_sgpr53
	s_and_saveexec_b64 s[48:49], s[54:55]
	s_cbranch_execz .LBB201_298
; %bb.198:                              ;   in Loop: Header=BB201_31 Depth=1
	s_cmp_eq_u64 s[22:23], 1
	s_cselect_b64 s[0:1], -1, 0
	v_cmp_eq_u64_e32 vcc, 1, v[6:7]
	s_and_b64 s[52:53], s[0:1], vcc
	s_mov_b64 s[6:7], -1
                                        ; implicit-def: $sgpr50_sgpr51
                                        ; implicit-def: $sgpr54_sgpr55
                                        ; implicit-def: $vcc
	s_and_saveexec_b64 s[68:69], s[52:53]
	s_cbranch_execz .LBB201_232
; %bb.199:                              ;   in Loop: Header=BB201_31 Depth=1
	ds_read_b64 v[2:3], v15 offset:5120
	s_waitcnt lgkmcnt(0)
	s_barrier
	v_readfirstlane_b32 s0, v2
	v_readfirstlane_b32 s1, v3
	s_mov_b64 s[6:7], exec
	v_readlane_b32 s30, v57, 24
	v_readlane_b32 s31, v57, 25
	s_and_b64 s[30:31], s[6:7], s[30:31]
	s_mov_b64 exec, s[30:31]
	s_cbranch_execz .LBB201_201
; %bb.200:                              ;   in Loop: Header=BB201_31 Depth=1
	ds_write_b32 v49, v15
.LBB201_201:                            ;   in Loop: Header=BB201_31 Depth=1
	s_or_b64 exec, exec, s[6:7]
	v_and_b32_e32 v2, s94, v30
	v_lshl_or_b32 v30, 2, s95, v2
	v_or_b32_e32 v36, s86, v36
	s_cmp_eq_u64 s[0:1], 0
	s_waitcnt lgkmcnt(0)
	s_barrier
	s_cbranch_scc1 .LBB201_215
; %bb.202:                              ;   in Loop: Header=BB201_31 Depth=1
	v_readlane_b32 s3, v57, 28
	s_add_u32 s3, s3, s0
	v_readlane_b32 s6, v57, 30
	s_addc_u32 s7, s6, s1
	s_mov_b32 s6, s87
	s_cmp_lg_u64 s[6:7], 0
	s_cbranch_scc0 .LBB201_250
; %bb.203:                              ;   in Loop: Header=BB201_31 Depth=1
	v_cvt_f32_u32_e32 v2, s33
	s_sub_u32 s6, 0, s33
	s_subb_u32 s30, 0, 0
	v_mac_f32_e32 v2, 0, v53
	v_rcp_f32_e32 v2, v2
	v_mul_f32_e32 v2, 0x5f7ffffc, v2
	v_mul_f32_e32 v3, 0x2f800000, v2
	v_trunc_f32_e32 v3, v3
	v_mac_f32_e32 v2, 0xcf800000, v3
	v_cvt_u32_f32_e32 v3, v3
	v_cvt_u32_f32_e32 v2, v2
	v_readfirstlane_b32 s31, v3
	v_readfirstlane_b32 s50, v2
	s_mul_i32 s51, s6, s31
	s_mul_hi_u32 s55, s6, s50
	s_mul_i32 s54, s30, s50
	s_add_i32 s51, s55, s51
	s_mul_i32 s66, s6, s50
	s_add_i32 s51, s51, s54
	s_mul_hi_u32 s55, s50, s66
	s_mul_hi_u32 s54, s50, s51
	s_mul_i32 s50, s50, s51
	s_add_u32 s50, s55, s50
	s_addc_u32 s54, 0, s54
	s_mul_hi_u32 s67, s31, s66
	s_mul_i32 s66, s31, s66
	s_add_u32 s50, s50, s66
	s_mul_hi_u32 s55, s31, s51
	s_addc_u32 s50, s54, s67
	s_addc_u32 s54, s55, 0
	s_mul_i32 s51, s31, s51
	s_add_u32 s50, s50, s51
	s_addc_u32 s51, 0, s54
	v_add_co_u32_e32 v2, vcc, s50, v2
	s_cmp_lg_u64 vcc, 0
	s_addc_u32 s31, s31, s51
	v_readfirstlane_b32 s51, v2
	s_mul_i32 s50, s6, s31
	s_mul_hi_u32 s54, s6, s51
	s_add_i32 s50, s54, s50
	s_mul_i32 s30, s30, s51
	s_add_i32 s50, s50, s30
	s_mul_i32 s6, s6, s51
	s_mul_hi_u32 s54, s31, s6
	s_mul_i32 s55, s31, s6
	s_mul_i32 s67, s51, s50
	s_mul_hi_u32 s6, s51, s6
	s_mul_hi_u32 s66, s51, s50
	s_add_u32 s6, s6, s67
	s_addc_u32 s51, 0, s66
	s_add_u32 s6, s6, s55
	s_mul_hi_u32 s30, s31, s50
	s_addc_u32 s6, s51, s54
	s_addc_u32 s30, s30, 0
	s_mul_i32 s50, s31, s50
	s_add_u32 s6, s6, s50
	s_addc_u32 s30, 0, s30
	v_add_co_u32_e32 v2, vcc, s6, v2
	s_cmp_lg_u64 vcc, 0
	s_addc_u32 s6, s31, s30
	v_readfirstlane_b32 s50, v2
	s_mul_i32 s31, s3, s6
	s_mul_hi_u32 s51, s3, s50
	s_mul_hi_u32 s30, s3, s6
	s_add_u32 s31, s51, s31
	s_addc_u32 s30, 0, s30
	s_mul_hi_u32 s54, s7, s50
	s_mul_i32 s50, s7, s50
	s_add_u32 s31, s31, s50
	s_mul_hi_u32 s51, s7, s6
	s_addc_u32 s30, s30, s54
	s_addc_u32 s31, s51, 0
	s_mul_i32 s6, s7, s6
	s_add_u32 s6, s30, s6
	s_addc_u32 s30, 0, s31
	s_mul_hi_u32 s31, s33, s6
	s_mul_i32 s6, s33, s6
	s_mul_i32 s30, s33, s30
	v_mov_b32_e32 v2, s6
	s_add_i32 s31, s31, s30
	v_sub_co_u32_e32 v2, vcc, s3, v2
	s_cmp_lg_u64 vcc, 0
	s_subb_u32 s6, s7, s31
	v_subrev_co_u32_e32 v3, vcc, s33, v2
	s_cmp_lg_u64 vcc, 0
	s_subb_u32 s30, s6, 0
	v_subrev_co_u32_e32 v4, vcc, s33, v3
	s_cmp_lg_u64 vcc, 0
	s_subb_u32 s31, s30, 0
	v_cmp_le_u32_e32 vcc, s33, v3
	s_cmp_eq_u32 s30, 0
	v_cndmask_b32_e64 v5, 0, -1, vcc
	s_cselect_b64 vcc, -1, 0
	v_cndmask_b32_e32 v5, -1, v5, vcc
	v_mov_b32_e32 v8, s30
	v_mov_b32_e32 v9, s31
	v_cmp_ne_u32_e32 vcc, 0, v5
	v_cndmask_b32_e32 v5, v8, v9, vcc
	v_cndmask_b32_e32 v4, v3, v4, vcc
	v_cmp_le_u32_e32 vcc, s33, v2
	s_cmp_eq_u32 s6, 0
	v_cndmask_b32_e64 v3, 0, -1, vcc
	s_cselect_b64 vcc, -1, 0
	v_cndmask_b32_e32 v3, -1, v3, vcc
	v_mov_b32_e32 v8, s6
	v_cmp_ne_u32_e32 vcc, 0, v3
	v_cndmask_b32_e32 v3, v8, v5, vcc
	v_cndmask_b32_e32 v2, v2, v4, vcc
	s_cbranch_execnz .LBB201_205
.LBB201_204:                            ;   in Loop: Header=BB201_31 Depth=1
	v_cvt_f32_u32_e32 v2, s33
	s_sub_i32 s6, 0, s33
	v_rcp_iflag_f32_e32 v2, v2
	v_mul_f32_e32 v2, 0x4f7ffffe, v2
	v_cvt_u32_f32_e32 v2, v2
	v_mul_lo_u32 v3, s6, v2
	v_mul_hi_u32 v3, v2, v3
	v_add_u32_e32 v2, v2, v3
	v_mul_hi_u32 v2, s3, v2
	v_mul_lo_u32 v2, v2, s33
	v_sub_u32_e32 v2, s3, v2
	v_subrev_u32_e32 v3, s33, v2
	v_cmp_le_u32_e32 vcc, s33, v2
	v_cndmask_b32_e32 v2, v2, v3, vcc
	v_subrev_u32_e32 v3, s33, v2
	v_cmp_le_u32_e32 vcc, s33, v2
	v_cndmask_b32_e32 v14, v2, v3, vcc
	v_pk_mov_b32 v[2:3], v[14:15], v[14:15] op_sel:[0,1]
.LBB201_205:                            ;   in Loop: Header=BB201_31 Depth=1
	v_mov_b32_e32 v4, s7
	v_sub_co_u32_e32 v2, vcc, s3, v2
	v_subb_co_u32_e32 v3, vcc, v4, v3, vcc
	v_cmp_gt_u64_e32 vcc, v[2:3], v[0:1]
	s_mov_b64 s[6:7], 0
                                        ; implicit-def: $vgpr5
	s_and_saveexec_b64 s[50:51], vcc
	s_cbranch_execz .LBB201_217
; %bb.206:                              ;   in Loop: Header=BB201_31 Depth=1
	s_mov_b64 s[54:55], 0
	v_mov_b32_e32 v14, v16
	v_pk_mov_b32 v[8:9], v[0:1], v[0:1] op_sel:[0,1]
                                        ; implicit-def: $sgpr66_sgpr67
	s_branch .LBB201_208
.LBB201_207:                            ;   in Loop: Header=BB201_208 Depth=2
	s_or_b64 exec, exec, s[6:7]
	s_waitcnt lgkmcnt(0)
	s_barrier
	ds_read_b64 v[4:5], v15 offset:3072
	v_add_co_u32_e64 v8, s[6:7], s33, v8
	v_add_u32_e32 v14, s2, v14
	s_waitcnt lgkmcnt(0)
	v_cmp_neq_f32_e32 vcc, 0, v4
	v_mov_b32_e32 v4, s92
	v_addc_co_u32_e64 v9, s[6:7], v9, v4, s[6:7]
	v_cmp_ge_u64_e64 s[6:7], v[8:9], v[2:3]
	s_or_b64 s[6:7], s[6:7], vcc
	s_and_b64 s[6:7], exec, s[6:7]
	s_or_b64 s[54:55], s[6:7], s[54:55]
	s_andn2_b64 s[6:7], s[66:67], exec
	s_and_b64 s[30:31], vcc, exec
	s_or_b64 s[66:67], s[6:7], s[30:31]
	s_barrier
	s_andn2_b64 exec, exec, s[54:55]
	s_cbranch_execz .LBB201_216
.LBB201_208:                            ;   Parent Loop BB201_31 Depth=1
                                        ; =>  This Inner Loop Header: Depth=2
	v_cmp_gt_u64_e32 vcc, s[0:1], v[8:9]
	s_waitcnt vmcnt(0)
	v_mov_b32_e32 v29, 0
	s_and_saveexec_b64 s[6:7], vcc
	s_cbranch_execz .LBB201_210
; %bb.209:                              ;   in Loop: Header=BB201_208 Depth=2
	ds_read_b32 v29, v14
.LBB201_210:                            ;   in Loop: Header=BB201_208 Depth=2
	s_or_b64 exec, exec, s[6:7]
	s_and_saveexec_b64 s[6:7], vcc
	s_cbranch_execz .LBB201_207
; %bb.211:                              ;   in Loop: Header=BB201_208 Depth=2
	s_waitcnt lgkmcnt(0)
	v_cmp_lt_i32_e32 vcc, -1, v29
	v_cndmask_b32_e32 v4, -1, v52, vcc
	v_xor_b32_e32 v4, v4, v29
	v_cmp_o_f32_e32 vcc, v29, v29
	v_cndmask_b32_e32 v4, -1, v4, vcc
	v_and_b32_e32 v4, v4, v36
	v_cmp_eq_u32_e32 vcc, v4, v30
	s_and_b64 exec, exec, vcc
	s_cbranch_execz .LBB201_207
; %bb.212:                              ;   in Loop: Header=BB201_208 Depth=2
	ds_write_b64 v15, v[28:29] offset:3072
	s_branch .LBB201_207
.LBB201_213:                            ;   in Loop: Header=BB201_31 Depth=1
                                        ; implicit-def: $vgpr4_vgpr5
	s_branch .LBB201_158
.LBB201_214:                            ;   in Loop: Header=BB201_31 Depth=1
                                        ; implicit-def: $vgpr4_vgpr5
	s_branch .LBB201_174
.LBB201_215:                            ;   in Loop: Header=BB201_31 Depth=1
	s_mov_b64 s[50:51], -1
	s_mov_b64 s[6:7], 0
                                        ; implicit-def: $sgpr0_sgpr1
                                        ; implicit-def: $vgpr5
	s_mov_b64 s[54:55], s[50:51]
	s_cbranch_execnz .LBB201_218
	s_branch .LBB201_231
.LBB201_216:                            ;   in Loop: Header=BB201_31 Depth=1
	s_or_b64 exec, exec, s[54:55]
	s_and_b64 s[6:7], s[66:67], exec
.LBB201_217:                            ;   in Loop: Header=BB201_31 Depth=1
	s_or_b64 exec, exec, s[50:51]
	s_mov_b64 s[0:1], -1
	s_mov_b64 s[50:51], 0
	s_mov_b64 s[54:55], s[50:51]
	s_branch .LBB201_231
.LBB201_218:                            ;   in Loop: Header=BB201_31 Depth=1
	v_readlane_b32 s6, v57, 31
	v_readlane_b32 s7, v57, 32
	s_mov_b32 s6, s87
	s_mov_b32 s1, s7
	s_cmp_lg_u64 s[6:7], 0
	v_writelane_b32 v57, s0, 31
	v_writelane_b32 v57, s1, 32
	s_cbranch_scc0 .LBB201_251
; %bb.219:                              ;   in Loop: Header=BB201_31 Depth=1
	v_cvt_f32_u32_e32 v2, s33
	s_sub_u32 s0, 0, s33
	s_subb_u32 s1, 0, 0
	v_mac_f32_e32 v2, 0, v53
	v_rcp_f32_e32 v2, v2
	v_mul_f32_e32 v2, 0x5f7ffffc, v2
	v_mul_f32_e32 v3, 0x2f800000, v2
	v_trunc_f32_e32 v3, v3
	v_mac_f32_e32 v2, 0xcf800000, v3
	v_cvt_u32_f32_e32 v3, v3
	v_cvt_u32_f32_e32 v2, v2
	v_readfirstlane_b32 s3, v3
	v_readfirstlane_b32 s6, v2
	s_mul_i32 s7, s0, s3
	s_mul_hi_u32 s31, s0, s6
	s_mul_i32 s30, s1, s6
	s_add_i32 s7, s31, s7
	s_mul_i32 s50, s0, s6
	s_add_i32 s7, s7, s30
	s_mul_hi_u32 s31, s6, s50
	s_mul_hi_u32 s30, s6, s7
	s_mul_i32 s6, s6, s7
	s_add_u32 s6, s31, s6
	s_addc_u32 s30, 0, s30
	s_mul_hi_u32 s51, s3, s50
	s_mul_i32 s50, s3, s50
	s_add_u32 s6, s6, s50
	s_mul_hi_u32 s31, s3, s7
	s_addc_u32 s6, s30, s51
	s_addc_u32 s30, s31, 0
	s_mul_i32 s7, s3, s7
	s_add_u32 s6, s6, s7
	s_addc_u32 s7, 0, s30
	v_add_co_u32_e32 v2, vcc, s6, v2
	s_cmp_lg_u64 vcc, 0
	s_addc_u32 s3, s3, s7
	v_readfirstlane_b32 s7, v2
	s_mul_i32 s6, s0, s3
	s_mul_hi_u32 s30, s0, s7
	s_add_i32 s6, s30, s6
	s_mul_i32 s1, s1, s7
	s_add_i32 s6, s6, s1
	s_mul_i32 s0, s0, s7
	s_mul_hi_u32 s30, s3, s0
	s_mul_i32 s31, s3, s0
	s_mul_i32 s51, s7, s6
	s_mul_hi_u32 s0, s7, s0
	s_mul_hi_u32 s50, s7, s6
	s_add_u32 s0, s0, s51
	s_addc_u32 s7, 0, s50
	s_add_u32 s0, s0, s31
	s_mul_hi_u32 s1, s3, s6
	s_addc_u32 s0, s7, s30
	s_addc_u32 s1, s1, 0
	s_mul_i32 s6, s3, s6
	s_add_u32 s0, s0, s6
	s_addc_u32 s1, 0, s1
	v_add_co_u32_e32 v2, vcc, s0, v2
	s_cmp_lg_u64 vcc, 0
	s_addc_u32 s0, s3, s1
	v_readlane_b32 s31, v57, 29
	v_readfirstlane_b32 s6, v2
	v_readlane_b32 s50, v57, 31
	s_mul_i32 s3, s31, s0
	s_mul_hi_u32 s7, s31, s6
	v_readlane_b32 s51, v57, 32
	s_add_u32 s3, s7, s3
	s_mul_hi_u32 s7, s51, s0
	v_readlane_b32 s50, v57, 31
	v_readlane_b32 s51, v57, 32
	s_mul_hi_u32 s30, s51, s6
	v_readlane_b32 s50, v57, 31
	s_mul_hi_u32 s1, s31, s0
	v_readlane_b32 s51, v57, 32
	s_addc_u32 s1, 0, s1
	s_mul_i32 s6, s51, s6
	s_add_u32 s3, s3, s6
	s_addc_u32 s1, s1, s30
	s_addc_u32 s3, s7, 0
	v_readlane_b32 s6, v57, 31
	v_readlane_b32 s7, v57, 32
	s_mul_i32 s0, s7, s0
	s_add_u32 s0, s1, s0
	s_addc_u32 s1, 0, s3
	s_mul_hi_u32 s3, s33, s0
	s_mul_i32 s0, s33, s0
	s_mul_i32 s1, s33, s1
	v_mov_b32_e32 v2, s0
	s_add_i32 s3, s3, s1
	v_sub_co_u32_e32 v2, vcc, s31, v2
	s_cmp_lg_u64 vcc, 0
	s_subb_u32 s0, s7, s3
	v_subrev_co_u32_e32 v3, vcc, s33, v2
	s_cmp_lg_u64 vcc, 0
	s_subb_u32 s1, s0, 0
	v_subrev_co_u32_e32 v4, vcc, s33, v3
	s_cmp_lg_u64 vcc, 0
	s_subb_u32 s3, s1, 0
	v_cmp_le_u32_e32 vcc, s33, v3
	s_cmp_eq_u32 s1, 0
	v_cndmask_b32_e64 v5, 0, -1, vcc
	s_cselect_b64 vcc, -1, 0
	v_cndmask_b32_e32 v5, -1, v5, vcc
	v_mov_b32_e32 v8, s1
	v_mov_b32_e32 v9, s3
	v_cmp_ne_u32_e32 vcc, 0, v5
	v_cndmask_b32_e32 v5, v8, v9, vcc
	v_cndmask_b32_e32 v4, v3, v4, vcc
	v_cmp_le_u32_e32 vcc, s33, v2
	s_cmp_eq_u32 s0, 0
	v_cndmask_b32_e64 v3, 0, -1, vcc
	s_cselect_b64 vcc, -1, 0
	v_cndmask_b32_e32 v3, -1, v3, vcc
	v_mov_b32_e32 v8, s0
	v_cmp_ne_u32_e32 vcc, 0, v3
	v_cndmask_b32_e32 v3, v8, v5, vcc
	v_cndmask_b32_e32 v2, v2, v4, vcc
	s_cbranch_execnz .LBB201_221
.LBB201_220:                            ;   in Loop: Header=BB201_31 Depth=1
	v_cvt_f32_u32_e32 v2, s33
	s_sub_i32 s0, 0, s33
	v_rcp_iflag_f32_e32 v2, v2
	v_mul_f32_e32 v2, 0x4f7ffffe, v2
	v_cvt_u32_f32_e32 v2, v2
	v_mul_lo_u32 v3, s0, v2
	v_mul_hi_u32 v3, v2, v3
	v_add_u32_e32 v2, v2, v3
	v_readlane_b32 s0, v57, 29
	v_mul_hi_u32 v2, s0, v2
	v_mul_lo_u32 v2, v2, s33
	v_sub_u32_e32 v2, s0, v2
	v_subrev_u32_e32 v3, s33, v2
	v_cmp_le_u32_e32 vcc, s33, v2
	v_cndmask_b32_e32 v2, v2, v3, vcc
	v_subrev_u32_e32 v3, s33, v2
	v_cmp_le_u32_e32 vcc, s33, v2
	v_cndmask_b32_e32 v14, v2, v3, vcc
	v_pk_mov_b32 v[2:3], v[14:15], v[14:15] op_sel:[0,1]
.LBB201_221:                            ;   in Loop: Header=BB201_31 Depth=1
	v_readlane_b32 s0, v57, 29
	v_mov_b32_e32 v4, s7
	v_sub_co_u32_e32 v2, vcc, s0, v2
	v_subb_co_u32_e32 v3, vcc, v4, v3, vcc
	v_cmp_gt_u64_e32 vcc, v[2:3], v[0:1]
	s_mov_b64 s[6:7], 0
                                        ; implicit-def: $vgpr5
	s_and_saveexec_b64 s[0:1], vcc
	s_cbranch_execz .LBB201_230
; %bb.222:                              ;   in Loop: Header=BB201_31 Depth=1
	s_mov_b64 s[50:51], 0
	v_pk_mov_b32 v[8:9], v[26:27], v[26:27] op_sel:[0,1]
	v_pk_mov_b32 v[34:35], v[0:1], v[0:1] op_sel:[0,1]
                                        ; implicit-def: $sgpr54_sgpr55
	s_branch .LBB201_224
.LBB201_223:                            ;   in Loop: Header=BB201_224 Depth=2
	s_or_b64 exec, exec, s[6:7]
	s_waitcnt lgkmcnt(0)
	s_barrier
	ds_read_b64 v[4:5], v15 offset:3072
	v_add_co_u32_e64 v34, s[6:7], s33, v34
	s_waitcnt lgkmcnt(0)
	s_barrier
	v_cmp_neq_f32_e32 vcc, 0, v4
	v_mov_b32_e32 v4, s92
	v_addc_co_u32_e64 v35, s[6:7], v35, v4, s[6:7]
	v_cmp_ge_u64_e64 s[6:7], v[34:35], v[2:3]
	s_or_b64 s[30:31], s[6:7], vcc
	v_mov_b32_e32 v4, s65
	v_add_co_u32_e64 v8, s[6:7], s64, v8
	v_addc_co_u32_e64 v9, s[6:7], v9, v4, s[6:7]
	s_and_b64 s[6:7], exec, s[30:31]
	s_or_b64 s[50:51], s[6:7], s[50:51]
	s_andn2_b64 s[6:7], s[54:55], exec
	s_and_b64 s[30:31], vcc, exec
	s_or_b64 s[54:55], s[6:7], s[30:31]
	s_andn2_b64 exec, exec, s[50:51]
	s_cbranch_execz .LBB201_229
.LBB201_224:                            ;   Parent Loop BB201_31 Depth=1
                                        ; =>  This Inner Loop Header: Depth=2
	v_cmp_gt_u64_e32 vcc, s[60:61], v[34:35]
	s_waitcnt vmcnt(0)
	v_mov_b32_e32 v29, 0
	s_and_saveexec_b64 s[6:7], vcc
	s_cbranch_execz .LBB201_226
; %bb.225:                              ;   in Loop: Header=BB201_224 Depth=2
	global_load_dword v29, v[8:9], off
.LBB201_226:                            ;   in Loop: Header=BB201_224 Depth=2
	s_or_b64 exec, exec, s[6:7]
	s_and_saveexec_b64 s[6:7], vcc
	s_cbranch_execz .LBB201_223
; %bb.227:                              ;   in Loop: Header=BB201_224 Depth=2
	s_waitcnt vmcnt(0)
	v_cmp_lt_i32_e32 vcc, -1, v29
	v_cndmask_b32_e32 v4, -1, v52, vcc
	v_xor_b32_e32 v4, v4, v29
	v_cmp_o_f32_e32 vcc, v29, v29
	v_cndmask_b32_e32 v4, -1, v4, vcc
	v_and_b32_e32 v4, v4, v36
	v_cmp_eq_u32_e32 vcc, v4, v30
	s_and_b64 exec, exec, vcc
	s_cbranch_execz .LBB201_223
; %bb.228:                              ;   in Loop: Header=BB201_224 Depth=2
	ds_write_b64 v15, v[28:29] offset:3072
	s_branch .LBB201_223
.LBB201_229:                            ;   in Loop: Header=BB201_31 Depth=1
	s_or_b64 exec, exec, s[50:51]
	s_and_b64 s[6:7], s[54:55], exec
.LBB201_230:                            ;   in Loop: Header=BB201_31 Depth=1
	s_or_b64 exec, exec, s[0:1]
	s_mov_b64 s[54:55], -1
	s_mov_b64 s[50:51], 0
	s_mov_b64 s[0:1], 0
.LBB201_231:                            ;   in Loop: Header=BB201_31 Depth=1
	s_orn2_b64 s[6:7], s[6:7], exec
	s_mov_b64 vcc, s[0:1]
.LBB201_232:                            ;   in Loop: Header=BB201_31 Depth=1
	s_or_b64 exec, exec, s[68:69]
	s_mov_b64 s[0:1], 0
                                        ; implicit-def: $vgpr8
	s_and_saveexec_b64 s[68:69], s[6:7]
	s_cbranch_execz .LBB201_297
; %bb.233:                              ;   in Loop: Header=BB201_31 Depth=1
	v_mov_b32_e32 v2, 1
	s_xor_b64 s[6:7], s[52:53], -1
	s_mov_b64 s[80:81], 0
	v_mov_b32_e32 v3, 0
	v_mov_b32_e32 v8, 1
	s_and_saveexec_b64 s[0:1], s[6:7]
	s_cbranch_execz .LBB201_243
; %bb.234:                              ;   in Loop: Header=BB201_31 Depth=1
	s_mov_b64 s[88:89], vcc
	v_cmp_ge_u64_e32 vcc, s[22:23], v[6:7]
                                        ; implicit-def: $sgpr3
                                        ; implicit-def: $sgpr6_sgpr7
	s_and_saveexec_b64 s[30:31], vcc
	s_xor_b64 s[52:53], exec, s[30:31]
	s_cbranch_execz .LBB201_240
; %bb.235:                              ;   in Loop: Header=BB201_31 Depth=1
	ds_read_b64 v[2:3], v15 offset:5120
	s_waitcnt lgkmcnt(0)
	v_cmp_ne_u64_e32 vcc, 0, v[2:3]
	s_cbranch_vccnz .LBB201_239
; %bb.236:                              ;   in Loop: Header=BB201_31 Depth=1
	s_mov_b64 s[6:7], exec
	v_readlane_b32 s30, v57, 10
	v_readlane_b32 s31, v57, 11
	s_and_b64 s[30:31], s[6:7], s[30:31]
	s_mov_b64 exec, s[30:31]
	s_cbranch_execz .LBB201_238
; %bb.237:                              ;   in Loop: Header=BB201_31 Depth=1
	v_pk_mov_b32 v[2:3], s[22:23], s[22:23] op_sel:[0,1]
	ds_write_b64 v15, v[2:3] offset:5128
.LBB201_238:                            ;   in Loop: Header=BB201_31 Depth=1
	s_or_b64 exec, exec, s[6:7]
	s_waitcnt lgkmcnt(0)
	s_barrier
.LBB201_239:                            ;   in Loop: Header=BB201_31 Depth=1
	v_and_b32_e32 v2, s94, v30
	v_lshl_or_b32 v30, 2, s95, v2
	v_or_b32_e32 v36, s86, v36
	s_mov_b64 s[6:7], 0
	s_mov_b32 s3, 8
.LBB201_240:                            ;   in Loop: Header=BB201_31 Depth=1
	s_or_saveexec_b64 s[52:53], s[52:53]
	v_mov_b32_e32 v8, s3
	s_xor_b64 exec, exec, s[52:53]
; %bb.241:                              ;   in Loop: Header=BB201_31 Depth=1
	v_mov_b32_e32 v2, s23
	v_subrev_co_u32_e32 v6, vcc, s22, v6
	v_subb_co_u32_e32 v7, vcc, v7, v2, vcc
	v_mov_b32_e32 v8, 0
	s_or_b64 s[6:7], s[6:7], exec
; %bb.242:                              ;   in Loop: Header=BB201_31 Depth=1
	s_or_b64 exec, exec, s[52:53]
	s_and_b64 s[80:81], s[6:7], exec
	v_pk_mov_b32 v[2:3], v[6:7], v[6:7] op_sel:[0,1]
	s_mov_b64 vcc, s[88:89]
.LBB201_243:                            ;   in Loop: Header=BB201_31 Depth=1
	s_or_b64 exec, exec, s[0:1]
	s_mov_b64 s[52:53], -1
                                        ; implicit-def: $sgpr0_sgpr1
                                        ; implicit-def: $sgpr66_sgpr67
                                        ; implicit-def: $sgpr6_sgpr7
	s_mov_b64 s[30:31], exec
	v_writelane_b32 v57, s30, 62
	v_writelane_b32 v57, s31, 63
	s_and_b64 s[30:31], s[30:31], s[80:81]
	s_mov_b64 exec, s[30:31]
	s_cbranch_execz .LBB201_296
; %bb.244:                              ;   in Loop: Header=BB201_31 Depth=1
                                        ; implicit-def: $vgpr56 : SGPR spill to VGPR lane
	s_cmp_eq_u64 s[24:25], 1
	v_writelane_b32 v56, vcc_lo, 0
	v_writelane_b32 v56, vcc_hi, 1
	s_cselect_b64 s[0:1], -1, 0
	v_cmp_eq_u64_e32 vcc, 1, v[2:3]
	s_mov_b64 s[80:81], -1
	s_and_b64 s[30:31], s[0:1], vcc
                                        ; implicit-def: $sgpr0_sgpr1
                                        ; implicit-def: $sgpr66_sgpr67
                                        ; implicit-def: $sgpr6_sgpr7
	s_mov_b64 s[52:53], exec
	v_writelane_b32 v56, s30, 2
	v_writelane_b32 v56, s31, 3
	s_and_b64 s[30:31], s[52:53], s[30:31]
	s_mov_b64 exec, s[30:31]
	s_cbranch_execz .LBB201_283
; %bb.245:                              ;   in Loop: Header=BB201_31 Depth=1
	ds_read_b64 v[4:5], v15 offset:5120
	s_waitcnt lgkmcnt(0)
	s_barrier
	v_readfirstlane_b32 s0, v4
	v_readfirstlane_b32 s1, v5
	s_mov_b64 s[6:7], exec
	v_readlane_b32 s30, v57, 24
	v_readlane_b32 s31, v57, 25
	s_and_b64 s[30:31], s[6:7], s[30:31]
	s_mov_b64 exec, s[30:31]
	s_cbranch_execz .LBB201_247
; %bb.246:                              ;   in Loop: Header=BB201_31 Depth=1
	ds_write_b32 v49, v15
.LBB201_247:                            ;   in Loop: Header=BB201_31 Depth=1
	s_or_b64 exec, exec, s[6:7]
	v_or_b32_e32 v30, s86, v30
	v_or_b32_e32 v36, s86, v36
	s_cmp_eq_u64 s[0:1], 0
	s_waitcnt lgkmcnt(0)
	s_barrier
	s_cbranch_scc1 .LBB201_252
; %bb.248:                              ;   in Loop: Header=BB201_31 Depth=1
	v_readlane_b32 s3, v57, 28
	s_add_u32 s3, s3, s0
	v_readlane_b32 s6, v57, 30
	s_addc_u32 s7, s6, s1
	s_mov_b32 s6, s87
	s_cmp_lg_u64 s[6:7], 0
	s_cbranch_scc0 .LBB201_253
; %bb.249:                              ;   in Loop: Header=BB201_31 Depth=1
	v_cvt_f32_u32_e32 v4, s33
	s_sub_u32 s6, 0, s33
	s_subb_u32 s30, 0, 0
	v_mac_f32_e32 v4, 0, v53
	v_rcp_f32_e32 v4, v4
	v_mul_f32_e32 v4, 0x5f7ffffc, v4
	v_mul_f32_e32 v5, 0x2f800000, v4
	v_trunc_f32_e32 v5, v5
	v_mac_f32_e32 v4, 0xcf800000, v5
	v_cvt_u32_f32_e32 v5, v5
	v_cvt_u32_f32_e32 v4, v4
	v_readfirstlane_b32 s31, v5
	v_readfirstlane_b32 s66, v4
	s_mul_i32 s67, s6, s31
	s_mul_hi_u32 s81, s6, s66
	s_mul_i32 s80, s30, s66
	s_add_i32 s67, s81, s67
	s_mul_i32 s88, s6, s66
	s_add_i32 s67, s67, s80
	s_mul_hi_u32 s81, s66, s88
	s_mul_hi_u32 s80, s66, s67
	s_mul_i32 s66, s66, s67
	s_add_u32 s66, s81, s66
	s_addc_u32 s80, 0, s80
	s_mul_hi_u32 s89, s31, s88
	s_mul_i32 s88, s31, s88
	s_add_u32 s66, s66, s88
	s_mul_hi_u32 s81, s31, s67
	s_addc_u32 s66, s80, s89
	s_addc_u32 s80, s81, 0
	s_mul_i32 s67, s31, s67
	s_add_u32 s66, s66, s67
	s_addc_u32 s67, 0, s80
	v_add_co_u32_e32 v4, vcc, s66, v4
	s_cmp_lg_u64 vcc, 0
	s_addc_u32 s31, s31, s67
	v_readfirstlane_b32 s67, v4
	s_mul_i32 s66, s6, s31
	s_mul_hi_u32 s80, s6, s67
	s_add_i32 s66, s80, s66
	s_mul_i32 s30, s30, s67
	s_add_i32 s66, s66, s30
	s_mul_i32 s6, s6, s67
	s_mul_hi_u32 s80, s31, s6
	s_mul_i32 s81, s31, s6
	s_mul_i32 s89, s67, s66
	s_mul_hi_u32 s6, s67, s6
	s_mul_hi_u32 s88, s67, s66
	s_add_u32 s6, s6, s89
	s_addc_u32 s67, 0, s88
	s_add_u32 s6, s6, s81
	s_mul_hi_u32 s30, s31, s66
	s_addc_u32 s6, s67, s80
	s_addc_u32 s30, s30, 0
	s_mul_i32 s66, s31, s66
	s_add_u32 s6, s6, s66
	s_addc_u32 s30, 0, s30
	v_add_co_u32_e32 v4, vcc, s6, v4
	s_cmp_lg_u64 vcc, 0
	s_addc_u32 s6, s31, s30
	v_readfirstlane_b32 s66, v4
	s_mul_i32 s31, s3, s6
	s_mul_hi_u32 s67, s3, s66
	s_mul_hi_u32 s30, s3, s6
	s_add_u32 s31, s67, s31
	s_addc_u32 s30, 0, s30
	s_mul_hi_u32 s80, s7, s66
	s_mul_i32 s66, s7, s66
	s_add_u32 s31, s31, s66
	s_mul_hi_u32 s67, s7, s6
	s_addc_u32 s30, s30, s80
	s_addc_u32 s31, s67, 0
	s_mul_i32 s6, s7, s6
	s_add_u32 s6, s30, s6
	s_addc_u32 s30, 0, s31
	s_mul_hi_u32 s31, s33, s6
	s_mul_i32 s6, s33, s6
	s_mul_i32 s30, s33, s30
	v_mov_b32_e32 v4, s6
	s_add_i32 s31, s31, s30
	v_sub_co_u32_e32 v4, vcc, s3, v4
	s_cmp_lg_u64 vcc, 0
	s_subb_u32 s6, s7, s31
	v_subrev_co_u32_e32 v5, vcc, s33, v4
	s_cmp_lg_u64 vcc, 0
	s_subb_u32 s30, s6, 0
	v_subrev_co_u32_e32 v6, vcc, s33, v5
	s_cmp_lg_u64 vcc, 0
	s_subb_u32 s31, s30, 0
	v_cmp_le_u32_e32 vcc, s33, v5
	s_cmp_eq_u32 s30, 0
	v_cndmask_b32_e64 v7, 0, -1, vcc
	s_cselect_b64 vcc, -1, 0
	v_cndmask_b32_e32 v7, -1, v7, vcc
	v_mov_b32_e32 v8, s30
	v_mov_b32_e32 v9, s31
	v_cmp_ne_u32_e32 vcc, 0, v7
	v_cndmask_b32_e32 v7, v8, v9, vcc
	v_cndmask_b32_e32 v6, v5, v6, vcc
	v_cmp_le_u32_e32 vcc, s33, v4
	s_cmp_eq_u32 s6, 0
	v_cndmask_b32_e64 v5, 0, -1, vcc
	s_cselect_b64 vcc, -1, 0
	v_cndmask_b32_e32 v5, -1, v5, vcc
	v_mov_b32_e32 v8, s6
	v_cmp_ne_u32_e32 vcc, 0, v5
	v_cndmask_b32_e32 v5, v8, v7, vcc
	v_cndmask_b32_e32 v4, v4, v6, vcc
	s_mov_b64 s[66:67], 0
	s_branch .LBB201_254
.LBB201_250:                            ;   in Loop: Header=BB201_31 Depth=1
                                        ; implicit-def: $vgpr2_vgpr3
	s_branch .LBB201_204
.LBB201_251:                            ;   in Loop: Header=BB201_31 Depth=1
                                        ; implicit-def: $vgpr2_vgpr3
	s_branch .LBB201_220
.LBB201_252:                            ;   in Loop: Header=BB201_31 Depth=1
	s_mov_b64 s[0:1], -1
	s_mov_b64 s[80:81], 0
                                        ; implicit-def: $sgpr6_sgpr7
                                        ; implicit-def: $vgpr5
	s_branch .LBB201_266
.LBB201_253:                            ;   in Loop: Header=BB201_31 Depth=1
	s_mov_b64 s[66:67], -1
                                        ; implicit-def: $vgpr4_vgpr5
.LBB201_254:                            ;   in Loop: Header=BB201_31 Depth=1
	s_andn2_b64 vcc, exec, s[66:67]
	s_cbranch_vccnz .LBB201_256
; %bb.255:                              ;   in Loop: Header=BB201_31 Depth=1
	v_cvt_f32_u32_e32 v4, s33
	s_sub_i32 s6, 0, s33
	v_rcp_iflag_f32_e32 v4, v4
	v_mul_f32_e32 v4, 0x4f7ffffe, v4
	v_cvt_u32_f32_e32 v4, v4
	v_mul_lo_u32 v5, s6, v4
	v_mul_hi_u32 v5, v4, v5
	v_add_u32_e32 v4, v4, v5
	v_mul_hi_u32 v4, s3, v4
	v_mul_lo_u32 v4, v4, s33
	v_sub_u32_e32 v4, s3, v4
	v_subrev_u32_e32 v5, s33, v4
	v_cmp_le_u32_e32 vcc, s33, v4
	v_cndmask_b32_e32 v4, v4, v5, vcc
	v_subrev_u32_e32 v5, s33, v4
	v_cmp_le_u32_e32 vcc, s33, v4
	v_cndmask_b32_e32 v14, v4, v5, vcc
	v_pk_mov_b32 v[4:5], v[14:15], v[14:15] op_sel:[0,1]
.LBB201_256:                            ;   in Loop: Header=BB201_31 Depth=1
	v_mov_b32_e32 v7, s7
	v_sub_co_u32_e32 v6, vcc, s3, v4
	v_subb_co_u32_e32 v7, vcc, v7, v5, vcc
	v_cmp_gt_u64_e32 vcc, v[6:7], v[0:1]
	s_mov_b64 s[80:81], 0
                                        ; implicit-def: $vgpr5
	s_and_saveexec_b64 s[66:67], vcc
	s_cbranch_execz .LBB201_265
; %bb.257:                              ;   in Loop: Header=BB201_31 Depth=1
	v_mov_b32_e32 v14, v16
	v_pk_mov_b32 v[8:9], v[0:1], v[0:1] op_sel:[0,1]
                                        ; implicit-def: $sgpr88_sgpr89
	s_branch .LBB201_259
.LBB201_258:                            ;   in Loop: Header=BB201_259 Depth=2
	s_or_b64 exec, exec, s[6:7]
	s_waitcnt lgkmcnt(0)
	s_barrier
	ds_read_b64 v[4:5], v15 offset:3072
	v_add_co_u32_e64 v8, s[6:7], s33, v8
	v_add_u32_e32 v14, s2, v14
	s_waitcnt lgkmcnt(0)
	v_cmp_neq_f32_e32 vcc, 0, v4
	v_mov_b32_e32 v4, s92
	v_addc_co_u32_e64 v9, s[6:7], v9, v4, s[6:7]
	v_cmp_ge_u64_e64 s[6:7], v[8:9], v[6:7]
	s_or_b64 s[6:7], s[6:7], vcc
	s_and_b64 s[6:7], exec, s[6:7]
	s_or_b64 s[80:81], s[6:7], s[80:81]
	s_andn2_b64 s[6:7], s[88:89], exec
	s_and_b64 s[30:31], vcc, exec
	s_or_b64 s[88:89], s[6:7], s[30:31]
	s_barrier
	s_andn2_b64 exec, exec, s[80:81]
	s_cbranch_execz .LBB201_264
.LBB201_259:                            ;   Parent Loop BB201_31 Depth=1
                                        ; =>  This Inner Loop Header: Depth=2
	v_cmp_gt_u64_e32 vcc, s[0:1], v[8:9]
	s_waitcnt vmcnt(0)
	v_mov_b32_e32 v29, 0
	s_and_saveexec_b64 s[6:7], vcc
	s_cbranch_execz .LBB201_261
; %bb.260:                              ;   in Loop: Header=BB201_259 Depth=2
	ds_read_b32 v29, v14
.LBB201_261:                            ;   in Loop: Header=BB201_259 Depth=2
	s_or_b64 exec, exec, s[6:7]
	s_and_saveexec_b64 s[6:7], vcc
	s_cbranch_execz .LBB201_258
; %bb.262:                              ;   in Loop: Header=BB201_259 Depth=2
	s_waitcnt lgkmcnt(0)
	v_cmp_lt_i32_e32 vcc, -1, v29
	v_cndmask_b32_e32 v4, -1, v52, vcc
	v_xor_b32_e32 v4, v4, v29
	v_cmp_o_f32_e32 vcc, v29, v29
	v_cndmask_b32_e32 v4, -1, v4, vcc
	v_and_b32_e32 v4, v4, v36
	v_cmp_eq_u32_e32 vcc, v4, v30
	s_and_b64 exec, exec, vcc
	s_cbranch_execz .LBB201_258
; %bb.263:                              ;   in Loop: Header=BB201_259 Depth=2
	ds_write_b64 v15, v[28:29] offset:3072
	s_branch .LBB201_258
.LBB201_264:                            ;   in Loop: Header=BB201_31 Depth=1
	s_or_b64 exec, exec, s[80:81]
	s_and_b64 s[80:81], s[88:89], exec
.LBB201_265:                            ;   in Loop: Header=BB201_31 Depth=1
	s_or_b64 exec, exec, s[66:67]
	s_mov_b64 s[6:7], -1
	s_mov_b64 s[0:1], 0
.LBB201_266:                            ;   in Loop: Header=BB201_31 Depth=1
	s_and_b64 vcc, exec, s[0:1]
	s_mov_b64 s[66:67], s[0:1]
	s_cbranch_vccz .LBB201_282
; %bb.267:                              ;   in Loop: Header=BB201_31 Depth=1
	v_readlane_b32 s6, v57, 31
	v_readlane_b32 s7, v57, 32
	s_mov_b32 s6, s87
	s_mov_b32 s1, s7
	s_cmp_lg_u64 s[6:7], 0
	v_writelane_b32 v57, s0, 31
	v_writelane_b32 v57, s1, 32
	s_cbranch_scc0 .LBB201_269
; %bb.268:                              ;   in Loop: Header=BB201_31 Depth=1
	v_cvt_f32_u32_e32 v4, s33
	s_sub_u32 s0, 0, s33
	s_subb_u32 s1, 0, 0
	v_mac_f32_e32 v4, 0, v53
	v_rcp_f32_e32 v4, v4
	v_mul_f32_e32 v4, 0x5f7ffffc, v4
	v_mul_f32_e32 v5, 0x2f800000, v4
	v_trunc_f32_e32 v5, v5
	v_mac_f32_e32 v4, 0xcf800000, v5
	v_cvt_u32_f32_e32 v5, v5
	v_cvt_u32_f32_e32 v4, v4
	v_readfirstlane_b32 s3, v5
	v_readfirstlane_b32 s6, v4
	s_mul_i32 s7, s0, s3
	s_mul_hi_u32 s31, s0, s6
	s_mul_i32 s30, s1, s6
	s_add_i32 s7, s31, s7
	s_mul_i32 s66, s0, s6
	s_add_i32 s7, s7, s30
	s_mul_hi_u32 s31, s6, s66
	s_mul_hi_u32 s30, s6, s7
	s_mul_i32 s6, s6, s7
	s_add_u32 s6, s31, s6
	s_addc_u32 s30, 0, s30
	s_mul_hi_u32 s67, s3, s66
	s_mul_i32 s66, s3, s66
	s_add_u32 s6, s6, s66
	s_mul_hi_u32 s31, s3, s7
	s_addc_u32 s6, s30, s67
	s_addc_u32 s30, s31, 0
	s_mul_i32 s7, s3, s7
	s_add_u32 s6, s6, s7
	s_addc_u32 s7, 0, s30
	v_add_co_u32_e32 v4, vcc, s6, v4
	s_cmp_lg_u64 vcc, 0
	s_addc_u32 s3, s3, s7
	v_readfirstlane_b32 s7, v4
	s_mul_i32 s6, s0, s3
	s_mul_hi_u32 s30, s0, s7
	s_add_i32 s6, s30, s6
	s_mul_i32 s1, s1, s7
	s_add_i32 s6, s6, s1
	s_mul_i32 s0, s0, s7
	s_mul_hi_u32 s30, s3, s0
	s_mul_i32 s31, s3, s0
	s_mul_i32 s67, s7, s6
	s_mul_hi_u32 s0, s7, s0
	s_mul_hi_u32 s66, s7, s6
	s_add_u32 s0, s0, s67
	s_addc_u32 s7, 0, s66
	s_add_u32 s0, s0, s31
	s_mul_hi_u32 s1, s3, s6
	s_addc_u32 s0, s7, s30
	s_addc_u32 s1, s1, 0
	s_mul_i32 s6, s3, s6
	s_add_u32 s0, s0, s6
	s_addc_u32 s1, 0, s1
	v_add_co_u32_e32 v4, vcc, s0, v4
	s_cmp_lg_u64 vcc, 0
	s_addc_u32 s0, s3, s1
	v_readlane_b32 s31, v57, 29
	v_readfirstlane_b32 s6, v4
	v_readlane_b32 s66, v57, 31
	s_mul_i32 s3, s31, s0
	s_mul_hi_u32 s7, s31, s6
	v_readlane_b32 s67, v57, 32
	s_add_u32 s3, s7, s3
	s_mul_hi_u32 s7, s67, s0
	v_readlane_b32 s66, v57, 31
	v_readlane_b32 s67, v57, 32
	s_mul_hi_u32 s30, s67, s6
	v_readlane_b32 s66, v57, 31
	s_mul_hi_u32 s1, s31, s0
	v_readlane_b32 s67, v57, 32
	s_addc_u32 s1, 0, s1
	s_mul_i32 s6, s67, s6
	s_add_u32 s3, s3, s6
	s_addc_u32 s1, s1, s30
	s_addc_u32 s3, s7, 0
	v_readlane_b32 s6, v57, 31
	v_readlane_b32 s7, v57, 32
	s_mul_i32 s0, s7, s0
	s_add_u32 s0, s1, s0
	s_addc_u32 s1, 0, s3
	s_mul_hi_u32 s3, s33, s0
	s_mul_i32 s0, s33, s0
	s_mul_i32 s1, s33, s1
	v_mov_b32_e32 v4, s0
	s_add_i32 s3, s3, s1
	v_sub_co_u32_e32 v4, vcc, s31, v4
	s_cmp_lg_u64 vcc, 0
	s_subb_u32 s0, s7, s3
	v_subrev_co_u32_e32 v5, vcc, s33, v4
	s_cmp_lg_u64 vcc, 0
	s_subb_u32 s1, s0, 0
	v_subrev_co_u32_e32 v6, vcc, s33, v5
	s_cmp_lg_u64 vcc, 0
	s_subb_u32 s3, s1, 0
	v_cmp_le_u32_e32 vcc, s33, v5
	s_cmp_eq_u32 s1, 0
	v_cndmask_b32_e64 v7, 0, -1, vcc
	s_cselect_b64 vcc, -1, 0
	v_cndmask_b32_e32 v7, -1, v7, vcc
	v_mov_b32_e32 v8, s1
	v_mov_b32_e32 v9, s3
	v_cmp_ne_u32_e32 vcc, 0, v7
	v_cndmask_b32_e32 v7, v8, v9, vcc
	v_cndmask_b32_e32 v6, v5, v6, vcc
	v_cmp_le_u32_e32 vcc, s33, v4
	s_cmp_eq_u32 s0, 0
	v_cndmask_b32_e64 v5, 0, -1, vcc
	s_cselect_b64 vcc, -1, 0
	v_cndmask_b32_e32 v5, -1, v5, vcc
	v_mov_b32_e32 v8, s0
	v_cmp_ne_u32_e32 vcc, 0, v5
	v_cndmask_b32_e32 v5, v8, v7, vcc
	v_cndmask_b32_e32 v4, v4, v6, vcc
	s_mov_b64 s[0:1], 0
	s_branch .LBB201_270
.LBB201_269:                            ;   in Loop: Header=BB201_31 Depth=1
	s_mov_b64 s[0:1], -1
                                        ; implicit-def: $vgpr4_vgpr5
.LBB201_270:                            ;   in Loop: Header=BB201_31 Depth=1
	s_andn2_b64 vcc, exec, s[0:1]
	s_cbranch_vccnz .LBB201_272
; %bb.271:                              ;   in Loop: Header=BB201_31 Depth=1
	v_cvt_f32_u32_e32 v4, s33
	s_sub_i32 s0, 0, s33
	v_rcp_iflag_f32_e32 v4, v4
	v_mul_f32_e32 v4, 0x4f7ffffe, v4
	v_cvt_u32_f32_e32 v4, v4
	v_mul_lo_u32 v5, s0, v4
	v_mul_hi_u32 v5, v4, v5
	v_add_u32_e32 v4, v4, v5
	v_readlane_b32 s0, v57, 29
	v_mul_hi_u32 v4, s0, v4
	v_mul_lo_u32 v4, v4, s33
	v_sub_u32_e32 v4, s0, v4
	v_subrev_u32_e32 v5, s33, v4
	v_cmp_le_u32_e32 vcc, s33, v4
	v_cndmask_b32_e32 v4, v4, v5, vcc
	v_subrev_u32_e32 v5, s33, v4
	v_cmp_le_u32_e32 vcc, s33, v4
	v_cndmask_b32_e32 v14, v4, v5, vcc
	v_pk_mov_b32 v[4:5], v[14:15], v[14:15] op_sel:[0,1]
.LBB201_272:                            ;   in Loop: Header=BB201_31 Depth=1
	v_readlane_b32 s0, v57, 29
	v_mov_b32_e32 v7, s7
	v_sub_co_u32_e32 v6, vcc, s0, v4
	v_subb_co_u32_e32 v7, vcc, v7, v5, vcc
	v_cmp_gt_u64_e32 vcc, v[6:7], v[0:1]
	s_mov_b64 s[80:81], 0
                                        ; implicit-def: $vgpr5
	s_and_saveexec_b64 s[0:1], vcc
	s_cbranch_execz .LBB201_281
; %bb.273:                              ;   in Loop: Header=BB201_31 Depth=1
	s_mov_b64 s[66:67], 0
	v_pk_mov_b32 v[8:9], v[26:27], v[26:27] op_sel:[0,1]
	v_pk_mov_b32 v[34:35], v[0:1], v[0:1] op_sel:[0,1]
                                        ; implicit-def: $sgpr80_sgpr81
	s_branch .LBB201_275
.LBB201_274:                            ;   in Loop: Header=BB201_275 Depth=2
	s_or_b64 exec, exec, s[6:7]
	s_waitcnt lgkmcnt(0)
	s_barrier
	ds_read_b64 v[4:5], v15 offset:3072
	v_add_co_u32_e64 v34, s[6:7], s33, v34
	s_waitcnt lgkmcnt(0)
	s_barrier
	v_cmp_neq_f32_e32 vcc, 0, v4
	v_mov_b32_e32 v4, s92
	v_addc_co_u32_e64 v35, s[6:7], v35, v4, s[6:7]
	v_cmp_ge_u64_e64 s[6:7], v[34:35], v[6:7]
	s_or_b64 s[30:31], s[6:7], vcc
	v_mov_b32_e32 v4, s65
	v_add_co_u32_e64 v8, s[6:7], s64, v8
	v_addc_co_u32_e64 v9, s[6:7], v9, v4, s[6:7]
	s_and_b64 s[6:7], exec, s[30:31]
	s_or_b64 s[66:67], s[6:7], s[66:67]
	s_andn2_b64 s[6:7], s[80:81], exec
	s_and_b64 s[30:31], vcc, exec
	s_or_b64 s[80:81], s[6:7], s[30:31]
	s_andn2_b64 exec, exec, s[66:67]
	s_cbranch_execz .LBB201_280
.LBB201_275:                            ;   Parent Loop BB201_31 Depth=1
                                        ; =>  This Inner Loop Header: Depth=2
	v_cmp_gt_u64_e32 vcc, s[60:61], v[34:35]
	s_waitcnt vmcnt(0)
	v_mov_b32_e32 v29, 0
	s_and_saveexec_b64 s[6:7], vcc
	s_cbranch_execz .LBB201_277
; %bb.276:                              ;   in Loop: Header=BB201_275 Depth=2
	global_load_dword v29, v[8:9], off
.LBB201_277:                            ;   in Loop: Header=BB201_275 Depth=2
	s_or_b64 exec, exec, s[6:7]
	s_and_saveexec_b64 s[6:7], vcc
	s_cbranch_execz .LBB201_274
; %bb.278:                              ;   in Loop: Header=BB201_275 Depth=2
	s_waitcnt vmcnt(0)
	v_cmp_lt_i32_e32 vcc, -1, v29
	v_cndmask_b32_e32 v4, -1, v52, vcc
	v_xor_b32_e32 v4, v4, v29
	v_cmp_o_f32_e32 vcc, v29, v29
	v_cndmask_b32_e32 v4, -1, v4, vcc
	v_and_b32_e32 v4, v4, v36
	v_cmp_eq_u32_e32 vcc, v4, v30
	s_and_b64 exec, exec, vcc
	s_cbranch_execz .LBB201_274
; %bb.279:                              ;   in Loop: Header=BB201_275 Depth=2
	ds_write_b64 v15, v[28:29] offset:3072
	s_branch .LBB201_274
.LBB201_280:                            ;   in Loop: Header=BB201_31 Depth=1
	s_or_b64 exec, exec, s[66:67]
	s_and_b64 s[80:81], s[80:81], exec
.LBB201_281:                            ;   in Loop: Header=BB201_31 Depth=1
	s_or_b64 exec, exec, s[0:1]
	s_mov_b64 s[66:67], -1
	s_mov_b64 s[0:1], 0
	s_mov_b64 s[6:7], 0
.LBB201_282:                            ;   in Loop: Header=BB201_31 Depth=1
	s_orn2_b64 s[80:81], s[80:81], exec
.LBB201_283:                            ;   in Loop: Header=BB201_31 Depth=1
	s_or_b64 exec, exec, s[52:53]
	s_mov_b64 s[88:89], 0
                                        ; implicit-def: $vgpr8
                                        ; implicit-def: $vgpr6_vgpr7
	s_and_saveexec_b64 s[52:53], s[80:81]
	v_readlane_b32 vcc_lo, v56, 0
	v_readlane_b32 vcc_hi, v56, 1
	s_cbranch_execz .LBB201_295
; %bb.284:                              ;   in Loop: Header=BB201_31 Depth=1
	v_readlane_b32 s30, v56, 2
	v_readlane_b32 s31, v56, 3
	v_mov_b32_e32 v6, 1
	s_xor_b64 s[30:31], s[30:31], -1
	v_mov_b32_e32 v8, 1
	v_mov_b32_e32 v7, 0
	s_and_saveexec_b64 s[80:81], s[30:31]
	s_cbranch_execz .LBB201_294
; %bb.285:                              ;   in Loop: Header=BB201_31 Depth=1
	v_cmp_ge_u64_e32 vcc, s[24:25], v[2:3]
                                        ; implicit-def: $sgpr3
	s_and_saveexec_b64 s[30:31], vcc
	s_xor_b64 s[88:89], exec, s[30:31]
	s_cbranch_execz .LBB201_291
; %bb.286:                              ;   in Loop: Header=BB201_31 Depth=1
	ds_read_b64 v[6:7], v15 offset:5120
	s_waitcnt lgkmcnt(0)
	v_cmp_ne_u64_e32 vcc, 0, v[6:7]
	s_cbranch_vccnz .LBB201_290
; %bb.287:                              ;   in Loop: Header=BB201_31 Depth=1
	s_mov_b64 s[90:91], exec
	v_readlane_b32 s30, v57, 10
	v_readlane_b32 s31, v57, 11
	s_and_b64 s[30:31], s[90:91], s[30:31]
	s_mov_b64 exec, s[30:31]
	s_cbranch_execz .LBB201_289
; %bb.288:                              ;   in Loop: Header=BB201_31 Depth=1
	v_pk_mov_b32 v[6:7], s[24:25], s[24:25] op_sel:[0,1]
	ds_write_b64 v15, v[6:7] offset:5128
.LBB201_289:                            ;   in Loop: Header=BB201_31 Depth=1
	s_or_b64 exec, exec, s[90:91]
	s_waitcnt lgkmcnt(0)
	s_barrier
.LBB201_290:                            ;   in Loop: Header=BB201_31 Depth=1
	v_or_b32_e32 v30, s86, v30
	v_or_b32_e32 v36, s86, v36
	s_mov_b32 s3, 8
.LBB201_291:                            ;   in Loop: Header=BB201_31 Depth=1
	s_or_saveexec_b64 s[88:89], s[88:89]
	v_mov_b32_e32 v8, s3
	s_xor_b64 exec, exec, s[88:89]
; %bb.292:                              ;   in Loop: Header=BB201_31 Depth=1
	v_mov_b32_e32 v4, s25
	v_subrev_co_u32_e32 v2, vcc, s24, v2
	v_subb_co_u32_e32 v3, vcc, v3, v4, vcc
	v_mov_b32_e32 v8, 8
; %bb.293:                              ;   in Loop: Header=BB201_31 Depth=1
	s_or_b64 exec, exec, s[88:89]
	v_readlane_b32 s90, v57, 52
	v_readlane_b32 vcc_lo, v56, 0
	v_pk_mov_b32 v[6:7], v[2:3], v[2:3] op_sel:[0,1]
	v_readlane_b32 s91, v57, 53
	v_readlane_b32 vcc_hi, v56, 1
.LBB201_294:                            ;   in Loop: Header=BB201_31 Depth=1
	s_or_b64 exec, exec, s[80:81]
	s_mov_b64 s[88:89], exec
.LBB201_295:                            ;   in Loop: Header=BB201_31 Depth=1
	s_or_b64 exec, exec, s[52:53]
	s_orn2_b64 s[52:53], s[88:89], exec
	v_pk_mov_b32 v[2:3], v[6:7], v[6:7] op_sel:[0,1]
.LBB201_296:                            ;   in Loop: Header=BB201_31 Depth=1
	v_readlane_b32 s30, v57, 62
	v_readlane_b32 s31, v57, 63
	s_or_b64 exec, exec, s[30:31]
	s_andn2_b64 s[30:31], s[50:51], exec
	s_and_b64 s[0:1], s[0:1], exec
	s_or_b64 s[50:51], s[30:31], s[0:1]
	s_andn2_b64 s[0:1], s[54:55], exec
	s_and_b64 s[30:31], s[66:67], exec
	s_or_b64 s[54:55], s[0:1], s[30:31]
	s_andn2_b64 s[0:1], vcc, exec
	s_and_b64 s[6:7], s[6:7], exec
	s_or_b64 vcc, s[0:1], s[6:7]
	s_and_b64 s[0:1], s[52:53], exec
	v_pk_mov_b32 v[6:7], v[2:3], v[2:3] op_sel:[0,1]
.LBB201_297:                            ;   in Loop: Header=BB201_31 Depth=1
	s_or_b64 exec, exec, s[68:69]
	s_and_b64 s[52:53], s[50:51], exec
	s_and_b64 s[50:51], s[54:55], exec
	s_and_b64 s[6:7], vcc, exec
	s_orn2_b64 s[0:1], s[0:1], exec
.LBB201_298:                            ;   in Loop: Header=BB201_31 Depth=1
	s_or_b64 exec, exec, s[48:49]
	s_andn2_b64 s[28:29], s[28:29], exec
	s_and_b64 s[30:31], s[52:53], exec
	s_or_b64 s[28:29], s[28:29], s[30:31]
	s_andn2_b64 s[30:31], s[44:45], exec
	s_and_b64 s[44:45], s[50:51], exec
	s_or_b64 s[44:45], s[30:31], s[44:45]
	;; [unrolled: 3-line block ×3, first 2 shown]
	s_and_b64 s[6:7], s[0:1], exec
	v_pk_mov_b32 v[2:3], v[6:7], v[6:7] op_sel:[0,1]
.LBB201_299:                            ;   in Loop: Header=BB201_31 Depth=1
	s_or_b64 exec, exec, s[46:47]
	s_and_b64 s[46:47], s[28:29], exec
	s_and_b64 s[28:29], s[44:45], exec
	;; [unrolled: 1-line block ×3, first 2 shown]
	s_orn2_b64 s[42:43], s[6:7], exec
.LBB201_300:                            ;   in Loop: Header=BB201_31 Depth=1
	s_or_b64 exec, exec, s[26:27]
	s_mov_b64 s[6:7], 0
	s_mov_b64 s[26:27], 0
	s_and_saveexec_b64 s[30:31], s[42:43]
	s_xor_b64 s[42:43], exec, s[30:31]
; %bb.301:                              ;   in Loop: Header=BB201_31 Depth=1
	v_cmp_eq_u32_e32 vcc, 8, v8
	v_cmp_ne_u32_e64 s[6:7], 8, v8
	s_andn2_b64 s[46:47], s[46:47], exec
	s_andn2_b64 s[28:29], s[28:29], exec
	;; [unrolled: 1-line block ×3, first 2 shown]
	s_and_b64 s[26:27], s[6:7], exec
	s_and_b64 s[6:7], vcc, exec
; %bb.302:                              ;   in Loop: Header=BB201_31 Depth=1
	s_or_b64 exec, exec, s[42:43]
	s_andn2_b64 s[20:21], s[20:21], exec
	s_and_b64 s[30:31], s[46:47], exec
	s_or_b64 s[20:21], s[20:21], s[30:31]
	s_andn2_b64 s[30:31], s[36:37], exec
	s_and_b64 s[28:29], s[28:29], exec
	s_or_b64 s[36:37], s[30:31], s[28:29]
	;; [unrolled: 3-line block ×3, first 2 shown]
	s_and_b64 s[26:27], s[26:27], exec
	s_and_b64 s[28:29], s[6:7], exec
.LBB201_303:                            ;   in Loop: Header=BB201_31 Depth=1
	s_or_b64 exec, exec, s[40:41]
	s_and_b64 vcc, exec, s[38:39]
	s_cbranch_vccz .LBB201_119
.LBB201_304:                            ;   in Loop: Header=BB201_31 Depth=1
	s_cmp_eq_u64 s[24:25], 1
	s_cselect_b64 s[0:1], -1, 0
	s_and_b64 s[36:37], s[0:1], s[14:15]
	s_mov_b64 s[0:1], -1
                                        ; implicit-def: $sgpr14_sgpr15
                                        ; implicit-def: $sgpr38_sgpr39
                                        ; implicit-def: $sgpr20_sgpr21
	s_and_saveexec_b64 s[34:35], s[36:37]
	s_cbranch_execz .LBB201_336
; %bb.305:                              ;   in Loop: Header=BB201_31 Depth=1
	ds_read_b64 v[2:3], v15 offset:5120
	s_waitcnt lgkmcnt(0)
	s_barrier
	v_readfirstlane_b32 s0, v2
	v_readfirstlane_b32 s1, v3
	s_mov_b64 s[6:7], exec
	v_readlane_b32 s14, v57, 24
	v_readlane_b32 s15, v57, 25
	s_and_b64 s[14:15], s[6:7], s[14:15]
	s_mov_b64 exec, s[14:15]
	s_cbranch_execz .LBB201_307
; %bb.306:                              ;   in Loop: Header=BB201_31 Depth=1
	ds_write_b32 v49, v15
.LBB201_307:                            ;   in Loop: Header=BB201_31 Depth=1
	s_or_b64 exec, exec, s[6:7]
	v_or_b32_e32 v55, s86, v55
	v_or_b32_e32 v54, s86, v54
	s_cmp_eq_u64 s[0:1], 0
	s_waitcnt lgkmcnt(0)
	s_barrier
	s_cbranch_scc1 .LBB201_319
; %bb.308:                              ;   in Loop: Header=BB201_31 Depth=1
	v_readlane_b32 s3, v57, 28
	s_add_u32 s3, s3, s0
	v_readlane_b32 s6, v57, 30
	s_addc_u32 s7, s6, s1
	s_mov_b32 s6, s87
	s_cmp_lg_u64 s[6:7], 0
	s_cbranch_scc0 .LBB201_363
; %bb.309:                              ;   in Loop: Header=BB201_31 Depth=1
	v_cvt_f32_u32_e32 v2, s33
	s_sub_u32 s6, 0, s33
	s_subb_u32 s14, 0, 0
	v_mac_f32_e32 v2, 0, v53
	v_rcp_f32_e32 v2, v2
	v_mul_f32_e32 v2, 0x5f7ffffc, v2
	v_mul_f32_e32 v3, 0x2f800000, v2
	v_trunc_f32_e32 v3, v3
	v_mac_f32_e32 v2, 0xcf800000, v3
	v_cvt_u32_f32_e32 v3, v3
	v_cvt_u32_f32_e32 v2, v2
	v_readfirstlane_b32 s15, v3
	v_readfirstlane_b32 s20, v2
	s_mul_i32 s21, s6, s15
	s_mul_hi_u32 s31, s6, s20
	s_mul_i32 s30, s14, s20
	s_add_i32 s21, s31, s21
	s_mul_i32 s38, s6, s20
	s_add_i32 s21, s21, s30
	s_mul_hi_u32 s31, s20, s38
	s_mul_hi_u32 s30, s20, s21
	s_mul_i32 s20, s20, s21
	s_add_u32 s20, s31, s20
	s_addc_u32 s30, 0, s30
	s_mul_hi_u32 s39, s15, s38
	s_mul_i32 s38, s15, s38
	s_add_u32 s20, s20, s38
	s_mul_hi_u32 s31, s15, s21
	s_addc_u32 s20, s30, s39
	s_addc_u32 s30, s31, 0
	s_mul_i32 s21, s15, s21
	s_add_u32 s20, s20, s21
	s_addc_u32 s21, 0, s30
	v_add_co_u32_e32 v2, vcc, s20, v2
	s_cmp_lg_u64 vcc, 0
	s_addc_u32 s15, s15, s21
	v_readfirstlane_b32 s21, v2
	s_mul_i32 s20, s6, s15
	s_mul_hi_u32 s30, s6, s21
	s_add_i32 s20, s30, s20
	s_mul_i32 s14, s14, s21
	s_add_i32 s20, s20, s14
	s_mul_i32 s6, s6, s21
	s_mul_hi_u32 s30, s15, s6
	s_mul_i32 s31, s15, s6
	s_mul_i32 s39, s21, s20
	s_mul_hi_u32 s6, s21, s6
	s_mul_hi_u32 s38, s21, s20
	s_add_u32 s6, s6, s39
	s_addc_u32 s21, 0, s38
	s_add_u32 s6, s6, s31
	s_mul_hi_u32 s14, s15, s20
	s_addc_u32 s6, s21, s30
	s_addc_u32 s14, s14, 0
	s_mul_i32 s20, s15, s20
	s_add_u32 s6, s6, s20
	s_addc_u32 s14, 0, s14
	v_add_co_u32_e32 v2, vcc, s6, v2
	s_cmp_lg_u64 vcc, 0
	s_addc_u32 s6, s15, s14
	v_readfirstlane_b32 s20, v2
	s_mul_i32 s15, s3, s6
	s_mul_hi_u32 s21, s3, s20
	s_mul_hi_u32 s14, s3, s6
	s_add_u32 s15, s21, s15
	s_addc_u32 s14, 0, s14
	s_mul_hi_u32 s30, s7, s20
	s_mul_i32 s20, s7, s20
	s_add_u32 s15, s15, s20
	s_mul_hi_u32 s21, s7, s6
	s_addc_u32 s14, s14, s30
	s_addc_u32 s15, s21, 0
	s_mul_i32 s6, s7, s6
	s_add_u32 s6, s14, s6
	s_addc_u32 s14, 0, s15
	s_mul_hi_u32 s15, s33, s6
	s_mul_i32 s6, s33, s6
	s_mul_i32 s14, s33, s14
	v_mov_b32_e32 v2, s6
	s_add_i32 s15, s15, s14
	v_sub_co_u32_e32 v2, vcc, s3, v2
	s_cmp_lg_u64 vcc, 0
	s_subb_u32 s6, s7, s15
	v_subrev_co_u32_e32 v3, vcc, s33, v2
	s_cmp_lg_u64 vcc, 0
	s_subb_u32 s14, s6, 0
	v_subrev_co_u32_e32 v4, vcc, s33, v3
	s_cmp_lg_u64 vcc, 0
	s_subb_u32 s15, s14, 0
	v_cmp_le_u32_e32 vcc, s33, v3
	s_cmp_eq_u32 s14, 0
	v_cndmask_b32_e64 v5, 0, -1, vcc
	s_cselect_b64 vcc, -1, 0
	v_cndmask_b32_e32 v5, -1, v5, vcc
	v_mov_b32_e32 v6, s14
	v_mov_b32_e32 v7, s15
	v_cmp_ne_u32_e32 vcc, 0, v5
	v_cndmask_b32_e32 v5, v6, v7, vcc
	v_cndmask_b32_e32 v4, v3, v4, vcc
	v_cmp_le_u32_e32 vcc, s33, v2
	s_cmp_eq_u32 s6, 0
	v_cndmask_b32_e64 v3, 0, -1, vcc
	s_cselect_b64 vcc, -1, 0
	v_cndmask_b32_e32 v3, -1, v3, vcc
	v_mov_b32_e32 v6, s6
	v_cmp_ne_u32_e32 vcc, 0, v3
	v_cndmask_b32_e32 v3, v6, v5, vcc
	v_cndmask_b32_e32 v2, v2, v4, vcc
	s_cbranch_execnz .LBB201_311
.LBB201_310:                            ;   in Loop: Header=BB201_31 Depth=1
	v_cvt_f32_u32_e32 v2, s33
	s_sub_i32 s6, 0, s33
	v_rcp_iflag_f32_e32 v2, v2
	v_mul_f32_e32 v2, 0x4f7ffffe, v2
	v_cvt_u32_f32_e32 v2, v2
	v_mul_lo_u32 v3, s6, v2
	v_mul_hi_u32 v3, v2, v3
	v_add_u32_e32 v2, v2, v3
	v_mul_hi_u32 v2, s3, v2
	v_mul_lo_u32 v2, v2, s33
	v_sub_u32_e32 v2, s3, v2
	v_subrev_u32_e32 v3, s33, v2
	v_cmp_le_u32_e32 vcc, s33, v2
	v_cndmask_b32_e32 v2, v2, v3, vcc
	v_subrev_u32_e32 v3, s33, v2
	v_cmp_le_u32_e32 vcc, s33, v2
	v_cndmask_b32_e32 v14, v2, v3, vcc
	v_pk_mov_b32 v[2:3], v[14:15], v[14:15] op_sel:[0,1]
.LBB201_311:                            ;   in Loop: Header=BB201_31 Depth=1
	v_mov_b32_e32 v4, s7
	v_sub_co_u32_e32 v2, vcc, s3, v2
	v_subb_co_u32_e32 v3, vcc, v4, v3, vcc
	v_cmp_gt_u64_e32 vcc, v[2:3], v[0:1]
	s_mov_b64 s[6:7], 0
                                        ; implicit-def: $vgpr31
	s_and_saveexec_b64 s[14:15], vcc
	s_cbranch_execz .LBB201_321
; %bb.312:                              ;   in Loop: Header=BB201_31 Depth=1
	s_mov_b64 s[20:21], 0
	v_mov_b32_e32 v6, v16
	v_pk_mov_b32 v[4:5], v[0:1], v[0:1] op_sel:[0,1]
                                        ; implicit-def: $sgpr38_sgpr39
	s_branch .LBB201_314
.LBB201_313:                            ;   in Loop: Header=BB201_314 Depth=2
	s_or_b64 exec, exec, s[6:7]
	s_waitcnt lgkmcnt(0)
	s_barrier
	ds_read_b64 v[30:31], v15 offset:3072
	v_mov_b32_e32 v7, s92
	v_add_co_u32_e64 v4, s[6:7], s33, v4
	v_addc_co_u32_e64 v5, s[6:7], v5, v7, s[6:7]
	s_waitcnt lgkmcnt(0)
	v_cmp_neq_f32_e32 vcc, 0, v30
	v_cmp_ge_u64_e64 s[6:7], v[4:5], v[2:3]
	s_or_b64 s[6:7], s[6:7], vcc
	s_and_b64 s[6:7], exec, s[6:7]
	s_or_b64 s[20:21], s[6:7], s[20:21]
	s_andn2_b64 s[6:7], s[38:39], exec
	s_and_b64 s[30:31], vcc, exec
	v_add_u32_e32 v6, s2, v6
	s_or_b64 s[38:39], s[6:7], s[30:31]
	s_barrier
	s_andn2_b64 exec, exec, s[20:21]
	s_cbranch_execz .LBB201_320
.LBB201_314:                            ;   Parent Loop BB201_31 Depth=1
                                        ; =>  This Inner Loop Header: Depth=2
	v_cmp_gt_u64_e32 vcc, s[0:1], v[4:5]
	s_waitcnt vmcnt(0)
	v_mov_b32_e32 v29, 0
	s_and_saveexec_b64 s[6:7], vcc
	s_cbranch_execz .LBB201_316
; %bb.315:                              ;   in Loop: Header=BB201_314 Depth=2
	ds_read_b32 v29, v6
.LBB201_316:                            ;   in Loop: Header=BB201_314 Depth=2
	s_or_b64 exec, exec, s[6:7]
	s_and_saveexec_b64 s[6:7], vcc
	s_cbranch_execz .LBB201_313
; %bb.317:                              ;   in Loop: Header=BB201_314 Depth=2
	s_waitcnt lgkmcnt(0)
	v_cmp_lt_i32_e32 vcc, -1, v29
	v_cndmask_b32_e32 v7, -1, v52, vcc
	v_xor_b32_e32 v7, v7, v29
	v_cmp_o_f32_e32 vcc, v29, v29
	v_cndmask_b32_e32 v7, -1, v7, vcc
	v_and_b32_e32 v7, v7, v54
	v_cmp_eq_u32_e32 vcc, v7, v55
	s_and_b64 exec, exec, vcc
	s_cbranch_execz .LBB201_313
; %bb.318:                              ;   in Loop: Header=BB201_314 Depth=2
	ds_write_b64 v15, v[28:29] offset:3072
	s_branch .LBB201_313
.LBB201_319:                            ;   in Loop: Header=BB201_31 Depth=1
	s_mov_b64 s[14:15], -1
	s_mov_b64 s[6:7], 0
                                        ; implicit-def: $sgpr38_sgpr39
                                        ; implicit-def: $vgpr31
	s_mov_b64 s[20:21], s[14:15]
	s_cbranch_execnz .LBB201_322
	s_branch .LBB201_335
.LBB201_320:                            ;   in Loop: Header=BB201_31 Depth=1
	s_or_b64 exec, exec, s[20:21]
	s_and_b64 s[6:7], s[38:39], exec
.LBB201_321:                            ;   in Loop: Header=BB201_31 Depth=1
	s_or_b64 exec, exec, s[14:15]
	s_mov_b64 s[14:15], 0
	s_mov_b64 s[38:39], -1
	s_mov_b64 s[20:21], s[14:15]
	s_branch .LBB201_335
.LBB201_322:                            ;   in Loop: Header=BB201_31 Depth=1
	v_readlane_b32 s6, v57, 31
	v_readlane_b32 s7, v57, 32
	s_mov_b32 s6, s87
	s_mov_b32 s1, s7
	s_cmp_lg_u64 s[6:7], 0
	v_writelane_b32 v57, s0, 31
	v_writelane_b32 v57, s1, 32
	s_cbranch_scc0 .LBB201_364
; %bb.323:                              ;   in Loop: Header=BB201_31 Depth=1
	v_cvt_f32_u32_e32 v2, s33
	s_sub_u32 s0, 0, s33
	s_subb_u32 s1, 0, 0
	v_mac_f32_e32 v2, 0, v53
	v_rcp_f32_e32 v2, v2
	v_mul_f32_e32 v2, 0x5f7ffffc, v2
	v_mul_f32_e32 v3, 0x2f800000, v2
	v_trunc_f32_e32 v3, v3
	v_mac_f32_e32 v2, 0xcf800000, v3
	v_cvt_u32_f32_e32 v3, v3
	v_cvt_u32_f32_e32 v2, v2
	v_readfirstlane_b32 s3, v3
	v_readfirstlane_b32 s6, v2
	s_mul_i32 s7, s0, s3
	s_mul_hi_u32 s15, s0, s6
	s_mul_i32 s14, s1, s6
	s_add_i32 s7, s15, s7
	s_mul_i32 s20, s0, s6
	s_add_i32 s7, s7, s14
	s_mul_hi_u32 s15, s6, s20
	s_mul_hi_u32 s14, s6, s7
	s_mul_i32 s6, s6, s7
	s_add_u32 s6, s15, s6
	s_addc_u32 s14, 0, s14
	s_mul_hi_u32 s21, s3, s20
	s_mul_i32 s20, s3, s20
	s_add_u32 s6, s6, s20
	s_mul_hi_u32 s15, s3, s7
	s_addc_u32 s6, s14, s21
	s_addc_u32 s14, s15, 0
	s_mul_i32 s7, s3, s7
	s_add_u32 s6, s6, s7
	s_addc_u32 s7, 0, s14
	v_add_co_u32_e32 v2, vcc, s6, v2
	s_cmp_lg_u64 vcc, 0
	s_addc_u32 s3, s3, s7
	v_readfirstlane_b32 s7, v2
	s_mul_i32 s6, s0, s3
	s_mul_hi_u32 s14, s0, s7
	s_add_i32 s6, s14, s6
	s_mul_i32 s1, s1, s7
	s_add_i32 s6, s6, s1
	s_mul_i32 s0, s0, s7
	s_mul_hi_u32 s14, s3, s0
	s_mul_i32 s15, s3, s0
	s_mul_i32 s21, s7, s6
	s_mul_hi_u32 s0, s7, s0
	s_mul_hi_u32 s20, s7, s6
	s_add_u32 s0, s0, s21
	s_addc_u32 s7, 0, s20
	s_add_u32 s0, s0, s15
	s_mul_hi_u32 s1, s3, s6
	s_addc_u32 s0, s7, s14
	s_addc_u32 s1, s1, 0
	s_mul_i32 s6, s3, s6
	s_add_u32 s0, s0, s6
	s_addc_u32 s1, 0, s1
	v_add_co_u32_e32 v2, vcc, s0, v2
	s_cmp_lg_u64 vcc, 0
	s_addc_u32 s0, s3, s1
	v_readlane_b32 s15, v57, 29
	v_readfirstlane_b32 s6, v2
	v_readlane_b32 s20, v57, 31
	s_mul_i32 s3, s15, s0
	s_mul_hi_u32 s7, s15, s6
	v_readlane_b32 s21, v57, 32
	s_add_u32 s3, s7, s3
	s_mul_hi_u32 s7, s21, s0
	v_readlane_b32 s20, v57, 31
	v_readlane_b32 s21, v57, 32
	s_mul_hi_u32 s14, s21, s6
	v_readlane_b32 s20, v57, 31
	s_mul_hi_u32 s1, s15, s0
	v_readlane_b32 s21, v57, 32
	s_addc_u32 s1, 0, s1
	s_mul_i32 s6, s21, s6
	s_add_u32 s3, s3, s6
	s_addc_u32 s1, s1, s14
	s_addc_u32 s3, s7, 0
	v_readlane_b32 s6, v57, 31
	v_readlane_b32 s7, v57, 32
	s_mul_i32 s0, s7, s0
	s_add_u32 s0, s1, s0
	s_addc_u32 s1, 0, s3
	s_mul_hi_u32 s3, s33, s0
	s_mul_i32 s0, s33, s0
	s_mul_i32 s1, s33, s1
	v_mov_b32_e32 v2, s0
	s_add_i32 s3, s3, s1
	v_sub_co_u32_e32 v2, vcc, s15, v2
	s_cmp_lg_u64 vcc, 0
	s_subb_u32 s0, s7, s3
	v_subrev_co_u32_e32 v3, vcc, s33, v2
	s_cmp_lg_u64 vcc, 0
	s_subb_u32 s1, s0, 0
	v_subrev_co_u32_e32 v4, vcc, s33, v3
	s_cmp_lg_u64 vcc, 0
	s_subb_u32 s3, s1, 0
	v_cmp_le_u32_e32 vcc, s33, v3
	s_cmp_eq_u32 s1, 0
	v_cndmask_b32_e64 v5, 0, -1, vcc
	s_cselect_b64 vcc, -1, 0
	v_cndmask_b32_e32 v5, -1, v5, vcc
	v_mov_b32_e32 v6, s1
	v_mov_b32_e32 v7, s3
	v_cmp_ne_u32_e32 vcc, 0, v5
	v_cndmask_b32_e32 v5, v6, v7, vcc
	v_cndmask_b32_e32 v4, v3, v4, vcc
	v_cmp_le_u32_e32 vcc, s33, v2
	s_cmp_eq_u32 s0, 0
	v_cndmask_b32_e64 v3, 0, -1, vcc
	s_cselect_b64 vcc, -1, 0
	v_cndmask_b32_e32 v3, -1, v3, vcc
	v_mov_b32_e32 v6, s0
	v_cmp_ne_u32_e32 vcc, 0, v3
	v_cndmask_b32_e32 v3, v6, v5, vcc
	v_cndmask_b32_e32 v2, v2, v4, vcc
	s_cbranch_execnz .LBB201_325
.LBB201_324:                            ;   in Loop: Header=BB201_31 Depth=1
	v_cvt_f32_u32_e32 v2, s33
	s_sub_i32 s0, 0, s33
	v_rcp_iflag_f32_e32 v2, v2
	v_mul_f32_e32 v2, 0x4f7ffffe, v2
	v_cvt_u32_f32_e32 v2, v2
	v_mul_lo_u32 v3, s0, v2
	v_mul_hi_u32 v3, v2, v3
	v_add_u32_e32 v2, v2, v3
	v_readlane_b32 s0, v57, 29
	v_mul_hi_u32 v2, s0, v2
	v_mul_lo_u32 v2, v2, s33
	v_sub_u32_e32 v2, s0, v2
	v_subrev_u32_e32 v3, s33, v2
	v_cmp_le_u32_e32 vcc, s33, v2
	v_cndmask_b32_e32 v2, v2, v3, vcc
	v_subrev_u32_e32 v3, s33, v2
	v_cmp_le_u32_e32 vcc, s33, v2
	v_cndmask_b32_e32 v14, v2, v3, vcc
	v_pk_mov_b32 v[2:3], v[14:15], v[14:15] op_sel:[0,1]
.LBB201_325:                            ;   in Loop: Header=BB201_31 Depth=1
	v_readlane_b32 s0, v57, 29
	v_mov_b32_e32 v4, s7
	v_sub_co_u32_e32 v2, vcc, s0, v2
	v_subb_co_u32_e32 v3, vcc, v4, v3, vcc
	v_cmp_gt_u64_e32 vcc, v[2:3], v[0:1]
	s_mov_b64 s[6:7], 0
                                        ; implicit-def: $vgpr31
	s_and_saveexec_b64 s[0:1], vcc
	s_cbranch_execz .LBB201_334
; %bb.326:                              ;   in Loop: Header=BB201_31 Depth=1
	s_mov_b64 s[14:15], 0
	v_pk_mov_b32 v[4:5], v[26:27], v[26:27] op_sel:[0,1]
	v_pk_mov_b32 v[6:7], v[0:1], v[0:1] op_sel:[0,1]
                                        ; implicit-def: $sgpr20_sgpr21
	s_branch .LBB201_328
.LBB201_327:                            ;   in Loop: Header=BB201_328 Depth=2
	s_or_b64 exec, exec, s[6:7]
	s_waitcnt lgkmcnt(0)
	s_barrier
	ds_read_b64 v[30:31], v15 offset:3072
	v_mov_b32_e32 v8, s92
	v_add_co_u32_e64 v6, s[6:7], s33, v6
	v_addc_co_u32_e64 v7, s[6:7], v7, v8, s[6:7]
	s_waitcnt lgkmcnt(0)
	v_cmp_neq_f32_e32 vcc, 0, v30
	v_cmp_ge_u64_e64 s[6:7], v[6:7], v[2:3]
	s_or_b64 s[30:31], s[6:7], vcc
	v_mov_b32_e32 v8, s65
	v_add_co_u32_e64 v4, s[6:7], s64, v4
	v_addc_co_u32_e64 v5, s[6:7], v5, v8, s[6:7]
	s_and_b64 s[6:7], exec, s[30:31]
	s_or_b64 s[14:15], s[6:7], s[14:15]
	s_andn2_b64 s[6:7], s[20:21], exec
	s_and_b64 s[20:21], vcc, exec
	s_or_b64 s[20:21], s[6:7], s[20:21]
	s_barrier
	s_andn2_b64 exec, exec, s[14:15]
	s_cbranch_execz .LBB201_333
.LBB201_328:                            ;   Parent Loop BB201_31 Depth=1
                                        ; =>  This Inner Loop Header: Depth=2
	v_cmp_gt_u64_e32 vcc, s[60:61], v[6:7]
	s_waitcnt vmcnt(0)
	v_mov_b32_e32 v29, 0
	s_and_saveexec_b64 s[6:7], vcc
	s_cbranch_execz .LBB201_330
; %bb.329:                              ;   in Loop: Header=BB201_328 Depth=2
	global_load_dword v29, v[4:5], off
.LBB201_330:                            ;   in Loop: Header=BB201_328 Depth=2
	s_or_b64 exec, exec, s[6:7]
	s_and_saveexec_b64 s[6:7], vcc
	s_cbranch_execz .LBB201_327
; %bb.331:                              ;   in Loop: Header=BB201_328 Depth=2
	s_waitcnt vmcnt(0)
	v_cmp_lt_i32_e32 vcc, -1, v29
	v_cndmask_b32_e32 v8, -1, v52, vcc
	v_xor_b32_e32 v8, v8, v29
	v_cmp_o_f32_e32 vcc, v29, v29
	v_cndmask_b32_e32 v8, -1, v8, vcc
	v_and_b32_e32 v8, v8, v54
	v_cmp_eq_u32_e32 vcc, v8, v55
	s_and_b64 exec, exec, vcc
	s_cbranch_execz .LBB201_327
; %bb.332:                              ;   in Loop: Header=BB201_328 Depth=2
	ds_write_b64 v15, v[28:29] offset:3072
	s_branch .LBB201_327
.LBB201_333:                            ;   in Loop: Header=BB201_31 Depth=1
	s_or_b64 exec, exec, s[14:15]
	s_and_b64 s[6:7], s[20:21], exec
.LBB201_334:                            ;   in Loop: Header=BB201_31 Depth=1
	s_or_b64 exec, exec, s[0:1]
	s_mov_b64 s[38:39], 0
	s_mov_b64 s[14:15], -1
	s_mov_b64 s[20:21], 0
.LBB201_335:                            ;   in Loop: Header=BB201_31 Depth=1
	s_orn2_b64 s[0:1], s[6:7], exec
.LBB201_336:                            ;   in Loop: Header=BB201_31 Depth=1
	s_or_b64 exec, exec, s[34:35]
                                        ; implicit-def: $vgpr8
                                        ; implicit-def: $vgpr2_vgpr3
                                        ; implicit-def: $vgpr30
                                        ; implicit-def: $vgpr36
                                        ; implicit-def: $vgpr5
	s_and_saveexec_b64 s[34:35], s[0:1]
	s_cbranch_execz .LBB201_499
; %bb.337:                              ;   in Loop: Header=BB201_31 Depth=1
	v_mov_b32_e32 v2, 1
	s_xor_b64 s[30:31], s[36:37], -1
	s_mov_b64 s[6:7], 0
	v_mov_b32_e32 v3, 0
	v_mov_b32_e32 v8, 1
	s_and_saveexec_b64 s[0:1], s[30:31]
	s_cbranch_execz .LBB201_347
; %bb.338:                              ;   in Loop: Header=BB201_31 Depth=1
	v_cmp_ge_u64_e32 vcc, s[24:25], v[32:33]
                                        ; implicit-def: $sgpr3
                                        ; implicit-def: $sgpr6_sgpr7
	s_and_saveexec_b64 s[30:31], vcc
	s_xor_b64 s[36:37], exec, s[30:31]
	s_cbranch_execz .LBB201_344
; %bb.339:                              ;   in Loop: Header=BB201_31 Depth=1
	ds_read_b64 v[2:3], v15 offset:5120
	s_waitcnt lgkmcnt(0)
	v_cmp_ne_u64_e32 vcc, 0, v[2:3]
	s_cbranch_vccnz .LBB201_343
; %bb.340:                              ;   in Loop: Header=BB201_31 Depth=1
	s_mov_b64 s[6:7], exec
	v_readlane_b32 s30, v57, 10
	v_readlane_b32 s31, v57, 11
	s_and_b64 s[30:31], s[6:7], s[30:31]
	s_mov_b64 exec, s[30:31]
	s_cbranch_execz .LBB201_342
; %bb.341:                              ;   in Loop: Header=BB201_31 Depth=1
	v_pk_mov_b32 v[2:3], s[24:25], s[24:25] op_sel:[0,1]
	ds_write_b64 v15, v[2:3] offset:5128
.LBB201_342:                            ;   in Loop: Header=BB201_31 Depth=1
	s_or_b64 exec, exec, s[6:7]
	s_waitcnt lgkmcnt(0)
	s_barrier
.LBB201_343:                            ;   in Loop: Header=BB201_31 Depth=1
	v_or_b32_e32 v55, s86, v55
	v_or_b32_e32 v54, s86, v54
	s_mov_b64 s[6:7], 0
	s_mov_b32 s3, 5
.LBB201_344:                            ;   in Loop: Header=BB201_31 Depth=1
	s_or_saveexec_b64 s[36:37], s[36:37]
	v_mov_b32_e32 v8, s3
	s_xor_b64 exec, exec, s[36:37]
; %bb.345:                              ;   in Loop: Header=BB201_31 Depth=1
	v_mov_b32_e32 v2, s25
	v_subrev_co_u32_e32 v32, vcc, s24, v32
	v_subb_co_u32_e32 v33, vcc, v33, v2, vcc
	v_mov_b32_e32 v8, 0
	s_or_b64 s[6:7], s[6:7], exec
; %bb.346:                              ;   in Loop: Header=BB201_31 Depth=1
	s_or_b64 exec, exec, s[36:37]
	s_and_b64 s[6:7], s[6:7], exec
	v_pk_mov_b32 v[2:3], v[32:33], v[32:33] op_sel:[0,1]
.LBB201_347:                            ;   in Loop: Header=BB201_31 Depth=1
	s_or_b64 exec, exec, s[0:1]
	s_mov_b64 s[40:41], -1
                                        ; implicit-def: $sgpr0_sgpr1
                                        ; implicit-def: $sgpr36_sgpr37
                                        ; implicit-def: $sgpr44_sgpr45
	s_and_saveexec_b64 s[24:25], s[6:7]
	s_xor_b64 s[24:25], exec, s[24:25]
	s_cbranch_execz .LBB201_496
; %bb.348:                              ;   in Loop: Header=BB201_31 Depth=1
	s_cmp_eq_u64 s[22:23], 1
	s_cselect_b64 s[0:1], -1, 0
	v_cmp_eq_u64_e32 vcc, 1, v[2:3]
	s_and_b64 s[46:47], s[0:1], vcc
	s_mov_b64 s[0:1], -1
                                        ; implicit-def: $sgpr36_sgpr37
                                        ; implicit-def: $sgpr40_sgpr41
                                        ; implicit-def: $sgpr42_sgpr43
	s_and_saveexec_b64 s[44:45], s[46:47]
	s_cbranch_execz .LBB201_382
; %bb.349:                              ;   in Loop: Header=BB201_31 Depth=1
	ds_read_b64 v[4:5], v15 offset:5120
	s_waitcnt lgkmcnt(0)
	s_barrier
	v_readfirstlane_b32 s0, v4
	v_readfirstlane_b32 s1, v5
	s_mov_b64 s[6:7], exec
	v_readlane_b32 s30, v57, 24
	v_readlane_b32 s31, v57, 25
	s_and_b64 s[30:31], s[6:7], s[30:31]
	s_mov_b64 exec, s[30:31]
	s_cbranch_execz .LBB201_351
; %bb.350:                              ;   in Loop: Header=BB201_31 Depth=1
	ds_write_b32 v49, v15
.LBB201_351:                            ;   in Loop: Header=BB201_31 Depth=1
	s_or_b64 exec, exec, s[6:7]
	v_and_b32_e32 v4, s94, v55
	v_lshl_or_b32 v55, 2, s95, v4
	v_or_b32_e32 v54, s86, v54
	s_cmp_eq_u64 s[0:1], 0
	s_waitcnt lgkmcnt(0)
	s_barrier
	s_cbranch_scc1 .LBB201_365
; %bb.352:                              ;   in Loop: Header=BB201_31 Depth=1
	v_readlane_b32 s3, v57, 28
	s_add_u32 s3, s3, s0
	v_readlane_b32 s6, v57, 30
	s_addc_u32 s7, s6, s1
	s_mov_b32 s6, s87
	s_cmp_lg_u64 s[6:7], 0
	s_cbranch_scc0 .LBB201_409
; %bb.353:                              ;   in Loop: Header=BB201_31 Depth=1
	v_cvt_f32_u32_e32 v4, s33
	s_sub_u32 s6, 0, s33
	s_subb_u32 s30, 0, 0
	v_mac_f32_e32 v4, 0, v53
	v_rcp_f32_e32 v4, v4
	v_mul_f32_e32 v4, 0x5f7ffffc, v4
	v_mul_f32_e32 v5, 0x2f800000, v4
	v_trunc_f32_e32 v5, v5
	v_mac_f32_e32 v4, 0xcf800000, v5
	v_cvt_u32_f32_e32 v5, v5
	v_cvt_u32_f32_e32 v4, v4
	v_readfirstlane_b32 s31, v5
	v_readfirstlane_b32 s36, v4
	s_mul_i32 s37, s6, s31
	s_mul_hi_u32 s41, s6, s36
	s_mul_i32 s40, s30, s36
	s_add_i32 s37, s41, s37
	s_mul_i32 s42, s6, s36
	s_add_i32 s37, s37, s40
	s_mul_hi_u32 s41, s36, s42
	s_mul_hi_u32 s40, s36, s37
	s_mul_i32 s36, s36, s37
	s_add_u32 s36, s41, s36
	s_addc_u32 s40, 0, s40
	s_mul_hi_u32 s43, s31, s42
	s_mul_i32 s42, s31, s42
	s_add_u32 s36, s36, s42
	s_mul_hi_u32 s41, s31, s37
	s_addc_u32 s36, s40, s43
	s_addc_u32 s40, s41, 0
	s_mul_i32 s37, s31, s37
	s_add_u32 s36, s36, s37
	s_addc_u32 s37, 0, s40
	v_add_co_u32_e32 v4, vcc, s36, v4
	s_cmp_lg_u64 vcc, 0
	s_addc_u32 s31, s31, s37
	v_readfirstlane_b32 s37, v4
	s_mul_i32 s36, s6, s31
	s_mul_hi_u32 s40, s6, s37
	s_add_i32 s36, s40, s36
	s_mul_i32 s30, s30, s37
	s_add_i32 s36, s36, s30
	s_mul_i32 s6, s6, s37
	s_mul_hi_u32 s40, s31, s6
	s_mul_i32 s41, s31, s6
	s_mul_i32 s43, s37, s36
	s_mul_hi_u32 s6, s37, s6
	s_mul_hi_u32 s42, s37, s36
	s_add_u32 s6, s6, s43
	s_addc_u32 s37, 0, s42
	s_add_u32 s6, s6, s41
	s_mul_hi_u32 s30, s31, s36
	s_addc_u32 s6, s37, s40
	s_addc_u32 s30, s30, 0
	s_mul_i32 s36, s31, s36
	s_add_u32 s6, s6, s36
	s_addc_u32 s30, 0, s30
	v_add_co_u32_e32 v4, vcc, s6, v4
	s_cmp_lg_u64 vcc, 0
	s_addc_u32 s6, s31, s30
	v_readfirstlane_b32 s36, v4
	s_mul_i32 s31, s3, s6
	s_mul_hi_u32 s37, s3, s36
	s_mul_hi_u32 s30, s3, s6
	s_add_u32 s31, s37, s31
	s_addc_u32 s30, 0, s30
	s_mul_hi_u32 s40, s7, s36
	s_mul_i32 s36, s7, s36
	s_add_u32 s31, s31, s36
	s_mul_hi_u32 s37, s7, s6
	s_addc_u32 s30, s30, s40
	s_addc_u32 s31, s37, 0
	s_mul_i32 s6, s7, s6
	s_add_u32 s6, s30, s6
	s_addc_u32 s30, 0, s31
	s_mul_hi_u32 s31, s33, s6
	s_mul_i32 s6, s33, s6
	s_mul_i32 s30, s33, s30
	v_mov_b32_e32 v4, s6
	s_add_i32 s31, s31, s30
	v_sub_co_u32_e32 v4, vcc, s3, v4
	s_cmp_lg_u64 vcc, 0
	s_subb_u32 s6, s7, s31
	v_subrev_co_u32_e32 v5, vcc, s33, v4
	s_cmp_lg_u64 vcc, 0
	s_subb_u32 s30, s6, 0
	v_subrev_co_u32_e32 v6, vcc, s33, v5
	s_cmp_lg_u64 vcc, 0
	s_subb_u32 s31, s30, 0
	v_cmp_le_u32_e32 vcc, s33, v5
	s_cmp_eq_u32 s30, 0
	v_cndmask_b32_e64 v7, 0, -1, vcc
	s_cselect_b64 vcc, -1, 0
	v_cndmask_b32_e32 v7, -1, v7, vcc
	v_mov_b32_e32 v8, s30
	v_mov_b32_e32 v9, s31
	v_cmp_ne_u32_e32 vcc, 0, v7
	v_cndmask_b32_e32 v7, v8, v9, vcc
	v_cndmask_b32_e32 v6, v5, v6, vcc
	v_cmp_le_u32_e32 vcc, s33, v4
	s_cmp_eq_u32 s6, 0
	v_cndmask_b32_e64 v5, 0, -1, vcc
	s_cselect_b64 vcc, -1, 0
	v_cndmask_b32_e32 v5, -1, v5, vcc
	v_mov_b32_e32 v8, s6
	v_cmp_ne_u32_e32 vcc, 0, v5
	v_cndmask_b32_e32 v5, v8, v7, vcc
	v_cndmask_b32_e32 v4, v4, v6, vcc
	s_cbranch_execnz .LBB201_355
.LBB201_354:                            ;   in Loop: Header=BB201_31 Depth=1
	v_cvt_f32_u32_e32 v4, s33
	s_sub_i32 s6, 0, s33
	v_rcp_iflag_f32_e32 v4, v4
	v_mul_f32_e32 v4, 0x4f7ffffe, v4
	v_cvt_u32_f32_e32 v4, v4
	v_mul_lo_u32 v5, s6, v4
	v_mul_hi_u32 v5, v4, v5
	v_add_u32_e32 v4, v4, v5
	v_mul_hi_u32 v4, s3, v4
	v_mul_lo_u32 v4, v4, s33
	v_sub_u32_e32 v4, s3, v4
	v_subrev_u32_e32 v5, s33, v4
	v_cmp_le_u32_e32 vcc, s33, v4
	v_cndmask_b32_e32 v4, v4, v5, vcc
	v_subrev_u32_e32 v5, s33, v4
	v_cmp_le_u32_e32 vcc, s33, v4
	v_cndmask_b32_e32 v14, v4, v5, vcc
	v_pk_mov_b32 v[4:5], v[14:15], v[14:15] op_sel:[0,1]
.LBB201_355:                            ;   in Loop: Header=BB201_31 Depth=1
	v_mov_b32_e32 v6, s7
	v_sub_co_u32_e32 v4, vcc, s3, v4
	v_subb_co_u32_e32 v5, vcc, v6, v5, vcc
	v_cmp_gt_u64_e32 vcc, v[4:5], v[0:1]
	s_mov_b64 s[6:7], 0
                                        ; implicit-def: $vgpr31
	s_and_saveexec_b64 s[36:37], vcc
	s_cbranch_execz .LBB201_367
; %bb.356:                              ;   in Loop: Header=BB201_31 Depth=1
	s_mov_b64 s[40:41], 0
	v_mov_b32_e32 v8, v16
	v_pk_mov_b32 v[6:7], v[0:1], v[0:1] op_sel:[0,1]
                                        ; implicit-def: $sgpr42_sgpr43
	s_branch .LBB201_358
.LBB201_357:                            ;   in Loop: Header=BB201_358 Depth=2
	s_or_b64 exec, exec, s[6:7]
	s_waitcnt lgkmcnt(0)
	s_barrier
	ds_read_b64 v[30:31], v15 offset:3072
	v_mov_b32_e32 v9, s92
	v_add_co_u32_e64 v6, s[6:7], s33, v6
	v_addc_co_u32_e64 v7, s[6:7], v7, v9, s[6:7]
	s_waitcnt lgkmcnt(0)
	v_cmp_neq_f32_e32 vcc, 0, v30
	v_cmp_ge_u64_e64 s[6:7], v[6:7], v[4:5]
	s_or_b64 s[6:7], s[6:7], vcc
	s_and_b64 s[6:7], exec, s[6:7]
	s_or_b64 s[40:41], s[6:7], s[40:41]
	s_andn2_b64 s[6:7], s[42:43], exec
	s_and_b64 s[30:31], vcc, exec
	v_add_u32_e32 v8, s2, v8
	s_or_b64 s[42:43], s[6:7], s[30:31]
	s_barrier
	s_andn2_b64 exec, exec, s[40:41]
	s_cbranch_execz .LBB201_366
.LBB201_358:                            ;   Parent Loop BB201_31 Depth=1
                                        ; =>  This Inner Loop Header: Depth=2
	v_cmp_gt_u64_e32 vcc, s[0:1], v[6:7]
	s_waitcnt vmcnt(0)
	v_mov_b32_e32 v29, 0
	s_and_saveexec_b64 s[6:7], vcc
	s_cbranch_execz .LBB201_360
; %bb.359:                              ;   in Loop: Header=BB201_358 Depth=2
	ds_read_b32 v29, v8
.LBB201_360:                            ;   in Loop: Header=BB201_358 Depth=2
	s_or_b64 exec, exec, s[6:7]
	s_and_saveexec_b64 s[6:7], vcc
	s_cbranch_execz .LBB201_357
; %bb.361:                              ;   in Loop: Header=BB201_358 Depth=2
	s_waitcnt lgkmcnt(0)
	v_cmp_lt_i32_e32 vcc, -1, v29
	v_cndmask_b32_e32 v9, -1, v52, vcc
	v_xor_b32_e32 v9, v9, v29
	v_cmp_o_f32_e32 vcc, v29, v29
	v_cndmask_b32_e32 v9, -1, v9, vcc
	v_and_b32_e32 v9, v9, v54
	v_cmp_eq_u32_e32 vcc, v9, v55
	s_and_b64 exec, exec, vcc
	s_cbranch_execz .LBB201_357
; %bb.362:                              ;   in Loop: Header=BB201_358 Depth=2
	ds_write_b64 v15, v[28:29] offset:3072
	s_branch .LBB201_357
.LBB201_363:                            ;   in Loop: Header=BB201_31 Depth=1
                                        ; implicit-def: $vgpr2_vgpr3
	s_branch .LBB201_310
.LBB201_364:                            ;   in Loop: Header=BB201_31 Depth=1
                                        ; implicit-def: $vgpr2_vgpr3
	s_branch .LBB201_324
.LBB201_365:                            ;   in Loop: Header=BB201_31 Depth=1
	s_mov_b64 s[36:37], -1
	s_mov_b64 s[6:7], 0
                                        ; implicit-def: $sgpr40_sgpr41
                                        ; implicit-def: $vgpr31
	s_mov_b64 s[42:43], s[36:37]
	s_cbranch_execnz .LBB201_368
	s_branch .LBB201_381
.LBB201_366:                            ;   in Loop: Header=BB201_31 Depth=1
	s_or_b64 exec, exec, s[40:41]
	s_and_b64 s[6:7], s[42:43], exec
.LBB201_367:                            ;   in Loop: Header=BB201_31 Depth=1
	s_or_b64 exec, exec, s[36:37]
	s_mov_b64 s[36:37], 0
	s_mov_b64 s[40:41], -1
	s_mov_b64 s[42:43], s[36:37]
	s_branch .LBB201_381
.LBB201_368:                            ;   in Loop: Header=BB201_31 Depth=1
	v_readlane_b32 s6, v57, 31
	v_readlane_b32 s7, v57, 32
	s_mov_b32 s6, s87
	s_mov_b32 s1, s7
	s_cmp_lg_u64 s[6:7], 0
	v_writelane_b32 v57, s0, 31
	v_writelane_b32 v57, s1, 32
	s_cbranch_scc0 .LBB201_410
; %bb.369:                              ;   in Loop: Header=BB201_31 Depth=1
	v_cvt_f32_u32_e32 v4, s33
	s_sub_u32 s0, 0, s33
	s_subb_u32 s1, 0, 0
	v_mac_f32_e32 v4, 0, v53
	v_rcp_f32_e32 v4, v4
	v_mul_f32_e32 v4, 0x5f7ffffc, v4
	v_mul_f32_e32 v5, 0x2f800000, v4
	v_trunc_f32_e32 v5, v5
	v_mac_f32_e32 v4, 0xcf800000, v5
	v_cvt_u32_f32_e32 v5, v5
	v_cvt_u32_f32_e32 v4, v4
	v_readfirstlane_b32 s3, v5
	v_readfirstlane_b32 s6, v4
	s_mul_i32 s7, s0, s3
	s_mul_hi_u32 s31, s0, s6
	s_mul_i32 s30, s1, s6
	s_add_i32 s7, s31, s7
	s_mul_i32 s36, s0, s6
	s_add_i32 s7, s7, s30
	s_mul_hi_u32 s31, s6, s36
	s_mul_hi_u32 s30, s6, s7
	s_mul_i32 s6, s6, s7
	s_add_u32 s6, s31, s6
	s_addc_u32 s30, 0, s30
	s_mul_hi_u32 s37, s3, s36
	s_mul_i32 s36, s3, s36
	s_add_u32 s6, s6, s36
	s_mul_hi_u32 s31, s3, s7
	s_addc_u32 s6, s30, s37
	s_addc_u32 s30, s31, 0
	s_mul_i32 s7, s3, s7
	s_add_u32 s6, s6, s7
	s_addc_u32 s7, 0, s30
	v_add_co_u32_e32 v4, vcc, s6, v4
	s_cmp_lg_u64 vcc, 0
	s_addc_u32 s3, s3, s7
	v_readfirstlane_b32 s7, v4
	s_mul_i32 s6, s0, s3
	s_mul_hi_u32 s30, s0, s7
	s_add_i32 s6, s30, s6
	s_mul_i32 s1, s1, s7
	s_add_i32 s6, s6, s1
	s_mul_i32 s0, s0, s7
	s_mul_hi_u32 s30, s3, s0
	s_mul_i32 s31, s3, s0
	s_mul_i32 s37, s7, s6
	s_mul_hi_u32 s0, s7, s0
	s_mul_hi_u32 s36, s7, s6
	s_add_u32 s0, s0, s37
	s_addc_u32 s7, 0, s36
	s_add_u32 s0, s0, s31
	s_mul_hi_u32 s1, s3, s6
	s_addc_u32 s0, s7, s30
	s_addc_u32 s1, s1, 0
	s_mul_i32 s6, s3, s6
	s_add_u32 s0, s0, s6
	s_addc_u32 s1, 0, s1
	v_add_co_u32_e32 v4, vcc, s0, v4
	s_cmp_lg_u64 vcc, 0
	s_addc_u32 s0, s3, s1
	v_readlane_b32 s31, v57, 29
	v_readfirstlane_b32 s6, v4
	v_readlane_b32 s36, v57, 31
	s_mul_i32 s3, s31, s0
	s_mul_hi_u32 s7, s31, s6
	v_readlane_b32 s37, v57, 32
	s_add_u32 s3, s7, s3
	s_mul_hi_u32 s7, s37, s0
	v_readlane_b32 s36, v57, 31
	v_readlane_b32 s37, v57, 32
	s_mul_hi_u32 s30, s37, s6
	v_readlane_b32 s36, v57, 31
	s_mul_hi_u32 s1, s31, s0
	v_readlane_b32 s37, v57, 32
	s_addc_u32 s1, 0, s1
	s_mul_i32 s6, s37, s6
	s_add_u32 s3, s3, s6
	s_addc_u32 s1, s1, s30
	s_addc_u32 s3, s7, 0
	v_readlane_b32 s6, v57, 31
	v_readlane_b32 s7, v57, 32
	s_mul_i32 s0, s7, s0
	s_add_u32 s0, s1, s0
	s_addc_u32 s1, 0, s3
	s_mul_hi_u32 s3, s33, s0
	s_mul_i32 s0, s33, s0
	s_mul_i32 s1, s33, s1
	v_mov_b32_e32 v4, s0
	s_add_i32 s3, s3, s1
	v_sub_co_u32_e32 v4, vcc, s31, v4
	s_cmp_lg_u64 vcc, 0
	s_subb_u32 s0, s7, s3
	v_subrev_co_u32_e32 v5, vcc, s33, v4
	s_cmp_lg_u64 vcc, 0
	s_subb_u32 s1, s0, 0
	v_subrev_co_u32_e32 v6, vcc, s33, v5
	s_cmp_lg_u64 vcc, 0
	s_subb_u32 s3, s1, 0
	v_cmp_le_u32_e32 vcc, s33, v5
	s_cmp_eq_u32 s1, 0
	v_cndmask_b32_e64 v7, 0, -1, vcc
	s_cselect_b64 vcc, -1, 0
	v_cndmask_b32_e32 v7, -1, v7, vcc
	v_mov_b32_e32 v8, s1
	v_mov_b32_e32 v9, s3
	v_cmp_ne_u32_e32 vcc, 0, v7
	v_cndmask_b32_e32 v7, v8, v9, vcc
	v_cndmask_b32_e32 v6, v5, v6, vcc
	v_cmp_le_u32_e32 vcc, s33, v4
	s_cmp_eq_u32 s0, 0
	v_cndmask_b32_e64 v5, 0, -1, vcc
	s_cselect_b64 vcc, -1, 0
	v_cndmask_b32_e32 v5, -1, v5, vcc
	v_mov_b32_e32 v8, s0
	v_cmp_ne_u32_e32 vcc, 0, v5
	v_cndmask_b32_e32 v5, v8, v7, vcc
	v_cndmask_b32_e32 v4, v4, v6, vcc
	s_cbranch_execnz .LBB201_371
.LBB201_370:                            ;   in Loop: Header=BB201_31 Depth=1
	v_cvt_f32_u32_e32 v4, s33
	s_sub_i32 s0, 0, s33
	v_rcp_iflag_f32_e32 v4, v4
	v_mul_f32_e32 v4, 0x4f7ffffe, v4
	v_cvt_u32_f32_e32 v4, v4
	v_mul_lo_u32 v5, s0, v4
	v_mul_hi_u32 v5, v4, v5
	v_add_u32_e32 v4, v4, v5
	v_readlane_b32 s0, v57, 29
	v_mul_hi_u32 v4, s0, v4
	v_mul_lo_u32 v4, v4, s33
	v_sub_u32_e32 v4, s0, v4
	v_subrev_u32_e32 v5, s33, v4
	v_cmp_le_u32_e32 vcc, s33, v4
	v_cndmask_b32_e32 v4, v4, v5, vcc
	v_subrev_u32_e32 v5, s33, v4
	v_cmp_le_u32_e32 vcc, s33, v4
	v_cndmask_b32_e32 v14, v4, v5, vcc
	v_pk_mov_b32 v[4:5], v[14:15], v[14:15] op_sel:[0,1]
.LBB201_371:                            ;   in Loop: Header=BB201_31 Depth=1
	v_readlane_b32 s0, v57, 29
	v_mov_b32_e32 v6, s7
	v_sub_co_u32_e32 v4, vcc, s0, v4
	v_subb_co_u32_e32 v5, vcc, v6, v5, vcc
	v_cmp_gt_u64_e32 vcc, v[4:5], v[0:1]
	s_mov_b64 s[6:7], 0
                                        ; implicit-def: $vgpr31
	s_and_saveexec_b64 s[0:1], vcc
	s_cbranch_execz .LBB201_380
; %bb.372:                              ;   in Loop: Header=BB201_31 Depth=1
	s_mov_b64 s[36:37], 0
	v_pk_mov_b32 v[6:7], v[26:27], v[26:27] op_sel:[0,1]
	v_pk_mov_b32 v[8:9], v[0:1], v[0:1] op_sel:[0,1]
                                        ; implicit-def: $sgpr40_sgpr41
	s_branch .LBB201_374
.LBB201_373:                            ;   in Loop: Header=BB201_374 Depth=2
	s_or_b64 exec, exec, s[6:7]
	s_waitcnt lgkmcnt(0)
	s_barrier
	ds_read_b64 v[30:31], v15 offset:3072
	v_mov_b32_e32 v14, s92
	v_add_co_u32_e64 v8, s[6:7], s33, v8
	v_addc_co_u32_e64 v9, s[6:7], v9, v14, s[6:7]
	s_waitcnt lgkmcnt(0)
	v_cmp_neq_f32_e32 vcc, 0, v30
	v_cmp_ge_u64_e64 s[6:7], v[8:9], v[4:5]
	s_or_b64 s[30:31], s[6:7], vcc
	v_mov_b32_e32 v14, s65
	v_add_co_u32_e64 v6, s[6:7], s64, v6
	v_addc_co_u32_e64 v7, s[6:7], v7, v14, s[6:7]
	s_and_b64 s[6:7], exec, s[30:31]
	s_or_b64 s[36:37], s[6:7], s[36:37]
	s_andn2_b64 s[6:7], s[40:41], exec
	s_and_b64 s[30:31], vcc, exec
	s_or_b64 s[40:41], s[6:7], s[30:31]
	s_barrier
	s_andn2_b64 exec, exec, s[36:37]
	s_cbranch_execz .LBB201_379
.LBB201_374:                            ;   Parent Loop BB201_31 Depth=1
                                        ; =>  This Inner Loop Header: Depth=2
	v_cmp_gt_u64_e32 vcc, s[60:61], v[8:9]
	s_waitcnt vmcnt(0)
	v_mov_b32_e32 v29, 0
	s_and_saveexec_b64 s[6:7], vcc
	s_cbranch_execz .LBB201_376
; %bb.375:                              ;   in Loop: Header=BB201_374 Depth=2
	global_load_dword v29, v[6:7], off
.LBB201_376:                            ;   in Loop: Header=BB201_374 Depth=2
	s_or_b64 exec, exec, s[6:7]
	s_and_saveexec_b64 s[6:7], vcc
	s_cbranch_execz .LBB201_373
; %bb.377:                              ;   in Loop: Header=BB201_374 Depth=2
	s_waitcnt vmcnt(0)
	v_cmp_lt_i32_e32 vcc, -1, v29
	v_cndmask_b32_e32 v14, -1, v52, vcc
	v_xor_b32_e32 v14, v14, v29
	v_cmp_o_f32_e32 vcc, v29, v29
	v_cndmask_b32_e32 v14, -1, v14, vcc
	v_and_b32_e32 v14, v14, v54
	v_cmp_eq_u32_e32 vcc, v14, v55
	s_and_b64 exec, exec, vcc
	s_cbranch_execz .LBB201_373
; %bb.378:                              ;   in Loop: Header=BB201_374 Depth=2
	ds_write_b64 v15, v[28:29] offset:3072
	s_branch .LBB201_373
.LBB201_379:                            ;   in Loop: Header=BB201_31 Depth=1
	s_or_b64 exec, exec, s[36:37]
	s_and_b64 s[6:7], s[40:41], exec
.LBB201_380:                            ;   in Loop: Header=BB201_31 Depth=1
	s_or_b64 exec, exec, s[0:1]
	s_mov_b64 s[40:41], 0
	s_mov_b64 s[36:37], -1
	s_mov_b64 s[42:43], 0
.LBB201_381:                            ;   in Loop: Header=BB201_31 Depth=1
	s_orn2_b64 s[0:1], s[6:7], exec
.LBB201_382:                            ;   in Loop: Header=BB201_31 Depth=1
	s_or_b64 exec, exec, s[44:45]
	s_mov_b64 s[6:7], 0
                                        ; implicit-def: $vgpr8
	s_and_saveexec_b64 s[44:45], s[0:1]
	s_cbranch_execz .LBB201_495
; %bb.383:                              ;   in Loop: Header=BB201_31 Depth=1
	v_mov_b32_e32 v4, 1
	s_xor_b64 s[6:7], s[46:47], -1
	s_mov_b64 s[48:49], 0
	v_mov_b32_e32 v5, 0
	v_mov_b32_e32 v8, 1
	s_and_saveexec_b64 s[0:1], s[6:7]
	s_cbranch_execz .LBB201_393
; %bb.384:                              ;   in Loop: Header=BB201_31 Depth=1
	v_cmp_ge_u64_e32 vcc, s[22:23], v[2:3]
                                        ; implicit-def: $sgpr3
                                        ; implicit-def: $sgpr6_sgpr7
	s_and_saveexec_b64 s[30:31], vcc
	s_xor_b64 s[46:47], exec, s[30:31]
	s_cbranch_execz .LBB201_390
; %bb.385:                              ;   in Loop: Header=BB201_31 Depth=1
	ds_read_b64 v[4:5], v15 offset:5120
	s_waitcnt lgkmcnt(0)
	v_cmp_ne_u64_e32 vcc, 0, v[4:5]
	s_cbranch_vccnz .LBB201_389
; %bb.386:                              ;   in Loop: Header=BB201_31 Depth=1
	s_mov_b64 s[6:7], exec
	v_readlane_b32 s30, v57, 10
	v_readlane_b32 s31, v57, 11
	s_and_b64 s[30:31], s[6:7], s[30:31]
	s_mov_b64 exec, s[30:31]
	s_cbranch_execz .LBB201_388
; %bb.387:                              ;   in Loop: Header=BB201_31 Depth=1
	v_pk_mov_b32 v[4:5], s[22:23], s[22:23] op_sel:[0,1]
	ds_write_b64 v15, v[4:5] offset:5128
.LBB201_388:                            ;   in Loop: Header=BB201_31 Depth=1
	s_or_b64 exec, exec, s[6:7]
	s_waitcnt lgkmcnt(0)
	s_barrier
.LBB201_389:                            ;   in Loop: Header=BB201_31 Depth=1
	v_and_b32_e32 v4, s94, v55
	v_lshl_or_b32 v55, 2, s95, v4
	v_or_b32_e32 v54, s86, v54
	s_mov_b64 s[6:7], 0
	s_mov_b32 s3, 5
.LBB201_390:                            ;   in Loop: Header=BB201_31 Depth=1
	s_or_saveexec_b64 s[46:47], s[46:47]
	v_mov_b32_e32 v8, s3
	s_xor_b64 exec, exec, s[46:47]
; %bb.391:                              ;   in Loop: Header=BB201_31 Depth=1
	v_mov_b32_e32 v4, s23
	v_subrev_co_u32_e32 v2, vcc, s22, v2
	v_subb_co_u32_e32 v3, vcc, v3, v4, vcc
	v_mov_b32_e32 v8, 0
	s_or_b64 s[6:7], s[6:7], exec
; %bb.392:                              ;   in Loop: Header=BB201_31 Depth=1
	s_or_b64 exec, exec, s[46:47]
	s_and_b64 s[48:49], s[6:7], exec
	v_pk_mov_b32 v[4:5], v[2:3], v[2:3] op_sel:[0,1]
.LBB201_393:                            ;   in Loop: Header=BB201_31 Depth=1
	s_or_b64 exec, exec, s[0:1]
	s_mov_b64 s[0:1], -1
                                        ; implicit-def: $sgpr6_sgpr7
                                        ; implicit-def: $sgpr46_sgpr47
                                        ; implicit-def: $sgpr52_sgpr53
	s_and_saveexec_b64 s[22:23], s[48:49]
	s_cbranch_execz .LBB201_494
; %bb.394:                              ;   in Loop: Header=BB201_31 Depth=1
	s_cmp_eq_u64 s[18:19], 1
	s_cselect_b64 s[0:1], -1, 0
	v_cmp_eq_u64_e32 vcc, 1, v[4:5]
	s_and_b64 s[54:55], s[0:1], vcc
	s_mov_b64 s[6:7], -1
                                        ; implicit-def: $sgpr46_sgpr47
                                        ; implicit-def: $sgpr48_sgpr49
                                        ; implicit-def: $sgpr50_sgpr51
	s_and_saveexec_b64 s[52:53], s[54:55]
	s_cbranch_execz .LBB201_428
; %bb.395:                              ;   in Loop: Header=BB201_31 Depth=1
	ds_read_b64 v[2:3], v15 offset:5120
	s_waitcnt lgkmcnt(0)
	s_barrier
	v_readfirstlane_b32 s0, v2
	v_readfirstlane_b32 s1, v3
	s_mov_b64 s[6:7], exec
	v_readlane_b32 s30, v57, 24
	v_readlane_b32 s31, v57, 25
	s_and_b64 s[30:31], s[6:7], s[30:31]
	s_mov_b64 exec, s[30:31]
	s_cbranch_execz .LBB201_397
; %bb.396:                              ;   in Loop: Header=BB201_31 Depth=1
	ds_write_b32 v49, v15
.LBB201_397:                            ;   in Loop: Header=BB201_31 Depth=1
	s_or_b64 exec, exec, s[6:7]
	v_and_b32_e32 v2, s94, v55
	v_lshl_or_b32 v55, 1, s95, v2
	v_or_b32_e32 v54, s86, v54
	s_cmp_eq_u64 s[0:1], 0
	s_waitcnt lgkmcnt(0)
	s_barrier
	s_cbranch_scc1 .LBB201_411
; %bb.398:                              ;   in Loop: Header=BB201_31 Depth=1
	v_readlane_b32 s3, v57, 28
	s_add_u32 s3, s3, s0
	v_readlane_b32 s6, v57, 30
	s_addc_u32 s7, s6, s1
	s_mov_b32 s6, s87
	s_cmp_lg_u64 s[6:7], 0
	s_cbranch_scc0 .LBB201_446
; %bb.399:                              ;   in Loop: Header=BB201_31 Depth=1
	v_cvt_f32_u32_e32 v2, s33
	s_sub_u32 s6, 0, s33
	s_subb_u32 s30, 0, 0
	v_mac_f32_e32 v2, 0, v53
	v_rcp_f32_e32 v2, v2
	v_mul_f32_e32 v2, 0x5f7ffffc, v2
	v_mul_f32_e32 v3, 0x2f800000, v2
	v_trunc_f32_e32 v3, v3
	v_mac_f32_e32 v2, 0xcf800000, v3
	v_cvt_u32_f32_e32 v3, v3
	v_cvt_u32_f32_e32 v2, v2
	v_readfirstlane_b32 s31, v3
	v_readfirstlane_b32 s46, v2
	s_mul_i32 s47, s6, s31
	s_mul_hi_u32 s49, s6, s46
	s_mul_i32 s48, s30, s46
	s_add_i32 s47, s49, s47
	s_mul_i32 s50, s6, s46
	s_add_i32 s47, s47, s48
	s_mul_hi_u32 s49, s46, s50
	s_mul_hi_u32 s48, s46, s47
	s_mul_i32 s46, s46, s47
	s_add_u32 s46, s49, s46
	s_addc_u32 s48, 0, s48
	s_mul_hi_u32 s51, s31, s50
	s_mul_i32 s50, s31, s50
	s_add_u32 s46, s46, s50
	s_mul_hi_u32 s49, s31, s47
	s_addc_u32 s46, s48, s51
	s_addc_u32 s48, s49, 0
	s_mul_i32 s47, s31, s47
	s_add_u32 s46, s46, s47
	s_addc_u32 s47, 0, s48
	v_add_co_u32_e32 v2, vcc, s46, v2
	s_cmp_lg_u64 vcc, 0
	s_addc_u32 s31, s31, s47
	v_readfirstlane_b32 s47, v2
	s_mul_i32 s46, s6, s31
	s_mul_hi_u32 s48, s6, s47
	s_add_i32 s46, s48, s46
	s_mul_i32 s30, s30, s47
	s_add_i32 s46, s46, s30
	s_mul_i32 s6, s6, s47
	s_mul_hi_u32 s48, s31, s6
	s_mul_i32 s49, s31, s6
	s_mul_i32 s51, s47, s46
	s_mul_hi_u32 s6, s47, s6
	s_mul_hi_u32 s50, s47, s46
	s_add_u32 s6, s6, s51
	s_addc_u32 s47, 0, s50
	s_add_u32 s6, s6, s49
	s_mul_hi_u32 s30, s31, s46
	s_addc_u32 s6, s47, s48
	s_addc_u32 s30, s30, 0
	s_mul_i32 s46, s31, s46
	s_add_u32 s6, s6, s46
	s_addc_u32 s30, 0, s30
	v_add_co_u32_e32 v2, vcc, s6, v2
	s_cmp_lg_u64 vcc, 0
	s_addc_u32 s6, s31, s30
	v_readfirstlane_b32 s46, v2
	s_mul_i32 s31, s3, s6
	s_mul_hi_u32 s47, s3, s46
	s_mul_hi_u32 s30, s3, s6
	s_add_u32 s31, s47, s31
	s_addc_u32 s30, 0, s30
	s_mul_hi_u32 s48, s7, s46
	s_mul_i32 s46, s7, s46
	s_add_u32 s31, s31, s46
	s_mul_hi_u32 s47, s7, s6
	s_addc_u32 s30, s30, s48
	s_addc_u32 s31, s47, 0
	s_mul_i32 s6, s7, s6
	s_add_u32 s6, s30, s6
	s_addc_u32 s30, 0, s31
	s_mul_hi_u32 s31, s33, s6
	s_mul_i32 s6, s33, s6
	s_mul_i32 s30, s33, s30
	v_mov_b32_e32 v2, s6
	s_add_i32 s31, s31, s30
	v_sub_co_u32_e32 v2, vcc, s3, v2
	s_cmp_lg_u64 vcc, 0
	s_subb_u32 s6, s7, s31
	v_subrev_co_u32_e32 v3, vcc, s33, v2
	s_cmp_lg_u64 vcc, 0
	s_subb_u32 s30, s6, 0
	v_subrev_co_u32_e32 v6, vcc, s33, v3
	s_cmp_lg_u64 vcc, 0
	s_subb_u32 s31, s30, 0
	v_cmp_le_u32_e32 vcc, s33, v3
	s_cmp_eq_u32 s30, 0
	v_cndmask_b32_e64 v7, 0, -1, vcc
	s_cselect_b64 vcc, -1, 0
	v_cndmask_b32_e32 v7, -1, v7, vcc
	v_mov_b32_e32 v8, s30
	v_mov_b32_e32 v9, s31
	v_cmp_ne_u32_e32 vcc, 0, v7
	v_cndmask_b32_e32 v7, v8, v9, vcc
	v_cndmask_b32_e32 v6, v3, v6, vcc
	v_cmp_le_u32_e32 vcc, s33, v2
	s_cmp_eq_u32 s6, 0
	v_cndmask_b32_e64 v3, 0, -1, vcc
	s_cselect_b64 vcc, -1, 0
	v_cndmask_b32_e32 v3, -1, v3, vcc
	v_mov_b32_e32 v8, s6
	v_cmp_ne_u32_e32 vcc, 0, v3
	v_cndmask_b32_e32 v3, v8, v7, vcc
	v_cndmask_b32_e32 v2, v2, v6, vcc
	s_cbranch_execnz .LBB201_401
.LBB201_400:                            ;   in Loop: Header=BB201_31 Depth=1
	v_cvt_f32_u32_e32 v2, s33
	s_sub_i32 s6, 0, s33
	v_rcp_iflag_f32_e32 v2, v2
	v_mul_f32_e32 v2, 0x4f7ffffe, v2
	v_cvt_u32_f32_e32 v2, v2
	v_mul_lo_u32 v3, s6, v2
	v_mul_hi_u32 v3, v2, v3
	v_add_u32_e32 v2, v2, v3
	v_mul_hi_u32 v2, s3, v2
	v_mul_lo_u32 v2, v2, s33
	v_sub_u32_e32 v2, s3, v2
	v_subrev_u32_e32 v3, s33, v2
	v_cmp_le_u32_e32 vcc, s33, v2
	v_cndmask_b32_e32 v2, v2, v3, vcc
	v_subrev_u32_e32 v3, s33, v2
	v_cmp_le_u32_e32 vcc, s33, v2
	v_cndmask_b32_e32 v14, v2, v3, vcc
	v_pk_mov_b32 v[2:3], v[14:15], v[14:15] op_sel:[0,1]
.LBB201_401:                            ;   in Loop: Header=BB201_31 Depth=1
	v_mov_b32_e32 v6, s7
	v_sub_co_u32_e32 v2, vcc, s3, v2
	v_subb_co_u32_e32 v3, vcc, v6, v3, vcc
	v_cmp_gt_u64_e32 vcc, v[2:3], v[0:1]
	s_mov_b64 s[6:7], 0
                                        ; implicit-def: $vgpr31
	s_and_saveexec_b64 s[46:47], vcc
	s_cbranch_execz .LBB201_413
; %bb.402:                              ;   in Loop: Header=BB201_31 Depth=1
	s_mov_b64 s[48:49], 0
	v_mov_b32_e32 v8, v16
	v_pk_mov_b32 v[6:7], v[0:1], v[0:1] op_sel:[0,1]
                                        ; implicit-def: $sgpr50_sgpr51
	s_branch .LBB201_404
.LBB201_403:                            ;   in Loop: Header=BB201_404 Depth=2
	s_or_b64 exec, exec, s[6:7]
	s_waitcnt lgkmcnt(0)
	s_barrier
	ds_read_b64 v[30:31], v15 offset:3072
	v_mov_b32_e32 v9, s92
	v_add_co_u32_e64 v6, s[6:7], s33, v6
	v_addc_co_u32_e64 v7, s[6:7], v7, v9, s[6:7]
	s_waitcnt lgkmcnt(0)
	v_cmp_neq_f32_e32 vcc, 0, v30
	v_cmp_ge_u64_e64 s[6:7], v[6:7], v[2:3]
	s_or_b64 s[6:7], s[6:7], vcc
	s_and_b64 s[6:7], exec, s[6:7]
	s_or_b64 s[48:49], s[6:7], s[48:49]
	s_andn2_b64 s[6:7], s[50:51], exec
	s_and_b64 s[30:31], vcc, exec
	v_add_u32_e32 v8, s2, v8
	s_or_b64 s[50:51], s[6:7], s[30:31]
	s_barrier
	s_andn2_b64 exec, exec, s[48:49]
	s_cbranch_execz .LBB201_412
.LBB201_404:                            ;   Parent Loop BB201_31 Depth=1
                                        ; =>  This Inner Loop Header: Depth=2
	v_cmp_gt_u64_e32 vcc, s[0:1], v[6:7]
	s_waitcnt vmcnt(0)
	v_mov_b32_e32 v29, 0
	s_and_saveexec_b64 s[6:7], vcc
	s_cbranch_execz .LBB201_406
; %bb.405:                              ;   in Loop: Header=BB201_404 Depth=2
	ds_read_b32 v29, v8
.LBB201_406:                            ;   in Loop: Header=BB201_404 Depth=2
	s_or_b64 exec, exec, s[6:7]
	s_and_saveexec_b64 s[6:7], vcc
	s_cbranch_execz .LBB201_403
; %bb.407:                              ;   in Loop: Header=BB201_404 Depth=2
	s_waitcnt lgkmcnt(0)
	v_cmp_lt_i32_e32 vcc, -1, v29
	v_cndmask_b32_e32 v9, -1, v52, vcc
	v_xor_b32_e32 v9, v9, v29
	v_cmp_o_f32_e32 vcc, v29, v29
	v_cndmask_b32_e32 v9, -1, v9, vcc
	v_and_b32_e32 v9, v9, v54
	v_cmp_eq_u32_e32 vcc, v9, v55
	s_and_b64 exec, exec, vcc
	s_cbranch_execz .LBB201_403
; %bb.408:                              ;   in Loop: Header=BB201_404 Depth=2
	ds_write_b64 v15, v[28:29] offset:3072
	s_branch .LBB201_403
.LBB201_409:                            ;   in Loop: Header=BB201_31 Depth=1
                                        ; implicit-def: $vgpr4_vgpr5
	s_branch .LBB201_354
.LBB201_410:                            ;   in Loop: Header=BB201_31 Depth=1
                                        ; implicit-def: $vgpr4_vgpr5
	s_branch .LBB201_370
.LBB201_411:                            ;   in Loop: Header=BB201_31 Depth=1
	s_mov_b64 s[46:47], -1
	s_mov_b64 s[6:7], 0
                                        ; implicit-def: $sgpr48_sgpr49
                                        ; implicit-def: $vgpr31
	s_mov_b64 s[50:51], s[46:47]
	s_cbranch_execnz .LBB201_414
	s_branch .LBB201_427
.LBB201_412:                            ;   in Loop: Header=BB201_31 Depth=1
	s_or_b64 exec, exec, s[48:49]
	s_and_b64 s[6:7], s[50:51], exec
.LBB201_413:                            ;   in Loop: Header=BB201_31 Depth=1
	s_or_b64 exec, exec, s[46:47]
	s_mov_b64 s[46:47], 0
	s_mov_b64 s[48:49], -1
	s_mov_b64 s[50:51], s[46:47]
	s_branch .LBB201_427
.LBB201_414:                            ;   in Loop: Header=BB201_31 Depth=1
	v_readlane_b32 s6, v57, 31
	v_readlane_b32 s7, v57, 32
	s_mov_b32 s6, s87
	s_mov_b32 s1, s7
	s_cmp_lg_u64 s[6:7], 0
	v_writelane_b32 v57, s0, 31
	v_writelane_b32 v57, s1, 32
	s_cbranch_scc0 .LBB201_447
; %bb.415:                              ;   in Loop: Header=BB201_31 Depth=1
	v_cvt_f32_u32_e32 v2, s33
	s_sub_u32 s0, 0, s33
	s_subb_u32 s1, 0, 0
	v_mac_f32_e32 v2, 0, v53
	v_rcp_f32_e32 v2, v2
	v_mul_f32_e32 v2, 0x5f7ffffc, v2
	v_mul_f32_e32 v3, 0x2f800000, v2
	v_trunc_f32_e32 v3, v3
	v_mac_f32_e32 v2, 0xcf800000, v3
	v_cvt_u32_f32_e32 v3, v3
	v_cvt_u32_f32_e32 v2, v2
	v_readfirstlane_b32 s3, v3
	v_readfirstlane_b32 s6, v2
	s_mul_i32 s7, s0, s3
	s_mul_hi_u32 s31, s0, s6
	s_mul_i32 s30, s1, s6
	s_add_i32 s7, s31, s7
	s_mul_i32 s46, s0, s6
	s_add_i32 s7, s7, s30
	s_mul_hi_u32 s31, s6, s46
	s_mul_hi_u32 s30, s6, s7
	s_mul_i32 s6, s6, s7
	s_add_u32 s6, s31, s6
	s_addc_u32 s30, 0, s30
	s_mul_hi_u32 s47, s3, s46
	s_mul_i32 s46, s3, s46
	s_add_u32 s6, s6, s46
	s_mul_hi_u32 s31, s3, s7
	s_addc_u32 s6, s30, s47
	s_addc_u32 s30, s31, 0
	s_mul_i32 s7, s3, s7
	s_add_u32 s6, s6, s7
	s_addc_u32 s7, 0, s30
	v_add_co_u32_e32 v2, vcc, s6, v2
	s_cmp_lg_u64 vcc, 0
	s_addc_u32 s3, s3, s7
	v_readfirstlane_b32 s7, v2
	s_mul_i32 s6, s0, s3
	s_mul_hi_u32 s30, s0, s7
	s_add_i32 s6, s30, s6
	s_mul_i32 s1, s1, s7
	s_add_i32 s6, s6, s1
	s_mul_i32 s0, s0, s7
	s_mul_hi_u32 s30, s3, s0
	s_mul_i32 s31, s3, s0
	s_mul_i32 s47, s7, s6
	s_mul_hi_u32 s0, s7, s0
	s_mul_hi_u32 s46, s7, s6
	s_add_u32 s0, s0, s47
	s_addc_u32 s7, 0, s46
	s_add_u32 s0, s0, s31
	s_mul_hi_u32 s1, s3, s6
	s_addc_u32 s0, s7, s30
	s_addc_u32 s1, s1, 0
	s_mul_i32 s6, s3, s6
	s_add_u32 s0, s0, s6
	s_addc_u32 s1, 0, s1
	v_add_co_u32_e32 v2, vcc, s0, v2
	s_cmp_lg_u64 vcc, 0
	s_addc_u32 s0, s3, s1
	v_readlane_b32 s31, v57, 29
	v_readfirstlane_b32 s6, v2
	v_readlane_b32 s46, v57, 31
	s_mul_i32 s3, s31, s0
	s_mul_hi_u32 s7, s31, s6
	v_readlane_b32 s47, v57, 32
	s_add_u32 s3, s7, s3
	s_mul_hi_u32 s7, s47, s0
	v_readlane_b32 s46, v57, 31
	v_readlane_b32 s47, v57, 32
	s_mul_hi_u32 s30, s47, s6
	v_readlane_b32 s46, v57, 31
	s_mul_hi_u32 s1, s31, s0
	v_readlane_b32 s47, v57, 32
	s_addc_u32 s1, 0, s1
	s_mul_i32 s6, s47, s6
	s_add_u32 s3, s3, s6
	s_addc_u32 s1, s1, s30
	s_addc_u32 s3, s7, 0
	v_readlane_b32 s6, v57, 31
	v_readlane_b32 s7, v57, 32
	s_mul_i32 s0, s7, s0
	s_add_u32 s0, s1, s0
	s_addc_u32 s1, 0, s3
	s_mul_hi_u32 s3, s33, s0
	s_mul_i32 s0, s33, s0
	s_mul_i32 s1, s33, s1
	v_mov_b32_e32 v2, s0
	s_add_i32 s3, s3, s1
	v_sub_co_u32_e32 v2, vcc, s31, v2
	s_cmp_lg_u64 vcc, 0
	s_subb_u32 s0, s7, s3
	v_subrev_co_u32_e32 v3, vcc, s33, v2
	s_cmp_lg_u64 vcc, 0
	s_subb_u32 s1, s0, 0
	v_subrev_co_u32_e32 v6, vcc, s33, v3
	s_cmp_lg_u64 vcc, 0
	s_subb_u32 s3, s1, 0
	v_cmp_le_u32_e32 vcc, s33, v3
	s_cmp_eq_u32 s1, 0
	v_cndmask_b32_e64 v7, 0, -1, vcc
	s_cselect_b64 vcc, -1, 0
	v_cndmask_b32_e32 v7, -1, v7, vcc
	v_mov_b32_e32 v8, s1
	v_mov_b32_e32 v9, s3
	v_cmp_ne_u32_e32 vcc, 0, v7
	v_cndmask_b32_e32 v7, v8, v9, vcc
	v_cndmask_b32_e32 v6, v3, v6, vcc
	v_cmp_le_u32_e32 vcc, s33, v2
	s_cmp_eq_u32 s0, 0
	v_cndmask_b32_e64 v3, 0, -1, vcc
	s_cselect_b64 vcc, -1, 0
	v_cndmask_b32_e32 v3, -1, v3, vcc
	v_mov_b32_e32 v8, s0
	v_cmp_ne_u32_e32 vcc, 0, v3
	v_cndmask_b32_e32 v3, v8, v7, vcc
	v_cndmask_b32_e32 v2, v2, v6, vcc
	s_cbranch_execnz .LBB201_417
.LBB201_416:                            ;   in Loop: Header=BB201_31 Depth=1
	v_cvt_f32_u32_e32 v2, s33
	s_sub_i32 s0, 0, s33
	v_rcp_iflag_f32_e32 v2, v2
	v_mul_f32_e32 v2, 0x4f7ffffe, v2
	v_cvt_u32_f32_e32 v2, v2
	v_mul_lo_u32 v3, s0, v2
	v_mul_hi_u32 v3, v2, v3
	v_add_u32_e32 v2, v2, v3
	v_readlane_b32 s0, v57, 29
	v_mul_hi_u32 v2, s0, v2
	v_mul_lo_u32 v2, v2, s33
	v_sub_u32_e32 v2, s0, v2
	v_subrev_u32_e32 v3, s33, v2
	v_cmp_le_u32_e32 vcc, s33, v2
	v_cndmask_b32_e32 v2, v2, v3, vcc
	v_subrev_u32_e32 v3, s33, v2
	v_cmp_le_u32_e32 vcc, s33, v2
	v_cndmask_b32_e32 v14, v2, v3, vcc
	v_pk_mov_b32 v[2:3], v[14:15], v[14:15] op_sel:[0,1]
.LBB201_417:                            ;   in Loop: Header=BB201_31 Depth=1
	v_readlane_b32 s0, v57, 29
	v_mov_b32_e32 v6, s7
	v_sub_co_u32_e32 v2, vcc, s0, v2
	v_subb_co_u32_e32 v3, vcc, v6, v3, vcc
	v_cmp_gt_u64_e32 vcc, v[2:3], v[0:1]
	s_mov_b64 s[6:7], 0
                                        ; implicit-def: $vgpr31
	s_and_saveexec_b64 s[0:1], vcc
	s_cbranch_execz .LBB201_426
; %bb.418:                              ;   in Loop: Header=BB201_31 Depth=1
	s_mov_b64 s[46:47], 0
	v_pk_mov_b32 v[6:7], v[26:27], v[26:27] op_sel:[0,1]
	v_pk_mov_b32 v[8:9], v[0:1], v[0:1] op_sel:[0,1]
                                        ; implicit-def: $sgpr48_sgpr49
	s_branch .LBB201_420
.LBB201_419:                            ;   in Loop: Header=BB201_420 Depth=2
	s_or_b64 exec, exec, s[6:7]
	s_waitcnt lgkmcnt(0)
	s_barrier
	ds_read_b64 v[30:31], v15 offset:3072
	v_mov_b32_e32 v14, s92
	v_add_co_u32_e64 v8, s[6:7], s33, v8
	v_addc_co_u32_e64 v9, s[6:7], v9, v14, s[6:7]
	s_waitcnt lgkmcnt(0)
	v_cmp_neq_f32_e32 vcc, 0, v30
	v_cmp_ge_u64_e64 s[6:7], v[8:9], v[2:3]
	s_or_b64 s[30:31], s[6:7], vcc
	v_mov_b32_e32 v14, s65
	v_add_co_u32_e64 v6, s[6:7], s64, v6
	v_addc_co_u32_e64 v7, s[6:7], v7, v14, s[6:7]
	s_and_b64 s[6:7], exec, s[30:31]
	s_or_b64 s[46:47], s[6:7], s[46:47]
	s_andn2_b64 s[6:7], s[48:49], exec
	s_and_b64 s[30:31], vcc, exec
	s_or_b64 s[48:49], s[6:7], s[30:31]
	s_barrier
	s_andn2_b64 exec, exec, s[46:47]
	s_cbranch_execz .LBB201_425
.LBB201_420:                            ;   Parent Loop BB201_31 Depth=1
                                        ; =>  This Inner Loop Header: Depth=2
	v_cmp_gt_u64_e32 vcc, s[60:61], v[8:9]
	s_waitcnt vmcnt(0)
	v_mov_b32_e32 v29, 0
	s_and_saveexec_b64 s[6:7], vcc
	s_cbranch_execz .LBB201_422
; %bb.421:                              ;   in Loop: Header=BB201_420 Depth=2
	global_load_dword v29, v[6:7], off
.LBB201_422:                            ;   in Loop: Header=BB201_420 Depth=2
	s_or_b64 exec, exec, s[6:7]
	s_and_saveexec_b64 s[6:7], vcc
	s_cbranch_execz .LBB201_419
; %bb.423:                              ;   in Loop: Header=BB201_420 Depth=2
	s_waitcnt vmcnt(0)
	v_cmp_lt_i32_e32 vcc, -1, v29
	v_cndmask_b32_e32 v14, -1, v52, vcc
	v_xor_b32_e32 v14, v14, v29
	v_cmp_o_f32_e32 vcc, v29, v29
	v_cndmask_b32_e32 v14, -1, v14, vcc
	v_and_b32_e32 v14, v14, v54
	v_cmp_eq_u32_e32 vcc, v14, v55
	s_and_b64 exec, exec, vcc
	s_cbranch_execz .LBB201_419
; %bb.424:                              ;   in Loop: Header=BB201_420 Depth=2
	ds_write_b64 v15, v[28:29] offset:3072
	s_branch .LBB201_419
.LBB201_425:                            ;   in Loop: Header=BB201_31 Depth=1
	s_or_b64 exec, exec, s[46:47]
	s_and_b64 s[6:7], s[48:49], exec
.LBB201_426:                            ;   in Loop: Header=BB201_31 Depth=1
	s_or_b64 exec, exec, s[0:1]
	s_mov_b64 s[48:49], 0
	s_mov_b64 s[46:47], -1
	s_mov_b64 s[50:51], 0
.LBB201_427:                            ;   in Loop: Header=BB201_31 Depth=1
	s_orn2_b64 s[6:7], s[6:7], exec
.LBB201_428:                            ;   in Loop: Header=BB201_31 Depth=1
	s_or_b64 exec, exec, s[52:53]
	s_mov_b64 s[0:1], 0
                                        ; implicit-def: $vgpr8
	s_and_saveexec_b64 s[52:53], s[6:7]
	s_cbranch_execz .LBB201_493
; %bb.429:                              ;   in Loop: Header=BB201_31 Depth=1
	v_mov_b32_e32 v2, 1
	s_xor_b64 s[6:7], s[54:55], -1
	s_mov_b64 s[68:69], 0
	v_mov_b32_e32 v3, 0
	v_mov_b32_e32 v8, 1
	s_and_saveexec_b64 s[0:1], s[6:7]
	s_cbranch_execz .LBB201_439
; %bb.430:                              ;   in Loop: Header=BB201_31 Depth=1
	v_cmp_ge_u64_e32 vcc, s[18:19], v[4:5]
                                        ; implicit-def: $sgpr3
                                        ; implicit-def: $sgpr6_sgpr7
	s_and_saveexec_b64 s[30:31], vcc
	s_xor_b64 s[54:55], exec, s[30:31]
	s_cbranch_execz .LBB201_436
; %bb.431:                              ;   in Loop: Header=BB201_31 Depth=1
	ds_read_b64 v[2:3], v15 offset:5120
	s_waitcnt lgkmcnt(0)
	v_cmp_ne_u64_e32 vcc, 0, v[2:3]
	s_cbranch_vccnz .LBB201_435
; %bb.432:                              ;   in Loop: Header=BB201_31 Depth=1
	s_mov_b64 s[6:7], exec
	v_readlane_b32 s30, v57, 10
	v_readlane_b32 s31, v57, 11
	s_and_b64 s[30:31], s[6:7], s[30:31]
	s_mov_b64 exec, s[30:31]
	s_cbranch_execz .LBB201_434
; %bb.433:                              ;   in Loop: Header=BB201_31 Depth=1
	v_pk_mov_b32 v[2:3], s[18:19], s[18:19] op_sel:[0,1]
	ds_write_b64 v15, v[2:3] offset:5128
.LBB201_434:                            ;   in Loop: Header=BB201_31 Depth=1
	s_or_b64 exec, exec, s[6:7]
	s_waitcnt lgkmcnt(0)
	s_barrier
.LBB201_435:                            ;   in Loop: Header=BB201_31 Depth=1
	v_and_b32_e32 v2, s94, v55
	v_lshl_or_b32 v55, 1, s95, v2
	v_or_b32_e32 v54, s86, v54
	s_mov_b64 s[6:7], 0
	s_mov_b32 s3, 5
.LBB201_436:                            ;   in Loop: Header=BB201_31 Depth=1
	s_or_saveexec_b64 s[54:55], s[54:55]
	v_mov_b32_e32 v8, s3
	s_xor_b64 exec, exec, s[54:55]
; %bb.437:                              ;   in Loop: Header=BB201_31 Depth=1
	v_mov_b32_e32 v2, s19
	v_subrev_co_u32_e32 v4, vcc, s18, v4
	v_subb_co_u32_e32 v5, vcc, v5, v2, vcc
	v_mov_b32_e32 v8, 0
	s_or_b64 s[6:7], s[6:7], exec
; %bb.438:                              ;   in Loop: Header=BB201_31 Depth=1
	s_or_b64 exec, exec, s[54:55]
	s_and_b64 s[68:69], s[6:7], exec
	v_pk_mov_b32 v[2:3], v[4:5], v[4:5] op_sel:[0,1]
.LBB201_439:                            ;   in Loop: Header=BB201_31 Depth=1
	s_or_b64 exec, exec, s[0:1]
	s_mov_b64 s[54:55], -1
                                        ; implicit-def: $sgpr0_sgpr1
                                        ; implicit-def: $sgpr6_sgpr7
                                        ; implicit-def: $sgpr66_sgpr67
	s_and_saveexec_b64 s[18:19], s[68:69]
	s_cbranch_execz .LBB201_492
; %bb.440:                              ;   in Loop: Header=BB201_31 Depth=1
	s_cmp_eq_u64 s[16:17], 1
	s_cselect_b64 s[0:1], -1, 0
	v_cmp_eq_u64_e32 vcc, 1, v[2:3]
	s_and_b64 s[54:55], s[0:1], vcc
	s_mov_b64 s[80:81], -1
                                        ; implicit-def: $sgpr0_sgpr1
                                        ; implicit-def: $sgpr6_sgpr7
                                        ; implicit-def: $sgpr66_sgpr67
	s_and_saveexec_b64 s[68:69], s[54:55]
	s_cbranch_execz .LBB201_479
; %bb.441:                              ;   in Loop: Header=BB201_31 Depth=1
	ds_read_b64 v[4:5], v15 offset:5120
	s_waitcnt lgkmcnt(0)
	s_barrier
	v_readfirstlane_b32 s0, v4
	v_readfirstlane_b32 s1, v5
	s_mov_b64 s[6:7], exec
	v_readlane_b32 s30, v57, 24
	v_readlane_b32 s31, v57, 25
	s_and_b64 s[30:31], s[6:7], s[30:31]
	s_mov_b64 exec, s[30:31]
	s_cbranch_execz .LBB201_443
; %bb.442:                              ;   in Loop: Header=BB201_31 Depth=1
	ds_write_b32 v49, v15
.LBB201_443:                            ;   in Loop: Header=BB201_31 Depth=1
	s_or_b64 exec, exec, s[6:7]
	v_and_b32_e32 v55, s94, v55
	v_or_b32_e32 v54, s86, v54
	s_cmp_eq_u64 s[0:1], 0
	s_waitcnt lgkmcnt(0)
	s_barrier
	s_cbranch_scc1 .LBB201_448
; %bb.444:                              ;   in Loop: Header=BB201_31 Depth=1
	v_readlane_b32 s3, v57, 28
	s_add_u32 s3, s3, s0
	v_readlane_b32 s6, v57, 30
	s_addc_u32 s7, s6, s1
	s_mov_b32 s6, s87
	s_cmp_lg_u64 s[6:7], 0
	s_cbranch_scc0 .LBB201_449
; %bb.445:                              ;   in Loop: Header=BB201_31 Depth=1
	v_cvt_f32_u32_e32 v4, s33
	s_sub_u32 s6, 0, s33
	s_subb_u32 s30, 0, 0
	v_mac_f32_e32 v4, 0, v53
	v_rcp_f32_e32 v4, v4
	v_mul_f32_e32 v4, 0x5f7ffffc, v4
	v_mul_f32_e32 v5, 0x2f800000, v4
	v_trunc_f32_e32 v5, v5
	v_mac_f32_e32 v4, 0xcf800000, v5
	v_cvt_u32_f32_e32 v5, v5
	v_cvt_u32_f32_e32 v4, v4
	v_readfirstlane_b32 s31, v5
	v_readfirstlane_b32 s66, v4
	s_mul_i32 s67, s6, s31
	s_mul_hi_u32 s81, s6, s66
	s_mul_i32 s80, s30, s66
	s_add_i32 s67, s81, s67
	s_mul_i32 s88, s6, s66
	s_add_i32 s67, s67, s80
	s_mul_hi_u32 s81, s66, s88
	s_mul_hi_u32 s80, s66, s67
	s_mul_i32 s66, s66, s67
	s_add_u32 s66, s81, s66
	s_addc_u32 s80, 0, s80
	s_mul_hi_u32 s89, s31, s88
	s_mul_i32 s88, s31, s88
	s_add_u32 s66, s66, s88
	s_mul_hi_u32 s81, s31, s67
	s_addc_u32 s66, s80, s89
	s_addc_u32 s80, s81, 0
	s_mul_i32 s67, s31, s67
	s_add_u32 s66, s66, s67
	s_addc_u32 s67, 0, s80
	v_add_co_u32_e32 v4, vcc, s66, v4
	s_cmp_lg_u64 vcc, 0
	s_addc_u32 s31, s31, s67
	v_readfirstlane_b32 s67, v4
	s_mul_i32 s66, s6, s31
	s_mul_hi_u32 s80, s6, s67
	s_add_i32 s66, s80, s66
	s_mul_i32 s30, s30, s67
	s_add_i32 s66, s66, s30
	s_mul_i32 s6, s6, s67
	s_mul_hi_u32 s80, s31, s6
	s_mul_i32 s81, s31, s6
	s_mul_i32 s89, s67, s66
	s_mul_hi_u32 s6, s67, s6
	s_mul_hi_u32 s88, s67, s66
	s_add_u32 s6, s6, s89
	s_addc_u32 s67, 0, s88
	s_add_u32 s6, s6, s81
	s_mul_hi_u32 s30, s31, s66
	s_addc_u32 s6, s67, s80
	s_addc_u32 s30, s30, 0
	s_mul_i32 s66, s31, s66
	s_add_u32 s6, s6, s66
	s_addc_u32 s30, 0, s30
	v_add_co_u32_e32 v4, vcc, s6, v4
	s_cmp_lg_u64 vcc, 0
	s_addc_u32 s6, s31, s30
	v_readfirstlane_b32 s66, v4
	s_mul_i32 s31, s3, s6
	s_mul_hi_u32 s67, s3, s66
	s_mul_hi_u32 s30, s3, s6
	s_add_u32 s31, s67, s31
	s_addc_u32 s30, 0, s30
	s_mul_hi_u32 s80, s7, s66
	s_mul_i32 s66, s7, s66
	s_add_u32 s31, s31, s66
	s_mul_hi_u32 s67, s7, s6
	s_addc_u32 s30, s30, s80
	s_addc_u32 s31, s67, 0
	s_mul_i32 s6, s7, s6
	s_add_u32 s6, s30, s6
	s_addc_u32 s30, 0, s31
	s_mul_hi_u32 s31, s33, s6
	s_mul_i32 s6, s33, s6
	s_mul_i32 s30, s33, s30
	v_mov_b32_e32 v4, s6
	s_add_i32 s31, s31, s30
	v_sub_co_u32_e32 v4, vcc, s3, v4
	s_cmp_lg_u64 vcc, 0
	s_subb_u32 s6, s7, s31
	v_subrev_co_u32_e32 v5, vcc, s33, v4
	s_cmp_lg_u64 vcc, 0
	s_subb_u32 s30, s6, 0
	v_subrev_co_u32_e32 v6, vcc, s33, v5
	s_cmp_lg_u64 vcc, 0
	s_subb_u32 s31, s30, 0
	v_cmp_le_u32_e32 vcc, s33, v5
	s_cmp_eq_u32 s30, 0
	v_cndmask_b32_e64 v7, 0, -1, vcc
	s_cselect_b64 vcc, -1, 0
	v_cndmask_b32_e32 v7, -1, v7, vcc
	v_mov_b32_e32 v8, s30
	v_mov_b32_e32 v9, s31
	v_cmp_ne_u32_e32 vcc, 0, v7
	v_cndmask_b32_e32 v7, v8, v9, vcc
	v_cndmask_b32_e32 v6, v5, v6, vcc
	v_cmp_le_u32_e32 vcc, s33, v4
	s_cmp_eq_u32 s6, 0
	v_cndmask_b32_e64 v5, 0, -1, vcc
	s_cselect_b64 vcc, -1, 0
	v_cndmask_b32_e32 v5, -1, v5, vcc
	v_mov_b32_e32 v8, s6
	v_cmp_ne_u32_e32 vcc, 0, v5
	v_cndmask_b32_e32 v5, v8, v7, vcc
	v_cndmask_b32_e32 v4, v4, v6, vcc
	s_mov_b64 s[66:67], 0
	s_branch .LBB201_450
.LBB201_446:                            ;   in Loop: Header=BB201_31 Depth=1
                                        ; implicit-def: $vgpr2_vgpr3
	s_branch .LBB201_400
.LBB201_447:                            ;   in Loop: Header=BB201_31 Depth=1
                                        ; implicit-def: $vgpr2_vgpr3
	s_branch .LBB201_416
.LBB201_448:                            ;   in Loop: Header=BB201_31 Depth=1
	s_mov_b64 s[0:1], -1
	s_mov_b64 s[80:81], 0
                                        ; implicit-def: $sgpr6_sgpr7
                                        ; implicit-def: $vgpr31
	s_branch .LBB201_462
.LBB201_449:                            ;   in Loop: Header=BB201_31 Depth=1
	s_mov_b64 s[66:67], -1
                                        ; implicit-def: $vgpr4_vgpr5
.LBB201_450:                            ;   in Loop: Header=BB201_31 Depth=1
	s_andn2_b64 vcc, exec, s[66:67]
	s_cbranch_vccnz .LBB201_452
; %bb.451:                              ;   in Loop: Header=BB201_31 Depth=1
	v_cvt_f32_u32_e32 v4, s33
	s_sub_i32 s6, 0, s33
	v_rcp_iflag_f32_e32 v4, v4
	v_mul_f32_e32 v4, 0x4f7ffffe, v4
	v_cvt_u32_f32_e32 v4, v4
	v_mul_lo_u32 v5, s6, v4
	v_mul_hi_u32 v5, v4, v5
	v_add_u32_e32 v4, v4, v5
	v_mul_hi_u32 v4, s3, v4
	v_mul_lo_u32 v4, v4, s33
	v_sub_u32_e32 v4, s3, v4
	v_subrev_u32_e32 v5, s33, v4
	v_cmp_le_u32_e32 vcc, s33, v4
	v_cndmask_b32_e32 v4, v4, v5, vcc
	v_subrev_u32_e32 v5, s33, v4
	v_cmp_le_u32_e32 vcc, s33, v4
	v_cndmask_b32_e32 v14, v4, v5, vcc
	v_pk_mov_b32 v[4:5], v[14:15], v[14:15] op_sel:[0,1]
.LBB201_452:                            ;   in Loop: Header=BB201_31 Depth=1
	v_mov_b32_e32 v6, s7
	v_sub_co_u32_e32 v4, vcc, s3, v4
	v_subb_co_u32_e32 v5, vcc, v6, v5, vcc
	v_cmp_gt_u64_e32 vcc, v[4:5], v[0:1]
	s_mov_b64 s[80:81], 0
                                        ; implicit-def: $vgpr31
	s_and_saveexec_b64 s[66:67], vcc
	s_cbranch_execz .LBB201_461
; %bb.453:                              ;   in Loop: Header=BB201_31 Depth=1
	v_mov_b32_e32 v8, v16
	v_pk_mov_b32 v[6:7], v[0:1], v[0:1] op_sel:[0,1]
                                        ; implicit-def: $sgpr88_sgpr89
	s_branch .LBB201_455
.LBB201_454:                            ;   in Loop: Header=BB201_455 Depth=2
	s_or_b64 exec, exec, s[6:7]
	s_waitcnt lgkmcnt(0)
	s_barrier
	ds_read_b64 v[30:31], v15 offset:3072
	v_mov_b32_e32 v9, s92
	v_add_co_u32_e64 v6, s[6:7], s33, v6
	v_addc_co_u32_e64 v7, s[6:7], v7, v9, s[6:7]
	s_waitcnt lgkmcnt(0)
	v_cmp_neq_f32_e32 vcc, 0, v30
	v_cmp_ge_u64_e64 s[6:7], v[6:7], v[4:5]
	s_or_b64 s[6:7], s[6:7], vcc
	s_and_b64 s[6:7], exec, s[6:7]
	s_or_b64 s[80:81], s[6:7], s[80:81]
	s_andn2_b64 s[6:7], s[88:89], exec
	s_and_b64 s[30:31], vcc, exec
	v_add_u32_e32 v8, s2, v8
	s_or_b64 s[88:89], s[6:7], s[30:31]
	s_barrier
	s_andn2_b64 exec, exec, s[80:81]
	s_cbranch_execz .LBB201_460
.LBB201_455:                            ;   Parent Loop BB201_31 Depth=1
                                        ; =>  This Inner Loop Header: Depth=2
	v_cmp_gt_u64_e32 vcc, s[0:1], v[6:7]
	s_waitcnt vmcnt(0)
	v_mov_b32_e32 v29, 0
	s_and_saveexec_b64 s[6:7], vcc
	s_cbranch_execz .LBB201_457
; %bb.456:                              ;   in Loop: Header=BB201_455 Depth=2
	ds_read_b32 v29, v8
.LBB201_457:                            ;   in Loop: Header=BB201_455 Depth=2
	s_or_b64 exec, exec, s[6:7]
	s_and_saveexec_b64 s[6:7], vcc
	s_cbranch_execz .LBB201_454
; %bb.458:                              ;   in Loop: Header=BB201_455 Depth=2
	s_waitcnt lgkmcnt(0)
	v_cmp_lt_i32_e32 vcc, -1, v29
	v_cndmask_b32_e32 v9, -1, v52, vcc
	v_xor_b32_e32 v9, v9, v29
	v_cmp_o_f32_e32 vcc, v29, v29
	v_cndmask_b32_e32 v9, -1, v9, vcc
	v_and_b32_e32 v9, v9, v54
	v_cmp_eq_u32_e32 vcc, v9, v55
	s_and_b64 exec, exec, vcc
	s_cbranch_execz .LBB201_454
; %bb.459:                              ;   in Loop: Header=BB201_455 Depth=2
	ds_write_b64 v15, v[28:29] offset:3072
	s_branch .LBB201_454
.LBB201_460:                            ;   in Loop: Header=BB201_31 Depth=1
	s_or_b64 exec, exec, s[80:81]
	s_and_b64 s[80:81], s[88:89], exec
.LBB201_461:                            ;   in Loop: Header=BB201_31 Depth=1
	s_or_b64 exec, exec, s[66:67]
	s_mov_b64 s[0:1], 0
	s_mov_b64 s[6:7], -1
.LBB201_462:                            ;   in Loop: Header=BB201_31 Depth=1
	s_and_b64 vcc, exec, s[0:1]
	s_mov_b64 s[66:67], s[0:1]
	s_cbranch_vccz .LBB201_478
; %bb.463:                              ;   in Loop: Header=BB201_31 Depth=1
	v_readlane_b32 s6, v57, 31
	v_readlane_b32 s7, v57, 32
	s_mov_b32 s6, s87
	s_mov_b32 s1, s7
	s_cmp_lg_u64 s[6:7], 0
	v_writelane_b32 v57, s0, 31
	v_writelane_b32 v57, s1, 32
	s_cbranch_scc0 .LBB201_465
; %bb.464:                              ;   in Loop: Header=BB201_31 Depth=1
	v_cvt_f32_u32_e32 v4, s33
	s_sub_u32 s0, 0, s33
	s_subb_u32 s1, 0, 0
	v_mac_f32_e32 v4, 0, v53
	v_rcp_f32_e32 v4, v4
	v_mul_f32_e32 v4, 0x5f7ffffc, v4
	v_mul_f32_e32 v5, 0x2f800000, v4
	v_trunc_f32_e32 v5, v5
	v_mac_f32_e32 v4, 0xcf800000, v5
	v_cvt_u32_f32_e32 v5, v5
	v_cvt_u32_f32_e32 v4, v4
	v_readfirstlane_b32 s3, v5
	v_readfirstlane_b32 s6, v4
	s_mul_i32 s7, s0, s3
	s_mul_hi_u32 s31, s0, s6
	s_mul_i32 s30, s1, s6
	s_add_i32 s7, s31, s7
	s_mul_i32 s66, s0, s6
	s_add_i32 s7, s7, s30
	s_mul_hi_u32 s31, s6, s66
	s_mul_hi_u32 s30, s6, s7
	s_mul_i32 s6, s6, s7
	s_add_u32 s6, s31, s6
	s_addc_u32 s30, 0, s30
	s_mul_hi_u32 s67, s3, s66
	s_mul_i32 s66, s3, s66
	s_add_u32 s6, s6, s66
	s_mul_hi_u32 s31, s3, s7
	s_addc_u32 s6, s30, s67
	s_addc_u32 s30, s31, 0
	s_mul_i32 s7, s3, s7
	s_add_u32 s6, s6, s7
	s_addc_u32 s7, 0, s30
	v_add_co_u32_e32 v4, vcc, s6, v4
	s_cmp_lg_u64 vcc, 0
	s_addc_u32 s3, s3, s7
	v_readfirstlane_b32 s7, v4
	s_mul_i32 s6, s0, s3
	s_mul_hi_u32 s30, s0, s7
	s_add_i32 s6, s30, s6
	s_mul_i32 s1, s1, s7
	s_add_i32 s6, s6, s1
	s_mul_i32 s0, s0, s7
	s_mul_hi_u32 s30, s3, s0
	s_mul_i32 s31, s3, s0
	s_mul_i32 s67, s7, s6
	s_mul_hi_u32 s0, s7, s0
	s_mul_hi_u32 s66, s7, s6
	s_add_u32 s0, s0, s67
	s_addc_u32 s7, 0, s66
	s_add_u32 s0, s0, s31
	s_mul_hi_u32 s1, s3, s6
	s_addc_u32 s0, s7, s30
	s_addc_u32 s1, s1, 0
	s_mul_i32 s6, s3, s6
	s_add_u32 s0, s0, s6
	s_addc_u32 s1, 0, s1
	v_add_co_u32_e32 v4, vcc, s0, v4
	s_cmp_lg_u64 vcc, 0
	s_addc_u32 s0, s3, s1
	v_readlane_b32 s31, v57, 29
	v_readfirstlane_b32 s6, v4
	v_readlane_b32 s66, v57, 31
	s_mul_i32 s3, s31, s0
	s_mul_hi_u32 s7, s31, s6
	v_readlane_b32 s67, v57, 32
	s_add_u32 s3, s7, s3
	s_mul_hi_u32 s7, s67, s0
	v_readlane_b32 s66, v57, 31
	v_readlane_b32 s67, v57, 32
	s_mul_hi_u32 s30, s67, s6
	v_readlane_b32 s66, v57, 31
	s_mul_hi_u32 s1, s31, s0
	v_readlane_b32 s67, v57, 32
	s_addc_u32 s1, 0, s1
	s_mul_i32 s6, s67, s6
	s_add_u32 s3, s3, s6
	s_addc_u32 s1, s1, s30
	s_addc_u32 s3, s7, 0
	v_readlane_b32 s6, v57, 31
	v_readlane_b32 s7, v57, 32
	s_mul_i32 s0, s7, s0
	s_add_u32 s0, s1, s0
	s_addc_u32 s1, 0, s3
	s_mul_hi_u32 s3, s33, s0
	s_mul_i32 s0, s33, s0
	s_mul_i32 s1, s33, s1
	v_mov_b32_e32 v4, s0
	s_add_i32 s3, s3, s1
	v_sub_co_u32_e32 v4, vcc, s31, v4
	s_cmp_lg_u64 vcc, 0
	s_subb_u32 s0, s7, s3
	v_subrev_co_u32_e32 v5, vcc, s33, v4
	s_cmp_lg_u64 vcc, 0
	s_subb_u32 s1, s0, 0
	v_subrev_co_u32_e32 v6, vcc, s33, v5
	s_cmp_lg_u64 vcc, 0
	s_subb_u32 s3, s1, 0
	v_cmp_le_u32_e32 vcc, s33, v5
	s_cmp_eq_u32 s1, 0
	v_cndmask_b32_e64 v7, 0, -1, vcc
	s_cselect_b64 vcc, -1, 0
	v_cndmask_b32_e32 v7, -1, v7, vcc
	v_mov_b32_e32 v8, s1
	v_mov_b32_e32 v9, s3
	v_cmp_ne_u32_e32 vcc, 0, v7
	v_cndmask_b32_e32 v7, v8, v9, vcc
	v_cndmask_b32_e32 v6, v5, v6, vcc
	v_cmp_le_u32_e32 vcc, s33, v4
	s_cmp_eq_u32 s0, 0
	v_cndmask_b32_e64 v5, 0, -1, vcc
	s_cselect_b64 vcc, -1, 0
	v_cndmask_b32_e32 v5, -1, v5, vcc
	v_mov_b32_e32 v8, s0
	v_cmp_ne_u32_e32 vcc, 0, v5
	v_cndmask_b32_e32 v5, v8, v7, vcc
	v_cndmask_b32_e32 v4, v4, v6, vcc
	s_mov_b64 s[0:1], 0
	s_branch .LBB201_466
.LBB201_465:                            ;   in Loop: Header=BB201_31 Depth=1
	s_mov_b64 s[0:1], -1
                                        ; implicit-def: $vgpr4_vgpr5
.LBB201_466:                            ;   in Loop: Header=BB201_31 Depth=1
	s_andn2_b64 vcc, exec, s[0:1]
	s_cbranch_vccnz .LBB201_468
; %bb.467:                              ;   in Loop: Header=BB201_31 Depth=1
	v_cvt_f32_u32_e32 v4, s33
	s_sub_i32 s0, 0, s33
	v_rcp_iflag_f32_e32 v4, v4
	v_mul_f32_e32 v4, 0x4f7ffffe, v4
	v_cvt_u32_f32_e32 v4, v4
	v_mul_lo_u32 v5, s0, v4
	v_mul_hi_u32 v5, v4, v5
	v_add_u32_e32 v4, v4, v5
	v_readlane_b32 s0, v57, 29
	v_mul_hi_u32 v4, s0, v4
	v_mul_lo_u32 v4, v4, s33
	v_sub_u32_e32 v4, s0, v4
	v_subrev_u32_e32 v5, s33, v4
	v_cmp_le_u32_e32 vcc, s33, v4
	v_cndmask_b32_e32 v4, v4, v5, vcc
	v_subrev_u32_e32 v5, s33, v4
	v_cmp_le_u32_e32 vcc, s33, v4
	v_cndmask_b32_e32 v14, v4, v5, vcc
	v_pk_mov_b32 v[4:5], v[14:15], v[14:15] op_sel:[0,1]
.LBB201_468:                            ;   in Loop: Header=BB201_31 Depth=1
	v_readlane_b32 s0, v57, 29
	v_mov_b32_e32 v6, s7
	v_sub_co_u32_e32 v4, vcc, s0, v4
	v_subb_co_u32_e32 v5, vcc, v6, v5, vcc
	v_cmp_gt_u64_e32 vcc, v[4:5], v[0:1]
	s_mov_b64 s[80:81], 0
                                        ; implicit-def: $vgpr31
	s_and_saveexec_b64 s[0:1], vcc
	s_cbranch_execz .LBB201_477
; %bb.469:                              ;   in Loop: Header=BB201_31 Depth=1
	s_mov_b64 s[66:67], 0
	v_pk_mov_b32 v[6:7], v[26:27], v[26:27] op_sel:[0,1]
	v_pk_mov_b32 v[8:9], v[0:1], v[0:1] op_sel:[0,1]
                                        ; implicit-def: $sgpr80_sgpr81
	s_branch .LBB201_471
.LBB201_470:                            ;   in Loop: Header=BB201_471 Depth=2
	s_or_b64 exec, exec, s[6:7]
	s_waitcnt lgkmcnt(0)
	s_barrier
	ds_read_b64 v[30:31], v15 offset:3072
	v_mov_b32_e32 v14, s92
	v_add_co_u32_e64 v8, s[6:7], s33, v8
	v_addc_co_u32_e64 v9, s[6:7], v9, v14, s[6:7]
	s_waitcnt lgkmcnt(0)
	v_cmp_neq_f32_e32 vcc, 0, v30
	v_cmp_ge_u64_e64 s[6:7], v[8:9], v[4:5]
	s_or_b64 s[30:31], s[6:7], vcc
	v_mov_b32_e32 v14, s65
	v_add_co_u32_e64 v6, s[6:7], s64, v6
	v_addc_co_u32_e64 v7, s[6:7], v7, v14, s[6:7]
	s_and_b64 s[6:7], exec, s[30:31]
	s_or_b64 s[66:67], s[6:7], s[66:67]
	s_andn2_b64 s[6:7], s[80:81], exec
	s_and_b64 s[30:31], vcc, exec
	s_or_b64 s[80:81], s[6:7], s[30:31]
	s_barrier
	s_andn2_b64 exec, exec, s[66:67]
	s_cbranch_execz .LBB201_476
.LBB201_471:                            ;   Parent Loop BB201_31 Depth=1
                                        ; =>  This Inner Loop Header: Depth=2
	v_cmp_gt_u64_e32 vcc, s[60:61], v[8:9]
	s_waitcnt vmcnt(0)
	v_mov_b32_e32 v29, 0
	s_and_saveexec_b64 s[6:7], vcc
	s_cbranch_execz .LBB201_473
; %bb.472:                              ;   in Loop: Header=BB201_471 Depth=2
	global_load_dword v29, v[6:7], off
.LBB201_473:                            ;   in Loop: Header=BB201_471 Depth=2
	s_or_b64 exec, exec, s[6:7]
	s_and_saveexec_b64 s[6:7], vcc
	s_cbranch_execz .LBB201_470
; %bb.474:                              ;   in Loop: Header=BB201_471 Depth=2
	s_waitcnt vmcnt(0)
	v_cmp_lt_i32_e32 vcc, -1, v29
	v_cndmask_b32_e32 v14, -1, v52, vcc
	v_xor_b32_e32 v14, v14, v29
	v_cmp_o_f32_e32 vcc, v29, v29
	v_cndmask_b32_e32 v14, -1, v14, vcc
	v_and_b32_e32 v14, v14, v54
	v_cmp_eq_u32_e32 vcc, v14, v55
	s_and_b64 exec, exec, vcc
	s_cbranch_execz .LBB201_470
; %bb.475:                              ;   in Loop: Header=BB201_471 Depth=2
	ds_write_b64 v15, v[28:29] offset:3072
	s_branch .LBB201_470
.LBB201_476:                            ;   in Loop: Header=BB201_31 Depth=1
	s_or_b64 exec, exec, s[66:67]
	s_and_b64 s[80:81], s[80:81], exec
.LBB201_477:                            ;   in Loop: Header=BB201_31 Depth=1
	s_or_b64 exec, exec, s[0:1]
	s_mov_b64 s[6:7], 0
	s_mov_b64 s[0:1], -1
	s_mov_b64 s[66:67], 0
.LBB201_478:                            ;   in Loop: Header=BB201_31 Depth=1
	s_orn2_b64 s[80:81], s[80:81], exec
.LBB201_479:                            ;   in Loop: Header=BB201_31 Depth=1
	s_or_b64 exec, exec, s[68:69]
	s_mov_b64 s[88:89], 0
                                        ; implicit-def: $vgpr8
                                        ; implicit-def: $vgpr4_vgpr5
	s_and_saveexec_b64 s[68:69], s[80:81]
	s_cbranch_execz .LBB201_491
; %bb.480:                              ;   in Loop: Header=BB201_31 Depth=1
	v_mov_b32_e32 v4, 1
	s_xor_b64 s[30:31], s[54:55], -1
	v_mov_b32_e32 v8, 1
	v_mov_b32_e32 v5, 0
	s_and_saveexec_b64 s[54:55], s[30:31]
	s_cbranch_execz .LBB201_490
; %bb.481:                              ;   in Loop: Header=BB201_31 Depth=1
	v_cmp_ge_u64_e32 vcc, s[16:17], v[2:3]
                                        ; implicit-def: $sgpr3
	s_and_saveexec_b64 s[30:31], vcc
	s_xor_b64 s[80:81], exec, s[30:31]
	s_cbranch_execz .LBB201_487
; %bb.482:                              ;   in Loop: Header=BB201_31 Depth=1
	ds_read_b64 v[4:5], v15 offset:5120
	s_waitcnt lgkmcnt(0)
	v_cmp_ne_u64_e32 vcc, 0, v[4:5]
	s_cbranch_vccnz .LBB201_486
; %bb.483:                              ;   in Loop: Header=BB201_31 Depth=1
	s_mov_b64 s[88:89], exec
	v_readlane_b32 s30, v57, 10
	v_readlane_b32 s31, v57, 11
	s_and_b64 s[30:31], s[88:89], s[30:31]
	s_mov_b64 exec, s[30:31]
	s_cbranch_execz .LBB201_485
; %bb.484:                              ;   in Loop: Header=BB201_31 Depth=1
	v_pk_mov_b32 v[4:5], s[16:17], s[16:17] op_sel:[0,1]
	ds_write_b64 v15, v[4:5] offset:5128
.LBB201_485:                            ;   in Loop: Header=BB201_31 Depth=1
	s_or_b64 exec, exec, s[88:89]
	s_waitcnt lgkmcnt(0)
	s_barrier
.LBB201_486:                            ;   in Loop: Header=BB201_31 Depth=1
	v_and_b32_e32 v55, s94, v55
	v_or_b32_e32 v54, s86, v54
	s_mov_b32 s3, 5
.LBB201_487:                            ;   in Loop: Header=BB201_31 Depth=1
	s_or_saveexec_b64 s[80:81], s[80:81]
	v_mov_b32_e32 v8, s3
	s_xor_b64 exec, exec, s[80:81]
; %bb.488:                              ;   in Loop: Header=BB201_31 Depth=1
	v_mov_b32_e32 v4, s17
	v_subrev_co_u32_e32 v2, vcc, s16, v2
	v_subb_co_u32_e32 v3, vcc, v3, v4, vcc
	v_mov_b32_e32 v8, 5
; %bb.489:                              ;   in Loop: Header=BB201_31 Depth=1
	s_or_b64 exec, exec, s[80:81]
	v_pk_mov_b32 v[4:5], v[2:3], v[2:3] op_sel:[0,1]
.LBB201_490:                            ;   in Loop: Header=BB201_31 Depth=1
	s_or_b64 exec, exec, s[54:55]
	s_mov_b64 s[88:89], exec
.LBB201_491:                            ;   in Loop: Header=BB201_31 Depth=1
	s_or_b64 exec, exec, s[68:69]
	s_orn2_b64 s[54:55], s[88:89], exec
	v_pk_mov_b32 v[2:3], v[4:5], v[4:5] op_sel:[0,1]
.LBB201_492:                            ;   in Loop: Header=BB201_31 Depth=1
	s_or_b64 exec, exec, s[18:19]
	s_andn2_b64 s[16:17], s[46:47], exec
	s_and_b64 s[0:1], s[0:1], exec
	s_or_b64 s[46:47], s[16:17], s[0:1]
	s_andn2_b64 s[0:1], s[48:49], exec
	s_and_b64 s[6:7], s[6:7], exec
	s_or_b64 s[48:49], s[0:1], s[6:7]
	;; [unrolled: 3-line block ×3, first 2 shown]
	s_and_b64 s[0:1], s[54:55], exec
	v_pk_mov_b32 v[4:5], v[2:3], v[2:3] op_sel:[0,1]
.LBB201_493:                            ;   in Loop: Header=BB201_31 Depth=1
	s_or_b64 exec, exec, s[52:53]
	s_and_b64 s[52:53], s[46:47], exec
	s_and_b64 s[46:47], s[48:49], exec
	;; [unrolled: 1-line block ×3, first 2 shown]
	s_orn2_b64 s[0:1], s[0:1], exec
.LBB201_494:                            ;   in Loop: Header=BB201_31 Depth=1
	s_or_b64 exec, exec, s[22:23]
	s_andn2_b64 s[16:17], s[36:37], exec
	s_and_b64 s[18:19], s[52:53], exec
	s_or_b64 s[36:37], s[16:17], s[18:19]
	s_andn2_b64 s[16:17], s[40:41], exec
	s_and_b64 s[18:19], s[46:47], exec
	s_or_b64 s[40:41], s[16:17], s[18:19]
	;; [unrolled: 3-line block ×3, first 2 shown]
	s_and_b64 s[6:7], s[0:1], exec
	v_pk_mov_b32 v[2:3], v[4:5], v[4:5] op_sel:[0,1]
.LBB201_495:                            ;   in Loop: Header=BB201_31 Depth=1
	s_or_b64 exec, exec, s[44:45]
	s_and_b64 s[44:45], s[36:37], exec
	s_and_b64 s[36:37], s[40:41], exec
	;; [unrolled: 1-line block ×3, first 2 shown]
	s_orn2_b64 s[40:41], s[6:7], exec
.LBB201_496:                            ;   in Loop: Header=BB201_31 Depth=1
	s_or_b64 exec, exec, s[24:25]
	s_mov_b64 s[6:7], s[28:29]
	s_mov_b64 s[16:17], s[26:27]
	s_and_saveexec_b64 s[18:19], s[40:41]
; %bb.497:                              ;   in Loop: Header=BB201_31 Depth=1
	v_cmp_ne_u32_e64 s[6:7], 5, v8
	v_cmp_eq_u32_e32 vcc, 5, v8
	s_andn2_b64 s[16:17], s[26:27], exec
	s_and_b64 s[6:7], s[6:7], exec
	s_or_b64 s[16:17], s[16:17], s[6:7]
	s_andn2_b64 s[6:7], s[28:29], exec
	s_and_b64 s[22:23], vcc, exec
	s_andn2_b64 s[44:45], s[44:45], exec
	s_andn2_b64 s[36:37], s[36:37], exec
	;; [unrolled: 1-line block ×3, first 2 shown]
	s_or_b64 s[6:7], s[6:7], s[22:23]
; %bb.498:                              ;   in Loop: Header=BB201_31 Depth=1
	s_or_b64 exec, exec, s[18:19]
	s_andn2_b64 s[14:15], s[14:15], exec
	s_and_b64 s[18:19], s[44:45], exec
	s_or_b64 s[14:15], s[14:15], s[18:19]
	s_andn2_b64 s[18:19], s[38:39], exec
	s_and_b64 s[22:23], s[36:37], exec
	s_or_b64 s[38:39], s[18:19], s[22:23]
	;; [unrolled: 3-line block ×5, first 2 shown]
	v_mov_b32_e32 v30, v55
	v_mov_b32_e32 v36, v54
	;; [unrolled: 1-line block ×3, first 2 shown]
.LBB201_499:                            ;   in Loop: Header=BB201_31 Depth=1
	s_or_b64 exec, exec, s[34:35]
	s_mov_b64 s[36:37], s[20:21]
	s_mov_b64 s[34:35], s[20:21]
	s_and_saveexec_b64 s[0:1], s[28:29]
.LBB201_500:                            ;   in Loop: Header=BB201_31 Depth=1
	v_mov_b32_e32 v8, 0
	s_andn2_b64 s[20:21], s[20:21], exec
	s_andn2_b64 s[14:15], s[14:15], exec
	;; [unrolled: 1-line block ×5, first 2 shown]
	s_or_b64 s[26:27], s[26:27], exec
.LBB201_501:                            ;   in Loop: Header=BB201_31 Depth=1
	s_or_b64 exec, exec, s[0:1]
	s_andn2_b64 s[0:1], s[4:5], exec
	s_and_b64 s[4:5], s[20:21], exec
	s_or_b64 s[4:5], s[0:1], s[4:5]
	v_readlane_b32 s0, v57, 60
	v_readlane_b32 s1, v57, 61
	s_andn2_b64 s[0:1], s[0:1], exec
	s_and_b64 s[14:15], s[14:15], exec
	s_or_b64 s[18:19], s[0:1], s[14:15]
	v_readlane_b32 s0, v57, 58
	v_readlane_b32 s1, v57, 59
	;; [unrolled: 5-line block ×4, first 2 shown]
	s_andn2_b64 s[0:1], s[0:1], exec
	s_and_b64 s[14:15], s[34:35], exec
	s_mov_b64 s[6:7], -1
	s_mov_b64 s[34:35], s[18:19]
	s_or_b64 s[28:29], s[0:1], s[14:15]
                                        ; implicit-def: $vgpr54
                                        ; implicit-def: $vgpr55
                                        ; implicit-def: $vgpr32_vgpr33
                                        ; implicit-def: $vgpr31
	s_and_saveexec_b64 s[0:1], s[26:27]
	s_mov_b64 s[26:27], s[16:17]
	s_xor_b64 s[0:1], exec, s[0:1]
	s_cbranch_execz .LBB201_30
; %bb.502:                              ;   in Loop: Header=BB201_31 Depth=1
	v_cmp_eq_u32_e32 vcc, 0, v8
	s_mov_b64 s[14:15], -1
	s_and_saveexec_b64 s[16:17], vcc
	s_cbranch_execz .LBB201_29
; %bb.503:                              ;   in Loop: Header=BB201_31 Depth=1
	v_readlane_b32 s3, v57, 51
	s_xor_b32 s3, s3, 1
	v_writelane_b32 v57, s3, 51
	v_readlane_b32 s6, v57, 50
	s_add_i32 s3, s6, -2
	s_cmp_eq_u32 s6, 0
	s_cselect_b64 s[6:7], -1, 0
	s_xor_b64 s[14:15], exec, -1
	s_orn2_b64 s[6:7], s[6:7], exec
	v_writelane_b32 v57, s3, 50
	s_branch .LBB201_29
.LBB201_504:
	s_or_b64 exec, exec, s[70:71]
	s_xor_b64 s[2:3], s[10:11], -1
	s_xor_b64 s[10:11], s[8:9], -1
	;; [unrolled: 1-line block ×5, first 2 shown]
	s_mov_b64 s[4:5], 0
	s_and_saveexec_b64 s[12:13], s[6:7]
	s_xor_b64 s[6:7], exec, s[12:13]
	s_cbranch_execnz .LBB201_509
; %bb.505:
	s_andn2_saveexec_b64 s[0:1], s[6:7]
	s_cbranch_execnz .LBB201_528
.LBB201_506:
	s_or_b64 exec, exec, s[0:1]
	s_and_saveexec_b64 s[0:1], s[4:5]
.LBB201_507:
	; divergent unreachable
.LBB201_508:
	s_endpgm
.LBB201_509:
	s_and_saveexec_b64 s[12:13], s[8:9]
	s_xor_b64 s[8:9], exec, s[12:13]
	s_cbranch_execz .LBB201_526
; %bb.510:
	s_and_saveexec_b64 s[12:13], s[10:11]
	s_xor_b64 s[10:11], exec, s[12:13]
	s_cbranch_execz .LBB201_524
; %bb.511:
	;; [unrolled: 4-line block ×3, first 2 shown]
	s_and_saveexec_b64 s[2:3], s[0:1]
	s_xor_b64 s[0:1], exec, s[2:3]
; %bb.513:
	v_bfrev_b32_e32 v2, 1
	v_cmp_lt_i32_e32 vcc, -1, v30
	v_cndmask_b32_e64 v2, v2, -1, vcc
	v_xor_b32_e32 v5, v2, v30
; %bb.514:
	s_or_b64 exec, exec, s[0:1]
	s_mov_b64 s[0:1], exec
	v_readlane_b32 s2, v57, 10
	v_readlane_b32 s3, v57, 11
	;; [unrolled: 1-line block ×3, first 2 shown]
	s_and_b64 s[2:3], s[0:1], s[2:3]
	v_readlane_b32 s37, v57, 15
	s_mov_b64 exec, s[2:3]
	s_cbranch_execz .LBB201_516
; %bb.515:
	v_mov_b32_e32 v2, 0
	v_mov_b32_e32 v3, v2
	ds_write_b64 v2, v[2:3] offset:5136
.LBB201_516:
	s_or_b64 exec, exec, s[0:1]
	v_mov_b32_e32 v21, 0
	s_waitcnt lgkmcnt(0)
	s_barrier
	s_mov_b64 s[0:1], exec
	v_readlane_b32 s2, v57, 22
	v_readlane_b32 s3, v57, 23
	s_and_b64 s[2:3], s[0:1], s[2:3]
	s_mov_b64 exec, s[2:3]
	s_cbranch_execz .LBB201_518
; %bb.517:
	global_load_dword v21, v[12:13], off
.LBB201_518:
	s_or_b64 exec, exec, s[0:1]
	v_readlane_b32 s2, v57, 2
	s_add_u32 s0, s60, 63
	v_readlane_b32 s3, v57, 3
	v_readlane_b32 s4, v57, 0
	s_addc_u32 s15, s61, 0
	s_and_b32 s14, s0, 0xffffffc0
	v_readlane_b32 s5, v57, 1
	s_mul_i32 s0, s4, s3
	s_mul_hi_u32 s1, s4, s2
	s_add_i32 s0, s1, s0
	s_mul_i32 s1, s5, s2
	s_add_i32 s1, s0, s1
	s_mul_i32 s0, s4, s2
	v_readlane_b32 s4, v57, 6
	v_readlane_b32 s5, v57, 7
	s_mul_i32 s2, s4, s79
	s_mul_hi_u32 s3, s4, s78
	s_add_i32 s2, s3, s2
	s_mul_i32 s3, s5, s78
	s_add_i32 s3, s2, s3
	s_mul_i32 s2, s4, s78
	s_lshl_b64 s[0:1], s[0:1], 2
	v_readlane_b32 s4, v57, 4
	v_readlane_b32 s5, v57, 5
	s_add_u32 s4, s4, s0
	s_addc_u32 s5, s5, s1
	s_lshl_b64 s[0:1], s[56:57], 2
	s_add_u32 s44, s4, s0
	s_addc_u32 s45, s5, s1
	s_lshl_b64 s[0:1], s[2:3], 3
	v_readlane_b32 s2, v57, 8
	v_readlane_b32 s3, v57, 9
	s_add_u32 s2, s2, s0
	s_addc_u32 s3, s3, s1
	s_lshl_b64 s[0:1], s[74:75], 3
	s_add_u32 s46, s2, s0
	s_addc_u32 s47, s3, s1
	v_readlane_b32 s0, v57, 12
	v_readlane_b32 s1, v57, 13
	s_load_dwordx2 s[16:17], s[0:1], 0x368
	s_load_dwordx2 s[18:19], s[0:1], 0x510
	v_bfrev_b32_e32 v19, 1
	v_cmp_lt_i32_e32 vcc, -1, v5
	v_cndmask_b32_e32 v2, -1, v19, vcc
	v_xor_b32_e32 v2, v2, v5
	v_cmp_o_f32_e32 vcc, v5, v5
	v_cndmask_b32_e32 v18, -1, v2, vcc
	v_cmp_gt_u64_e32 vcc, s[14:15], v[0:1]
	s_mov_b64 s[22:23], -1
	s_mov_b64 s[2:3], 0
	v_add_u32_e32 v20, s33, v0
	s_mov_b64 s[0:1], 0
	s_and_saveexec_b64 s[20:21], vcc
	s_cbranch_execnz .LBB201_529
; %bb.519:
	s_or_b64 exec, exec, s[20:21]
	s_and_saveexec_b64 s[4:5], s[22:23]
	s_cbranch_execnz .LBB201_546
.LBB201_520:
	s_or_b64 exec, exec, s[4:5]
	s_and_saveexec_b64 s[4:5], s[0:1]
	s_xor_b64 s[0:1], exec, s[4:5]
	s_cbranch_execnz .LBB201_568
.LBB201_521:
	s_or_b64 exec, exec, s[0:1]
	s_and_b64 s[4:5], s[2:3], exec
.LBB201_522:
	s_andn2_saveexec_b64 s[0:1], s[12:13]
	s_cbranch_execnz .LBB201_571
.LBB201_523:
	s_or_b64 exec, exec, s[0:1]
	s_and_b64 s[4:5], s[4:5], exec
.LBB201_524:
	s_andn2_saveexec_b64 s[0:1], s[10:11]
	s_cbranch_execnz .LBB201_570
.LBB201_525:
	s_or_b64 exec, exec, s[0:1]
	s_and_b64 s[4:5], s[4:5], exec
.LBB201_526:
	s_andn2_saveexec_b64 s[0:1], s[8:9]
	s_cbranch_execnz .LBB201_569
.LBB201_527:
	s_or_b64 exec, exec, s[0:1]
	s_and_b64 s[4:5], s[4:5], exec
	s_andn2_saveexec_b64 s[0:1], s[6:7]
	s_cbranch_execz .LBB201_506
.LBB201_528:
	s_or_b64 s[4:5], s[4:5], exec
	s_trap 2
	s_or_b64 exec, exec, s[0:1]
	s_and_saveexec_b64 s[0:1], s[4:5]
	s_cbranch_execnz .LBB201_507
	s_branch .LBB201_508
.LBB201_529:
	v_mad_u64_u32 v[2:3], s[0:1], s58, v20, 0
	v_mov_b32_e32 v4, v3
	v_mad_u64_u32 v[4:5], s[0:1], s59, v20, v[4:5]
	v_readlane_b32 s0, v57, 46
	v_readlane_b32 s1, v57, 47
	s_add_u32 s0, s0, s72
	s_addc_u32 s1, s1, s73
	v_readlane_b32 s4, v57, 48
	v_mov_b32_e32 v3, v4
	v_readlane_b32 s5, v57, 49
	s_add_u32 s0, s0, s4
	v_lshlrev_b64 v[2:3], 2, v[2:3]
	s_addc_u32 s1, s1, s5
	v_mov_b32_e32 v4, s1
	v_add_co_u32_e32 v2, vcc, s0, v2
	v_addc_co_u32_e32 v3, vcc, v4, v3, vcc
	s_mov_b64 s[0:1], 0
	v_mov_b32_e32 v22, s92
	v_mov_b32_e32 v5, 0
	v_pk_mov_b32 v[14:15], v[0:1], v[0:1] op_sel:[0,1]
                                        ; implicit-def: $sgpr22_sgpr23
                                        ; implicit-def: $vgpr8_vgpr9
	s_branch .LBB201_531
.LBB201_530:                            ;   in Loop: Header=BB201_531 Depth=1
	s_or_b64 exec, exec, s[24:25]
	s_xor_b64 s[24:25], s[28:29], -1
	s_and_b64 s[4:5], exec, s[4:5]
	s_or_b64 s[0:1], s[4:5], s[0:1]
	s_andn2_b64 s[4:5], s[22:23], exec
	s_and_b64 s[22:23], s[24:25], exec
	s_or_b64 s[22:23], s[4:5], s[22:23]
	s_waitcnt vmcnt(0)
	v_mov_b32_e32 v21, v23
	v_pk_mov_b32 v[14:15], v[6:7], v[6:7] op_sel:[0,1]
	s_andn2_b64 exec, exec, s[0:1]
	s_cbranch_execz .LBB201_545
.LBB201_531:                            ; =>This Inner Loop Header: Depth=1
	v_add_co_u32_e32 v6, vcc, s33, v14
	v_addc_co_u32_e32 v7, vcc, v15, v22, vcc
	v_cmp_gt_u64_e32 vcc, s[60:61], v[6:7]
	v_mov_b32_e32 v23, 0
	s_and_saveexec_b64 s[4:5], vcc
	s_cbranch_execz .LBB201_533
; %bb.532:                              ;   in Loop: Header=BB201_531 Depth=1
	global_load_dword v23, v[2:3], off
.LBB201_533:                            ;   in Loop: Header=BB201_531 Depth=1
	s_or_b64 exec, exec, s[4:5]
	v_cmp_gt_u64_e32 vcc, s[60:61], v[14:15]
	s_mov_b64 s[24:25], 0
	s_and_saveexec_b64 s[4:5], vcc
	s_cbranch_execz .LBB201_535
; %bb.534:                              ;   in Loop: Header=BB201_531 Depth=1
	s_waitcnt vmcnt(0)
	v_cmp_lt_i32_e32 vcc, -1, v21
	v_cndmask_b32_e32 v4, -1, v19, vcc
	v_xor_b32_e32 v4, v4, v21
	v_cmp_o_f32_e32 vcc, v21, v21
	v_cndmask_b32_e32 v4, -1, v4, vcc
	v_cmp_gt_u32_e32 vcc, v4, v18
	v_cndmask_b32_e64 v16, 0, 1, vcc
	v_cmp_lt_u32_e32 vcc, v4, v18
	v_cndmask_b32_e64 v4, 0, 1, vcc
	v_cndmask_b32_e64 v4, v4, v16, s[36:37]
	v_and_b32_e32 v4, 1, v4
	v_cmp_eq_u32_e32 vcc, 1, v4
	s_and_b64 s[24:25], vcc, exec
.LBB201_535:                            ;   in Loop: Header=BB201_531 Depth=1
	s_or_b64 exec, exec, s[4:5]
	v_cndmask_b32_e64 v4, 0, 1, s[24:25]
	v_cmp_ne_u32_e32 vcc, 0, v4
	s_cmp_lg_u64 vcc, 0
	s_cselect_b64 s[4:5], -1, 0
	s_and_b64 s[4:5], s[90:91], s[4:5]
	s_and_saveexec_b64 s[26:27], s[4:5]
	s_cbranch_execz .LBB201_539
; %bb.536:                              ;   in Loop: Header=BB201_531 Depth=1
	s_mov_b64 s[30:31], exec
	v_mbcnt_lo_u32_b32 v4, s30, 0
	v_mbcnt_hi_u32_b32 v16, s31, v4
	s_bcnt1_i32_b64 s34, vcc
	v_cmp_eq_u32_e64 s[4:5], 0, v16
                                        ; implicit-def: $vgpr8_vgpr9
	s_and_saveexec_b64 s[28:29], s[4:5]
	s_cbranch_execz .LBB201_538
; %bb.537:                              ;   in Loop: Header=BB201_531 Depth=1
	s_bcnt1_i32_b64 s4, s[30:31]
	s_mul_i32 s4, s34, s4
	v_mov_b32_e32 v4, s4
	s_waitcnt lgkmcnt(0)
	ds_add_rtn_u64 v[8:9], v5, v[4:5] offset:5136
.LBB201_538:                            ;   in Loop: Header=BB201_531 Depth=1
	s_or_b64 exec, exec, s[28:29]
	s_waitcnt lgkmcnt(0)
	v_readfirstlane_b32 s4, v9
	v_readfirstlane_b32 s5, v8
	v_mov_b32_e32 v8, s5
	v_mov_b32_e32 v9, s4
	v_mad_u64_u32 v[8:9], s[4:5], s34, v16, v[8:9]
.LBB201_539:                            ;   in Loop: Header=BB201_531 Depth=1
	s_or_b64 exec, exec, s[26:27]
	s_waitcnt lgkmcnt(0)
	ds_bpermute_b32 v8, v46, v8
	ds_bpermute_b32 v9, v46, v9
	s_mov_b64 s[4:5], -1
	s_mov_b64 s[30:31], -1
                                        ; implicit-def: $sgpr28_sgpr29
	s_and_saveexec_b64 s[26:27], s[24:25]
	s_cbranch_execz .LBB201_543
; %bb.540:                              ;   in Loop: Header=BB201_531 Depth=1
	v_and_b32_e32 v16, vcc_lo, v10
	v_and_b32_e32 v4, vcc_hi, v11
	v_bcnt_u32_b32 v16, v16, 0
	v_bcnt_u32_b32 v4, v4, v16
	s_waitcnt lgkmcnt(0)
	v_add_co_u32_e32 v16, vcc, v8, v4
	v_addc_co_u32_e32 v17, vcc, 0, v9, vcc
	v_cmp_gt_u64_e32 vcc, s[62:63], v[16:17]
	s_mov_b64 s[24:25], 0
	s_and_saveexec_b64 s[28:29], vcc
	s_cbranch_execz .LBB201_542
; %bb.541:                              ;   in Loop: Header=BB201_531 Depth=1
	v_mul_lo_u32 v4, v17, s16
	v_mul_lo_u32 v26, v16, s17
	v_mad_u64_u32 v[24:25], s[30:31], v16, s16, 0
	v_add3_u32 v25, v25, v26, v4
	v_mul_lo_u32 v4, v17, s18
	v_mul_lo_u32 v26, v16, s19
	v_mad_u64_u32 v[16:17], s[30:31], v16, s18, 0
	v_lshlrev_b64 v[24:25], 2, v[24:25]
	v_add3_u32 v17, v17, v26, v4
	v_mov_b32_e32 v4, s45
	v_add_co_u32_e32 v24, vcc, s44, v24
	v_addc_co_u32_e32 v25, vcc, v4, v25, vcc
	v_lshlrev_b64 v[16:17], 3, v[16:17]
	v_mov_b32_e32 v4, s47
	v_add_co_u32_e32 v16, vcc, s46, v16
	s_mov_b64 s[24:25], exec
	v_addc_co_u32_e32 v17, vcc, v4, v17, vcc
	s_waitcnt vmcnt(0)
	global_store_dword v[24:25], v21, off
	global_store_dwordx2 v[16:17], v[14:15], off
.LBB201_542:                            ;   in Loop: Header=BB201_531 Depth=1
	s_or_b64 exec, exec, s[28:29]
	s_mov_b64 s[28:29], -1
	s_orn2_b64 s[30:31], s[24:25], exec
.LBB201_543:                            ;   in Loop: Header=BB201_531 Depth=1
	s_or_b64 exec, exec, s[26:27]
	s_and_saveexec_b64 s[24:25], s[30:31]
	s_cbranch_execz .LBB201_530
; %bb.544:                              ;   in Loop: Header=BB201_531 Depth=1
	v_mov_b32_e32 v4, s65
	v_add_co_u32_e32 v2, vcc, s64, v2
	v_addc_co_u32_e32 v3, vcc, v3, v4, vcc
	v_cmp_le_u64_e32 vcc, s[14:15], v[6:7]
	s_andn2_b64 s[28:29], s[28:29], exec
	s_orn2_b64 s[4:5], vcc, exec
	s_branch .LBB201_530
.LBB201_545:
	s_or_b64 exec, exec, s[0:1]
	s_mov_b64 s[0:1], exec
	s_orn2_b64 s[22:23], s[22:23], exec
	s_or_b64 exec, exec, s[20:21]
	s_and_saveexec_b64 s[4:5], s[22:23]
	s_cbranch_execz .LBB201_520
.LBB201_546:
	v_mov_b32_e32 v3, 0
	v_mov_b32_e32 v15, 0
	s_waitcnt lgkmcnt(0)
	s_barrier
	s_mov_b64 s[2:3], exec
	v_readlane_b32 s20, v57, 22
	v_readlane_b32 s21, v57, 23
	s_and_b64 s[20:21], s[2:3], s[20:21]
	s_mov_b64 exec, s[20:21]
	s_cbranch_execz .LBB201_548
; %bb.547:
	global_load_dword v15, v[12:13], off
.LBB201_548:
	s_or_b64 exec, exec, s[2:3]
	v_mad_u64_u32 v[4:5], s[2:3], s58, v20, 0
	v_mov_b32_e32 v2, v5
	v_mad_u64_u32 v[6:7], s[2:3], s59, v20, v[2:3]
	v_readlane_b32 s2, v57, 46
	v_readlane_b32 s3, v57, 47
	s_add_u32 s2, s2, s72
	s_addc_u32 s3, s3, s73
	v_readlane_b32 s20, v57, 48
	v_mov_b32_e32 v5, v6
	v_readlane_b32 s21, v57, 49
	s_add_u32 s2, s2, s20
	v_lshlrev_b64 v[4:5], 2, v[4:5]
	s_addc_u32 s3, s3, s21
	v_mov_b32_e32 v2, s3
	v_add_co_u32_e32 v4, vcc, s2, v4
	v_addc_co_u32_e32 v5, vcc, v2, v5, vcc
	s_mov_b64 s[20:21], 0
	v_bfrev_b32_e32 v14, 1
                                        ; implicit-def: $sgpr22_sgpr23
                                        ; implicit-def: $sgpr24_sgpr25
                                        ; implicit-def: $sgpr26_sgpr27
                                        ; implicit-def: $vgpr6_vgpr7
	s_branch .LBB201_551
.LBB201_549:                            ;   in Loop: Header=BB201_551 Depth=1
	s_or_b64 exec, exec, s[34:35]
	s_andn2_b64 s[26:27], s[26:27], exec
	s_and_b64 s[30:31], s[38:39], exec
	s_andn2_b64 s[24:25], s[24:25], exec
	s_and_b64 s[2:3], s[2:3], exec
	s_or_b64 s[26:27], s[26:27], s[30:31]
	s_or_b64 s[24:25], s[24:25], s[2:3]
	v_pk_mov_b32 v[0:1], v[8:9], v[8:9] op_sel:[0,1]
	v_mov_b32_e32 v15, v2
.LBB201_550:                            ;   in Loop: Header=BB201_551 Depth=1
	s_or_b64 exec, exec, s[28:29]
	s_xor_b64 s[2:3], s[26:27], -1
	s_and_b64 s[28:29], exec, s[24:25]
	s_or_b64 s[20:21], s[28:29], s[20:21]
	s_andn2_b64 s[22:23], s[22:23], exec
	s_and_b64 s[2:3], s[2:3], exec
	s_or_b64 s[22:23], s[22:23], s[2:3]
	s_andn2_b64 exec, exec, s[20:21]
	s_cbranch_execz .LBB201_566
.LBB201_551:                            ; =>This Inner Loop Header: Depth=1
	v_cmp_gt_u64_e32 vcc, s[14:15], v[0:1]
	s_or_b64 s[26:27], s[26:27], exec
	s_or_b64 s[24:25], s[24:25], exec
	s_and_saveexec_b64 s[28:29], vcc
	s_cbranch_execz .LBB201_550
; %bb.552:                              ;   in Loop: Header=BB201_551 Depth=1
	v_mov_b32_e32 v2, s92
	v_add_co_u32_e32 v8, vcc, s33, v0
	v_addc_co_u32_e32 v9, vcc, v1, v2, vcc
	v_cmp_gt_u64_e32 vcc, s[60:61], v[8:9]
	v_mov_b32_e32 v16, 0
	s_and_saveexec_b64 s[2:3], vcc
	s_cbranch_execz .LBB201_554
; %bb.553:                              ;   in Loop: Header=BB201_551 Depth=1
	global_load_dword v16, v[4:5], off
.LBB201_554:                            ;   in Loop: Header=BB201_551 Depth=1
	s_or_b64 exec, exec, s[2:3]
	s_waitcnt vmcnt(0)
	v_cmp_lt_i32_e64 s[2:3], -1, v15
	v_cndmask_b32_e64 v2, -1, v14, s[2:3]
	v_xor_b32_e32 v2, v2, v15
	v_cmp_o_f32_e64 s[2:3], v15, v15
	v_cndmask_b32_e64 v2, -1, v2, s[2:3]
	v_cmp_gt_u64_e32 vcc, s[60:61], v[0:1]
	v_cmp_eq_u32_e64 s[2:3], v2, v18
	s_and_b64 s[34:35], vcc, s[2:3]
	v_cndmask_b32_e64 v2, 0, 1, s[34:35]
	v_cmp_ne_u32_e32 vcc, 0, v2
	s_cmp_lg_u64 vcc, 0
	s_cselect_b64 s[2:3], -1, 0
	s_and_b64 s[2:3], s[90:91], s[2:3]
	s_and_saveexec_b64 s[30:31], s[2:3]
	s_cbranch_execz .LBB201_558
; %bb.555:                              ;   in Loop: Header=BB201_551 Depth=1
	s_mov_b64 s[38:39], exec
	v_mbcnt_lo_u32_b32 v2, s38, 0
	v_mbcnt_hi_u32_b32 v12, s39, v2
	s_bcnt1_i32_b64 s40, vcc
	v_cmp_eq_u32_e64 s[2:3], 0, v12
                                        ; implicit-def: $vgpr6_vgpr7
	s_and_saveexec_b64 s[36:37], s[2:3]
	s_cbranch_execz .LBB201_557
; %bb.556:                              ;   in Loop: Header=BB201_551 Depth=1
	s_bcnt1_i32_b64 s2, s[38:39]
	s_mul_i32 s2, s40, s2
	v_mov_b32_e32 v2, s2
	ds_add_rtn_u64 v[6:7], v3, v[2:3] offset:5136
.LBB201_557:                            ;   in Loop: Header=BB201_551 Depth=1
	s_or_b64 exec, exec, s[36:37]
	s_waitcnt lgkmcnt(0)
	v_readfirstlane_b32 s2, v7
	v_readfirstlane_b32 s3, v6
	v_mov_b32_e32 v6, s3
	v_mov_b32_e32 v7, s2
	v_mad_u64_u32 v[6:7], s[2:3], s40, v12, v[6:7]
.LBB201_558:                            ;   in Loop: Header=BB201_551 Depth=1
	s_or_b64 exec, exec, s[30:31]
	ds_bpermute_b32 v6, v46, v6
	ds_bpermute_b32 v7, v46, v7
	s_cmp_eq_u64 vcc, 0
	s_cselect_b64 s[30:31], -1, 0
	s_mov_b64 s[36:37], -1
	s_mov_b64 s[38:39], -1
	s_waitcnt lgkmcnt(0)
	v_cmp_gt_u64_e64 s[2:3], s[62:63], v[6:7]
	s_or_b64 s[30:31], s[30:31], s[2:3]
	v_cndmask_b32_e64 v2, v15, v16, s[30:31]
	s_and_b64 s[40:41], s[34:35], s[30:31]
	s_mov_b64 s[2:3], -1
	s_and_saveexec_b64 s[34:35], s[40:41]
	s_cbranch_execz .LBB201_564
; %bb.559:                              ;   in Loop: Header=BB201_551 Depth=1
	v_and_b32_e32 v12, vcc_lo, v10
	v_and_b32_e32 v2, vcc_hi, v11
	v_bcnt_u32_b32 v12, v12, 0
	v_bcnt_u32_b32 v2, v2, v12
	v_mov_b32_e32 v13, s63
	v_sub_co_u32_e32 v12, vcc, s62, v6
	v_subb_co_u32_e32 v13, vcc, v13, v7, vcc
	v_cmp_le_u64_e64 s[36:37], v[12:13], v[2:3]
	v_cmp_gt_u64_e32 vcc, v[12:13], v[2:3]
	s_mov_b64 s[40:41], -1
	s_and_saveexec_b64 s[38:39], vcc
	s_cbranch_execz .LBB201_563
; %bb.560:                              ;   in Loop: Header=BB201_551 Depth=1
	v_add_co_u32_e32 v12, vcc, v6, v2
	v_addc_co_u32_e32 v13, vcc, 0, v7, vcc
	v_cmp_gt_u64_e32 vcc, s[62:63], v[12:13]
	s_mov_b64 s[42:43], s[36:37]
	s_and_saveexec_b64 s[40:41], vcc
	s_cbranch_execz .LBB201_562
; %bb.561:                              ;   in Loop: Header=BB201_551 Depth=1
	v_mul_lo_u32 v2, v13, s16
	v_mul_lo_u32 v17, v12, s17
	v_mad_u64_u32 v[20:21], s[42:43], v12, s16, 0
	v_add3_u32 v21, v21, v17, v2
	v_mul_lo_u32 v2, v13, s18
	v_mul_lo_u32 v17, v12, s19
	v_mad_u64_u32 v[12:13], s[42:43], v12, s18, 0
	v_lshlrev_b64 v[20:21], 2, v[20:21]
	v_add3_u32 v13, v13, v17, v2
	v_mov_b32_e32 v2, s45
	v_add_co_u32_e32 v20, vcc, s44, v20
	v_addc_co_u32_e32 v21, vcc, v2, v21, vcc
	v_lshlrev_b64 v[12:13], 3, v[12:13]
	v_mov_b32_e32 v2, s47
	v_add_co_u32_e32 v12, vcc, s46, v12
	v_addc_co_u32_e32 v13, vcc, v2, v13, vcc
	s_or_b64 s[42:43], s[36:37], exec
	global_store_dword v[20:21], v15, off
	global_store_dwordx2 v[12:13], v[0:1], off
.LBB201_562:                            ;   in Loop: Header=BB201_551 Depth=1
	s_or_b64 exec, exec, s[40:41]
	s_andn2_b64 s[36:37], s[36:37], exec
	s_and_b64 s[42:43], s[42:43], exec
	s_xor_b64 s[40:41], exec, -1
	s_or_b64 s[36:37], s[36:37], s[42:43]
.LBB201_563:                            ;   in Loop: Header=BB201_551 Depth=1
	s_or_b64 exec, exec, s[38:39]
	s_orn2_b64 s[38:39], s[40:41], exec
	s_or_b64 s[30:31], s[30:31], exec
	s_orn2_b64 s[36:37], s[36:37], exec
	v_mov_b32_e32 v2, v16
.LBB201_564:                            ;   in Loop: Header=BB201_551 Depth=1
	s_or_b64 exec, exec, s[34:35]
	s_and_saveexec_b64 s[34:35], s[36:37]
	s_cbranch_execz .LBB201_549
; %bb.565:                              ;   in Loop: Header=BB201_551 Depth=1
	s_xor_b64 s[2:3], s[30:31], -1
	v_mov_b32_e32 v0, s65
	v_add_co_u32_e32 v4, vcc, s64, v4
	v_addc_co_u32_e32 v5, vcc, v5, v0, vcc
	s_or_b64 s[38:39], s[38:39], exec
	s_orn2_b64 s[2:3], s[2:3], exec
	s_branch .LBB201_549
.LBB201_566:
	s_or_b64 exec, exec, s[20:21]
	s_mov_b64 s[2:3], 0
	s_and_saveexec_b64 s[14:15], s[22:23]
	s_xor_b64 s[14:15], exec, s[14:15]
	s_cbranch_execnz .LBB201_572
.LBB201_567:
	s_or_b64 exec, exec, s[14:15]
	s_and_b64 s[2:3], s[2:3], exec
	s_andn2_b64 s[0:1], s[0:1], exec
	s_or_b64 exec, exec, s[4:5]
	s_and_saveexec_b64 s[4:5], s[0:1]
	s_xor_b64 s[0:1], exec, s[4:5]
	s_cbranch_execz .LBB201_521
.LBB201_568:
	s_or_b64 s[2:3], s[2:3], exec
	s_trap 2
	s_branch .LBB201_521
.LBB201_569:
	s_or_b64 s[4:5], s[4:5], exec
	s_trap 2
	s_branch .LBB201_527
.LBB201_570:
	s_or_b64 s[4:5], s[4:5], exec
	s_trap 2
	s_branch .LBB201_525
.LBB201_571:
	s_trap 2
	s_or_b64 s[4:5], s[4:5], exec
	s_branch .LBB201_523
.LBB201_572:
	s_mov_b64 s[2:3], exec
	s_trap 2
	s_branch .LBB201_567
	.section	.rodata,"a",@progbits
	.p2align	6, 0x0
	.amdhsa_kernel _ZN2at6native6sbtopk10gatherTopKIfmLin1ELb0EEEvNS_4cuda6detail10TensorInfoIKT_T0_EES8_S8_bS8_S8_NS5_IS6_S8_EES8_NS5_IlS8_EES8_PS6_
		.amdhsa_group_segment_fixed_size 5152
		.amdhsa_private_segment_fixed_size 0
		.amdhsa_kernarg_size 1568
		.amdhsa_user_sgpr_count 6
		.amdhsa_user_sgpr_private_segment_buffer 1
		.amdhsa_user_sgpr_dispatch_ptr 0
		.amdhsa_user_sgpr_queue_ptr 0
		.amdhsa_user_sgpr_kernarg_segment_ptr 1
		.amdhsa_user_sgpr_dispatch_id 0
		.amdhsa_user_sgpr_flat_scratch_init 0
		.amdhsa_user_sgpr_kernarg_preload_length 0
		.amdhsa_user_sgpr_kernarg_preload_offset 0
		.amdhsa_user_sgpr_private_segment_size 0
		.amdhsa_uses_dynamic_stack 0
		.amdhsa_system_sgpr_private_segment_wavefront_offset 0
		.amdhsa_system_sgpr_workgroup_id_x 1
		.amdhsa_system_sgpr_workgroup_id_y 1
		.amdhsa_system_sgpr_workgroup_id_z 1
		.amdhsa_system_sgpr_workgroup_info 0
		.amdhsa_system_vgpr_workitem_id 0
		.amdhsa_next_free_vgpr 58
		.amdhsa_next_free_sgpr 96
		.amdhsa_accum_offset 60
		.amdhsa_reserve_vcc 1
		.amdhsa_reserve_flat_scratch 0
		.amdhsa_float_round_mode_32 0
		.amdhsa_float_round_mode_16_64 0
		.amdhsa_float_denorm_mode_32 3
		.amdhsa_float_denorm_mode_16_64 3
		.amdhsa_dx10_clamp 1
		.amdhsa_ieee_mode 1
		.amdhsa_fp16_overflow 0
		.amdhsa_tg_split 0
		.amdhsa_exception_fp_ieee_invalid_op 0
		.amdhsa_exception_fp_denorm_src 0
		.amdhsa_exception_fp_ieee_div_zero 0
		.amdhsa_exception_fp_ieee_overflow 0
		.amdhsa_exception_fp_ieee_underflow 0
		.amdhsa_exception_fp_ieee_inexact 0
		.amdhsa_exception_int_div_zero 0
	.end_amdhsa_kernel
	.section	.text._ZN2at6native6sbtopk10gatherTopKIfmLin1ELb0EEEvNS_4cuda6detail10TensorInfoIKT_T0_EES8_S8_bS8_S8_NS5_IS6_S8_EES8_NS5_IlS8_EES8_PS6_,"axG",@progbits,_ZN2at6native6sbtopk10gatherTopKIfmLin1ELb0EEEvNS_4cuda6detail10TensorInfoIKT_T0_EES8_S8_bS8_S8_NS5_IS6_S8_EES8_NS5_IlS8_EES8_PS6_,comdat
.Lfunc_end201:
	.size	_ZN2at6native6sbtopk10gatherTopKIfmLin1ELb0EEEvNS_4cuda6detail10TensorInfoIKT_T0_EES8_S8_bS8_S8_NS5_IS6_S8_EES8_NS5_IlS8_EES8_PS6_, .Lfunc_end201-_ZN2at6native6sbtopk10gatherTopKIfmLin1ELb0EEEvNS_4cuda6detail10TensorInfoIKT_T0_EES8_S8_bS8_S8_NS5_IS6_S8_EES8_NS5_IlS8_EES8_PS6_
                                        ; -- End function
	.section	.AMDGPU.csdata,"",@progbits
; Kernel info:
; codeLenInByte = 30448
; NumSgprs: 100
; NumVgprs: 58
; NumAgprs: 0
; TotalNumVgprs: 58
; ScratchSize: 0
; MemoryBound: 0
; FloatMode: 240
; IeeeMode: 1
; LDSByteSize: 5152 bytes/workgroup (compile time only)
; SGPRBlocks: 12
; VGPRBlocks: 7
; NumSGPRsForWavesPerEU: 100
; NumVGPRsForWavesPerEU: 58
; AccumOffset: 60
; Occupancy: 8
; WaveLimiterHint : 1
; COMPUTE_PGM_RSRC2:SCRATCH_EN: 0
; COMPUTE_PGM_RSRC2:USER_SGPR: 6
; COMPUTE_PGM_RSRC2:TRAP_HANDLER: 0
; COMPUTE_PGM_RSRC2:TGID_X_EN: 1
; COMPUTE_PGM_RSRC2:TGID_Y_EN: 1
; COMPUTE_PGM_RSRC2:TGID_Z_EN: 1
; COMPUTE_PGM_RSRC2:TIDIG_COMP_CNT: 0
; COMPUTE_PGM_RSRC3_GFX90A:ACCUM_OFFSET: 14
; COMPUTE_PGM_RSRC3_GFX90A:TG_SPLIT: 0
	.section	.text._ZN2at6native6mbtopk23computeBlockDigitCountsIN3c104HalfEmjLi1EEEvNS_4cuda6detail10TensorInfoIKT_T0_EEjPjjSA_iijT1_PSD_Ps,"axG",@progbits,_ZN2at6native6mbtopk23computeBlockDigitCountsIN3c104HalfEmjLi1EEEvNS_4cuda6detail10TensorInfoIKT_T0_EEjPjjSA_iijT1_PSD_Ps,comdat
	.protected	_ZN2at6native6mbtopk23computeBlockDigitCountsIN3c104HalfEmjLi1EEEvNS_4cuda6detail10TensorInfoIKT_T0_EEjPjjSA_iijT1_PSD_Ps ; -- Begin function _ZN2at6native6mbtopk23computeBlockDigitCountsIN3c104HalfEmjLi1EEEvNS_4cuda6detail10TensorInfoIKT_T0_EEjPjjSA_iijT1_PSD_Ps
	.globl	_ZN2at6native6mbtopk23computeBlockDigitCountsIN3c104HalfEmjLi1EEEvNS_4cuda6detail10TensorInfoIKT_T0_EEjPjjSA_iijT1_PSD_Ps
	.p2align	8
	.type	_ZN2at6native6mbtopk23computeBlockDigitCountsIN3c104HalfEmjLi1EEEvNS_4cuda6detail10TensorInfoIKT_T0_EEjPjjSA_iijT1_PSD_Ps,@function
_ZN2at6native6mbtopk23computeBlockDigitCountsIN3c104HalfEmjLi1EEEvNS_4cuda6detail10TensorInfoIKT_T0_EEjPjjSA_iijT1_PSD_Ps: ; @_ZN2at6native6mbtopk23computeBlockDigitCountsIN3c104HalfEmjLi1EEEvNS_4cuda6detail10TensorInfoIKT_T0_EEjPjjSA_iijT1_PSD_Ps
; %bb.0:
	s_load_dwordx4 s[12:15], s[4:5], 0x1c0
	s_load_dword s2, s[4:5], 0x1b0
	s_load_dwordx2 s[0:1], s[4:5], 0x1e0
	s_mov_b32 s9, 0
	s_waitcnt lgkmcnt(0)
	v_cvt_f32_u32_e32 v1, s14
	s_sub_i32 s3, 0, s14
	s_mul_i32 s1, s1, s8
	s_add_i32 s1, s1, s7
	v_rcp_iflag_f32_e32 v1, v1
	s_mul_i32 s10, s1, s0
	s_add_i32 s10, s10, s6
	v_mul_f32_e32 v1, 0x4f7ffffe, v1
	v_cvt_u32_f32_e32 v1, v1
	v_readfirstlane_b32 s0, v1
	s_mul_i32 s3, s3, s0
	s_mul_hi_u32 s1, s0, s3
	s_add_i32 s0, s0, s1
	s_mul_hi_u32 s0, s10, s0
	s_mul_i32 s1, s0, s14
	s_sub_i32 s1, s10, s1
	s_add_i32 s3, s0, 1
	s_sub_i32 s6, s1, s14
	s_cmp_ge_u32 s1, s14
	s_cselect_b32 s0, s3, s0
	s_cselect_b32 s1, s6, s1
	s_add_i32 s3, s0, 1
	s_cmp_ge_u32 s1, s14
	s_cselect_b32 s8, s3, s0
	s_cmp_ge_u32 s8, s2
	s_cbranch_scc1 .LBB202_23
; %bb.1:
	s_load_dwordx4 s[0:3], s[4:5], 0x1d0
	s_lshl_b64 s[6:7], s[8:9], 2
	s_movk_i32 s9, 0x100
	v_cmp_gt_u32_e32 vcc, s9, v0
	v_lshlrev_b32_e32 v1, 2, v0
	s_waitcnt lgkmcnt(0)
	s_add_u32 s0, s0, s6
	s_addc_u32 s1, s1, s7
	s_and_saveexec_b64 s[6:7], vcc
	s_cbranch_execz .LBB202_3
; %bb.2:
	v_mov_b32_e32 v2, 0
	ds_write_b32 v1, v2
.LBB202_3:
	s_or_b64 exec, exec, s[6:7]
	s_load_dword s9, s[4:5], 0x1a0
	s_mul_i32 s6, s8, s14
	s_sub_i32 s6, s10, s6
	s_add_i32 s7, s6, 1
	s_mul_i32 s6, s13, s6
	s_lshl_b32 s18, s6, 8
	s_waitcnt lgkmcnt(0)
	s_sub_i32 s6, s9, s18
	s_add_u32 s6, s6, 0xff
	s_addc_u32 s11, 0, 0
	v_mov_b32_e32 v2, s6
	v_alignbit_b32 v2, s11, v2, 8
	s_cmp_lt_u32 s7, s14
	v_readfirstlane_b32 s6, v2
	s_cselect_b32 s13, s13, s6
	s_cmp_lt_i32 s13, 1
	s_mov_b32 s17, 0
	s_barrier
	s_cbranch_scc1 .LBB202_19
; %bb.4:
	s_load_dwordx2 s[20:21], s[4:5], 0xd0
	s_load_dwordx2 s[6:7], s[4:5], 0x1b8
	;; [unrolled: 1-line block ×3, first 2 shown]
	s_load_dword s11, s[0:1], 0x0
	v_add_u32_e32 v2, s18, v0
	s_waitcnt lgkmcnt(0)
	s_mul_i32 s0, s21, s8
	s_mul_hi_u32 s1, s20, s8
	s_add_i32 s1, s1, s0
	s_mul_i32 s0, s20, s8
	s_lshl_b64 s[0:1], s[0:1], 1
	s_add_u32 s14, s22, s0
	s_addc_u32 s16, s23, s1
	s_and_b32 s8, s12, 0xff
	s_cmp_eq_u32 s13, 1
	s_cbranch_scc1 .LBB202_14
; %bb.5:
	s_and_b32 s12, s13, 0x7ffffffe
	v_mov_b32_e32 v3, 1
	v_mov_b32_e32 v4, 0xffff
	;; [unrolled: 1-line block ×4, first 2 shown]
	s_branch .LBB202_7
.LBB202_6:                              ;   in Loop: Header=BB202_7 Depth=1
	s_or_b64 exec, exec, s[4:5]
	s_add_i32 s17, s17, 2
	s_cmp_eq_u32 s12, s17
	v_add_u32_e32 v6, 0x200, v6
	s_cbranch_scc1 .LBB202_13
.LBB202_7:                              ; =>This Inner Loop Header: Depth=1
	v_cmp_gt_u32_e64 s[0:1], s9, v6
	s_and_saveexec_b64 s[4:5], s[0:1]
	s_cbranch_execz .LBB202_10
; %bb.8:                                ;   in Loop: Header=BB202_7 Depth=1
	v_mad_u64_u32 v[8:9], s[0:1], v6, s6, 0
	v_mov_b32_e32 v10, v9
	v_mad_u64_u32 v[10:11], s[0:1], v6, s7, v[10:11]
	v_mov_b32_e32 v9, v10
	v_lshlrev_b64 v[8:9], 1, v[8:9]
	v_mov_b32_e32 v7, s16
	v_add_co_u32_e64 v8, s[0:1], s14, v8
	v_addc_co_u32_e64 v9, s[0:1], v7, v9, s[0:1]
	global_load_ushort v7, v[8:9], off
	s_waitcnt vmcnt(0)
	v_cmp_lt_i16_e64 s[0:1], -1, v7
	v_cndmask_b32_e64 v8, v4, v5, s[0:1]
	v_xor_b32_sdwa v8, v8, v7 dst_sel:DWORD dst_unused:UNUSED_PAD src0_sel:DWORD src1_sel:WORD_0
	v_cmp_o_f16_e64 s[0:1], v7, v7
	v_cndmask_b32_e64 v7, v4, v8, s[0:1]
	v_xor_b32_e32 v8, s11, v7
	v_and_b32_e32 v8, s15, v8
	v_cmp_eq_u32_e64 s[0:1], 0, v8
	s_and_b64 exec, exec, s[0:1]
	s_cbranch_execz .LBB202_10
; %bb.9:                                ;   in Loop: Header=BB202_7 Depth=1
	v_bfe_u32 v7, v7, s8, 8
	v_lshlrev_b32_e32 v7, 2, v7
	ds_add_u32 v7, v3
.LBB202_10:                             ;   in Loop: Header=BB202_7 Depth=1
	s_or_b64 exec, exec, s[4:5]
	v_add_u32_e32 v7, 0x100, v6
	v_cmp_gt_u32_e64 s[0:1], s9, v7
	s_and_saveexec_b64 s[4:5], s[0:1]
	s_cbranch_execz .LBB202_6
; %bb.11:                               ;   in Loop: Header=BB202_7 Depth=1
	v_mad_u64_u32 v[8:9], s[0:1], v7, s6, 0
	v_mov_b32_e32 v10, v9
	v_mad_u64_u32 v[10:11], s[0:1], v7, s7, v[10:11]
	v_mov_b32_e32 v9, v10
	v_lshlrev_b64 v[8:9], 1, v[8:9]
	v_mov_b32_e32 v7, s16
	v_add_co_u32_e64 v8, s[0:1], s14, v8
	v_addc_co_u32_e64 v9, s[0:1], v7, v9, s[0:1]
	global_load_ushort v7, v[8:9], off
	s_waitcnt vmcnt(0)
	v_cmp_lt_i16_e64 s[0:1], -1, v7
	v_cndmask_b32_e64 v8, v4, v5, s[0:1]
	v_xor_b32_sdwa v8, v8, v7 dst_sel:DWORD dst_unused:UNUSED_PAD src0_sel:DWORD src1_sel:WORD_0
	v_cmp_o_f16_e64 s[0:1], v7, v7
	v_cndmask_b32_e64 v7, v4, v8, s[0:1]
	v_xor_b32_e32 v8, s11, v7
	v_and_b32_e32 v8, s15, v8
	v_cmp_eq_u32_e64 s[0:1], 0, v8
	s_and_b64 exec, exec, s[0:1]
	s_cbranch_execz .LBB202_6
; %bb.12:                               ;   in Loop: Header=BB202_7 Depth=1
	v_bfe_u32 v7, v7, s8, 8
	v_lshlrev_b32_e32 v7, 2, v7
	ds_add_u32 v7, v3
	s_branch .LBB202_6
.LBB202_13:
	s_lshl_b32 s17, s12, 8
.LBB202_14:
	s_bitcmp0_b32 s13, 0
	s_cbranch_scc1 .LBB202_19
; %bb.15:
	v_add_u32_e32 v2, s17, v2
	v_cmp_gt_u32_e64 s[0:1], s9, v2
	s_and_saveexec_b64 s[4:5], s[0:1]
	s_cbranch_execz .LBB202_18
; %bb.16:
	v_mad_u64_u32 v[4:5], s[0:1], v2, s6, 0
	v_mov_b32_e32 v6, v5
	v_mad_u64_u32 v[2:3], s[0:1], v2, s7, v[6:7]
	v_mov_b32_e32 v5, v2
	v_lshlrev_b64 v[2:3], 1, v[4:5]
	v_mov_b32_e32 v4, s16
	v_add_co_u32_e64 v2, s[0:1], s14, v2
	v_addc_co_u32_e64 v3, s[0:1], v4, v3, s[0:1]
	global_load_ushort v2, v[2:3], off
	v_mov_b32_e32 v3, 0xffff
	v_mov_b32_e32 v4, 0x8000
	s_waitcnt vmcnt(0)
	v_cmp_lt_i16_e64 s[0:1], -1, v2
	v_cndmask_b32_e64 v4, v3, v4, s[0:1]
	v_xor_b32_sdwa v4, v4, v2 dst_sel:DWORD dst_unused:UNUSED_PAD src0_sel:DWORD src1_sel:WORD_0
	v_cmp_o_f16_e64 s[0:1], v2, v2
	v_cndmask_b32_e64 v2, v3, v4, s[0:1]
	v_xor_b32_e32 v3, s11, v2
	v_and_b32_e32 v3, s15, v3
	v_cmp_eq_u32_e64 s[0:1], 0, v3
	s_and_b64 exec, exec, s[0:1]
	s_cbranch_execz .LBB202_18
; %bb.17:
	v_bfe_u32 v2, v2, s8, 8
	v_lshlrev_b32_e32 v2, 2, v2
	v_mov_b32_e32 v3, 1
	ds_add_u32 v2, v3
.LBB202_18:
	s_or_b64 exec, exec, s[4:5]
.LBB202_19:
	v_mov_b32_e32 v2, 0
	s_waitcnt lgkmcnt(0)
	s_barrier
	s_and_saveexec_b64 s[0:1], vcc
	s_cbranch_execz .LBB202_21
; %bb.20:
	ds_read_b32 v2, v1
.LBB202_21:
	s_or_b64 exec, exec, s[0:1]
	s_and_saveexec_b64 s[0:1], vcc
	s_cbranch_execz .LBB202_23
; %bb.22:
	v_lshl_or_b32 v0, s10, 8, v0
	v_mov_b32_e32 v1, 0
	v_lshlrev_b64 v[0:1], 1, v[0:1]
	v_mov_b32_e32 v3, s3
	v_add_co_u32_e32 v0, vcc, s2, v0
	v_addc_co_u32_e32 v1, vcc, v3, v1, vcc
	s_waitcnt lgkmcnt(0)
	global_store_short v[0:1], v2, off
.LBB202_23:
	s_endpgm
	.section	.rodata,"a",@progbits
	.p2align	6, 0x0
	.amdhsa_kernel _ZN2at6native6mbtopk23computeBlockDigitCountsIN3c104HalfEmjLi1EEEvNS_4cuda6detail10TensorInfoIKT_T0_EEjPjjSA_iijT1_PSD_Ps
		.amdhsa_group_segment_fixed_size 1024
		.amdhsa_private_segment_fixed_size 0
		.amdhsa_kernarg_size 736
		.amdhsa_user_sgpr_count 6
		.amdhsa_user_sgpr_private_segment_buffer 1
		.amdhsa_user_sgpr_dispatch_ptr 0
		.amdhsa_user_sgpr_queue_ptr 0
		.amdhsa_user_sgpr_kernarg_segment_ptr 1
		.amdhsa_user_sgpr_dispatch_id 0
		.amdhsa_user_sgpr_flat_scratch_init 0
		.amdhsa_user_sgpr_kernarg_preload_length 0
		.amdhsa_user_sgpr_kernarg_preload_offset 0
		.amdhsa_user_sgpr_private_segment_size 0
		.amdhsa_uses_dynamic_stack 0
		.amdhsa_system_sgpr_private_segment_wavefront_offset 0
		.amdhsa_system_sgpr_workgroup_id_x 1
		.amdhsa_system_sgpr_workgroup_id_y 1
		.amdhsa_system_sgpr_workgroup_id_z 1
		.amdhsa_system_sgpr_workgroup_info 0
		.amdhsa_system_vgpr_workitem_id 0
		.amdhsa_next_free_vgpr 12
		.amdhsa_next_free_sgpr 24
		.amdhsa_accum_offset 12
		.amdhsa_reserve_vcc 1
		.amdhsa_reserve_flat_scratch 0
		.amdhsa_float_round_mode_32 0
		.amdhsa_float_round_mode_16_64 0
		.amdhsa_float_denorm_mode_32 3
		.amdhsa_float_denorm_mode_16_64 3
		.amdhsa_dx10_clamp 1
		.amdhsa_ieee_mode 1
		.amdhsa_fp16_overflow 0
		.amdhsa_tg_split 0
		.amdhsa_exception_fp_ieee_invalid_op 0
		.amdhsa_exception_fp_denorm_src 0
		.amdhsa_exception_fp_ieee_div_zero 0
		.amdhsa_exception_fp_ieee_overflow 0
		.amdhsa_exception_fp_ieee_underflow 0
		.amdhsa_exception_fp_ieee_inexact 0
		.amdhsa_exception_int_div_zero 0
	.end_amdhsa_kernel
	.section	.text._ZN2at6native6mbtopk23computeBlockDigitCountsIN3c104HalfEmjLi1EEEvNS_4cuda6detail10TensorInfoIKT_T0_EEjPjjSA_iijT1_PSD_Ps,"axG",@progbits,_ZN2at6native6mbtopk23computeBlockDigitCountsIN3c104HalfEmjLi1EEEvNS_4cuda6detail10TensorInfoIKT_T0_EEjPjjSA_iijT1_PSD_Ps,comdat
.Lfunc_end202:
	.size	_ZN2at6native6mbtopk23computeBlockDigitCountsIN3c104HalfEmjLi1EEEvNS_4cuda6detail10TensorInfoIKT_T0_EEjPjjSA_iijT1_PSD_Ps, .Lfunc_end202-_ZN2at6native6mbtopk23computeBlockDigitCountsIN3c104HalfEmjLi1EEEvNS_4cuda6detail10TensorInfoIKT_T0_EEjPjjSA_iijT1_PSD_Ps
                                        ; -- End function
	.section	.AMDGPU.csdata,"",@progbits
; Kernel info:
; codeLenInByte = 1068
; NumSgprs: 28
; NumVgprs: 12
; NumAgprs: 0
; TotalNumVgprs: 12
; ScratchSize: 0
; MemoryBound: 0
; FloatMode: 240
; IeeeMode: 1
; LDSByteSize: 1024 bytes/workgroup (compile time only)
; SGPRBlocks: 3
; VGPRBlocks: 1
; NumSGPRsForWavesPerEU: 28
; NumVGPRsForWavesPerEU: 12
; AccumOffset: 12
; Occupancy: 8
; WaveLimiterHint : 1
; COMPUTE_PGM_RSRC2:SCRATCH_EN: 0
; COMPUTE_PGM_RSRC2:USER_SGPR: 6
; COMPUTE_PGM_RSRC2:TRAP_HANDLER: 0
; COMPUTE_PGM_RSRC2:TGID_X_EN: 1
; COMPUTE_PGM_RSRC2:TGID_Y_EN: 1
; COMPUTE_PGM_RSRC2:TGID_Z_EN: 1
; COMPUTE_PGM_RSRC2:TIDIG_COMP_CNT: 0
; COMPUTE_PGM_RSRC3_GFX90A:ACCUM_OFFSET: 2
; COMPUTE_PGM_RSRC3_GFX90A:TG_SPLIT: 0
	.section	.text._ZN2at6native6mbtopk10gatherTopKIN3c104HalfEmLi1EEEvNS_4cuda6detail10TensorInfoIKT_T0_EESA_SA_bjSA_NS7_IS8_SA_EESA_NS7_IlSA_EESA_jjPS8_PjSF_j,"axG",@progbits,_ZN2at6native6mbtopk10gatherTopKIN3c104HalfEmLi1EEEvNS_4cuda6detail10TensorInfoIKT_T0_EESA_SA_bjSA_NS7_IS8_SA_EESA_NS7_IlSA_EESA_jjPS8_PjSF_j,comdat
	.protected	_ZN2at6native6mbtopk10gatherTopKIN3c104HalfEmLi1EEEvNS_4cuda6detail10TensorInfoIKT_T0_EESA_SA_bjSA_NS7_IS8_SA_EESA_NS7_IlSA_EESA_jjPS8_PjSF_j ; -- Begin function _ZN2at6native6mbtopk10gatherTopKIN3c104HalfEmLi1EEEvNS_4cuda6detail10TensorInfoIKT_T0_EESA_SA_bjSA_NS7_IS8_SA_EESA_NS7_IlSA_EESA_jjPS8_PjSF_j
	.globl	_ZN2at6native6mbtopk10gatherTopKIN3c104HalfEmLi1EEEvNS_4cuda6detail10TensorInfoIKT_T0_EESA_SA_bjSA_NS7_IS8_SA_EESA_NS7_IlSA_EESA_jjPS8_PjSF_j
	.p2align	8
	.type	_ZN2at6native6mbtopk10gatherTopKIN3c104HalfEmLi1EEEvNS_4cuda6detail10TensorInfoIKT_T0_EESA_SA_bjSA_NS7_IS8_SA_EESA_NS7_IlSA_EESA_jjPS8_PjSF_j,@function
_ZN2at6native6mbtopk10gatherTopKIN3c104HalfEmLi1EEEvNS_4cuda6detail10TensorInfoIKT_T0_EESA_SA_bjSA_NS7_IS8_SA_EESA_NS7_IlSA_EESA_jjPS8_PjSF_j: ; @_ZN2at6native6mbtopk10gatherTopKIN3c104HalfEmLi1EEEvNS_4cuda6detail10TensorInfoIKT_T0_EESA_SA_bjSA_NS7_IS8_SA_EESA_NS7_IlSA_EESA_jjPS8_PjSF_j
; %bb.0:
	s_load_dwordx2 s[0:1], s[4:5], 0x538
	s_load_dword s2, s[4:5], 0x530
	s_waitcnt lgkmcnt(0)
	s_mul_i32 s1, s1, s8
	s_add_i32 s1, s1, s7
	s_mul_i32 s0, s1, s0
	s_add_i32 s0, s0, s6
	s_cmp_ge_u32 s0, s2
	s_cbranch_scc1 .LBB203_42
; %bb.1:
	s_load_dwordx2 s[20:21], s[4:5], 0x510
	s_load_dwordx4 s[8:11], s[4:5], 0x1a0
	s_mov_b32 s7, 0
	s_waitcnt lgkmcnt(0)
	v_cvt_f32_u32_e32 v1, s21
	s_sub_i32 s2, 0, s21
	s_lshl_b32 s1, s20, 8
	v_rcp_iflag_f32_e32 v1, v1
	v_mul_f32_e32 v1, 0x4f7ffffe, v1
	v_cvt_u32_f32_e32 v1, v1
	v_readfirstlane_b32 s3, v1
	s_mul_i32 s2, s2, s3
	s_mul_hi_u32 s2, s3, s2
	s_add_i32 s3, s3, s2
	s_mul_hi_u32 s2, s0, s3
	s_mul_i32 s3, s2, s21
	s_sub_i32 s3, s0, s3
	s_add_i32 s6, s2, 1
	s_sub_i32 s12, s3, s21
	s_cmp_ge_u32 s3, s21
	s_cselect_b32 s2, s6, s2
	s_cselect_b32 s3, s12, s3
	s_add_i32 s6, s2, 1
	s_cmp_ge_u32 s3, s21
	s_cselect_b32 s6, s6, s2
	s_mul_i32 s24, s6, s21
	s_sub_i32 s40, s0, s24
	s_add_i32 s0, s40, 1
	s_cmp_lt_u32 s0, s21
	s_mul_i32 s33, s40, s1
	s_cbranch_scc1 .LBB203_3
; %bb.2:
	s_sub_u32 s0, s8, s33
	s_subb_u32 s1, s9, 0
	s_add_u32 s0, s0, 0xff
	s_addc_u32 s1, s1, 0
	s_ashr_i32 s2, s1, 31
	s_lshr_b32 s2, s2, 24
	s_add_u32 s0, s0, s2
	s_addc_u32 s1, s1, 0
	v_mov_b32_e32 v1, s0
	v_alignbit_b32 v1, s1, v1, 8
	v_readfirstlane_b32 s20, v1
.LBB203_3:
	s_load_dwordx4 s[12:15], s[4:5], 0x518
	s_lshl_b64 s[0:1], s[6:7], 1
	v_mov_b32_e32 v1, 0
	v_cmp_eq_u32_e64 s[2:3], 0, v0
	s_waitcnt lgkmcnt(0)
	s_add_u32 s0, s12, s0
	s_addc_u32 s1, s13, s1
	global_load_ushort v1, v1, s[0:1]
	s_load_dwordx2 s[22:23], s[4:5], 0x0
	s_load_dwordx2 s[30:31], s[4:5], 0xd0
	;; [unrolled: 1-line block ×4, first 2 shown]
	v_cmp_ne_u32_e64 s[0:1], 0, v0
	s_waitcnt vmcnt(0)
	v_readfirstlane_b32 s7, v1
	s_and_saveexec_b64 s[12:13], s[2:3]
	s_cbranch_execz .LBB203_19
; %bb.4:
	s_load_dwordx2 s[34:35], s[4:5], 0x528
	s_mov_b32 s25, 0
	s_lshl_b64 s[36:37], s[24:25], 2
	s_add_u32 s16, s14, s36
	s_addc_u32 s17, s15, s37
	s_waitcnt lgkmcnt(0)
	s_add_u32 s18, s34, s36
	s_addc_u32 s19, s35, s37
	s_mov_b32 s24, 0
	s_mov_b32 s41, 0
	s_cmp_lt_u32 s21, 4
	s_cbranch_scc1 .LBB203_16
; %bb.5:
	s_mov_b32 s42, 0
.LBB203_6:                              ; =>This Inner Loop Header: Depth=1
	s_add_u32 s16, s14, s36
	s_addc_u32 s17, s15, s37
	s_load_dwordx4 s[16:19], s[16:17], 0x0
	s_add_u32 s38, s34, s36
	s_addc_u32 s39, s35, s37
	s_cmp_ge_u32 s42, s40
	s_cbranch_scc0 .LBB203_13
; %bb.7:                                ;   in Loop: Header=BB203_6 Depth=1
	s_add_i32 s43, s42, 1
	s_cmp_ge_u32 s43, s40
	s_cbranch_scc0 .LBB203_14
.LBB203_8:                              ;   in Loop: Header=BB203_6 Depth=1
	s_add_i32 s43, s43, 1
	s_cmp_ge_u32 s43, s40
	s_cbranch_scc0 .LBB203_15
.LBB203_9:                              ;   in Loop: Header=BB203_6 Depth=1
	s_add_i32 s43, s43, 1
	s_cmp_ge_u32 s43, s40
	s_cbranch_scc1 .LBB203_11
.LBB203_10:                             ;   in Loop: Header=BB203_6 Depth=1
	s_load_dword s38, s[38:39], 0xc
	s_waitcnt lgkmcnt(0)
	s_add_i32 s25, s25, s19
	s_add_i32 s24, s38, s24
.LBB203_11:                             ;   in Loop: Header=BB203_6 Depth=1
	s_waitcnt lgkmcnt(0)
	s_add_i32 s16, s16, s41
	s_add_i32 s16, s16, s17
	;; [unrolled: 1-line block ×4, first 2 shown]
	s_add_u32 s14, s14, 16
	s_addc_u32 s15, s15, 0
	s_add_u32 s34, s34, 16
	s_addc_u32 s35, s35, 0
	s_add_i32 s39, s43, 4
	s_add_u32 s18, s34, s36
	s_addc_u32 s19, s35, s37
	s_add_u32 s16, s14, s36
	s_addc_u32 s17, s15, s37
	s_add_i32 s38, s43, 1
	s_cmp_ge_u32 s39, s21
	s_cbranch_scc1 .LBB203_17
; %bb.12:                               ;   in Loop: Header=BB203_6 Depth=1
	s_mov_b32 s42, s38
	s_branch .LBB203_6
.LBB203_13:                             ;   in Loop: Header=BB203_6 Depth=1
	s_load_dword s43, s[38:39], 0x0
	s_waitcnt lgkmcnt(0)
	s_add_i32 s25, s16, s25
	s_add_i32 s24, s43, s24
	;; [unrolled: 1-line block ×3, first 2 shown]
	s_cmp_ge_u32 s43, s40
	s_cbranch_scc1 .LBB203_8
.LBB203_14:                             ;   in Loop: Header=BB203_6 Depth=1
	s_load_dword s44, s[38:39], 0x4
	s_waitcnt lgkmcnt(0)
	s_add_i32 s25, s25, s17
	s_add_i32 s24, s44, s24
	;; [unrolled: 1-line block ×3, first 2 shown]
	s_cmp_ge_u32 s43, s40
	s_cbranch_scc1 .LBB203_9
.LBB203_15:                             ;   in Loop: Header=BB203_6 Depth=1
	s_load_dword s44, s[38:39], 0x8
	s_waitcnt lgkmcnt(0)
	s_add_i32 s25, s25, s18
	s_add_i32 s24, s44, s24
	;; [unrolled: 1-line block ×3, first 2 shown]
	s_cmp_ge_u32 s43, s40
	s_cbranch_scc0 .LBB203_10
	s_branch .LBB203_11
.LBB203_16:
	s_mov_b32 s14, 0
	s_cmp_ge_u32 s14, s21
	s_cbranch_scc0 .LBB203_40
	s_branch .LBB203_18
.LBB203_17:
	s_add_i32 s14, s42, 4
	s_cmp_ge_u32 s14, s21
	s_cbranch_scc0 .LBB203_40
.LBB203_18:
	v_mov_b32_e32 v2, s24
	v_mov_b32_e32 v3, s41
	;; [unrolled: 1-line block ×4, first 2 shown]
	ds_write_b96 v1, v[2:4] offset:1056
.LBB203_19:
	s_or_b64 exec, exec, s[12:13]
	s_load_dwordx4 s[12:15], s[4:5], 0x1b8
	s_load_dwordx4 s[16:19], s[4:5], 0x360
	s_cmp_eq_u32 s20, 0
	s_waitcnt lgkmcnt(0)
	s_barrier
	s_cbranch_scc1 .LBB203_42
; %bb.20:
	s_mul_i32 s21, s31, s6
	s_mul_hi_u32 s24, s30, s6
	s_add_i32 s25, s24, s21
	s_mul_i32 s21, s29, s6
	s_mul_hi_u32 s29, s28, s6
	s_mul_i32 s24, s30, s6
	s_add_i32 s29, s29, s21
	s_mul_i32 s21, s27, s6
	s_mul_hi_u32 s27, s26, s6
	s_add_i32 s27, s27, s21
	s_lshl_b64 s[24:25], s[24:25], 1
	s_mul_i32 s28, s28, s6
	s_add_u32 s21, s22, s24
	s_addc_u32 s22, s23, s25
	s_lshl_b64 s[24:25], s[28:29], 1
	s_mul_i32 s26, s26, s6
	s_add_u32 s23, s14, s24
	s_addc_u32 s24, s15, s25
	s_lshl_b64 s[14:15], s[26:27], 3
	s_add_u32 s25, s18, s14
	v_mov_b32_e32 v1, 0
	s_addc_u32 s26, s19, s15
	s_and_b32 s14, 0xffff, s7
	s_sext_i32_i16 s6, s7
	ds_read_b96 v[2:4], v1 offset:1056
	s_cmp_gt_i32 s6, -1
	s_mov_b32 s6, 0x8000
	s_cselect_b32 s15, s6, 0xffff
	v_cmp_o_f16_e64 s[6:7], s7, s7
	s_xor_b32 s14, s15, s14
	s_and_b64 s[6:7], s[6:7], exec
	s_load_dword s6, s[4:5], 0x1b0
	s_waitcnt lgkmcnt(0)
	v_add_u32_e32 v2, v2, v3
	v_lshrrev_b32_e32 v3, 5, v0
	v_add_lshl_u32 v5, v3, v0, 2
	v_lshlrev_b32_e32 v3, 2, v0
	v_lshrrev_b32_e32 v6, 3, v0
	s_cselect_b32 s27, s14, 0xffff
	s_load_dwordx2 s[14:15], s[4:5], 0x508
	v_add_lshl_u32 v8, v6, v3, 2
	v_add_u32_e32 v3, -1, v0
	v_lshrrev_b32_e32 v6, 5, v3
	v_add_lshl_u32 v9, v6, v3, 2
	v_mbcnt_lo_u32_b32 v3, -1, 0
	s_bitcmp1_b32 s6, 0
	v_mbcnt_hi_u32_b32 v12, -1, v3
	s_cselect_b64 s[4:5], -1, 0
	v_cmp_gt_u32_e64 s[6:7], 64, v0
	v_add_u32_e32 v0, s33, v0
	v_mov_b32_e32 v10, 0xffff
	v_mov_b32_e32 v11, 0x8000
	v_and_b32_e32 v13, 15, v12
	v_bfe_i32 v14, v12, 4, 1
	v_add_u32_e32 v15, -1, v12
	v_and_b32_e32 v16, 64, v12
                                        ; implicit-def: $vgpr17
	s_branch .LBB203_23
.LBB203_21:                             ;   in Loop: Header=BB203_23 Depth=1
	s_or_b64 exec, exec, s[18:19]
	v_add_u32_e32 v2, v3, v2
.LBB203_22:                             ;   in Loop: Header=BB203_23 Depth=1
	s_add_i32 s20, s20, -1
	v_add_u32_e32 v4, v18, v4
	s_cmp_lg_u32 s20, 0
	v_add_u32_e32 v0, 0x100, v0
	s_cbranch_scc0 .LBB203_42
.LBB203_23:                             ; =>This Inner Loop Header: Depth=1
	v_cmp_gt_u64_e32 vcc, s[8:9], v[0:1]
	v_mov_b32_e32 v3, v1
	v_mov_b32_e32 v6, v1
	s_and_saveexec_b64 s[18:19], vcc
	s_cbranch_execz .LBB203_25
; %bb.24:                               ;   in Loop: Header=BB203_23 Depth=1
	v_mad_u64_u32 v[6:7], s[28:29], v0, s12, 0
	v_mov_b32_e32 v18, v7
	v_mad_u64_u32 v[18:19], s[28:29], v0, s13, v[18:19]
	v_mov_b32_e32 v7, v18
	v_lshlrev_b64 v[6:7], 1, v[6:7]
	v_mov_b32_e32 v3, s22
	v_add_co_u32_e32 v6, vcc, s21, v6
	v_addc_co_u32_e32 v7, vcc, v3, v7, vcc
	global_load_ushort v17, v[6:7], off
	s_waitcnt vmcnt(0)
	v_cmp_lt_i16_e32 vcc, -1, v17
	v_cndmask_b32_e32 v3, v10, v11, vcc
	v_xor_b32_sdwa v3, v3, v17 dst_sel:DWORD dst_unused:UNUSED_PAD src0_sel:DWORD src1_sel:WORD_0
	v_cmp_o_f16_e32 vcc, v17, v17
	v_cndmask_b32_e32 v6, v10, v3, vcc
	v_cmp_lt_u32_e32 vcc, s27, v6
	v_cndmask_b32_e64 v3, 0, 1, vcc
	v_cmp_gt_u32_e32 vcc, s27, v6
	v_cndmask_b32_e64 v7, 0, 1, vcc
	v_cndmask_b32_e64 v3, v7, v3, s[4:5]
	v_cmp_eq_u32_e32 vcc, s27, v6
	v_and_b32_e32 v3, 1, v3
	v_cndmask_b32_e64 v6, 0, 1, vcc
.LBB203_25:                             ;   in Loop: Header=BB203_23 Depth=1
	s_or_b64 exec, exec, s[18:19]
	ds_write_b32 v5, v3
	s_waitcnt lgkmcnt(0)
	s_barrier
	s_and_saveexec_b64 s[18:19], s[6:7]
	s_cbranch_execz .LBB203_27
; %bb.26:                               ;   in Loop: Header=BB203_23 Depth=1
	ds_read2_b32 v[18:19], v8 offset1:1
	ds_read2_b32 v[20:21], v8 offset0:2 offset1:3
	v_cmp_ne_u32_e32 vcc, 0, v13
	; wave barrier
	s_waitcnt lgkmcnt(1)
	v_add_u32_e32 v7, v19, v18
	s_waitcnt lgkmcnt(0)
	v_add3_u32 v7, v7, v20, v21
	s_nop 1
	v_mov_b32_dpp v19, v7 row_shr:1 row_mask:0xf bank_mask:0xf
	v_cndmask_b32_e32 v19, 0, v19, vcc
	v_add_u32_e32 v7, v19, v7
	v_cmp_lt_u32_e32 vcc, 1, v13
	s_nop 0
	v_mov_b32_dpp v19, v7 row_shr:2 row_mask:0xf bank_mask:0xf
	v_cndmask_b32_e32 v19, 0, v19, vcc
	v_add_u32_e32 v7, v7, v19
	v_cmp_lt_u32_e32 vcc, 3, v13
	;; [unrolled: 5-line block ×4, first 2 shown]
	s_nop 0
	v_mov_b32_dpp v19, v7 row_bcast:15 row_mask:0xf bank_mask:0xf
	v_and_b32_e32 v19, v14, v19
	v_add_u32_e32 v7, v7, v19
	s_nop 1
	v_mov_b32_dpp v19, v7 row_bcast:31 row_mask:0xf bank_mask:0xf
	v_cndmask_b32_e32 v19, 0, v19, vcc
	v_cmp_lt_i32_e32 vcc, v15, v16
	v_add_u32_e32 v7, v7, v19
	v_cndmask_b32_e32 v19, v15, v12, vcc
	v_lshlrev_b32_e32 v19, 2, v19
	ds_bpermute_b32 v7, v19, v7
	s_waitcnt lgkmcnt(0)
	v_add_u32_e32 v7, v7, v18
	v_cndmask_b32_e64 v7, v7, v3, s[2:3]
	ds_write_b32 v8, v7
	; wave barrier
	ds_read2_b32 v[18:19], v8 offset0:1 offset1:2
	ds_read_b32 v20, v8 offset:12
	s_waitcnt lgkmcnt(1)
	v_add_u32_e32 v7, v18, v7
	v_add_u32_e32 v18, v19, v7
	ds_write2_b32 v8, v7, v18 offset0:1 offset1:2
	s_waitcnt lgkmcnt(1)
	v_add_u32_e32 v7, v20, v18
	ds_write_b32 v8, v7 offset:12
.LBB203_27:                             ;   in Loop: Header=BB203_23 Depth=1
	s_or_b64 exec, exec, s[18:19]
	v_mov_b32_e32 v7, 0
	s_waitcnt lgkmcnt(0)
	s_barrier
	s_and_saveexec_b64 s[18:19], s[0:1]
	s_cbranch_execz .LBB203_29
; %bb.28:                               ;   in Loop: Header=BB203_23 Depth=1
	ds_read_b32 v7, v9
.LBB203_29:                             ;   in Loop: Header=BB203_23 Depth=1
	s_or_b64 exec, exec, s[18:19]
	ds_read_b32 v18, v1 offset:1048
	v_cmp_ne_u32_e32 vcc, 0, v3
	s_waitcnt lgkmcnt(0)
	s_barrier
	s_and_saveexec_b64 s[18:19], vcc
	s_cbranch_execz .LBB203_31
; %bb.30:                               ;   in Loop: Header=BB203_23 Depth=1
	v_add_u32_e32 v3, v7, v4
	v_mad_u64_u32 v[20:21], s[28:29], v3, s16, 0
	v_mov_b32_e32 v22, v21
	v_mad_u64_u32 v[22:23], s[28:29], v3, s17, v[22:23]
	v_mov_b32_e32 v21, v22
	v_lshlrev_b64 v[20:21], 1, v[20:21]
	v_mov_b32_e32 v7, s24
	v_add_co_u32_e32 v20, vcc, s23, v20
	v_addc_co_u32_e32 v21, vcc, v7, v21, vcc
	global_store_short v[20:21], v17, off
	v_mad_u64_u32 v[20:21], s[28:29], v3, s14, 0
	v_mov_b32_e32 v22, v21
	v_mad_u64_u32 v[22:23], s[28:29], v3, s15, v[22:23]
	v_mov_b32_e32 v21, v22
	v_lshlrev_b64 v[20:21], 3, v[20:21]
	v_mov_b32_e32 v3, s26
	v_add_co_u32_e32 v20, vcc, s25, v20
	v_addc_co_u32_e32 v21, vcc, v3, v21, vcc
	global_store_dwordx2 v[20:21], v[0:1], off
.LBB203_31:                             ;   in Loop: Header=BB203_23 Depth=1
	s_or_b64 exec, exec, s[18:19]
	v_mov_b32_e32 v3, v1
	v_cmp_le_u64_e32 vcc, s[10:11], v[2:3]
	s_cbranch_vccnz .LBB203_22
; %bb.32:                               ;   in Loop: Header=BB203_23 Depth=1
	ds_write_b32 v5, v6
	s_waitcnt lgkmcnt(0)
	s_barrier
	s_and_saveexec_b64 s[18:19], s[6:7]
	s_cbranch_execz .LBB203_34
; %bb.33:                               ;   in Loop: Header=BB203_23 Depth=1
	ds_read2_b32 v[20:21], v8 offset1:1
	ds_read2_b32 v[22:23], v8 offset0:2 offset1:3
	v_cmp_ne_u32_e32 vcc, 0, v13
	; wave barrier
	s_waitcnt lgkmcnt(1)
	v_add_u32_e32 v3, v21, v20
	s_waitcnt lgkmcnt(0)
	v_add3_u32 v3, v3, v22, v23
	s_nop 1
	v_mov_b32_dpp v7, v3 row_shr:1 row_mask:0xf bank_mask:0xf
	v_cndmask_b32_e32 v7, 0, v7, vcc
	v_add_u32_e32 v3, v7, v3
	v_cmp_lt_u32_e32 vcc, 1, v13
	s_nop 0
	v_mov_b32_dpp v7, v3 row_shr:2 row_mask:0xf bank_mask:0xf
	v_cndmask_b32_e32 v7, 0, v7, vcc
	v_add_u32_e32 v3, v3, v7
	v_cmp_lt_u32_e32 vcc, 3, v13
	;; [unrolled: 5-line block ×4, first 2 shown]
	s_nop 0
	v_mov_b32_dpp v7, v3 row_bcast:15 row_mask:0xf bank_mask:0xf
	v_and_b32_e32 v7, v14, v7
	v_add_u32_e32 v3, v3, v7
	s_nop 1
	v_mov_b32_dpp v7, v3 row_bcast:31 row_mask:0xf bank_mask:0xf
	v_cndmask_b32_e32 v7, 0, v7, vcc
	v_cmp_lt_i32_e32 vcc, v15, v16
	v_add_u32_e32 v3, v3, v7
	v_cndmask_b32_e32 v7, v15, v12, vcc
	v_lshlrev_b32_e32 v7, 2, v7
	ds_bpermute_b32 v3, v7, v3
	s_waitcnt lgkmcnt(0)
	v_add_u32_e32 v3, v3, v20
	v_cndmask_b32_e64 v3, v3, v6, s[2:3]
	ds_write_b32 v8, v3
	; wave barrier
	ds_read2_b32 v[20:21], v8 offset0:1 offset1:2
	ds_read_b32 v7, v8 offset:12
	s_waitcnt lgkmcnt(1)
	v_add_u32_e32 v3, v20, v3
	v_add_u32_e32 v19, v21, v3
	ds_write2_b32 v8, v3, v19 offset0:1 offset1:2
	s_waitcnt lgkmcnt(1)
	v_add_u32_e32 v3, v7, v19
	ds_write_b32 v8, v3 offset:12
.LBB203_34:                             ;   in Loop: Header=BB203_23 Depth=1
	s_or_b64 exec, exec, s[18:19]
	v_mov_b32_e32 v7, 0
	s_waitcnt lgkmcnt(0)
	s_barrier
	s_and_saveexec_b64 s[18:19], s[0:1]
	s_cbranch_execz .LBB203_36
; %bb.35:                               ;   in Loop: Header=BB203_23 Depth=1
	ds_read_b32 v7, v9
.LBB203_36:                             ;   in Loop: Header=BB203_23 Depth=1
	s_or_b64 exec, exec, s[18:19]
	ds_read_b32 v3, v1 offset:1048
	v_cmp_ne_u32_e32 vcc, 0, v6
	s_waitcnt lgkmcnt(0)
	s_barrier
	s_and_saveexec_b64 s[18:19], vcc
	s_cbranch_execz .LBB203_21
; %bb.37:                               ;   in Loop: Header=BB203_23 Depth=1
	v_add_u32_e32 v6, v7, v2
	v_mov_b32_e32 v7, v1
	v_cmp_gt_u64_e32 vcc, s[10:11], v[6:7]
	s_and_b64 exec, exec, vcc
	s_cbranch_execz .LBB203_21
; %bb.38:                               ;   in Loop: Header=BB203_23 Depth=1
	v_mad_u64_u32 v[20:21], s[28:29], v6, s16, 0
	v_mov_b32_e32 v22, v21
	v_mad_u64_u32 v[22:23], s[28:29], v6, s17, v[22:23]
	v_mov_b32_e32 v21, v22
	v_lshlrev_b64 v[20:21], 1, v[20:21]
	v_mov_b32_e32 v7, s24
	v_add_co_u32_e32 v20, vcc, s23, v20
	v_addc_co_u32_e32 v21, vcc, v7, v21, vcc
	global_store_short v[20:21], v17, off
	v_mad_u64_u32 v[20:21], s[28:29], v6, s14, 0
	v_mov_b32_e32 v22, v21
	v_mad_u64_u32 v[6:7], s[28:29], v6, s15, v[22:23]
	v_mov_b32_e32 v21, v6
	v_lshlrev_b64 v[6:7], 3, v[20:21]
	v_mov_b32_e32 v19, s26
	v_add_co_u32_e32 v6, vcc, s25, v6
	v_addc_co_u32_e32 v7, vcc, v19, v7, vcc
	global_store_dwordx2 v[6:7], v[0:1], off
	s_branch .LBB203_21
.LBB203_39:                             ;   in Loop: Header=BB203_40 Depth=1
	s_add_u32 s16, s16, 4
	s_addc_u32 s17, s17, 0
	s_waitcnt lgkmcnt(0)
	s_add_i32 s41, s15, s41
	s_add_u32 s18, s18, 4
	s_addc_u32 s19, s19, 0
	s_add_i32 s14, s14, 1
	s_cmp_lt_u32 s14, s21
	s_cbranch_scc0 .LBB203_18
.LBB203_40:                             ; =>This Inner Loop Header: Depth=1
	s_load_dword s15, s[16:17], 0x0
	s_cmp_ge_u32 s14, s40
	s_cbranch_scc1 .LBB203_39
; %bb.41:                               ;   in Loop: Header=BB203_40 Depth=1
	s_load_dword s34, s[18:19], 0x0
	s_waitcnt lgkmcnt(0)
	s_add_i32 s25, s15, s25
	s_add_i32 s24, s34, s24
	s_branch .LBB203_39
.LBB203_42:
	s_endpgm
	.section	.rodata,"a",@progbits
	.p2align	6, 0x0
	.amdhsa_kernel _ZN2at6native6mbtopk10gatherTopKIN3c104HalfEmLi1EEEvNS_4cuda6detail10TensorInfoIKT_T0_EESA_SA_bjSA_NS7_IS8_SA_EESA_NS7_IlSA_EESA_jjPS8_PjSF_j
		.amdhsa_group_segment_fixed_size 1068
		.amdhsa_private_segment_fixed_size 0
		.amdhsa_kernarg_size 1592
		.amdhsa_user_sgpr_count 6
		.amdhsa_user_sgpr_private_segment_buffer 1
		.amdhsa_user_sgpr_dispatch_ptr 0
		.amdhsa_user_sgpr_queue_ptr 0
		.amdhsa_user_sgpr_kernarg_segment_ptr 1
		.amdhsa_user_sgpr_dispatch_id 0
		.amdhsa_user_sgpr_flat_scratch_init 0
		.amdhsa_user_sgpr_kernarg_preload_length 0
		.amdhsa_user_sgpr_kernarg_preload_offset 0
		.amdhsa_user_sgpr_private_segment_size 0
		.amdhsa_uses_dynamic_stack 0
		.amdhsa_system_sgpr_private_segment_wavefront_offset 0
		.amdhsa_system_sgpr_workgroup_id_x 1
		.amdhsa_system_sgpr_workgroup_id_y 1
		.amdhsa_system_sgpr_workgroup_id_z 1
		.amdhsa_system_sgpr_workgroup_info 0
		.amdhsa_system_vgpr_workitem_id 0
		.amdhsa_next_free_vgpr 24
		.amdhsa_next_free_sgpr 45
		.amdhsa_accum_offset 24
		.amdhsa_reserve_vcc 1
		.amdhsa_reserve_flat_scratch 0
		.amdhsa_float_round_mode_32 0
		.amdhsa_float_round_mode_16_64 0
		.amdhsa_float_denorm_mode_32 3
		.amdhsa_float_denorm_mode_16_64 3
		.amdhsa_dx10_clamp 1
		.amdhsa_ieee_mode 1
		.amdhsa_fp16_overflow 0
		.amdhsa_tg_split 0
		.amdhsa_exception_fp_ieee_invalid_op 0
		.amdhsa_exception_fp_denorm_src 0
		.amdhsa_exception_fp_ieee_div_zero 0
		.amdhsa_exception_fp_ieee_overflow 0
		.amdhsa_exception_fp_ieee_underflow 0
		.amdhsa_exception_fp_ieee_inexact 0
		.amdhsa_exception_int_div_zero 0
	.end_amdhsa_kernel
	.section	.text._ZN2at6native6mbtopk10gatherTopKIN3c104HalfEmLi1EEEvNS_4cuda6detail10TensorInfoIKT_T0_EESA_SA_bjSA_NS7_IS8_SA_EESA_NS7_IlSA_EESA_jjPS8_PjSF_j,"axG",@progbits,_ZN2at6native6mbtopk10gatherTopKIN3c104HalfEmLi1EEEvNS_4cuda6detail10TensorInfoIKT_T0_EESA_SA_bjSA_NS7_IS8_SA_EESA_NS7_IlSA_EESA_jjPS8_PjSF_j,comdat
.Lfunc_end203:
	.size	_ZN2at6native6mbtopk10gatherTopKIN3c104HalfEmLi1EEEvNS_4cuda6detail10TensorInfoIKT_T0_EESA_SA_bjSA_NS7_IS8_SA_EESA_NS7_IlSA_EESA_jjPS8_PjSF_j, .Lfunc_end203-_ZN2at6native6mbtopk10gatherTopKIN3c104HalfEmLi1EEEvNS_4cuda6detail10TensorInfoIKT_T0_EESA_SA_bjSA_NS7_IS8_SA_EESA_NS7_IlSA_EESA_jjPS8_PjSF_j
                                        ; -- End function
	.section	.AMDGPU.csdata,"",@progbits
; Kernel info:
; codeLenInByte = 2272
; NumSgprs: 49
; NumVgprs: 24
; NumAgprs: 0
; TotalNumVgprs: 24
; ScratchSize: 0
; MemoryBound: 0
; FloatMode: 240
; IeeeMode: 1
; LDSByteSize: 1068 bytes/workgroup (compile time only)
; SGPRBlocks: 6
; VGPRBlocks: 2
; NumSGPRsForWavesPerEU: 49
; NumVGPRsForWavesPerEU: 24
; AccumOffset: 24
; Occupancy: 8
; WaveLimiterHint : 1
; COMPUTE_PGM_RSRC2:SCRATCH_EN: 0
; COMPUTE_PGM_RSRC2:USER_SGPR: 6
; COMPUTE_PGM_RSRC2:TRAP_HANDLER: 0
; COMPUTE_PGM_RSRC2:TGID_X_EN: 1
; COMPUTE_PGM_RSRC2:TGID_Y_EN: 1
; COMPUTE_PGM_RSRC2:TGID_Z_EN: 1
; COMPUTE_PGM_RSRC2:TIDIG_COMP_CNT: 0
; COMPUTE_PGM_RSRC3_GFX90A:ACCUM_OFFSET: 5
; COMPUTE_PGM_RSRC3_GFX90A:TG_SPLIT: 0
	.section	.text._ZN2at6native6sbtopk10gatherTopKIN3c104HalfEmLi1ELb0EEEvNS_4cuda6detail10TensorInfoIKT_T0_EESA_SA_bSA_SA_NS7_IS8_SA_EESA_NS7_IlSA_EESA_PS8_,"axG",@progbits,_ZN2at6native6sbtopk10gatherTopKIN3c104HalfEmLi1ELb0EEEvNS_4cuda6detail10TensorInfoIKT_T0_EESA_SA_bSA_SA_NS7_IS8_SA_EESA_NS7_IlSA_EESA_PS8_,comdat
	.protected	_ZN2at6native6sbtopk10gatherTopKIN3c104HalfEmLi1ELb0EEEvNS_4cuda6detail10TensorInfoIKT_T0_EESA_SA_bSA_SA_NS7_IS8_SA_EESA_NS7_IlSA_EESA_PS8_ ; -- Begin function _ZN2at6native6sbtopk10gatherTopKIN3c104HalfEmLi1ELb0EEEvNS_4cuda6detail10TensorInfoIKT_T0_EESA_SA_bSA_SA_NS7_IS8_SA_EESA_NS7_IlSA_EESA_PS8_
	.globl	_ZN2at6native6sbtopk10gatherTopKIN3c104HalfEmLi1ELb0EEEvNS_4cuda6detail10TensorInfoIKT_T0_EESA_SA_bSA_SA_NS7_IS8_SA_EESA_NS7_IlSA_EESA_PS8_
	.p2align	8
	.type	_ZN2at6native6sbtopk10gatherTopKIN3c104HalfEmLi1ELb0EEEvNS_4cuda6detail10TensorInfoIKT_T0_EESA_SA_bSA_SA_NS7_IS8_SA_EESA_NS7_IlSA_EESA_PS8_,@function
_ZN2at6native6sbtopk10gatherTopKIN3c104HalfEmLi1ELb0EEEvNS_4cuda6detail10TensorInfoIKT_T0_EESA_SA_bSA_SA_NS7_IS8_SA_EESA_NS7_IlSA_EESA_PS8_: ; @_ZN2at6native6sbtopk10gatherTopKIN3c104HalfEmLi1ELb0EEEvNS_4cuda6detail10TensorInfoIKT_T0_EESA_SA_bSA_SA_NS7_IS8_SA_EESA_NS7_IlSA_EESA_PS8_
; %bb.0:
	s_load_dwordx4 s[60:63], s[4:5], 0x1b8
	s_load_dwordx2 s[14:15], s[4:5], 0x520
	s_add_u32 s2, s4, 0x520
	s_addc_u32 s3, s5, 0
	s_mov_b32 s17, 0
	s_waitcnt lgkmcnt(0)
	v_mov_b32_e32 v2, s60
	s_mul_i32 s0, s15, s8
	s_add_i32 s0, s0, s7
	s_mul_i32 s0, s0, s14
	v_mov_b32_e32 v3, s61
	s_add_i32 s16, s0, s6
	v_cmp_ge_u64_e32 vcc, s[16:17], v[2:3]
	s_cbranch_vccnz .LBB204_480
; %bb.1:
	s_load_dwordx2 s[0:1], s[4:5], 0x440
                                        ; implicit-def: $vgpr56 : SGPR spill to VGPR lane
	v_cmp_eq_u32_e64 s[10:11], 0, v0
	s_waitcnt lgkmcnt(0)
	v_writelane_b32 v56, s0, 0
	v_writelane_b32 v56, s1, 1
	s_load_dwordx2 s[0:1], s[4:5], 0x370
	s_waitcnt lgkmcnt(0)
	v_writelane_b32 v56, s0, 2
	v_writelane_b32 v56, s1, 3
	s_load_dwordx2 s[0:1], s[4:5], 0x298
	s_waitcnt lgkmcnt(0)
	v_writelane_b32 v56, s0, 4
	v_writelane_b32 v56, s1, 5
	s_load_dwordx4 s[56:59], s[4:5], 0x1a0
	s_load_dwordx2 s[0:1], s[4:5], 0x1c8
	s_waitcnt lgkmcnt(0)
	v_writelane_b32 v56, s0, 6
	v_writelane_b32 v56, s1, 7
	s_load_dwordx2 s[0:1], s[4:5], 0xd0
	s_load_dwordx2 s[12:13], s[4:5], 0x0
	s_mov_b64 s[8:9], exec
	v_writelane_b32 v56, s10, 8
	v_writelane_b32 v56, s11, 9
	s_and_b64 s[10:11], s[8:9], s[10:11]
	s_mov_b64 exec, s[10:11]
	s_cbranch_execz .LBB204_3
; %bb.2:
	v_mov_b32_e32 v2, 0
	v_mov_b32_e32 v4, s56
	;; [unrolled: 1-line block ×4, first 2 shown]
	ds_write_b32 v2, v2 offset:5144
	ds_write_b128 v2, v[2:5] offset:5120
.LBB204_3:
	s_or_b64 exec, exec, s[8:9]
	s_waitcnt lgkmcnt(0)
	s_mul_i32 s1, s1, s16
	s_mul_hi_u32 s7, s0, s16
	v_writelane_b32 v56, s4, 10
	s_add_i32 s1, s7, s1
	v_writelane_b32 v56, s5, 11
	s_load_dword s5, s[4:5], 0x1b0
	s_mov_b32 s4, s16
	s_mul_i32 s0, s0, s16
	s_waitcnt lgkmcnt(0)
	v_writelane_b32 v56, s4, 12
	s_lshl_b64 s[0:1], s[0:1], 1
	v_writelane_b32 v56, s5, 13
	s_add_u32 s72, s12, s0
	v_writelane_b32 v56, s0, 14
	s_addc_u32 s73, s13, s1
	s_bitcmp1_b32 s5, 0
	v_writelane_b32 v56, s1, 15
	s_cselect_b64 s[0:1], -1, 0
	v_writelane_b32 v56, s0, 16
	v_writelane_b32 v56, s1, 17
	s_xor_b64 s[0:1], s[0:1], -1
	v_mov_b32_e32 v2, 0x600
	v_writelane_b32 v56, s0, 18
	v_mov_b32_e32 v3, 0
	v_writelane_b32 v56, s1, 19
	v_cmp_gt_u64_e64 s[0:1], s[56:57], v[2:3]
	v_writelane_b32 v56, s0, 20
	v_writelane_b32 v56, s1, 21
	v_mad_u64_u32 v[2:3], s[0:1], v0, s62, 0
	v_mov_b32_e32 v15, 0
	v_mbcnt_lo_u32_b32 v1, -1, 0
	v_mov_b32_e32 v4, v3
	v_mbcnt_hi_u32_b32 v33, -1, v1
	v_mov_b32_e32 v1, v15
	v_mad_u64_u32 v[4:5], s[0:1], v0, s63, v[4:5]
	v_cmp_gt_u64_e64 s[0:1], s[56:57], v[0:1]
	v_writelane_b32 v56, s0, 22
	v_writelane_b32 v56, s1, 23
	v_cmp_gt_u32_e64 s[0:1], 2, v0
	v_writelane_b32 v56, s0, 24
	s_barrier
	v_writelane_b32 v56, s1, 25
	s_load_dword s0, s[2:3], 0xc
	v_cmp_gt_u32_e32 vcc, 64, v0
	v_cmp_gt_i32_e64 s[10:11], 4, v33
	s_and_b64 s[84:85], vcc, s[10:11]
	v_mov_b32_e32 v3, v4
	s_waitcnt lgkmcnt(0)
	s_and_b32 s33, s0, 0xffff
	s_bfe_u32 s1, s0, 0xa0006
	v_cmp_gt_u16_e64 s[4:5], s0, 63
	v_writelane_b32 v56, s4, 26
	s_add_u32 s0, s33, -1
	v_writelane_b32 v56, s5, 27
	s_addc_u32 s4, 0, -1
	v_writelane_b32 v56, s0, 28
	s_add_u32 s0, s0, s56
	s_addc_u32 s5, s4, s57
	v_writelane_b32 v56, s0, 29
	s_cmp_lt_u32 s6, s14
	v_writelane_b32 v56, s4, 30
	s_cselect_b32 s0, 12, 18
	v_writelane_b32 v56, s4, 31
	s_add_u32 s2, s2, s0
	v_writelane_b32 v56, s5, 32
	s_addc_u32 s3, s3, 0
	v_writelane_b32 v56, s2, 33
	v_writelane_b32 v56, s3, 34
	s_add_i32 s0, s1, -1
	s_bfe_u32 s2, s33, 0x30006
	s_cmp_gt_u32 s0, 6
	s_cselect_b64 s[4:5], -1, 0
	v_writelane_b32 v56, s4, 35
	s_and_b32 s89, s1, 0x3f8
	v_lshlrev_b64 v[4:5], 1, v[2:3]
	v_writelane_b32 v56, s5, 36
	s_cmp_lg_u32 s2, 0
	v_add_co_u32_e32 v12, vcc, s72, v4
	v_lshrrev_b32_e32 v4, 4, v0
	v_writelane_b32 v56, s2, 37
	s_cselect_b64 s[0:1], -1, 0
	v_mov_b32_e32 v6, s73
	v_and_b32_e32 v34, 60, v4
	v_lshlrev_b32_e32 v4, 2, v33
	v_writelane_b32 v56, s0, 38
	v_addc_co_u32_e32 v13, vcc, v6, v5, vcc
	v_and_b32_e32 v32, 0x100, v4
	v_lshlrev_b64 v[4:5], v33, -1
	v_writelane_b32 v56, s1, 39
	s_lshl_b64 s[0:1], s[62:63], 1
	v_lshlrev_b32_e32 v37, 3, v0
	v_not_b32_e32 v11, v5
	v_writelane_b32 v56, s0, 40
	v_or_b32_e32 v5, 6, v37
	v_writelane_b32 v56, s1, 41
	v_mad_u64_u32 v[18:19], s[0:1], s62, v5, 0
	v_not_b32_e32 v10, v4
	v_mov_b32_e32 v4, v19
	v_mad_u64_u32 v[4:5], s[0:1], s63, v5, v[4:5]
	s_lshl_b64 s[0:1], s[62:63], 3
	v_writelane_b32 v56, s0, 42
	v_or_b32_e32 v5, 4, v37
	v_writelane_b32 v56, s1, 43
	v_mad_u64_u32 v[20:21], s[0:1], s62, v5, 0
	v_mov_b32_e32 v19, v4
	v_mov_b32_e32 v4, v21
	v_mad_u64_u32 v[4:5], s[0:1], s63, v5, v[4:5]
	v_or_b32_e32 v5, 2, v37
	v_mad_u64_u32 v[22:23], s[0:1], s62, v5, 0
	v_mov_b32_e32 v21, v4
	v_mov_b32_e32 v4, v23
	v_mad_u64_u32 v[4:5], s[0:1], s63, v5, v[4:5]
	s_mul_i32 s1, s63, s33
	s_mul_hi_u32 s2, s62, s33
	s_add_i32 s3, s2, s1
	s_mov_b32 s1, 14
	v_writelane_b32 v56, s1, 44
	s_mov_b32 s1, 0
	s_mov_b32 s83, 0
	v_lshlrev_b32_e32 v35, 1, v0
	v_lshlrev_b64 v[24:25], 3, v[2:3]
	v_mov_b32_e32 v2, 0xc00
	s_mul_i32 s2, s62, s33
	v_writelane_b32 v56, s1, 45
	v_cmp_eq_u32_e64 s[94:95], 0, v33
	v_lshlrev_b32_e32 v16, 2, v0
	v_mov_b32_e32 v17, v15
	v_add_u32_e32 v36, 0xc00, v35
	s_mov_b32 s88, s83
	v_mov_b32_e32 v23, v4
	v_lshl_or_b32 v38, v33, 3, v2
	s_lshl_b32 s0, s33, 1
	s_lshl_b64 s[60:61], s[2:3], 1
	s_mov_b64 s[74:75], 0
	v_pk_mov_b32 v[26:27], s[58:59], s[58:59] op_sel:[0,1]
	v_mov_b32_e32 v39, 0xffff
	v_mov_b32_e32 v40, 0x8000
	;; [unrolled: 1-line block ×3, first 2 shown]
	v_mov_b32_e32 v42, -1
	v_mov_b32_e32 v43, 0x5040100
	v_mov_b32_e32 v46, 0
	;; [unrolled: 1-line block ×4, first 2 shown]
	v_writelane_b32 v56, s84, 46
                                        ; implicit-def: $sgpr64_sgpr65
                                        ; implicit-def: $sgpr2_sgpr3
                                        ; implicit-def: $sgpr76_sgpr77
                                        ; implicit-def: $sgpr92_sgpr93
                                        ; implicit-def: $sgpr66_sgpr67
                                        ; implicit-def: $sgpr22_sgpr23
                                        ; implicit-def: $sgpr24_sgpr25
                                        ; implicit-def: $sgpr30_sgpr31
                                        ; implicit-def: $sgpr8_sgpr9
                                        ; implicit-def: $sgpr10_sgpr11
	v_writelane_b32 v56, s85, 47
	s_branch .LBB204_6
.LBB204_4:                              ;   in Loop: Header=BB204_6 Depth=1
	s_or_b64 exec, exec, s[14:15]
	s_andn2_b64 s[10:11], s[10:11], exec
	s_and_b64 s[12:13], s[12:13], exec
	s_or_b64 s[10:11], s[10:11], s[12:13]
	s_andn2_b64 s[8:9], s[8:9], exec
	s_andn2_b64 s[30:31], s[30:31], exec
	;; [unrolled: 1-line block ×4, first 2 shown]
	s_orn2_b64 s[6:7], s[6:7], exec
	v_mov_b32_e32 v44, v29
	v_mov_b32_e32 v45, v28
	v_pk_mov_b32 v[26:27], v[2:3], v[2:3] op_sel:[0,1]
	v_mov_b32_e32 v46, v6
.LBB204_5:                              ;   in Loop: Header=BB204_6 Depth=1
	s_or_b64 exec, exec, s[4:5]
	s_and_b64 s[4:5], exec, s[6:7]
	s_or_b64 s[74:75], s[4:5], s[74:75]
	s_andn2_b64 s[4:5], s[66:67], exec
	s_and_b64 s[6:7], s[10:11], exec
	s_or_b64 s[66:67], s[4:5], s[6:7]
	s_andn2_b64 s[4:5], s[92:93], exec
	s_and_b64 s[6:7], s[8:9], exec
	;; [unrolled: 3-line block ×5, first 2 shown]
	s_or_b64 s[64:65], s[4:5], s[6:7]
	s_andn2_b64 exec, exec, s[74:75]
	s_cbranch_execz .LBB204_476
.LBB204_6:                              ; =>This Loop Header: Depth=1
                                        ;     Child Loop BB204_11 Depth 2
                                        ;     Child Loop BB204_26 Depth 2
                                        ;     Child Loop BB204_53 Depth 2
                                        ;     Child Loop BB204_57 Depth 2
                                        ;     Child Loop BB204_39 Depth 2
                                        ;     Child Loop BB204_46 Depth 2
                                        ;     Child Loop BB204_66 Depth 2
                                        ;     Child Loop BB204_72 Depth 2
                                        ;     Child Loop BB204_104 Depth 2
                                        ;     Child Loop BB204_85 Depth 2
                                        ;     Child Loop BB204_150 Depth 2
                                        ;     Child Loop BB204_134 Depth 2
                                        ;     Child Loop BB204_196 Depth 2
                                        ;     Child Loop BB204_180 Depth 2
                                        ;     Child Loop BB204_231 Depth 2
                                        ;     Child Loop BB204_247 Depth 2
                                        ;     Child Loop BB204_300 Depth 2
                                        ;     Child Loop BB204_286 Depth 2
                                        ;     Child Loop BB204_346 Depth 2
                                        ;     Child Loop BB204_330 Depth 2
                                        ;     Child Loop BB204_392 Depth 2
                                        ;     Child Loop BB204_376 Depth 2
                                        ;     Child Loop BB204_427 Depth 2
                                        ;     Child Loop BB204_443 Depth 2
	ds_read_b128 v[2:5], v15 offset:5120
	s_waitcnt lgkmcnt(0)
	v_readfirstlane_b32 s87, v3
	v_readfirstlane_b32 s86, v2
	s_cmp_lg_u64 s[86:87], 0
	s_cbranch_scc1 .LBB204_33
; %bb.7:                                ;   in Loop: Header=BB204_6 Depth=1
	v_readlane_b32 s4, v56, 20
	v_readlane_b32 s5, v56, 21
	s_and_b64 vcc, exec, s[4:5]
	s_cbranch_vccz .LBB204_19
; %bb.8:                                ;   in Loop: Header=BB204_6 Depth=1
	s_mov_b64 s[4:5], 0x601
	v_cmp_gt_u64_e32 vcc, s[4:5], v[4:5]
	s_mov_b64 s[86:87], 0
	s_mov_b64 s[4:5], 0
	s_cbranch_vccz .LBB204_20
; %bb.9:                                ;   in Loop: Header=BB204_6 Depth=1
	v_readlane_b32 s4, v56, 33
	v_readlane_b32 s5, v56, 34
	s_nop 4
	global_load_ushort v6, v15, s[4:5]
	global_load_ushort v7, v[12:13], off
	v_pk_mov_b32 v[2:3], s[72:73], s[72:73] op_sel:[0,1]
	v_readlane_b32 s14, v56, 40
	v_readlane_b32 s15, v56, 41
	s_mov_b64 s[4:5], 0
	s_waitcnt vmcnt(1)
	v_readfirstlane_b32 s1, v6
	s_and_b32 s1, 0xffff, s1
	v_add_u32_e32 v5, s1, v0
	v_mad_u64_u32 v[2:3], s[6:7], s14, v5, v[2:3]
	v_mov_b32_e32 v4, v3
	s_mul_i32 s12, s15, s1
	s_mul_hi_u32 s13, s14, s1
	v_mad_u64_u32 v[4:5], s[6:7], s15, v5, v[4:5]
	s_mul_i32 s1, s14, s1
	s_add_i32 s20, s13, s12
	v_mov_b32_e32 v3, v4
	v_pk_mov_b32 v[4:5], v[0:1], v[0:1] op_sel:[0,1]
	s_branch .LBB204_11
.LBB204_10:                             ;   in Loop: Header=BB204_11 Depth=2
	s_or_b64 exec, exec, s[6:7]
	v_mov_b32_e32 v7, s20
	v_add_co_u32_e32 v2, vcc, s1, v2
	v_addc_co_u32_e32 v3, vcc, v3, v7, vcc
	v_mov_b32_e32 v7, v8
	s_andn2_b64 exec, exec, s[4:5]
	s_cbranch_execz .LBB204_92
.LBB204_11:                             ;   Parent Loop BB204_6 Depth=1
                                        ; =>  This Inner Loop Header: Depth=2
	v_add_co_u32_sdwa v4, vcc, v4, v6 dst_sel:DWORD dst_unused:UNUSED_PAD src0_sel:DWORD src1_sel:WORD_0
	v_addc_co_u32_e32 v5, vcc, 0, v5, vcc
	v_cmp_gt_u64_e64 s[6:7], s[56:57], v[4:5]
	v_cmp_le_u64_e32 vcc, s[56:57], v[4:5]
	s_waitcnt lgkmcnt(0)
	v_mov_b32_e32 v9, 0
	v_mov_b32_e32 v8, 0
	s_and_saveexec_b64 s[12:13], s[6:7]
	s_cbranch_execz .LBB204_13
; %bb.12:                               ;   in Loop: Header=BB204_11 Depth=2
	global_load_ushort v8, v[2:3], off
.LBB204_13:                             ;   in Loop: Header=BB204_11 Depth=2
	s_or_b64 exec, exec, s[12:13]
	s_waitcnt vmcnt(0)
	v_cmp_lt_i16_e64 s[6:7], -1, v7
	v_cndmask_b32_e64 v14, v39, v40, s[6:7]
	v_xor_b32_sdwa v14, v14, v7 dst_sel:DWORD dst_unused:UNUSED_PAD src0_sel:DWORD src1_sel:WORD_0
	v_cmp_o_f16_e64 s[6:7], v7, v7
	v_cndmask_b32_e64 v14, v39, v14, s[6:7]
	v_and_b32_e32 v14, v14, v44
	v_cmp_eq_u32_e64 s[14:15], v14, v45
	s_cmp_lg_u64 s[14:15], 0
	s_cselect_b64 s[6:7], -1, 0
	s_and_b64 s[6:7], s[94:95], s[6:7]
	s_and_saveexec_b64 s[12:13], s[6:7]
	s_cbranch_execz .LBB204_17
; %bb.14:                               ;   in Loop: Header=BB204_11 Depth=2
	s_mov_b64 s[18:19], exec
	v_mbcnt_lo_u32_b32 v9, s18, 0
	v_mbcnt_hi_u32_b32 v9, s19, v9
	s_bcnt1_i32_b64 s21, s[14:15]
	v_cmp_eq_u32_e64 s[6:7], 0, v9
                                        ; implicit-def: $vgpr14
	s_and_saveexec_b64 s[16:17], s[6:7]
	s_cbranch_execz .LBB204_16
; %bb.15:                               ;   in Loop: Header=BB204_11 Depth=2
	s_bcnt1_i32_b64 s6, s[18:19]
	s_mul_i32 s6, s21, s6
	v_mov_b32_e32 v14, s6
	ds_add_rtn_u32 v14, v15, v14 offset:5144
.LBB204_16:                             ;   in Loop: Header=BB204_11 Depth=2
	s_or_b64 exec, exec, s[16:17]
	s_waitcnt lgkmcnt(0)
	v_readfirstlane_b32 s6, v14
	v_mov_b32_e32 v14, s6
	v_mad_u32_u24 v9, s21, v9, v14
.LBB204_17:                             ;   in Loop: Header=BB204_11 Depth=2
	s_or_b64 exec, exec, s[12:13]
	ds_bpermute_b32 v9, v32, v9
	s_and_b64 s[6:7], exec, vcc
	s_or_b64 s[4:5], s[6:7], s[4:5]
	s_and_saveexec_b64 s[6:7], s[14:15]
	s_cbranch_execz .LBB204_10
; %bb.18:                               ;   in Loop: Header=BB204_11 Depth=2
	v_and_b32_e32 v28, s14, v10
	v_and_b32_e32 v14, s15, v11
	v_bcnt_u32_b32 v28, v28, 0
	v_bcnt_u32_b32 v14, v14, v28
	v_lshlrev_b32_e32 v14, 1, v14
	s_waitcnt lgkmcnt(0)
	v_lshl_add_u32 v9, v9, 1, v14
	ds_write_b16 v9, v7
	s_branch .LBB204_10
.LBB204_19:                             ;   in Loop: Header=BB204_6 Depth=1
	s_mov_b64 s[86:87], -1
	s_mov_b64 s[4:5], 0
.LBB204_20:                             ;   in Loop: Header=BB204_6 Depth=1
	s_and_b64 vcc, exec, s[86:87]
	s_cbranch_vccz .LBB204_31
.LBB204_21:                             ;   in Loop: Header=BB204_6 Depth=1
	v_mov_b32_e32 v6, 0
	s_mov_b64 s[4:5], exec
	v_readlane_b32 s6, v56, 22
	v_readlane_b32 s7, v56, 23
	s_and_b64 s[6:7], s[4:5], s[6:7]
	s_mov_b64 exec, s[6:7]
	s_cbranch_execz .LBB204_23
; %bb.22:                               ;   in Loop: Header=BB204_6 Depth=1
	global_load_ushort v6, v[12:13], off
.LBB204_23:                             ;   in Loop: Header=BB204_6 Depth=1
	s_or_b64 exec, exec, s[4:5]
	s_mov_b64 s[4:5], exec
	v_readlane_b32 s6, v56, 22
	v_readlane_b32 s7, v56, 23
	s_and_b64 s[6:7], s[4:5], s[6:7]
	s_mov_b64 exec, s[6:7]
	s_cbranch_execz .LBB204_28
; %bb.24:                               ;   in Loop: Header=BB204_6 Depth=1
	v_readlane_b32 s6, v56, 33
	v_readlane_b32 s7, v56, 34
	;; [unrolled: 1-line block ×3, first 2 shown]
	v_pk_mov_b32 v[2:3], s[72:73], s[72:73] op_sel:[0,1]
	v_readlane_b32 s19, v56, 41
	s_mov_b64 s[12:13], 0
	v_mov_b32_e32 v8, v35
	global_load_ushort v7, v15, s[6:7]
	s_waitcnt vmcnt(0)
	v_readfirstlane_b32 s1, v7
	s_and_b32 s6, 0xffff, s1
	v_add_u32_e32 v5, s6, v0
	s_lshl_b32 s1, s6, 1
	s_mul_i32 s14, s19, s6
	s_mul_hi_u32 s15, s18, s6
	s_mul_i32 s16, s18, s6
	v_mad_u64_u32 v[2:3], s[6:7], s18, v5, v[2:3]
	v_mov_b32_e32 v4, v3
	v_mad_u64_u32 v[4:5], s[6:7], s19, v5, v[4:5]
	s_add_i32 s17, s15, s14
	v_mov_b32_e32 v3, v4
	v_pk_mov_b32 v[4:5], v[0:1], v[0:1] op_sel:[0,1]
	s_branch .LBB204_26
.LBB204_25:                             ;   in Loop: Header=BB204_26 Depth=2
	s_or_b64 exec, exec, s[14:15]
	s_and_b64 s[6:7], exec, vcc
	ds_write_b16 v8, v6
	v_mov_b32_e32 v6, s17
	v_add_co_u32_e32 v2, vcc, s16, v2
	s_or_b64 s[12:13], s[6:7], s[12:13]
	v_add_u32_e32 v8, s1, v8
	v_addc_co_u32_e32 v3, vcc, v3, v6, vcc
	s_waitcnt vmcnt(0)
	v_mov_b32_e32 v6, v9
	s_andn2_b64 exec, exec, s[12:13]
	s_cbranch_execz .LBB204_28
.LBB204_26:                             ;   Parent Loop BB204_6 Depth=1
                                        ; =>  This Inner Loop Header: Depth=2
	v_add_co_u32_sdwa v4, vcc, v4, v7 dst_sel:DWORD dst_unused:UNUSED_PAD src0_sel:DWORD src1_sel:WORD_0
	v_addc_co_u32_e32 v5, vcc, 0, v5, vcc
	v_cmp_gt_u64_e64 s[6:7], s[56:57], v[4:5]
	v_cmp_le_u64_e32 vcc, s[56:57], v[4:5]
	v_mov_b32_e32 v9, 0
	s_and_saveexec_b64 s[14:15], s[6:7]
	s_cbranch_execz .LBB204_25
; %bb.27:                               ;   in Loop: Header=BB204_26 Depth=2
	global_load_ushort v9, v[2:3], off
	s_branch .LBB204_25
.LBB204_28:                             ;   in Loop: Header=BB204_6 Depth=1
	s_or_b64 exec, exec, s[4:5]
	s_waitcnt lgkmcnt(0)
	s_barrier
	s_mov_b64 s[4:5], exec
	v_readlane_b32 s6, v56, 8
	v_readlane_b32 s7, v56, 9
	s_and_b64 s[6:7], s[4:5], s[6:7]
	s_mov_b64 exec, s[6:7]
	s_cbranch_execz .LBB204_30
; %bb.29:                               ;   in Loop: Header=BB204_6 Depth=1
	v_pk_mov_b32 v[2:3], s[56:57], s[56:57] op_sel:[0,1]
	ds_write_b64 v15, v[2:3] offset:5120
.LBB204_30:                             ;   in Loop: Header=BB204_6 Depth=1
	s_or_b64 exec, exec, s[4:5]
	s_mov_b64 s[4:5], -1
	s_waitcnt lgkmcnt(0)
	s_barrier
                                        ; implicit-def: $sgpr86_sgpr87
.LBB204_31:                             ;   in Loop: Header=BB204_6 Depth=1
	s_and_b64 vcc, exec, s[4:5]
	s_cbranch_vccz .LBB204_33
; %bb.32:                               ;   in Loop: Header=BB204_6 Depth=1
	ds_read_b64 v[2:3], v15 offset:5120
	s_waitcnt lgkmcnt(0)
	v_readfirstlane_b32 s86, v2
.LBB204_33:                             ;   in Loop: Header=BB204_6 Depth=1
	v_writelane_b32 v56, s22, 48
	v_writelane_b32 v56, s23, 49
	s_cmp_lt_i32 s86, 1
	v_writelane_b32 v56, s24, 50
	v_writelane_b32 v56, s25, 51
	s_cbranch_scc0 .LBB204_48
; %bb.34:                               ;   in Loop: Header=BB204_6 Depth=1
	v_readlane_b32 s4, v56, 33
	v_readlane_b32 s5, v56, 34
	s_nop 4
	global_load_ushort v2, v15, s[4:5]
	s_mov_b32 s4, s83
	s_mov_b32 s5, s57
	s_waitcnt vmcnt(0)
	v_readfirstlane_b32 s1, v2
	s_and_b32 s82, s1, 0xffff
	s_lshl_b32 s87, s82, 2
	s_cmp_lg_u64 s[4:5], 0
	s_cbranch_scc0 .LBB204_68
; %bb.35:                               ;   in Loop: Header=BB204_6 Depth=1
	v_cvt_f32_u32_e32 v2, s87
	s_sub_u32 s1, 0, s87
	s_subb_u32 s4, 0, 0
	v_mac_f32_e32 v2, 0, v41
	v_rcp_f32_e32 v2, v2
	v_mul_f32_e32 v2, 0x5f7ffffc, v2
	v_mul_f32_e32 v3, 0x2f800000, v2
	v_trunc_f32_e32 v3, v3
	v_mac_f32_e32 v2, 0xcf800000, v3
	v_cvt_u32_f32_e32 v3, v3
	v_cvt_u32_f32_e32 v2, v2
	v_readfirstlane_b32 s5, v3
	v_readfirstlane_b32 s6, v2
	s_mul_i32 s7, s1, s5
	s_mul_hi_u32 s13, s1, s6
	s_mul_i32 s12, s4, s6
	s_add_i32 s7, s13, s7
	s_mul_i32 s14, s1, s6
	s_add_i32 s7, s7, s12
	s_mul_hi_u32 s13, s6, s14
	s_mul_hi_u32 s12, s6, s7
	s_mul_i32 s6, s6, s7
	s_add_u32 s6, s13, s6
	s_addc_u32 s12, 0, s12
	s_mul_hi_u32 s15, s5, s14
	s_mul_i32 s14, s5, s14
	s_add_u32 s6, s6, s14
	s_mul_hi_u32 s13, s5, s7
	s_addc_u32 s6, s12, s15
	s_addc_u32 s12, s13, 0
	s_mul_i32 s7, s5, s7
	s_add_u32 s6, s6, s7
	s_addc_u32 s7, 0, s12
	v_add_co_u32_e32 v2, vcc, s6, v2
	s_cmp_lg_u64 vcc, 0
	s_addc_u32 s5, s5, s7
	v_readfirstlane_b32 s7, v2
	s_mul_i32 s6, s1, s5
	s_mul_hi_u32 s12, s1, s7
	s_add_i32 s6, s12, s6
	s_mul_i32 s4, s4, s7
	s_add_i32 s6, s6, s4
	s_mul_i32 s1, s1, s7
	s_mul_hi_u32 s12, s5, s1
	s_mul_i32 s13, s5, s1
	s_mul_i32 s15, s7, s6
	s_mul_hi_u32 s1, s7, s1
	s_mul_hi_u32 s14, s7, s6
	s_add_u32 s1, s1, s15
	s_addc_u32 s7, 0, s14
	s_add_u32 s1, s1, s13
	s_mul_hi_u32 s4, s5, s6
	s_addc_u32 s1, s7, s12
	s_addc_u32 s4, s4, 0
	s_mul_i32 s6, s5, s6
	s_add_u32 s1, s1, s6
	s_addc_u32 s4, 0, s4
	v_add_co_u32_e32 v2, vcc, s1, v2
	s_cmp_lg_u64 vcc, 0
	s_addc_u32 s1, s5, s4
	v_readfirstlane_b32 s6, v2
	s_mul_i32 s5, s56, s1
	s_mul_hi_u32 s7, s56, s6
	s_mul_hi_u32 s4, s56, s1
	s_add_u32 s5, s7, s5
	s_addc_u32 s4, 0, s4
	s_mul_hi_u32 s12, s57, s6
	s_mul_i32 s6, s57, s6
	s_add_u32 s5, s5, s6
	s_mul_hi_u32 s7, s57, s1
	s_addc_u32 s4, s4, s12
	s_addc_u32 s5, s7, 0
	s_mul_i32 s1, s57, s1
	s_add_u32 s1, s4, s1
	s_addc_u32 s4, 0, s5
	s_mul_hi_u32 s5, s87, s1
	s_mul_i32 s1, s87, s1
	s_mul_i32 s4, s87, s4
	v_mov_b32_e32 v2, s1
	s_add_i32 s5, s5, s4
	v_sub_co_u32_e32 v2, vcc, s56, v2
	s_cmp_lg_u64 vcc, 0
	s_subb_u32 s1, s57, s5
	v_subrev_co_u32_e32 v3, vcc, s87, v2
	s_cmp_lg_u64 vcc, 0
	s_subb_u32 s4, s1, 0
	v_subrev_co_u32_e32 v4, vcc, s87, v3
	s_cmp_lg_u64 vcc, 0
	s_subb_u32 s5, s4, 0
	v_cmp_le_u32_e32 vcc, s87, v3
	s_cmp_eq_u32 s4, 0
	v_cndmask_b32_e64 v5, 0, -1, vcc
	s_cselect_b64 vcc, -1, 0
	v_cndmask_b32_e32 v5, -1, v5, vcc
	v_mov_b32_e32 v6, s4
	v_mov_b32_e32 v7, s5
	v_cmp_ne_u32_e32 vcc, 0, v5
	v_cndmask_b32_e32 v5, v6, v7, vcc
	v_cndmask_b32_e32 v4, v3, v4, vcc
	v_cmp_le_u32_e32 vcc, s87, v2
	s_cmp_eq_u32 s1, 0
	v_cndmask_b32_e64 v3, 0, -1, vcc
	s_cselect_b64 vcc, -1, 0
	v_cndmask_b32_e32 v3, -1, v3, vcc
	v_mov_b32_e32 v6, s1
	v_cmp_ne_u32_e32 vcc, 0, v3
	v_cndmask_b32_e32 v3, v6, v5, vcc
	v_cndmask_b32_e32 v2, v2, v4, vcc
	s_cbranch_execnz .LBB204_37
.LBB204_36:                             ;   in Loop: Header=BB204_6 Depth=1
	v_cvt_f32_u32_e32 v2, s87
	s_sub_i32 s1, 0, s87
	v_rcp_iflag_f32_e32 v2, v2
	v_mul_f32_e32 v2, 0x4f7ffffe, v2
	v_cvt_u32_f32_e32 v2, v2
	v_mul_lo_u32 v3, s1, v2
	v_mul_hi_u32 v3, v2, v3
	v_add_u32_e32 v2, v2, v3
	v_mul_hi_u32 v2, s56, v2
	v_mul_lo_u32 v2, v2, s87
	v_sub_u32_e32 v2, s56, v2
	v_subrev_u32_e32 v3, s87, v2
	v_cmp_le_u32_e32 vcc, s87, v2
	v_cndmask_b32_e32 v2, v2, v3, vcc
	v_subrev_u32_e32 v3, s87, v2
	v_cmp_le_u32_e32 vcc, s87, v2
	v_cndmask_b32_e32 v14, v2, v3, vcc
	v_pk_mov_b32 v[2:3], v[14:15], v[14:15] op_sel:[0,1]
.LBB204_37:                             ;   in Loop: Header=BB204_6 Depth=1
	v_mov_b32_e32 v4, s57
	v_sub_co_u32_e32 v28, vcc, s56, v2
	v_subb_co_u32_e32 v29, vcc, v4, v3, vcc
	v_pk_mov_b32 v[2:3], 0, 0
	v_cmp_gt_u64_e32 vcc, v[28:29], v[16:17]
	s_mov_b64 s[12:13], 0
	v_pk_mov_b32 v[4:5], v[2:3], v[2:3] op_sel:[0,1]
	v_pk_mov_b32 v[6:7], v[2:3], v[2:3] op_sel:[0,1]
	;; [unrolled: 1-line block ×3, first 2 shown]
	s_and_saveexec_b64 s[4:5], vcc
	s_cbranch_execz .LBB204_41
; %bb.38:                               ;   in Loop: Header=BB204_6 Depth=1
	v_readlane_b32 s14, v56, 42
	v_readlane_b32 s15, v56, 43
	;; [unrolled: 1-line block ×3, first 2 shown]
	s_mul_i32 s6, s15, s82
	s_mul_hi_u32 s7, s14, s82
	s_mov_b64 s[68:69], s[94:95]
	s_and_b32 s1, s1, 0xfe
	s_add_i32 s94, s7, s6
	s_mul_i32 s95, s14, s82
	s_mov_b64 s[78:79], s[72:73]
	s_mov_b64 s[70:71], 0
	;; [unrolled: 1-line block ×5, first 2 shown]
	v_pk_mov_b32 v[30:31], v[16:17], v[16:17] op_sel:[0,1]
.LBB204_39:                             ;   Parent Loop BB204_6 Depth=1
                                        ; =>  This Inner Loop Header: Depth=2
	v_add_co_u32_e64 v30, s[6:7], s87, v30
	v_addc_co_u32_e64 v31, s[6:7], 0, v31, s[6:7]
	v_mov_b32_e32 v7, s79
	v_add_co_u32_e32 v2, vcc, s78, v22
	v_add_co_u32_e64 v8, s[6:7], s78, v24
	v_add_co_u32_e64 v4, s[14:15], s78, v20
	;; [unrolled: 1-line block ×3, first 2 shown]
	v_addc_co_u32_e64 v9, s[6:7], v7, v25, s[6:7]
	v_addc_co_u32_e32 v3, vcc, v7, v23, vcc
	v_addc_co_u32_e64 v5, vcc, v7, v21, s[14:15]
	v_addc_co_u32_e64 v7, vcc, v7, v19, s[16:17]
	global_load_ushort v8, v[8:9], off
	s_nop 0
	global_load_ushort v2, v[2:3], off
	s_nop 0
	;; [unrolled: 2-line block ×3, first 2 shown]
	global_load_ushort v4, v[6:7], off
	v_cmp_ge_u64_e32 vcc, v[30:31], v[28:29]
	s_waitcnt vmcnt(3)
	v_cmp_lt_i16_e64 s[6:7], -1, v8
	v_cndmask_b32_e64 v5, v39, v40, s[6:7]
	s_waitcnt vmcnt(2)
	v_cmp_lt_i16_e64 s[6:7], -1, v2
	v_cndmask_b32_e64 v6, v39, v40, s[6:7]
	;; [unrolled: 3-line block ×4, first 2 shown]
	v_xor_b32_sdwa v6, v6, v2 dst_sel:DWORD dst_unused:UNUSED_PAD src0_sel:DWORD src1_sel:WORD_0
	v_cmp_o_f16_e64 s[6:7], v2, v2
	v_xor_b32_sdwa v2, v7, v3 dst_sel:DWORD dst_unused:UNUSED_PAD src0_sel:DWORD src1_sel:WORD_0
	v_cmp_o_f16_e64 s[14:15], v3, v3
	;; [unrolled: 2-line block ×4, first 2 shown]
	v_cndmask_b32_e64 v4, v39, v4, s[18:19]
	v_cndmask_b32_e64 v5, v39, v6, s[6:7]
	v_and_b32_e32 v6, v4, v44
	v_bfe_u32 v4, v4, s1, 2
	v_cndmask_b32_e64 v2, v39, v2, s[14:15]
	v_and_b32_e32 v7, v5, v44
	v_bfe_u32 v5, v5, s1, 2
	v_cmp_eq_u32_e64 s[20:21], v6, v45
	v_cmp_eq_u32_e64 s[6:7], 0, v4
	v_cndmask_b32_e64 v3, v39, v3, s[16:17]
	v_and_b32_e32 v8, v2, v44
	v_bfe_u32 v2, v2, s1, 2
	v_cmp_eq_u32_e64 s[18:19], v7, v45
	v_cmp_eq_u32_e64 s[34:35], 0, v5
	s_and_b64 s[6:7], s[20:21], s[6:7]
	v_and_b32_e32 v9, v3, v44
	v_bfe_u32 v3, v3, s1, 2
	v_cmp_eq_u32_e64 s[16:17], v8, v45
	v_cmp_eq_u32_e64 s[36:37], 0, v2
	;; [unrolled: 1-line block ×5, first 2 shown]
	v_cndmask_b32_e64 v2, 0, 1, s[6:7]
	s_and_b64 s[6:7], s[18:19], s[34:35]
	v_cmp_eq_u32_e64 s[14:15], v9, v45
	v_cmp_eq_u32_e64 s[38:39], 0, v3
	;; [unrolled: 1-line block ×5, first 2 shown]
	v_cndmask_b32_e64 v3, 0, 1, s[6:7]
	s_and_b64 s[6:7], s[16:17], s[36:37]
	v_cmp_eq_u32_e64 s[40:41], 1, v4
	v_cmp_eq_u32_e64 s[48:49], 2, v4
	;; [unrolled: 1-line block ×3, first 2 shown]
	v_cndmask_b32_e64 v4, 0, 1, s[6:7]
	s_and_b64 s[6:7], s[14:15], s[38:39]
	v_cmp_eq_u32_e64 s[42:43], 1, v5
	v_cmp_eq_u32_e64 s[50:51], 2, v5
	;; [unrolled: 1-line block ×3, first 2 shown]
	v_cndmask_b32_e64 v5, 0, 1, s[6:7]
	v_cmp_ne_u32_e64 s[6:7], 0, v2
	v_cmp_ne_u32_e64 s[34:35], 0, v3
	v_cmp_ne_u32_e64 s[36:37], 0, v4
	v_cmp_ne_u32_e64 s[38:39], 0, v5
	s_bcnt1_i32_b64 s6, s[6:7]
	s_bcnt1_i32_b64 s7, s[34:35]
	s_bcnt1_i32_b64 s34, s[36:37]
	s_bcnt1_i32_b64 s35, s[38:39]
	s_add_u32 s6, s6, s90
	s_addc_u32 s36, 0, s91
	s_add_u32 s6, s6, s7
	s_addc_u32 s7, s36, 0
	s_add_u32 s6, s6, s34
	s_addc_u32 s7, s7, 0
	s_add_u32 s90, s6, s35
	s_addc_u32 s91, s7, 0
	s_and_b64 s[6:7], s[20:21], s[40:41]
	v_cndmask_b32_e64 v4, 0, 1, s[6:7]
	s_and_b64 s[6:7], s[18:19], s[42:43]
	v_cndmask_b32_e64 v5, 0, 1, s[6:7]
	s_and_b64 s[6:7], s[16:17], s[44:45]
	v_cndmask_b32_e64 v6, 0, 1, s[6:7]
	s_and_b64 s[6:7], s[14:15], s[46:47]
	v_cndmask_b32_e64 v7, 0, 1, s[6:7]
	v_cmp_ne_u32_e64 s[6:7], 0, v4
	v_cmp_ne_u32_e64 s[34:35], 0, v5
	v_cmp_ne_u32_e64 s[36:37], 0, v6
	v_cmp_ne_u32_e64 s[38:39], 0, v7
	s_bcnt1_i32_b64 s6, s[6:7]
	s_bcnt1_i32_b64 s7, s[34:35]
	s_bcnt1_i32_b64 s34, s[36:37]
	s_bcnt1_i32_b64 s35, s[38:39]
	s_add_u32 s6, s6, s84
	s_addc_u32 s36, 0, s85
	s_add_u32 s6, s6, s7
	s_addc_u32 s7, s36, 0
	s_add_u32 s6, s6, s34
	s_addc_u32 s7, s7, 0
	s_add_u32 s84, s6, s35
	s_addc_u32 s85, s7, 0
	s_and_b64 s[6:7], s[20:21], s[48:49]
	v_cndmask_b32_e64 v6, 0, 1, s[6:7]
	s_and_b64 s[6:7], s[18:19], s[50:51]
	v_cndmask_b32_e64 v7, 0, 1, s[6:7]
	s_and_b64 s[6:7], s[16:17], s[52:53]
	v_cndmask_b32_e64 v8, 0, 1, s[6:7]
	s_and_b64 s[6:7], s[14:15], s[54:55]
	;; [unrolled: 24-line block ×3, first 2 shown]
	v_cndmask_b32_e64 v47, 0, 1, s[6:7]
	v_cmp_ne_u32_e64 s[6:7], 0, v8
	v_cmp_ne_u32_e64 s[14:15], 0, v9
	;; [unrolled: 1-line block ×4, first 2 shown]
	s_bcnt1_i32_b64 s6, s[6:7]
	s_bcnt1_i32_b64 s7, s[14:15]
	;; [unrolled: 1-line block ×4, first 2 shown]
	s_add_u32 s6, s6, s70
	s_addc_u32 s16, 0, s71
	s_add_u32 s6, s6, s7
	s_addc_u32 s7, s16, 0
	;; [unrolled: 2-line block ×5, first 2 shown]
	v_pk_mov_b32 v[2:3], s[90:91], s[90:91] op_sel:[0,1]
	v_pk_mov_b32 v[4:5], s[84:85], s[84:85] op_sel:[0,1]
	;; [unrolled: 1-line block ×3, first 2 shown]
	s_or_b64 s[12:13], vcc, s[12:13]
	v_pk_mov_b32 v[8:9], s[70:71], s[70:71] op_sel:[0,1]
	s_andn2_b64 exec, exec, s[12:13]
	s_cbranch_execnz .LBB204_39
; %bb.40:                               ;   in Loop: Header=BB204_6 Depth=1
	s_or_b64 exec, exec, s[12:13]
	v_readlane_b32 s84, v56, 46
	s_mov_b64 s[94:95], s[68:69]
	v_readlane_b32 s85, v56, 47
.LBB204_41:                             ;   in Loop: Header=BB204_6 Depth=1
	s_or_b64 exec, exec, s[4:5]
	v_add_co_u32_e32 v28, vcc, v28, v0
	v_addc_co_u32_e32 v29, vcc, 0, v29, vcc
	v_cmp_gt_u64_e32 vcc, s[56:57], v[28:29]
	v_mov_b32_e32 v14, 0
	s_and_saveexec_b64 s[4:5], vcc
	s_cbranch_execz .LBB204_43
; %bb.42:                               ;   in Loop: Header=BB204_6 Depth=1
	v_mul_lo_u32 v14, v29, s62
	v_mul_lo_u32 v47, v28, s63
	v_mad_u64_u32 v[30:31], s[6:7], v28, s62, 0
	v_add3_u32 v31, v31, v47, v14
	v_lshlrev_b64 v[30:31], 1, v[30:31]
	v_mov_b32_e32 v14, s73
	v_add_co_u32_e64 v30, s[6:7], s72, v30
	v_addc_co_u32_e64 v31, s[6:7], v14, v31, s[6:7]
	global_load_ushort v14, v[30:31], off
.LBB204_43:                             ;   in Loop: Header=BB204_6 Depth=1
	s_or_b64 exec, exec, s[4:5]
	s_and_saveexec_b64 s[4:5], vcc
	s_cbranch_execz .LBB204_50
; %bb.44:                               ;   in Loop: Header=BB204_6 Depth=1
	v_readlane_b32 s1, v56, 44
	s_and_b32 s1, s1, 0xfe
	s_mov_b64 s[12:13], 0
	s_branch .LBB204_46
.LBB204_45:                             ;   in Loop: Header=BB204_46 Depth=2
	s_or_b64 exec, exec, s[14:15]
	s_and_b64 s[6:7], exec, vcc
	s_waitcnt vmcnt(0)
	v_cmp_lt_i16_e32 vcc, -1, v14
	v_cndmask_b32_e32 v31, v39, v40, vcc
	v_xor_b32_sdwa v31, v31, v14 dst_sel:DWORD dst_unused:UNUSED_PAD src0_sel:DWORD src1_sel:WORD_0
	v_cmp_o_f16_e32 vcc, v14, v14
	v_cndmask_b32_e32 v14, v39, v31, vcc
	v_and_b32_e32 v31, v14, v44
	v_bfe_u32 v14, v14, s1, 2
	s_or_b64 s[12:13], s[6:7], s[12:13]
	v_cmp_eq_u32_e32 vcc, v31, v45
	v_cmp_eq_u32_e64 s[6:7], 0, v14
	s_and_b64 s[6:7], vcc, s[6:7]
	v_cndmask_b32_e64 v31, 0, 1, s[6:7]
	v_cmp_ne_u32_e64 s[6:7], 0, v31
	s_bcnt1_i32_b64 s6, s[6:7]
	v_add_co_u32_e64 v2, s[6:7], s6, v2
	v_addc_co_u32_e64 v3, s[6:7], 0, v3, s[6:7]
	v_cmp_eq_u32_e64 s[6:7], 1, v14
	s_and_b64 s[6:7], vcc, s[6:7]
	v_cndmask_b32_e64 v31, 0, 1, s[6:7]
	v_cmp_ne_u32_e64 s[6:7], 0, v31
	s_bcnt1_i32_b64 s6, s[6:7]
	v_add_co_u32_e64 v4, s[6:7], s6, v4
	v_addc_co_u32_e64 v5, s[6:7], 0, v5, s[6:7]
	;; [unrolled: 7-line block ×3, first 2 shown]
	v_cmp_eq_u32_e64 s[6:7], 3, v14
	s_and_b64 s[6:7], vcc, s[6:7]
	v_cndmask_b32_e64 v14, 0, 1, s[6:7]
	v_cmp_ne_u32_e32 vcc, 0, v14
	s_bcnt1_i32_b64 s6, vcc
	v_add_co_u32_e32 v8, vcc, s6, v8
	v_addc_co_u32_e32 v9, vcc, 0, v9, vcc
	v_mov_b32_e32 v14, v30
	s_andn2_b64 exec, exec, s[12:13]
	s_cbranch_execz .LBB204_49
.LBB204_46:                             ;   Parent Loop BB204_6 Depth=1
                                        ; =>  This Inner Loop Header: Depth=2
	v_mov_b32_e32 v30, s83
	v_add_co_u32_e32 v28, vcc, s82, v28
	v_addc_co_u32_e32 v29, vcc, v29, v30, vcc
	v_cmp_gt_u64_e64 s[6:7], s[56:57], v[28:29]
	v_cmp_le_u64_e32 vcc, s[56:57], v[28:29]
	v_mov_b32_e32 v30, 0
	s_and_saveexec_b64 s[14:15], s[6:7]
	s_cbranch_execz .LBB204_45
; %bb.47:                               ;   in Loop: Header=BB204_46 Depth=2
	v_mul_lo_u32 v47, v29, s62
	v_mul_lo_u32 v48, v28, s63
	v_mad_u64_u32 v[30:31], s[6:7], v28, s62, 0
	v_add3_u32 v31, v31, v48, v47
	v_lshlrev_b64 v[30:31], 1, v[30:31]
	v_mov_b32_e32 v47, s73
	v_add_co_u32_e64 v30, s[6:7], s72, v30
	v_addc_co_u32_e64 v31, s[6:7], v47, v31, s[6:7]
	global_load_ushort v30, v[30:31], off
	s_branch .LBB204_45
.LBB204_48:                             ;   in Loop: Header=BB204_6 Depth=1
                                        ; implicit-def: $vgpr8_vgpr9
                                        ; implicit-def: $vgpr4_vgpr5
	s_cbranch_execnz .LBB204_51
	s_branch .LBB204_60
.LBB204_49:                             ;   in Loop: Header=BB204_6 Depth=1
	s_or_b64 exec, exec, s[12:13]
.LBB204_50:                             ;   in Loop: Header=BB204_6 Depth=1
	s_or_b64 exec, exec, s[4:5]
	s_branch .LBB204_60
.LBB204_51:                             ;   in Loop: Header=BB204_6 Depth=1
	v_readlane_b32 s4, v56, 33
	v_readlane_b32 s5, v56, 34
	s_nop 4
	global_load_ushort v8, v15, s[4:5]
	s_mov_b64 s[4:5], 0
	s_waitcnt vmcnt(0)
	v_readfirstlane_b32 s1, v8
	s_and_b32 s1, 0xffff, s1
	s_lshl_b32 s87, s1, 2
	v_cvt_f32_u32_e32 v2, s87
	s_sub_i32 s1, 0, s87
	v_and_b32_e32 v30, 0xffff, v8
	v_rcp_iflag_f32_e32 v6, v2
	v_pk_mov_b32 v[2:3], 0, 0
	v_pk_mov_b32 v[4:5], v[2:3], v[2:3] op_sel:[0,1]
	v_mul_f32_e32 v6, 0x4f7ffffe, v6
	v_cvt_u32_f32_e32 v9, v6
	v_pk_mov_b32 v[6:7], v[2:3], v[2:3] op_sel:[0,1]
	v_readfirstlane_b32 s6, v9
	s_mul_i32 s1, s1, s6
	s_mul_hi_u32 s1, s6, s1
	s_add_i32 s6, s6, s1
	s_mul_hi_u32 s1, s86, s6
	s_mul_i32 s1, s1, s87
	s_sub_i32 s1, s86, s1
	s_sub_i32 s6, s1, s87
	s_cmp_ge_u32 s1, s87
	s_cselect_b32 s1, s6, s1
	s_sub_i32 s6, s1, s87
	s_cmp_ge_u32 s1, s87
	s_cselect_b32 s1, s6, s1
	s_sub_i32 s82, s86, s1
	v_cmp_gt_u32_e32 vcc, s82, v16
	v_pk_mov_b32 v[8:9], v[2:3], v[2:3] op_sel:[0,1]
	s_and_saveexec_b64 s[12:13], vcc
	s_cbranch_execz .LBB204_55
; %bb.52:                               ;   in Loop: Header=BB204_6 Depth=1
	v_readlane_b32 s1, v56, 44
	s_and_b32 s1, s1, 0xfe
	v_lshlrev_b32_e32 v14, 3, v30
	v_mov_b32_e32 v31, v37
	s_mov_b64 s[70:71], 0
	s_mov_b64 s[78:79], 0
	;; [unrolled: 1-line block ×4, first 2 shown]
	v_pk_mov_b32 v[28:29], v[16:17], v[16:17] op_sel:[0,1]
.LBB204_53:                             ;   Parent Loop BB204_6 Depth=1
                                        ; =>  This Inner Loop Header: Depth=2
	ds_read_b64 v[2:3], v31
	v_add_co_u32_e32 v28, vcc, s87, v28
	v_addc_co_u32_e32 v29, vcc, 0, v29, vcc
	s_waitcnt lgkmcnt(0)
	v_cmp_lt_i16_e64 s[6:7], -1, v2
	v_cndmask_b32_e64 v4, v39, v40, s[6:7]
	v_cmp_gt_i16_sdwa s[6:7], v2, v42 src0_sel:WORD_1 src1_sel:DWORD
	v_cndmask_b32_e64 v5, v39, v40, s[6:7]
	v_cmp_lt_i16_e64 s[6:7], -1, v3
	v_cndmask_b32_e64 v6, v39, v40, s[6:7]
	v_cmp_gt_i16_sdwa s[6:7], v3, v42 src0_sel:WORD_1 src1_sel:DWORD
	v_cndmask_b32_e64 v7, v39, v40, s[6:7]
	v_xor_b32_sdwa v6, v6, v3 dst_sel:DWORD dst_unused:UNUSED_PAD src0_sel:DWORD src1_sel:WORD_0
	v_cmp_o_f16_e64 s[14:15], v3, v3
	v_xor_b32_sdwa v7, v7, v3 dst_sel:DWORD dst_unused:UNUSED_PAD src0_sel:DWORD src1_sel:WORD_1
	v_cmp_o_f16_sdwa s[16:17], v3, v3 src0_sel:WORD_1 src1_sel:WORD_1
	v_xor_b32_sdwa v3, v4, v2 dst_sel:DWORD dst_unused:UNUSED_PAD src0_sel:DWORD src1_sel:WORD_0
	v_cmp_o_f16_e64 s[18:19], v2, v2
	v_xor_b32_sdwa v5, v5, v2 dst_sel:DWORD dst_unused:UNUSED_PAD src0_sel:DWORD src1_sel:WORD_1
	v_cmp_o_f16_sdwa s[6:7], v2, v2 src0_sel:WORD_1 src1_sel:WORD_1
	v_cndmask_b32_e64 v2, v39, v3, s[18:19]
	v_cndmask_b32_e64 v3, v39, v5, s[6:7]
	;; [unrolled: 1-line block ×3, first 2 shown]
	v_and_b32_e32 v6, v2, v44
	v_bfe_u32 v2, v2, s1, 2
	v_cndmask_b32_e64 v5, v39, v7, s[16:17]
	v_and_b32_e32 v7, v3, v44
	v_bfe_u32 v3, v3, s1, 2
	v_cmp_eq_u32_e64 s[20:21], v6, v45
	v_cmp_eq_u32_e64 s[6:7], 0, v2
	v_and_b32_e32 v8, v4, v44
	v_bfe_u32 v4, v4, s1, 2
	v_cmp_eq_u32_e64 s[18:19], v7, v45
	v_cmp_eq_u32_e64 s[34:35], 0, v3
	s_and_b64 s[6:7], s[20:21], s[6:7]
	v_and_b32_e32 v9, v5, v44
	v_bfe_u32 v5, v5, s1, 2
	v_cmp_eq_u32_e64 s[16:17], v8, v45
	v_cmp_eq_u32_e64 s[36:37], 0, v4
	;; [unrolled: 1-line block ×5, first 2 shown]
	v_cndmask_b32_e64 v2, 0, 1, s[6:7]
	s_and_b64 s[6:7], s[18:19], s[34:35]
	v_cmp_eq_u32_e64 s[14:15], v9, v45
	v_cmp_eq_u32_e64 s[38:39], 0, v5
	;; [unrolled: 1-line block ×5, first 2 shown]
	v_cndmask_b32_e64 v3, 0, 1, s[6:7]
	s_and_b64 s[6:7], s[16:17], s[36:37]
	v_cmp_eq_u32_e64 s[44:45], 1, v4
	v_cmp_eq_u32_e64 s[52:53], 2, v4
	;; [unrolled: 1-line block ×3, first 2 shown]
	v_cndmask_b32_e64 v4, 0, 1, s[6:7]
	s_and_b64 s[6:7], s[14:15], s[38:39]
	v_cmp_eq_u32_e64 s[46:47], 1, v5
	v_cmp_eq_u32_e64 s[54:55], 2, v5
	v_cmp_eq_u32_e64 s[22:23], 3, v5
	v_cndmask_b32_e64 v5, 0, 1, s[6:7]
	v_cmp_ne_u32_e64 s[6:7], 0, v2
	v_cmp_ne_u32_e64 s[34:35], 0, v3
	v_cmp_ne_u32_e64 s[36:37], 0, v4
	v_cmp_ne_u32_e64 s[38:39], 0, v5
	s_bcnt1_i32_b64 s6, s[6:7]
	s_bcnt1_i32_b64 s7, s[34:35]
	s_bcnt1_i32_b64 s34, s[36:37]
	s_bcnt1_i32_b64 s35, s[38:39]
	s_add_u32 s6, s6, s84
	s_addc_u32 s36, 0, s85
	s_add_u32 s6, s6, s7
	s_addc_u32 s7, s36, 0
	s_add_u32 s6, s6, s34
	s_addc_u32 s7, s7, 0
	s_add_u32 s84, s6, s35
	s_addc_u32 s85, s7, 0
	s_and_b64 s[6:7], s[20:21], s[40:41]
	v_cndmask_b32_e64 v4, 0, 1, s[6:7]
	s_and_b64 s[6:7], s[18:19], s[42:43]
	v_cndmask_b32_e64 v5, 0, 1, s[6:7]
	s_and_b64 s[6:7], s[16:17], s[44:45]
	v_cndmask_b32_e64 v6, 0, 1, s[6:7]
	s_and_b64 s[6:7], s[14:15], s[46:47]
	v_cndmask_b32_e64 v7, 0, 1, s[6:7]
	v_cmp_ne_u32_e64 s[6:7], 0, v4
	v_cmp_ne_u32_e64 s[34:35], 0, v5
	v_cmp_ne_u32_e64 s[36:37], 0, v6
	v_cmp_ne_u32_e64 s[38:39], 0, v7
	s_bcnt1_i32_b64 s6, s[6:7]
	s_bcnt1_i32_b64 s7, s[34:35]
	s_bcnt1_i32_b64 s34, s[36:37]
	s_bcnt1_i32_b64 s35, s[38:39]
	s_add_u32 s6, s6, s80
	s_addc_u32 s36, 0, s81
	s_add_u32 s6, s6, s7
	s_addc_u32 s7, s36, 0
	s_add_u32 s6, s6, s34
	s_addc_u32 s7, s7, 0
	s_add_u32 s80, s6, s35
	s_addc_u32 s81, s7, 0
	s_and_b64 s[6:7], s[20:21], s[48:49]
	v_cndmask_b32_e64 v6, 0, 1, s[6:7]
	s_and_b64 s[6:7], s[18:19], s[50:51]
	v_cndmask_b32_e64 v7, 0, 1, s[6:7]
	s_and_b64 s[6:7], s[16:17], s[52:53]
	v_cndmask_b32_e64 v8, 0, 1, s[6:7]
	s_and_b64 s[6:7], s[14:15], s[54:55]
	;; [unrolled: 24-line block ×3, first 2 shown]
	v_cndmask_b32_e64 v48, 0, 1, s[6:7]
	v_cmp_ne_u32_e64 s[6:7], 0, v8
	v_cmp_ne_u32_e64 s[14:15], 0, v9
	;; [unrolled: 1-line block ×4, first 2 shown]
	s_bcnt1_i32_b64 s6, s[6:7]
	s_bcnt1_i32_b64 s7, s[14:15]
	;; [unrolled: 1-line block ×4, first 2 shown]
	s_add_u32 s6, s6, s70
	s_addc_u32 s16, 0, s71
	s_add_u32 s6, s6, s7
	s_addc_u32 s7, s16, 0
	;; [unrolled: 2-line block ×3, first 2 shown]
	s_add_u32 s70, s6, s15
	v_cmp_le_u64_e32 vcc, s[82:83], v[28:29]
	s_addc_u32 s71, s7, 0
	v_add_u32_e32 v31, v31, v14
	v_pk_mov_b32 v[2:3], s[84:85], s[84:85] op_sel:[0,1]
	v_pk_mov_b32 v[4:5], s[80:81], s[80:81] op_sel:[0,1]
	;; [unrolled: 1-line block ×3, first 2 shown]
	s_or_b64 s[4:5], vcc, s[4:5]
	v_pk_mov_b32 v[8:9], s[70:71], s[70:71] op_sel:[0,1]
	s_andn2_b64 exec, exec, s[4:5]
	s_cbranch_execnz .LBB204_53
; %bb.54:                               ;   in Loop: Header=BB204_6 Depth=1
	s_or_b64 exec, exec, s[4:5]
	v_readlane_b32 s84, v56, 46
	v_readlane_b32 s85, v56, 47
.LBB204_55:                             ;   in Loop: Header=BB204_6 Depth=1
	s_or_b64 exec, exec, s[12:13]
	v_add_u32_e32 v14, s82, v0
	v_cmp_gt_u32_e32 vcc, s86, v14
	s_and_saveexec_b64 s[4:5], vcc
	s_cbranch_execz .LBB204_59
; %bb.56:                               ;   in Loop: Header=BB204_6 Depth=1
	v_readlane_b32 s1, v56, 44
	s_and_b32 s82, s86, 0x7fffffff
	s_and_b32 s1, s1, 0xfe
	v_lshlrev_b32_e32 v31, 1, v14
	v_lshlrev_b32_e32 v47, 1, v30
	s_mov_b64 s[12:13], 0
	v_pk_mov_b32 v[28:29], v[14:15], v[14:15] op_sel:[0,1]
.LBB204_57:                             ;   Parent Loop BB204_6 Depth=1
                                        ; =>  This Inner Loop Header: Depth=2
	ds_read_u16 v14, v31
	v_add_co_u32_e32 v28, vcc, v28, v30
	v_addc_co_u32_e32 v29, vcc, 0, v29, vcc
	s_waitcnt lgkmcnt(0)
	v_cmp_lt_i16_e64 s[6:7], -1, v14
	v_cndmask_b32_e64 v48, v39, v40, s[6:7]
	v_xor_b32_sdwa v48, v48, v14 dst_sel:DWORD dst_unused:UNUSED_PAD src0_sel:DWORD src1_sel:WORD_0
	v_cmp_o_f16_e64 s[6:7], v14, v14
	v_cndmask_b32_e64 v14, v39, v48, s[6:7]
	v_and_b32_e32 v48, v14, v44
	v_bfe_u32 v14, v14, s1, 2
	v_cmp_eq_u32_e64 s[6:7], v48, v45
	v_cmp_eq_u32_e64 s[14:15], 0, v14
	;; [unrolled: 1-line block ×3, first 2 shown]
	s_and_b64 s[14:15], s[6:7], s[14:15]
	v_cmp_eq_u32_e64 s[18:19], 2, v14
	v_cmp_eq_u32_e64 s[20:21], 3, v14
	v_cndmask_b32_e64 v14, 0, 1, s[14:15]
	s_and_b64 s[14:15], s[6:7], s[16:17]
	v_cndmask_b32_e64 v48, 0, 1, s[14:15]
	s_and_b64 s[14:15], s[6:7], s[18:19]
	s_and_b64 s[6:7], s[6:7], s[20:21]
	v_cndmask_b32_e64 v49, 0, 1, s[14:15]
	v_cndmask_b32_e64 v50, 0, 1, s[6:7]
	v_cmp_ne_u32_e64 s[6:7], 0, v14
	v_cmp_ne_u32_e64 s[14:15], 0, v48
	;; [unrolled: 1-line block ×4, first 2 shown]
	v_cmp_le_u64_e32 vcc, s[82:83], v[28:29]
	s_bcnt1_i32_b64 s6, s[6:7]
	s_bcnt1_i32_b64 s7, s[14:15]
	;; [unrolled: 1-line block ×4, first 2 shown]
	s_or_b64 s[12:13], vcc, s[12:13]
	v_add_co_u32_e32 v2, vcc, s6, v2
	v_addc_co_u32_e32 v3, vcc, 0, v3, vcc
	v_add_co_u32_e32 v4, vcc, s7, v4
	v_addc_co_u32_e32 v5, vcc, 0, v5, vcc
	;; [unrolled: 2-line block ×3, first 2 shown]
	v_add_co_u32_e32 v8, vcc, s15, v8
	v_add_u32_e32 v31, v31, v47
	v_addc_co_u32_e32 v9, vcc, 0, v9, vcc
	s_andn2_b64 exec, exec, s[12:13]
	s_cbranch_execnz .LBB204_57
; %bb.58:                               ;   in Loop: Header=BB204_6 Depth=1
	s_or_b64 exec, exec, s[12:13]
.LBB204_59:                             ;   in Loop: Header=BB204_6 Depth=1
	s_or_b64 exec, exec, s[4:5]
.LBB204_60:                             ;   in Loop: Header=BB204_6 Depth=1
	v_readlane_b32 s1, v56, 45
	s_lshl_b32 s1, s1, 6
	s_and_saveexec_b64 s[4:5], s[94:95]
	s_cbranch_execz .LBB204_62
; %bb.61:                               ;   in Loop: Header=BB204_6 Depth=1
	s_waitcnt vmcnt(0)
	v_or_b32_e32 v14, s1, v34
	v_lshlrev_b32_e32 v14, 3, v14
	ds_write_b128 v14, v[2:5] offset:3072
	ds_write_b128 v14, v[6:9] offset:3088
.LBB204_62:                             ;   in Loop: Header=BB204_6 Depth=1
	s_or_b64 exec, exec, s[4:5]
	s_waitcnt lgkmcnt(0)
	s_barrier
	s_and_saveexec_b64 s[4:5], s[84:85]
	s_cbranch_execz .LBB204_74
; %bb.63:                               ;   in Loop: Header=BB204_6 Depth=1
	v_readlane_b32 s6, v56, 26
	v_readlane_b32 s7, v56, 27
	s_andn2_b64 vcc, exec, s[6:7]
	v_pk_mov_b32 v[2:3], 0, 0
	s_cbranch_vccnz .LBB204_73
; %bb.64:                               ;   in Loop: Header=BB204_6 Depth=1
	v_readlane_b32 s6, v56, 35
	v_readlane_b32 s7, v56, 36
	s_andn2_b64 vcc, exec, s[6:7]
	s_cbranch_vccnz .LBB204_69
; %bb.65:                               ;   in Loop: Header=BB204_6 Depth=1
	v_readlane_b32 s6, v56, 45
	v_lshl_add_u32 v4, s6, 9, v38
	s_mov_b32 s6, 0
	v_pk_mov_b32 v[2:3], 0, 0
.LBB204_66:                             ;   Parent Loop BB204_6 Depth=1
                                        ; =>  This Inner Loop Header: Depth=2
	s_waitcnt vmcnt(0)
	ds_read2_b64 v[6:9], v4 offset1:4
	ds_read2_b64 v[28:31], v4 offset0:8 offset1:12
	ds_read2_b64 v[48:51], v4 offset0:16 offset1:20
	;; [unrolled: 1-line block ×3, first 2 shown]
	s_add_i32 s6, s6, 8
	s_waitcnt lgkmcnt(3)
	v_add_co_u32_e32 v2, vcc, v6, v2
	v_addc_co_u32_e32 v3, vcc, v7, v3, vcc
	v_add_co_u32_e32 v2, vcc, v8, v2
	v_addc_co_u32_e32 v3, vcc, v9, v3, vcc
	s_waitcnt lgkmcnt(2)
	v_add_co_u32_e32 v2, vcc, v28, v2
	v_addc_co_u32_e32 v3, vcc, v29, v3, vcc
	v_add_co_u32_e32 v2, vcc, v30, v2
	v_addc_co_u32_e32 v3, vcc, v31, v3, vcc
	;; [unrolled: 5-line block ×3, first 2 shown]
	s_waitcnt lgkmcnt(0)
	v_add_co_u32_e32 v2, vcc, v52, v2
	v_addc_co_u32_e32 v3, vcc, v53, v3, vcc
	v_add_co_u32_e32 v2, vcc, v54, v2
	v_add_u32_e32 v4, 0x100, v4
	s_cmp_eq_u32 s89, s6
	v_addc_co_u32_e32 v3, vcc, v55, v3, vcc
	s_cbranch_scc0 .LBB204_66
; %bb.67:                               ;   in Loop: Header=BB204_6 Depth=1
	s_mov_b32 s6, s89
	s_branch .LBB204_70
.LBB204_68:                             ;   in Loop: Header=BB204_6 Depth=1
                                        ; implicit-def: $vgpr2_vgpr3
	s_branch .LBB204_36
.LBB204_69:                             ;   in Loop: Header=BB204_6 Depth=1
	s_mov_b32 s6, 0
	v_pk_mov_b32 v[2:3], 0, 0
.LBB204_70:                             ;   in Loop: Header=BB204_6 Depth=1
	v_readlane_b32 s12, v56, 38
	v_readlane_b32 s13, v56, 39
	s_andn2_b64 vcc, exec, s[12:13]
	s_cbranch_vccnz .LBB204_73
; %bb.71:                               ;   in Loop: Header=BB204_6 Depth=1
	v_readlane_b32 s7, v56, 45
	s_lshl_b32 s7, s7, 9
	s_lshl_b32 s6, s6, 5
	s_add_i32 s7, s7, s6
	v_add_u32_e32 v4, s7, v38
	v_readlane_b32 s6, v56, 37
.LBB204_72:                             ;   Parent Loop BB204_6 Depth=1
                                        ; =>  This Inner Loop Header: Depth=2
	s_waitcnt vmcnt(0)
	ds_read_b64 v[6:7], v4
	s_add_i32 s6, s6, -1
	v_add_u32_e32 v4, 32, v4
	s_cmp_lg_u32 s6, 0
	s_waitcnt lgkmcnt(0)
	v_add_co_u32_e32 v2, vcc, v6, v2
	v_addc_co_u32_e32 v3, vcc, v7, v3, vcc
	s_cbranch_scc1 .LBB204_72
.LBB204_73:                             ;   in Loop: Header=BB204_6 Depth=1
	v_add_lshl_u32 v4, s1, v33, 3
	ds_write_b64 v4, v[2:3] offset:3072
.LBB204_74:                             ;   in Loop: Header=BB204_6 Depth=1
	s_or_b64 exec, exec, s[4:5]
	s_lshl_b32 s1, s1, 3
	s_waitcnt vmcnt(0)
	v_mov_b32_e32 v6, s1
	s_waitcnt lgkmcnt(0)
	s_barrier
	ds_read_b128 v[2:5], v6 offset:3072
	ds_read_b128 v[6:9], v6 offset:3088
	v_readlane_b32 s1, v56, 44
	s_and_b32 s91, s1, 0xfe
	v_readlane_b32 s4, v56, 18
	s_lshl_b32 s82, 3, s91
	v_readlane_b32 s5, v56, 19
	s_waitcnt lgkmcnt(1)
	v_readfirstlane_b32 s17, v3
	v_readfirstlane_b32 s16, v2
	;; [unrolled: 1-line block ×4, first 2 shown]
	s_waitcnt lgkmcnt(0)
	v_readfirstlane_b32 s23, v7
	v_readfirstlane_b32 s22, v6
	v_readfirstlane_b32 s25, v9
	v_readfirstlane_b32 s24, v8
	s_not_b32 s90, s82
	s_andn2_b64 vcc, exec, s[4:5]
	v_cmp_eq_u64_e64 s[14:15], 1, v[26:27]
	s_cbranch_vccnz .LBB204_90
; %bb.75:                               ;   in Loop: Header=BB204_6 Depth=1
	s_cmp_eq_u64 s[16:17], 1
	s_cselect_b64 s[4:5], -1, 0
	s_and_b64 s[42:43], s[4:5], s[14:15]
	s_mov_b64 s[6:7], -1
	v_mov_b32_e32 v28, v45
	v_mov_b32_e32 v29, v44
	;; [unrolled: 1-line block ×3, first 2 shown]
                                        ; implicit-def: $sgpr20_sgpr21
                                        ; implicit-def: $sgpr36_sgpr37
                                        ; implicit-def: $sgpr34_sgpr35
	s_and_saveexec_b64 s[4:5], s[42:43]
	s_cbranch_execz .LBB204_112
; %bb.76:                               ;   in Loop: Header=BB204_6 Depth=1
	ds_read_b64 v[2:3], v15 offset:5120
	s_waitcnt lgkmcnt(0)
	s_barrier
	v_readfirstlane_b32 s12, v2
	v_readfirstlane_b32 s13, v3
	s_mov_b64 s[6:7], exec
	v_readlane_b32 s20, v56, 24
	v_readlane_b32 s21, v56, 25
	s_and_b64 s[20:21], s[6:7], s[20:21]
	s_mov_b64 exec, s[20:21]
	s_cbranch_execz .LBB204_78
; %bb.77:                               ;   in Loop: Header=BB204_6 Depth=1
	ds_write_b16 v36, v15
.LBB204_78:                             ;   in Loop: Header=BB204_6 Depth=1
	s_or_b64 exec, exec, s[6:7]
	v_and_b32_e32 v28, s90, v45
	v_or_b32_e32 v29, s82, v44
	s_cmp_eq_u64 s[12:13], 0
	s_waitcnt lgkmcnt(0)
	s_barrier
	s_cbranch_scc1 .LBB204_95
; %bb.79:                               ;   in Loop: Header=BB204_6 Depth=1
	v_readlane_b32 s1, v56, 28
	s_add_u32 s1, s1, s12
	v_readlane_b32 s6, v56, 30
	s_addc_u32 s7, s6, s13
	s_mov_b32 s6, s83
	s_cmp_lg_u64 s[6:7], 0
	s_cbranch_scc0 .LBB204_139
; %bb.80:                               ;   in Loop: Header=BB204_6 Depth=1
	v_cvt_f32_u32_e32 v2, s33
	s_sub_u32 s6, 0, s33
	s_subb_u32 s20, 0, 0
	v_mac_f32_e32 v2, 0, v41
	v_rcp_f32_e32 v2, v2
	v_mul_f32_e32 v2, 0x5f7ffffc, v2
	v_mul_f32_e32 v3, 0x2f800000, v2
	v_trunc_f32_e32 v3, v3
	v_mac_f32_e32 v2, 0xcf800000, v3
	v_cvt_u32_f32_e32 v3, v3
	v_cvt_u32_f32_e32 v2, v2
	v_readfirstlane_b32 s21, v3
	v_readfirstlane_b32 s26, v2
	s_mul_i32 s27, s6, s21
	s_mul_hi_u32 s29, s6, s26
	s_mul_i32 s28, s20, s26
	s_add_i32 s27, s29, s27
	s_mul_i32 s34, s6, s26
	s_add_i32 s27, s27, s28
	s_mul_hi_u32 s29, s26, s34
	s_mul_hi_u32 s28, s26, s27
	s_mul_i32 s26, s26, s27
	s_add_u32 s26, s29, s26
	s_addc_u32 s28, 0, s28
	s_mul_hi_u32 s35, s21, s34
	s_mul_i32 s34, s21, s34
	s_add_u32 s26, s26, s34
	s_mul_hi_u32 s29, s21, s27
	s_addc_u32 s26, s28, s35
	s_addc_u32 s28, s29, 0
	s_mul_i32 s27, s21, s27
	s_add_u32 s26, s26, s27
	s_addc_u32 s27, 0, s28
	v_add_co_u32_e32 v2, vcc, s26, v2
	s_cmp_lg_u64 vcc, 0
	s_addc_u32 s21, s21, s27
	v_readfirstlane_b32 s27, v2
	s_mul_i32 s26, s6, s21
	s_mul_hi_u32 s28, s6, s27
	s_add_i32 s26, s28, s26
	s_mul_i32 s20, s20, s27
	s_add_i32 s26, s26, s20
	s_mul_i32 s6, s6, s27
	s_mul_hi_u32 s28, s21, s6
	s_mul_i32 s29, s21, s6
	s_mul_i32 s35, s27, s26
	s_mul_hi_u32 s6, s27, s6
	s_mul_hi_u32 s34, s27, s26
	s_add_u32 s6, s6, s35
	s_addc_u32 s27, 0, s34
	s_add_u32 s6, s6, s29
	s_mul_hi_u32 s20, s21, s26
	s_addc_u32 s6, s27, s28
	s_addc_u32 s20, s20, 0
	s_mul_i32 s26, s21, s26
	s_add_u32 s6, s6, s26
	s_addc_u32 s20, 0, s20
	v_add_co_u32_e32 v2, vcc, s6, v2
	s_cmp_lg_u64 vcc, 0
	s_addc_u32 s6, s21, s20
	v_readfirstlane_b32 s26, v2
	s_mul_i32 s21, s1, s6
	s_mul_hi_u32 s27, s1, s26
	s_mul_hi_u32 s20, s1, s6
	s_add_u32 s21, s27, s21
	s_addc_u32 s20, 0, s20
	s_mul_hi_u32 s28, s7, s26
	s_mul_i32 s26, s7, s26
	s_add_u32 s21, s21, s26
	s_mul_hi_u32 s27, s7, s6
	s_addc_u32 s20, s20, s28
	s_addc_u32 s21, s27, 0
	s_mul_i32 s6, s7, s6
	s_add_u32 s6, s20, s6
	s_addc_u32 s20, 0, s21
	s_mul_hi_u32 s21, s33, s6
	s_mul_i32 s6, s33, s6
	s_mul_i32 s20, s33, s20
	v_mov_b32_e32 v2, s6
	s_add_i32 s21, s21, s20
	v_sub_co_u32_e32 v2, vcc, s1, v2
	s_cmp_lg_u64 vcc, 0
	s_subb_u32 s6, s7, s21
	v_subrev_co_u32_e32 v3, vcc, s33, v2
	s_cmp_lg_u64 vcc, 0
	s_subb_u32 s20, s6, 0
	v_subrev_co_u32_e32 v4, vcc, s33, v3
	s_cmp_lg_u64 vcc, 0
	s_subb_u32 s21, s20, 0
	v_cmp_le_u32_e32 vcc, s33, v3
	s_cmp_eq_u32 s20, 0
	v_cndmask_b32_e64 v5, 0, -1, vcc
	s_cselect_b64 vcc, -1, 0
	v_cndmask_b32_e32 v5, -1, v5, vcc
	v_mov_b32_e32 v6, s20
	v_mov_b32_e32 v7, s21
	v_cmp_ne_u32_e32 vcc, 0, v5
	v_cndmask_b32_e32 v5, v6, v7, vcc
	v_cndmask_b32_e32 v4, v3, v4, vcc
	v_cmp_le_u32_e32 vcc, s33, v2
	s_cmp_eq_u32 s6, 0
	v_cndmask_b32_e64 v3, 0, -1, vcc
	s_cselect_b64 vcc, -1, 0
	v_cndmask_b32_e32 v3, -1, v3, vcc
	v_mov_b32_e32 v6, s6
	v_cmp_ne_u32_e32 vcc, 0, v3
	v_cndmask_b32_e32 v3, v6, v5, vcc
	v_cndmask_b32_e32 v2, v2, v4, vcc
	s_cbranch_execnz .LBB204_82
.LBB204_81:                             ;   in Loop: Header=BB204_6 Depth=1
	v_cvt_f32_u32_e32 v2, s33
	s_sub_i32 s6, 0, s33
	v_rcp_iflag_f32_e32 v2, v2
	v_mul_f32_e32 v2, 0x4f7ffffe, v2
	v_cvt_u32_f32_e32 v2, v2
	v_mul_lo_u32 v3, s6, v2
	v_mul_hi_u32 v3, v2, v3
	v_add_u32_e32 v2, v2, v3
	v_mul_hi_u32 v2, s1, v2
	v_mul_lo_u32 v2, v2, s33
	v_sub_u32_e32 v2, s1, v2
	v_subrev_u32_e32 v3, s33, v2
	v_cmp_le_u32_e32 vcc, s33, v2
	v_cndmask_b32_e32 v2, v2, v3, vcc
	v_subrev_u32_e32 v3, s33, v2
	v_cmp_le_u32_e32 vcc, s33, v2
	v_cndmask_b32_e32 v14, v2, v3, vcc
	v_pk_mov_b32 v[2:3], v[14:15], v[14:15] op_sel:[0,1]
.LBB204_82:                             ;   in Loop: Header=BB204_6 Depth=1
	v_mov_b32_e32 v4, s7
	v_sub_co_u32_e32 v2, vcc, s1, v2
	v_subb_co_u32_e32 v3, vcc, v4, v3, vcc
	v_cmp_gt_u64_e32 vcc, v[2:3], v[0:1]
	s_mov_b64 s[6:7], 0
                                        ; implicit-def: $vgpr6
	s_and_saveexec_b64 s[20:21], vcc
	s_cbranch_execz .LBB204_97
; %bb.83:                               ;   in Loop: Header=BB204_6 Depth=1
	s_mov_b64 s[26:27], 0
	v_mov_b32_e32 v6, v35
	v_pk_mov_b32 v[4:5], v[0:1], v[0:1] op_sel:[0,1]
                                        ; implicit-def: $sgpr28_sgpr29
	s_branch .LBB204_85
.LBB204_84:                             ;   in Loop: Header=BB204_85 Depth=2
	s_or_b64 exec, exec, s[6:7]
	s_waitcnt lgkmcnt(0)
	s_barrier
	ds_read_b32 v7, v15 offset:3072
	v_mov_b32_e32 v8, s88
	v_add_co_u32_e64 v4, s[6:7], s33, v4
	v_addc_co_u32_e64 v5, s[6:7], v5, v8, s[6:7]
	s_waitcnt lgkmcnt(0)
	v_cmp_neq_f16_e32 vcc, 0, v7
	v_cmp_ge_u64_e64 s[6:7], v[4:5], v[2:3]
	s_or_b64 s[6:7], s[6:7], vcc
	s_and_b64 s[6:7], exec, s[6:7]
	s_or_b64 s[26:27], s[6:7], s[26:27]
	s_andn2_b64 s[6:7], s[28:29], exec
	s_and_b64 s[28:29], vcc, exec
	v_add_u32_e32 v6, s0, v6
	s_or_b64 s[28:29], s[6:7], s[28:29]
	s_barrier
	s_andn2_b64 exec, exec, s[26:27]
	s_cbranch_execz .LBB204_96
.LBB204_85:                             ;   Parent Loop BB204_6 Depth=1
                                        ; =>  This Inner Loop Header: Depth=2
	v_cmp_gt_u64_e32 vcc, s[12:13], v[4:5]
	v_mov_b32_e32 v7, 0
	s_and_saveexec_b64 s[6:7], vcc
	s_cbranch_execz .LBB204_87
; %bb.86:                               ;   in Loop: Header=BB204_85 Depth=2
	ds_read_u16 v7, v6
.LBB204_87:                             ;   in Loop: Header=BB204_85 Depth=2
	s_or_b64 exec, exec, s[6:7]
	s_and_saveexec_b64 s[6:7], vcc
	s_cbranch_execz .LBB204_84
; %bb.88:                               ;   in Loop: Header=BB204_85 Depth=2
	s_waitcnt lgkmcnt(0)
	v_cmp_lt_i16_e32 vcc, -1, v7
	v_cndmask_b32_e32 v8, v39, v40, vcc
	v_xor_b32_sdwa v8, v8, v7 dst_sel:DWORD dst_unused:UNUSED_PAD src0_sel:DWORD src1_sel:WORD_0
	v_cmp_o_f16_e32 vcc, v7, v7
	v_cndmask_b32_e32 v8, v39, v8, vcc
	v_and_b32_e32 v8, v8, v29
	v_cmp_eq_u32_e32 vcc, v8, v28
	s_and_b64 exec, exec, vcc
	s_cbranch_execz .LBB204_84
; %bb.89:                               ;   in Loop: Header=BB204_85 Depth=2
	s_movk_i32 s1, 0x3c00
	v_perm_b32 v7, v7, s1, v43
	ds_write_b32 v15, v7 offset:3072
	s_branch .LBB204_84
.LBB204_90:                             ;   in Loop: Header=BB204_6 Depth=1
	s_mov_b64 s[28:29], 0
	s_mov_b64 s[26:27], 0
                                        ; implicit-def: $sgpr34_sgpr35
                                        ; implicit-def: $sgpr36_sgpr37
                                        ; implicit-def: $sgpr20_sgpr21
                                        ; implicit-def: $vgpr7
                                        ; implicit-def: $vgpr2_vgpr3
                                        ; implicit-def: $vgpr28
                                        ; implicit-def: $vgpr29
                                        ; implicit-def: $vgpr6
	s_cbranch_execnz .LBB204_276
.LBB204_91:                             ;   in Loop: Header=BB204_6 Depth=1
	s_mov_b64 s[14:15], s[20:21]
	s_mov_b64 s[38:39], s[20:21]
	s_and_saveexec_b64 s[4:5], s[28:29]
	s_cbranch_execnz .LBB204_472
	s_branch .LBB204_473
.LBB204_92:                             ;   in Loop: Header=BB204_6 Depth=1
	s_or_b64 exec, exec, s[4:5]
	s_waitcnt lgkmcnt(0)
	s_barrier
	s_mov_b64 s[4:5], exec
	v_readlane_b32 s6, v56, 8
	v_readlane_b32 s7, v56, 9
	s_and_b64 s[6:7], s[4:5], s[6:7]
	s_mov_b64 exec, s[6:7]
	s_cbranch_execz .LBB204_94
; %bb.93:                               ;   in Loop: Header=BB204_6 Depth=1
	ds_read_b32 v2, v15 offset:5144
	s_waitcnt lgkmcnt(0)
	v_ashrrev_i32_e32 v3, 31, v2
	ds_write_b64 v15, v[2:3] offset:5120
.LBB204_94:                             ;   in Loop: Header=BB204_6 Depth=1
	s_or_b64 exec, exec, s[4:5]
	s_waitcnt lgkmcnt(0)
	s_barrier
	s_mov_b64 s[4:5], -1
	s_and_b64 vcc, exec, s[86:87]
	s_cbranch_vccnz .LBB204_21
	s_branch .LBB204_31
.LBB204_95:                             ;   in Loop: Header=BB204_6 Depth=1
	s_mov_b64 s[20:21], -1
	s_mov_b64 s[6:7], 0
                                        ; implicit-def: $sgpr34_sgpr35
                                        ; implicit-def: $vgpr6
	s_mov_b64 s[36:37], s[20:21]
	s_cbranch_execnz .LBB204_98
	s_branch .LBB204_111
.LBB204_96:                             ;   in Loop: Header=BB204_6 Depth=1
	s_or_b64 exec, exec, s[26:27]
	v_lshrrev_b32_e32 v6, 16, v7
	s_and_b64 s[6:7], s[28:29], exec
.LBB204_97:                             ;   in Loop: Header=BB204_6 Depth=1
	s_or_b64 exec, exec, s[20:21]
	s_mov_b64 s[34:35], -1
	s_mov_b64 s[20:21], 0
	s_mov_b64 s[36:37], s[20:21]
	s_branch .LBB204_111
.LBB204_98:                             ;   in Loop: Header=BB204_6 Depth=1
	v_readlane_b32 s28, v56, 31
	v_readlane_b32 s29, v56, 32
	s_mov_b32 s28, s83
	s_cmp_lg_u64 s[28:29], 0
	v_writelane_b32 v56, s28, 31
	v_writelane_b32 v56, s29, 32
	s_cbranch_scc0 .LBB204_140
; %bb.99:                               ;   in Loop: Header=BB204_6 Depth=1
	v_cvt_f32_u32_e32 v2, s33
	s_sub_u32 s1, 0, s33
	s_subb_u32 s6, 0, 0
	v_mac_f32_e32 v2, 0, v41
	v_rcp_f32_e32 v2, v2
	v_mul_f32_e32 v2, 0x5f7ffffc, v2
	v_mul_f32_e32 v3, 0x2f800000, v2
	v_trunc_f32_e32 v3, v3
	v_mac_f32_e32 v2, 0xcf800000, v3
	v_cvt_u32_f32_e32 v3, v3
	v_cvt_u32_f32_e32 v2, v2
	v_readfirstlane_b32 s7, v3
	v_readfirstlane_b32 s12, v2
	s_mul_i32 s13, s1, s7
	s_mul_hi_u32 s21, s1, s12
	s_mul_i32 s20, s6, s12
	s_add_i32 s13, s21, s13
	s_mul_i32 s26, s1, s12
	s_add_i32 s13, s13, s20
	s_mul_hi_u32 s21, s12, s26
	s_mul_hi_u32 s20, s12, s13
	s_mul_i32 s12, s12, s13
	s_add_u32 s12, s21, s12
	s_addc_u32 s20, 0, s20
	s_mul_hi_u32 s27, s7, s26
	s_mul_i32 s26, s7, s26
	s_add_u32 s12, s12, s26
	s_mul_hi_u32 s21, s7, s13
	s_addc_u32 s12, s20, s27
	s_addc_u32 s20, s21, 0
	s_mul_i32 s13, s7, s13
	s_add_u32 s12, s12, s13
	s_addc_u32 s13, 0, s20
	v_add_co_u32_e32 v2, vcc, s12, v2
	s_cmp_lg_u64 vcc, 0
	s_addc_u32 s7, s7, s13
	v_readfirstlane_b32 s13, v2
	s_mul_i32 s12, s1, s7
	s_mul_hi_u32 s20, s1, s13
	s_add_i32 s12, s20, s12
	s_mul_i32 s6, s6, s13
	s_add_i32 s12, s12, s6
	s_mul_i32 s1, s1, s13
	s_mul_hi_u32 s20, s7, s1
	s_mul_i32 s21, s7, s1
	s_mul_i32 s27, s13, s12
	s_mul_hi_u32 s1, s13, s1
	s_mul_hi_u32 s26, s13, s12
	s_add_u32 s1, s1, s27
	s_addc_u32 s13, 0, s26
	s_add_u32 s1, s1, s21
	s_mul_hi_u32 s6, s7, s12
	s_addc_u32 s1, s13, s20
	s_addc_u32 s6, s6, 0
	s_mul_i32 s12, s7, s12
	s_add_u32 s1, s1, s12
	s_addc_u32 s6, 0, s6
	v_add_co_u32_e32 v2, vcc, s1, v2
	s_cmp_lg_u64 vcc, 0
	s_addc_u32 s1, s7, s6
	v_readlane_b32 s21, v56, 29
	v_readfirstlane_b32 s12, v2
	s_mul_i32 s7, s21, s1
	s_mul_hi_u32 s13, s21, s12
	s_mul_hi_u32 s6, s21, s1
	s_add_u32 s7, s13, s7
	s_addc_u32 s6, 0, s6
	s_mul_hi_u32 s20, s29, s12
	s_mul_i32 s12, s29, s12
	s_add_u32 s7, s7, s12
	s_mul_hi_u32 s13, s29, s1
	s_addc_u32 s6, s6, s20
	s_addc_u32 s7, s13, 0
	s_mul_i32 s1, s29, s1
	s_add_u32 s1, s6, s1
	s_addc_u32 s6, 0, s7
	s_mul_hi_u32 s7, s33, s1
	s_mul_i32 s1, s33, s1
	s_mul_i32 s6, s33, s6
	v_mov_b32_e32 v2, s1
	s_add_i32 s7, s7, s6
	v_sub_co_u32_e32 v2, vcc, s21, v2
	s_cmp_lg_u64 vcc, 0
	s_subb_u32 s1, s29, s7
	v_subrev_co_u32_e32 v3, vcc, s33, v2
	s_cmp_lg_u64 vcc, 0
	s_subb_u32 s6, s1, 0
	v_subrev_co_u32_e32 v4, vcc, s33, v3
	s_cmp_lg_u64 vcc, 0
	s_subb_u32 s7, s6, 0
	v_cmp_le_u32_e32 vcc, s33, v3
	s_cmp_eq_u32 s6, 0
	v_cndmask_b32_e64 v5, 0, -1, vcc
	s_cselect_b64 vcc, -1, 0
	v_cndmask_b32_e32 v5, -1, v5, vcc
	v_mov_b32_e32 v6, s6
	v_mov_b32_e32 v7, s7
	v_cmp_ne_u32_e32 vcc, 0, v5
	v_cndmask_b32_e32 v5, v6, v7, vcc
	v_cndmask_b32_e32 v4, v3, v4, vcc
	v_cmp_le_u32_e32 vcc, s33, v2
	s_cmp_eq_u32 s1, 0
	v_cndmask_b32_e64 v3, 0, -1, vcc
	s_cselect_b64 vcc, -1, 0
	v_cndmask_b32_e32 v3, -1, v3, vcc
	v_mov_b32_e32 v6, s1
	v_cmp_ne_u32_e32 vcc, 0, v3
	v_cndmask_b32_e32 v3, v6, v5, vcc
	v_cndmask_b32_e32 v2, v2, v4, vcc
	s_cbranch_execnz .LBB204_101
.LBB204_100:                            ;   in Loop: Header=BB204_6 Depth=1
	v_cvt_f32_u32_e32 v2, s33
	s_sub_i32 s1, 0, s33
	v_rcp_iflag_f32_e32 v2, v2
	v_mul_f32_e32 v2, 0x4f7ffffe, v2
	v_cvt_u32_f32_e32 v2, v2
	v_mul_lo_u32 v3, s1, v2
	v_mul_hi_u32 v3, v2, v3
	v_add_u32_e32 v2, v2, v3
	v_readlane_b32 s1, v56, 29
	v_mul_hi_u32 v2, s1, v2
	v_mul_lo_u32 v2, v2, s33
	v_sub_u32_e32 v2, s1, v2
	v_subrev_u32_e32 v3, s33, v2
	v_cmp_le_u32_e32 vcc, s33, v2
	v_cndmask_b32_e32 v2, v2, v3, vcc
	v_subrev_u32_e32 v3, s33, v2
	v_cmp_le_u32_e32 vcc, s33, v2
	v_cndmask_b32_e32 v14, v2, v3, vcc
	v_pk_mov_b32 v[2:3], v[14:15], v[14:15] op_sel:[0,1]
.LBB204_101:                            ;   in Loop: Header=BB204_6 Depth=1
	v_readlane_b32 s6, v56, 31
	v_readlane_b32 s7, v56, 32
	;; [unrolled: 1-line block ×3, first 2 shown]
	v_mov_b32_e32 v4, s7
	v_sub_co_u32_e32 v2, vcc, s1, v2
	v_subb_co_u32_e32 v3, vcc, v4, v3, vcc
	v_cmp_gt_u64_e32 vcc, v[2:3], v[0:1]
	s_mov_b64 s[6:7], 0
                                        ; implicit-def: $vgpr6
	s_and_saveexec_b64 s[12:13], vcc
	s_cbranch_execz .LBB204_110
; %bb.102:                              ;   in Loop: Header=BB204_6 Depth=1
	s_mov_b64 s[20:21], 0
	v_pk_mov_b32 v[4:5], v[12:13], v[12:13] op_sel:[0,1]
	v_pk_mov_b32 v[6:7], v[0:1], v[0:1] op_sel:[0,1]
                                        ; implicit-def: $sgpr26_sgpr27
	s_branch .LBB204_104
.LBB204_103:                            ;   in Loop: Header=BB204_104 Depth=2
	s_or_b64 exec, exec, s[6:7]
	s_waitcnt lgkmcnt(0)
	s_barrier
	s_waitcnt vmcnt(0)
	ds_read_b32 v8, v15 offset:3072
	v_mov_b32_e32 v9, s88
	v_add_co_u32_e64 v6, s[6:7], s33, v6
	v_addc_co_u32_e64 v7, s[6:7], v7, v9, s[6:7]
	s_waitcnt lgkmcnt(0)
	v_cmp_neq_f16_e32 vcc, 0, v8
	v_cmp_ge_u64_e64 s[6:7], v[6:7], v[2:3]
	s_or_b64 s[28:29], s[6:7], vcc
	v_mov_b32_e32 v9, s61
	v_add_co_u32_e64 v4, s[6:7], s60, v4
	v_addc_co_u32_e64 v5, s[6:7], v5, v9, s[6:7]
	s_and_b64 s[6:7], exec, s[28:29]
	s_or_b64 s[20:21], s[6:7], s[20:21]
	s_andn2_b64 s[6:7], s[26:27], exec
	s_and_b64 s[26:27], vcc, exec
	s_or_b64 s[26:27], s[6:7], s[26:27]
	s_barrier
	s_andn2_b64 exec, exec, s[20:21]
	s_cbranch_execz .LBB204_109
.LBB204_104:                            ;   Parent Loop BB204_6 Depth=1
                                        ; =>  This Inner Loop Header: Depth=2
	v_cmp_gt_u64_e32 vcc, s[56:57], v[6:7]
	v_mov_b32_e32 v8, 0
	s_and_saveexec_b64 s[6:7], vcc
	s_cbranch_execz .LBB204_106
; %bb.105:                              ;   in Loop: Header=BB204_104 Depth=2
	global_load_ushort v8, v[4:5], off
.LBB204_106:                            ;   in Loop: Header=BB204_104 Depth=2
	s_or_b64 exec, exec, s[6:7]
	s_and_saveexec_b64 s[6:7], vcc
	s_cbranch_execz .LBB204_103
; %bb.107:                              ;   in Loop: Header=BB204_104 Depth=2
	s_waitcnt vmcnt(0)
	v_cmp_lt_i16_e32 vcc, -1, v8
	v_cndmask_b32_e32 v9, v39, v40, vcc
	v_xor_b32_sdwa v9, v9, v8 dst_sel:DWORD dst_unused:UNUSED_PAD src0_sel:DWORD src1_sel:WORD_0
	v_cmp_o_f16_e32 vcc, v8, v8
	v_cndmask_b32_e32 v9, v39, v9, vcc
	v_and_b32_e32 v9, v9, v29
	v_cmp_eq_u32_e32 vcc, v9, v28
	s_and_b64 exec, exec, vcc
	s_cbranch_execz .LBB204_103
; %bb.108:                              ;   in Loop: Header=BB204_104 Depth=2
	s_movk_i32 s1, 0x3c00
	v_perm_b32 v8, v8, s1, v43
	ds_write_b32 v15, v8 offset:3072
	s_branch .LBB204_103
.LBB204_109:                            ;   in Loop: Header=BB204_6 Depth=1
	s_or_b64 exec, exec, s[20:21]
	v_lshrrev_b32_e32 v6, 16, v8
	s_and_b64 s[6:7], s[26:27], exec
.LBB204_110:                            ;   in Loop: Header=BB204_6 Depth=1
	s_or_b64 exec, exec, s[12:13]
	s_mov_b64 s[36:37], -1
	s_mov_b64 s[20:21], 0
	s_mov_b64 s[34:35], 0
.LBB204_111:                            ;   in Loop: Header=BB204_6 Depth=1
	s_orn2_b64 s[6:7], s[6:7], exec
.LBB204_112:                            ;   in Loop: Header=BB204_6 Depth=1
	s_or_b64 exec, exec, s[4:5]
	s_mov_b64 s[38:39], 0
	s_mov_b64 s[28:29], 0
	;; [unrolled: 1-line block ×3, first 2 shown]
                                        ; implicit-def: $vgpr7
                                        ; implicit-def: $vgpr2_vgpr3
	s_and_saveexec_b64 s[40:41], s[6:7]
	s_cbranch_execz .LBB204_275
; %bb.113:                              ;   in Loop: Header=BB204_6 Depth=1
	v_mov_b32_e32 v2, 1
	s_xor_b64 s[12:13], s[42:43], -1
	s_mov_b64 s[6:7], 0
	v_mov_b32_e32 v3, 0
	v_mov_b32_e32 v7, 1
	s_and_saveexec_b64 s[4:5], s[12:13]
	s_cbranch_execz .LBB204_123
; %bb.114:                              ;   in Loop: Header=BB204_6 Depth=1
	v_cmp_ge_u64_e32 vcc, s[16:17], v[26:27]
                                        ; implicit-def: $sgpr1
                                        ; implicit-def: $sgpr6_sgpr7
	s_and_saveexec_b64 s[12:13], vcc
	s_xor_b64 s[12:13], exec, s[12:13]
	s_cbranch_execz .LBB204_120
; %bb.115:                              ;   in Loop: Header=BB204_6 Depth=1
	ds_read_b64 v[2:3], v15 offset:5120
	s_waitcnt lgkmcnt(0)
	v_cmp_ne_u64_e32 vcc, 0, v[2:3]
	s_cbranch_vccnz .LBB204_119
; %bb.116:                              ;   in Loop: Header=BB204_6 Depth=1
	s_mov_b64 s[6:7], exec
	v_readlane_b32 s26, v56, 8
	v_readlane_b32 s27, v56, 9
	s_and_b64 s[26:27], s[6:7], s[26:27]
	s_mov_b64 exec, s[26:27]
	s_cbranch_execz .LBB204_118
; %bb.117:                              ;   in Loop: Header=BB204_6 Depth=1
	v_pk_mov_b32 v[2:3], s[16:17], s[16:17] op_sel:[0,1]
	ds_write_b64 v15, v[2:3] offset:5128
.LBB204_118:                            ;   in Loop: Header=BB204_6 Depth=1
	s_or_b64 exec, exec, s[6:7]
	s_waitcnt lgkmcnt(0)
	s_barrier
.LBB204_119:                            ;   in Loop: Header=BB204_6 Depth=1
	v_and_b32_e32 v28, s90, v28
	v_or_b32_e32 v29, s82, v29
	s_mov_b64 s[6:7], 0
	s_mov_b32 s1, 8
.LBB204_120:                            ;   in Loop: Header=BB204_6 Depth=1
	s_or_saveexec_b64 s[12:13], s[12:13]
	v_mov_b32_e32 v7, s1
	v_pk_mov_b32 v[2:3], v[26:27], v[26:27] op_sel:[0,1]
	s_xor_b64 exec, exec, s[12:13]
; %bb.121:                              ;   in Loop: Header=BB204_6 Depth=1
	v_mov_b32_e32 v3, s17
	v_subrev_co_u32_e32 v2, vcc, s16, v26
	v_subb_co_u32_e32 v3, vcc, v27, v3, vcc
	v_mov_b32_e32 v7, 0
	s_or_b64 s[6:7], s[6:7], exec
; %bb.122:                              ;   in Loop: Header=BB204_6 Depth=1
	s_or_b64 exec, exec, s[12:13]
	s_and_b64 s[6:7], s[6:7], exec
.LBB204_123:                            ;   in Loop: Header=BB204_6 Depth=1
	s_or_b64 exec, exec, s[4:5]
	s_mov_b64 s[42:43], -1
                                        ; implicit-def: $sgpr4_sgpr5
                                        ; implicit-def: $sgpr12_sgpr13
                                        ; implicit-def: $sgpr28_sgpr29
	s_and_saveexec_b64 s[26:27], s[6:7]
	s_xor_b64 s[26:27], exec, s[26:27]
	s_cbranch_execz .LBB204_272
; %bb.124:                              ;   in Loop: Header=BB204_6 Depth=1
	s_cmp_eq_u64 s[18:19], 1
	s_cselect_b64 s[4:5], -1, 0
	v_cmp_eq_u64_e32 vcc, 1, v[2:3]
	s_and_b64 s[48:49], s[4:5], vcc
	s_mov_b64 s[12:13], -1
                                        ; implicit-def: $sgpr28_sgpr29
                                        ; implicit-def: $sgpr44_sgpr45
                                        ; implicit-def: $sgpr42_sgpr43
	s_and_saveexec_b64 s[4:5], s[48:49]
	s_cbranch_execz .LBB204_158
; %bb.125:                              ;   in Loop: Header=BB204_6 Depth=1
	ds_read_b64 v[4:5], v15 offset:5120
	s_waitcnt lgkmcnt(0)
	s_barrier
	v_readfirstlane_b32 s12, v4
	v_readfirstlane_b32 s13, v5
	s_mov_b64 s[6:7], exec
	v_readlane_b32 s28, v56, 24
	v_readlane_b32 s29, v56, 25
	s_and_b64 s[28:29], s[6:7], s[28:29]
	s_mov_b64 exec, s[28:29]
	s_cbranch_execz .LBB204_127
; %bb.126:                              ;   in Loop: Header=BB204_6 Depth=1
	ds_write_b16 v36, v15
.LBB204_127:                            ;   in Loop: Header=BB204_6 Depth=1
	s_or_b64 exec, exec, s[6:7]
	v_and_b32_e32 v4, s90, v28
	v_lshl_or_b32 v28, 1, s91, v4
	v_or_b32_e32 v29, s82, v29
	s_cmp_eq_u64 s[12:13], 0
	s_waitcnt lgkmcnt(0)
	s_barrier
	s_cbranch_scc1 .LBB204_141
; %bb.128:                              ;   in Loop: Header=BB204_6 Depth=1
	v_readlane_b32 s1, v56, 28
	s_add_u32 s1, s1, s12
	v_readlane_b32 s6, v56, 30
	s_addc_u32 s7, s6, s13
	s_mov_b32 s6, s83
	s_cmp_lg_u64 s[6:7], 0
	s_cbranch_scc0 .LBB204_185
; %bb.129:                              ;   in Loop: Header=BB204_6 Depth=1
	v_cvt_f32_u32_e32 v4, s33
	s_sub_u32 s6, 0, s33
	s_subb_u32 s28, 0, 0
	v_mac_f32_e32 v4, 0, v41
	v_rcp_f32_e32 v4, v4
	v_mul_f32_e32 v4, 0x5f7ffffc, v4
	v_mul_f32_e32 v5, 0x2f800000, v4
	v_trunc_f32_e32 v5, v5
	v_mac_f32_e32 v4, 0xcf800000, v5
	v_cvt_u32_f32_e32 v5, v5
	v_cvt_u32_f32_e32 v4, v4
	v_readfirstlane_b32 s29, v5
	v_readfirstlane_b32 s42, v4
	s_mul_i32 s43, s6, s29
	s_mul_hi_u32 s45, s6, s42
	s_mul_i32 s44, s28, s42
	s_add_i32 s43, s45, s43
	s_mul_i32 s46, s6, s42
	s_add_i32 s43, s43, s44
	s_mul_hi_u32 s45, s42, s46
	s_mul_hi_u32 s44, s42, s43
	s_mul_i32 s42, s42, s43
	s_add_u32 s42, s45, s42
	s_addc_u32 s44, 0, s44
	s_mul_hi_u32 s47, s29, s46
	s_mul_i32 s46, s29, s46
	s_add_u32 s42, s42, s46
	s_mul_hi_u32 s45, s29, s43
	s_addc_u32 s42, s44, s47
	s_addc_u32 s44, s45, 0
	s_mul_i32 s43, s29, s43
	s_add_u32 s42, s42, s43
	s_addc_u32 s43, 0, s44
	v_add_co_u32_e32 v4, vcc, s42, v4
	s_cmp_lg_u64 vcc, 0
	s_addc_u32 s29, s29, s43
	v_readfirstlane_b32 s43, v4
	s_mul_i32 s42, s6, s29
	s_mul_hi_u32 s44, s6, s43
	s_add_i32 s42, s44, s42
	s_mul_i32 s28, s28, s43
	s_add_i32 s42, s42, s28
	s_mul_i32 s6, s6, s43
	s_mul_hi_u32 s44, s29, s6
	s_mul_i32 s45, s29, s6
	s_mul_i32 s47, s43, s42
	s_mul_hi_u32 s6, s43, s6
	s_mul_hi_u32 s46, s43, s42
	s_add_u32 s6, s6, s47
	s_addc_u32 s43, 0, s46
	s_add_u32 s6, s6, s45
	s_mul_hi_u32 s28, s29, s42
	s_addc_u32 s6, s43, s44
	s_addc_u32 s28, s28, 0
	s_mul_i32 s42, s29, s42
	s_add_u32 s6, s6, s42
	s_addc_u32 s28, 0, s28
	v_add_co_u32_e32 v4, vcc, s6, v4
	s_cmp_lg_u64 vcc, 0
	s_addc_u32 s6, s29, s28
	v_readfirstlane_b32 s42, v4
	s_mul_i32 s29, s1, s6
	s_mul_hi_u32 s43, s1, s42
	s_mul_hi_u32 s28, s1, s6
	s_add_u32 s29, s43, s29
	s_addc_u32 s28, 0, s28
	s_mul_hi_u32 s44, s7, s42
	s_mul_i32 s42, s7, s42
	s_add_u32 s29, s29, s42
	s_mul_hi_u32 s43, s7, s6
	s_addc_u32 s28, s28, s44
	s_addc_u32 s29, s43, 0
	s_mul_i32 s6, s7, s6
	s_add_u32 s6, s28, s6
	s_addc_u32 s28, 0, s29
	s_mul_hi_u32 s29, s33, s6
	s_mul_i32 s6, s33, s6
	s_mul_i32 s28, s33, s28
	v_mov_b32_e32 v4, s6
	s_add_i32 s29, s29, s28
	v_sub_co_u32_e32 v4, vcc, s1, v4
	s_cmp_lg_u64 vcc, 0
	s_subb_u32 s6, s7, s29
	v_subrev_co_u32_e32 v5, vcc, s33, v4
	s_cmp_lg_u64 vcc, 0
	s_subb_u32 s28, s6, 0
	v_subrev_co_u32_e32 v6, vcc, s33, v5
	s_cmp_lg_u64 vcc, 0
	s_subb_u32 s29, s28, 0
	v_cmp_le_u32_e32 vcc, s33, v5
	s_cmp_eq_u32 s28, 0
	v_cndmask_b32_e64 v7, 0, -1, vcc
	s_cselect_b64 vcc, -1, 0
	v_cndmask_b32_e32 v7, -1, v7, vcc
	v_mov_b32_e32 v8, s28
	v_mov_b32_e32 v9, s29
	v_cmp_ne_u32_e32 vcc, 0, v7
	v_cndmask_b32_e32 v7, v8, v9, vcc
	v_cndmask_b32_e32 v6, v5, v6, vcc
	v_cmp_le_u32_e32 vcc, s33, v4
	s_cmp_eq_u32 s6, 0
	v_cndmask_b32_e64 v5, 0, -1, vcc
	s_cselect_b64 vcc, -1, 0
	v_cndmask_b32_e32 v5, -1, v5, vcc
	v_mov_b32_e32 v8, s6
	v_cmp_ne_u32_e32 vcc, 0, v5
	v_cndmask_b32_e32 v5, v8, v7, vcc
	v_cndmask_b32_e32 v4, v4, v6, vcc
	s_cbranch_execnz .LBB204_131
.LBB204_130:                            ;   in Loop: Header=BB204_6 Depth=1
	v_cvt_f32_u32_e32 v4, s33
	s_sub_i32 s6, 0, s33
	v_rcp_iflag_f32_e32 v4, v4
	v_mul_f32_e32 v4, 0x4f7ffffe, v4
	v_cvt_u32_f32_e32 v4, v4
	v_mul_lo_u32 v5, s6, v4
	v_mul_hi_u32 v5, v4, v5
	v_add_u32_e32 v4, v4, v5
	v_mul_hi_u32 v4, s1, v4
	v_mul_lo_u32 v4, v4, s33
	v_sub_u32_e32 v4, s1, v4
	v_subrev_u32_e32 v5, s33, v4
	v_cmp_le_u32_e32 vcc, s33, v4
	v_cndmask_b32_e32 v4, v4, v5, vcc
	v_subrev_u32_e32 v5, s33, v4
	v_cmp_le_u32_e32 vcc, s33, v4
	v_cndmask_b32_e32 v14, v4, v5, vcc
	v_pk_mov_b32 v[4:5], v[14:15], v[14:15] op_sel:[0,1]
.LBB204_131:                            ;   in Loop: Header=BB204_6 Depth=1
	v_mov_b32_e32 v6, s7
	v_sub_co_u32_e32 v4, vcc, s1, v4
	v_subb_co_u32_e32 v5, vcc, v6, v5, vcc
	v_cmp_gt_u64_e32 vcc, v[4:5], v[0:1]
	s_mov_b64 s[6:7], 0
                                        ; implicit-def: $vgpr6
	s_and_saveexec_b64 s[28:29], vcc
	s_cbranch_execz .LBB204_143
; %bb.132:                              ;   in Loop: Header=BB204_6 Depth=1
	s_mov_b64 s[42:43], 0
	v_mov_b32_e32 v8, v35
	v_pk_mov_b32 v[6:7], v[0:1], v[0:1] op_sel:[0,1]
                                        ; implicit-def: $sgpr44_sgpr45
	s_branch .LBB204_134
.LBB204_133:                            ;   in Loop: Header=BB204_134 Depth=2
	s_or_b64 exec, exec, s[6:7]
	s_waitcnt lgkmcnt(0)
	s_barrier
	ds_read_b32 v9, v15 offset:3072
	v_mov_b32_e32 v14, s88
	v_add_co_u32_e64 v6, s[6:7], s33, v6
	v_addc_co_u32_e64 v7, s[6:7], v7, v14, s[6:7]
	s_waitcnt lgkmcnt(0)
	v_cmp_neq_f16_e32 vcc, 0, v9
	v_cmp_ge_u64_e64 s[6:7], v[6:7], v[4:5]
	s_or_b64 s[6:7], s[6:7], vcc
	s_and_b64 s[6:7], exec, s[6:7]
	s_or_b64 s[42:43], s[6:7], s[42:43]
	s_andn2_b64 s[6:7], s[44:45], exec
	s_and_b64 s[44:45], vcc, exec
	v_add_u32_e32 v8, s0, v8
	s_or_b64 s[44:45], s[6:7], s[44:45]
	s_barrier
	s_andn2_b64 exec, exec, s[42:43]
	s_cbranch_execz .LBB204_142
.LBB204_134:                            ;   Parent Loop BB204_6 Depth=1
                                        ; =>  This Inner Loop Header: Depth=2
	v_cmp_gt_u64_e32 vcc, s[12:13], v[6:7]
	v_mov_b32_e32 v9, 0
	s_and_saveexec_b64 s[6:7], vcc
	s_cbranch_execz .LBB204_136
; %bb.135:                              ;   in Loop: Header=BB204_134 Depth=2
	ds_read_u16 v9, v8
.LBB204_136:                            ;   in Loop: Header=BB204_134 Depth=2
	s_or_b64 exec, exec, s[6:7]
	s_and_saveexec_b64 s[6:7], vcc
	s_cbranch_execz .LBB204_133
; %bb.137:                              ;   in Loop: Header=BB204_134 Depth=2
	s_waitcnt lgkmcnt(0)
	v_cmp_lt_i16_e32 vcc, -1, v9
	v_cndmask_b32_e32 v14, v39, v40, vcc
	v_xor_b32_sdwa v14, v14, v9 dst_sel:DWORD dst_unused:UNUSED_PAD src0_sel:DWORD src1_sel:WORD_0
	v_cmp_o_f16_e32 vcc, v9, v9
	v_cndmask_b32_e32 v14, v39, v14, vcc
	v_and_b32_e32 v14, v14, v29
	v_cmp_eq_u32_e32 vcc, v14, v28
	s_and_b64 exec, exec, vcc
	s_cbranch_execz .LBB204_133
; %bb.138:                              ;   in Loop: Header=BB204_134 Depth=2
	s_movk_i32 s1, 0x3c00
	v_perm_b32 v9, v9, s1, v43
	ds_write_b32 v15, v9 offset:3072
	s_branch .LBB204_133
.LBB204_139:                            ;   in Loop: Header=BB204_6 Depth=1
                                        ; implicit-def: $vgpr2_vgpr3
	s_branch .LBB204_81
.LBB204_140:                            ;   in Loop: Header=BB204_6 Depth=1
                                        ; implicit-def: $vgpr2_vgpr3
	s_branch .LBB204_100
.LBB204_141:                            ;   in Loop: Header=BB204_6 Depth=1
	s_mov_b64 s[28:29], -1
	s_mov_b64 s[6:7], 0
                                        ; implicit-def: $sgpr42_sgpr43
                                        ; implicit-def: $vgpr6
	s_mov_b64 s[44:45], s[28:29]
	s_cbranch_execnz .LBB204_144
	s_branch .LBB204_157
.LBB204_142:                            ;   in Loop: Header=BB204_6 Depth=1
	s_or_b64 exec, exec, s[42:43]
	v_lshrrev_b32_e32 v6, 16, v9
	s_and_b64 s[6:7], s[44:45], exec
.LBB204_143:                            ;   in Loop: Header=BB204_6 Depth=1
	s_or_b64 exec, exec, s[28:29]
	s_mov_b64 s[42:43], -1
	s_mov_b64 s[28:29], 0
	s_mov_b64 s[44:45], s[28:29]
	s_branch .LBB204_157
.LBB204_144:                            ;   in Loop: Header=BB204_6 Depth=1
	v_readlane_b32 s44, v56, 31
	v_readlane_b32 s45, v56, 32
	s_mov_b32 s44, s83
	s_cmp_lg_u64 s[44:45], 0
	v_writelane_b32 v56, s44, 31
	v_writelane_b32 v56, s45, 32
	s_cbranch_scc0 .LBB204_186
; %bb.145:                              ;   in Loop: Header=BB204_6 Depth=1
	v_cvt_f32_u32_e32 v4, s33
	s_sub_u32 s1, 0, s33
	s_subb_u32 s6, 0, 0
	v_mac_f32_e32 v4, 0, v41
	v_rcp_f32_e32 v4, v4
	v_mul_f32_e32 v4, 0x5f7ffffc, v4
	v_mul_f32_e32 v5, 0x2f800000, v4
	v_trunc_f32_e32 v5, v5
	v_mac_f32_e32 v4, 0xcf800000, v5
	v_cvt_u32_f32_e32 v5, v5
	v_cvt_u32_f32_e32 v4, v4
	v_readfirstlane_b32 s7, v5
	v_readfirstlane_b32 s12, v4
	s_mul_i32 s13, s1, s7
	s_mul_hi_u32 s29, s1, s12
	s_mul_i32 s28, s6, s12
	s_add_i32 s13, s29, s13
	s_mul_i32 s42, s1, s12
	s_add_i32 s13, s13, s28
	s_mul_hi_u32 s29, s12, s42
	s_mul_hi_u32 s28, s12, s13
	s_mul_i32 s12, s12, s13
	s_add_u32 s12, s29, s12
	s_addc_u32 s28, 0, s28
	s_mul_hi_u32 s43, s7, s42
	s_mul_i32 s42, s7, s42
	s_add_u32 s12, s12, s42
	s_mul_hi_u32 s29, s7, s13
	s_addc_u32 s12, s28, s43
	s_addc_u32 s28, s29, 0
	s_mul_i32 s13, s7, s13
	s_add_u32 s12, s12, s13
	s_addc_u32 s13, 0, s28
	v_add_co_u32_e32 v4, vcc, s12, v4
	s_cmp_lg_u64 vcc, 0
	s_addc_u32 s7, s7, s13
	v_readfirstlane_b32 s13, v4
	s_mul_i32 s12, s1, s7
	s_mul_hi_u32 s28, s1, s13
	s_add_i32 s12, s28, s12
	s_mul_i32 s6, s6, s13
	s_add_i32 s12, s12, s6
	s_mul_i32 s1, s1, s13
	s_mul_hi_u32 s28, s7, s1
	s_mul_i32 s29, s7, s1
	s_mul_i32 s43, s13, s12
	s_mul_hi_u32 s1, s13, s1
	s_mul_hi_u32 s42, s13, s12
	s_add_u32 s1, s1, s43
	s_addc_u32 s13, 0, s42
	s_add_u32 s1, s1, s29
	s_mul_hi_u32 s6, s7, s12
	s_addc_u32 s1, s13, s28
	s_addc_u32 s6, s6, 0
	s_mul_i32 s12, s7, s12
	s_add_u32 s1, s1, s12
	s_addc_u32 s6, 0, s6
	v_add_co_u32_e32 v4, vcc, s1, v4
	s_cmp_lg_u64 vcc, 0
	s_addc_u32 s1, s7, s6
	v_readlane_b32 s29, v56, 29
	v_readfirstlane_b32 s12, v4
	s_mul_i32 s7, s29, s1
	s_mul_hi_u32 s13, s29, s12
	s_mul_hi_u32 s6, s29, s1
	s_add_u32 s7, s13, s7
	s_addc_u32 s6, 0, s6
	s_mul_hi_u32 s28, s45, s12
	s_mul_i32 s12, s45, s12
	s_add_u32 s7, s7, s12
	s_mul_hi_u32 s13, s45, s1
	s_addc_u32 s6, s6, s28
	s_addc_u32 s7, s13, 0
	s_mul_i32 s1, s45, s1
	s_add_u32 s1, s6, s1
	s_addc_u32 s6, 0, s7
	s_mul_hi_u32 s7, s33, s1
	s_mul_i32 s1, s33, s1
	s_mul_i32 s6, s33, s6
	v_mov_b32_e32 v4, s1
	s_add_i32 s7, s7, s6
	v_sub_co_u32_e32 v4, vcc, s29, v4
	s_cmp_lg_u64 vcc, 0
	s_subb_u32 s1, s45, s7
	v_subrev_co_u32_e32 v5, vcc, s33, v4
	s_cmp_lg_u64 vcc, 0
	s_subb_u32 s6, s1, 0
	v_subrev_co_u32_e32 v6, vcc, s33, v5
	s_cmp_lg_u64 vcc, 0
	s_subb_u32 s7, s6, 0
	v_cmp_le_u32_e32 vcc, s33, v5
	s_cmp_eq_u32 s6, 0
	v_cndmask_b32_e64 v7, 0, -1, vcc
	s_cselect_b64 vcc, -1, 0
	v_cndmask_b32_e32 v7, -1, v7, vcc
	v_mov_b32_e32 v8, s6
	v_mov_b32_e32 v9, s7
	v_cmp_ne_u32_e32 vcc, 0, v7
	v_cndmask_b32_e32 v7, v8, v9, vcc
	v_cndmask_b32_e32 v6, v5, v6, vcc
	v_cmp_le_u32_e32 vcc, s33, v4
	s_cmp_eq_u32 s1, 0
	v_cndmask_b32_e64 v5, 0, -1, vcc
	s_cselect_b64 vcc, -1, 0
	v_cndmask_b32_e32 v5, -1, v5, vcc
	v_mov_b32_e32 v8, s1
	v_cmp_ne_u32_e32 vcc, 0, v5
	v_cndmask_b32_e32 v5, v8, v7, vcc
	v_cndmask_b32_e32 v4, v4, v6, vcc
	s_cbranch_execnz .LBB204_147
.LBB204_146:                            ;   in Loop: Header=BB204_6 Depth=1
	v_cvt_f32_u32_e32 v4, s33
	s_sub_i32 s1, 0, s33
	v_rcp_iflag_f32_e32 v4, v4
	v_mul_f32_e32 v4, 0x4f7ffffe, v4
	v_cvt_u32_f32_e32 v4, v4
	v_mul_lo_u32 v5, s1, v4
	v_mul_hi_u32 v5, v4, v5
	v_add_u32_e32 v4, v4, v5
	v_readlane_b32 s1, v56, 29
	v_mul_hi_u32 v4, s1, v4
	v_mul_lo_u32 v4, v4, s33
	v_sub_u32_e32 v4, s1, v4
	v_subrev_u32_e32 v5, s33, v4
	v_cmp_le_u32_e32 vcc, s33, v4
	v_cndmask_b32_e32 v4, v4, v5, vcc
	v_subrev_u32_e32 v5, s33, v4
	v_cmp_le_u32_e32 vcc, s33, v4
	v_cndmask_b32_e32 v14, v4, v5, vcc
	v_pk_mov_b32 v[4:5], v[14:15], v[14:15] op_sel:[0,1]
.LBB204_147:                            ;   in Loop: Header=BB204_6 Depth=1
	v_readlane_b32 s6, v56, 31
	v_readlane_b32 s7, v56, 32
	;; [unrolled: 1-line block ×3, first 2 shown]
	v_mov_b32_e32 v6, s7
	v_sub_co_u32_e32 v4, vcc, s1, v4
	v_subb_co_u32_e32 v5, vcc, v6, v5, vcc
	v_cmp_gt_u64_e32 vcc, v[4:5], v[0:1]
	s_mov_b64 s[6:7], 0
                                        ; implicit-def: $vgpr6
	s_and_saveexec_b64 s[12:13], vcc
	s_cbranch_execz .LBB204_156
; %bb.148:                              ;   in Loop: Header=BB204_6 Depth=1
	s_mov_b64 s[28:29], 0
	v_pk_mov_b32 v[6:7], v[12:13], v[12:13] op_sel:[0,1]
	v_pk_mov_b32 v[8:9], v[0:1], v[0:1] op_sel:[0,1]
                                        ; implicit-def: $sgpr42_sgpr43
	s_branch .LBB204_150
.LBB204_149:                            ;   in Loop: Header=BB204_150 Depth=2
	s_or_b64 exec, exec, s[6:7]
	s_waitcnt lgkmcnt(0)
	s_barrier
	s_waitcnt vmcnt(0)
	ds_read_b32 v14, v15 offset:3072
	v_mov_b32_e32 v30, s88
	v_add_co_u32_e64 v8, s[6:7], s33, v8
	v_addc_co_u32_e64 v9, s[6:7], v9, v30, s[6:7]
	s_waitcnt lgkmcnt(0)
	v_cmp_neq_f16_e32 vcc, 0, v14
	v_cmp_ge_u64_e64 s[6:7], v[8:9], v[4:5]
	s_or_b64 s[44:45], s[6:7], vcc
	v_mov_b32_e32 v30, s61
	v_add_co_u32_e64 v6, s[6:7], s60, v6
	v_addc_co_u32_e64 v7, s[6:7], v7, v30, s[6:7]
	s_and_b64 s[6:7], exec, s[44:45]
	s_or_b64 s[28:29], s[6:7], s[28:29]
	s_andn2_b64 s[6:7], s[42:43], exec
	s_and_b64 s[42:43], vcc, exec
	s_or_b64 s[42:43], s[6:7], s[42:43]
	s_barrier
	s_andn2_b64 exec, exec, s[28:29]
	s_cbranch_execz .LBB204_155
.LBB204_150:                            ;   Parent Loop BB204_6 Depth=1
                                        ; =>  This Inner Loop Header: Depth=2
	v_cmp_gt_u64_e32 vcc, s[56:57], v[8:9]
	v_mov_b32_e32 v14, 0
	s_and_saveexec_b64 s[6:7], vcc
	s_cbranch_execz .LBB204_152
; %bb.151:                              ;   in Loop: Header=BB204_150 Depth=2
	global_load_ushort v14, v[6:7], off
.LBB204_152:                            ;   in Loop: Header=BB204_150 Depth=2
	s_or_b64 exec, exec, s[6:7]
	s_and_saveexec_b64 s[6:7], vcc
	s_cbranch_execz .LBB204_149
; %bb.153:                              ;   in Loop: Header=BB204_150 Depth=2
	s_waitcnt vmcnt(0)
	v_cmp_lt_i16_e32 vcc, -1, v14
	v_cndmask_b32_e32 v30, v39, v40, vcc
	v_xor_b32_sdwa v30, v30, v14 dst_sel:DWORD dst_unused:UNUSED_PAD src0_sel:DWORD src1_sel:WORD_0
	v_cmp_o_f16_e32 vcc, v14, v14
	v_cndmask_b32_e32 v30, v39, v30, vcc
	v_and_b32_e32 v30, v30, v29
	v_cmp_eq_u32_e32 vcc, v30, v28
	s_and_b64 exec, exec, vcc
	s_cbranch_execz .LBB204_149
; %bb.154:                              ;   in Loop: Header=BB204_150 Depth=2
	s_movk_i32 s1, 0x3c00
	v_perm_b32 v14, v14, s1, v43
	ds_write_b32 v15, v14 offset:3072
	s_branch .LBB204_149
.LBB204_155:                            ;   in Loop: Header=BB204_6 Depth=1
	s_or_b64 exec, exec, s[28:29]
	v_lshrrev_b32_e32 v6, 16, v14
	s_and_b64 s[6:7], s[42:43], exec
.LBB204_156:                            ;   in Loop: Header=BB204_6 Depth=1
	s_or_b64 exec, exec, s[12:13]
	s_mov_b64 s[44:45], -1
	s_mov_b64 s[28:29], 0
	s_mov_b64 s[42:43], 0
.LBB204_157:                            ;   in Loop: Header=BB204_6 Depth=1
	s_orn2_b64 s[12:13], s[6:7], exec
.LBB204_158:                            ;   in Loop: Header=BB204_6 Depth=1
	s_or_b64 exec, exec, s[4:5]
	s_mov_b64 s[6:7], 0
                                        ; implicit-def: $vgpr7
	s_and_saveexec_b64 s[46:47], s[12:13]
	s_cbranch_execz .LBB204_271
; %bb.159:                              ;   in Loop: Header=BB204_6 Depth=1
	v_mov_b32_e32 v4, 1
	s_xor_b64 s[6:7], s[48:49], -1
	s_mov_b64 s[12:13], 0
	v_mov_b32_e32 v5, 0
	v_mov_b32_e32 v7, 1
	s_and_saveexec_b64 s[4:5], s[6:7]
	s_cbranch_execz .LBB204_169
; %bb.160:                              ;   in Loop: Header=BB204_6 Depth=1
	v_cmp_ge_u64_e32 vcc, s[18:19], v[2:3]
                                        ; implicit-def: $sgpr1
                                        ; implicit-def: $sgpr6_sgpr7
	s_and_saveexec_b64 s[12:13], vcc
	s_xor_b64 s[12:13], exec, s[12:13]
	s_cbranch_execz .LBB204_166
; %bb.161:                              ;   in Loop: Header=BB204_6 Depth=1
	ds_read_b64 v[4:5], v15 offset:5120
	s_waitcnt lgkmcnt(0)
	v_cmp_ne_u64_e32 vcc, 0, v[4:5]
	s_cbranch_vccnz .LBB204_165
; %bb.162:                              ;   in Loop: Header=BB204_6 Depth=1
	s_mov_b64 s[6:7], exec
	v_readlane_b32 s48, v56, 8
	v_readlane_b32 s49, v56, 9
	s_and_b64 s[48:49], s[6:7], s[48:49]
	s_mov_b64 exec, s[48:49]
	s_cbranch_execz .LBB204_164
; %bb.163:                              ;   in Loop: Header=BB204_6 Depth=1
	v_pk_mov_b32 v[4:5], s[18:19], s[18:19] op_sel:[0,1]
	ds_write_b64 v15, v[4:5] offset:5128
.LBB204_164:                            ;   in Loop: Header=BB204_6 Depth=1
	s_or_b64 exec, exec, s[6:7]
	s_waitcnt lgkmcnt(0)
	s_barrier
.LBB204_165:                            ;   in Loop: Header=BB204_6 Depth=1
	v_and_b32_e32 v4, s90, v28
	v_lshl_or_b32 v28, 1, s91, v4
	v_or_b32_e32 v29, s82, v29
	s_mov_b64 s[6:7], 0
	s_mov_b32 s1, 8
.LBB204_166:                            ;   in Loop: Header=BB204_6 Depth=1
	s_or_saveexec_b64 s[12:13], s[12:13]
	v_mov_b32_e32 v7, s1
	s_xor_b64 exec, exec, s[12:13]
; %bb.167:                              ;   in Loop: Header=BB204_6 Depth=1
	v_mov_b32_e32 v4, s19
	v_subrev_co_u32_e32 v2, vcc, s18, v2
	v_subb_co_u32_e32 v3, vcc, v3, v4, vcc
	v_mov_b32_e32 v7, 0
	s_or_b64 s[6:7], s[6:7], exec
; %bb.168:                              ;   in Loop: Header=BB204_6 Depth=1
	s_or_b64 exec, exec, s[12:13]
	s_and_b64 s[12:13], s[6:7], exec
	v_pk_mov_b32 v[4:5], v[2:3], v[2:3] op_sel:[0,1]
.LBB204_169:                            ;   in Loop: Header=BB204_6 Depth=1
	s_or_b64 exec, exec, s[4:5]
	s_mov_b64 s[4:5], -1
                                        ; implicit-def: $sgpr6_sgpr7
                                        ; implicit-def: $sgpr50_sgpr51
                                        ; implicit-def: $sgpr52_sgpr53
	s_and_saveexec_b64 s[48:49], s[12:13]
	s_cbranch_execz .LBB204_270
; %bb.170:                              ;   in Loop: Header=BB204_6 Depth=1
	s_cmp_eq_u64 s[22:23], 1
	s_cselect_b64 s[4:5], -1, 0
	v_cmp_eq_u64_e32 vcc, 1, v[4:5]
	s_and_b64 s[52:53], s[4:5], vcc
	s_mov_b64 s[6:7], -1
                                        ; implicit-def: $sgpr50_sgpr51
                                        ; implicit-def: $sgpr54_sgpr55
                                        ; implicit-def: $sgpr4_sgpr5
	s_and_saveexec_b64 s[86:87], s[52:53]
	s_cbranch_execz .LBB204_204
; %bb.171:                              ;   in Loop: Header=BB204_6 Depth=1
	ds_read_b64 v[2:3], v15 offset:5120
	s_waitcnt lgkmcnt(0)
	s_barrier
	v_readfirstlane_b32 s4, v2
	v_readfirstlane_b32 s5, v3
	s_mov_b64 s[6:7], exec
	v_readlane_b32 s12, v56, 24
	v_readlane_b32 s13, v56, 25
	s_and_b64 s[12:13], s[6:7], s[12:13]
	s_mov_b64 exec, s[12:13]
	s_cbranch_execz .LBB204_173
; %bb.172:                              ;   in Loop: Header=BB204_6 Depth=1
	ds_write_b16 v36, v15
.LBB204_173:                            ;   in Loop: Header=BB204_6 Depth=1
	s_or_b64 exec, exec, s[6:7]
	v_and_b32_e32 v2, s90, v28
	v_lshl_or_b32 v28, 2, s91, v2
	v_or_b32_e32 v29, s82, v29
	s_cmp_eq_u64 s[4:5], 0
	s_waitcnt lgkmcnt(0)
	s_barrier
	s_cbranch_scc1 .LBB204_187
; %bb.174:                              ;   in Loop: Header=BB204_6 Depth=1
	v_readlane_b32 s1, v56, 28
	s_add_u32 s1, s1, s4
	v_readlane_b32 s6, v56, 30
	s_addc_u32 s7, s6, s5
	s_mov_b32 s6, s83
	s_cmp_lg_u64 s[6:7], 0
	s_cbranch_scc0 .LBB204_222
; %bb.175:                              ;   in Loop: Header=BB204_6 Depth=1
	v_cvt_f32_u32_e32 v2, s33
	s_sub_u32 s6, 0, s33
	s_subb_u32 s12, 0, 0
	v_mac_f32_e32 v2, 0, v41
	v_rcp_f32_e32 v2, v2
	v_mul_f32_e32 v2, 0x5f7ffffc, v2
	v_mul_f32_e32 v3, 0x2f800000, v2
	v_trunc_f32_e32 v3, v3
	v_mac_f32_e32 v2, 0xcf800000, v3
	v_cvt_u32_f32_e32 v3, v3
	v_cvt_u32_f32_e32 v2, v2
	v_readfirstlane_b32 s13, v3
	v_readfirstlane_b32 s50, v2
	s_mul_i32 s51, s6, s13
	s_mul_hi_u32 s55, s6, s50
	s_mul_i32 s54, s12, s50
	s_add_i32 s51, s55, s51
	s_mul_i32 s70, s6, s50
	s_add_i32 s51, s51, s54
	s_mul_hi_u32 s55, s50, s70
	s_mul_hi_u32 s54, s50, s51
	s_mul_i32 s50, s50, s51
	s_add_u32 s50, s55, s50
	s_addc_u32 s54, 0, s54
	s_mul_hi_u32 s71, s13, s70
	s_mul_i32 s70, s13, s70
	s_add_u32 s50, s50, s70
	s_mul_hi_u32 s55, s13, s51
	s_addc_u32 s50, s54, s71
	s_addc_u32 s54, s55, 0
	s_mul_i32 s51, s13, s51
	s_add_u32 s50, s50, s51
	s_addc_u32 s51, 0, s54
	v_add_co_u32_e32 v2, vcc, s50, v2
	s_cmp_lg_u64 vcc, 0
	s_addc_u32 s13, s13, s51
	v_readfirstlane_b32 s51, v2
	s_mul_i32 s50, s6, s13
	s_mul_hi_u32 s54, s6, s51
	s_add_i32 s50, s54, s50
	s_mul_i32 s12, s12, s51
	s_add_i32 s50, s50, s12
	s_mul_i32 s6, s6, s51
	s_mul_hi_u32 s54, s13, s6
	s_mul_i32 s55, s13, s6
	s_mul_i32 s71, s51, s50
	s_mul_hi_u32 s6, s51, s6
	s_mul_hi_u32 s70, s51, s50
	s_add_u32 s6, s6, s71
	s_addc_u32 s51, 0, s70
	s_add_u32 s6, s6, s55
	s_mul_hi_u32 s12, s13, s50
	s_addc_u32 s6, s51, s54
	s_addc_u32 s12, s12, 0
	s_mul_i32 s50, s13, s50
	s_add_u32 s6, s6, s50
	s_addc_u32 s12, 0, s12
	v_add_co_u32_e32 v2, vcc, s6, v2
	s_cmp_lg_u64 vcc, 0
	s_addc_u32 s6, s13, s12
	v_readfirstlane_b32 s50, v2
	s_mul_i32 s13, s1, s6
	s_mul_hi_u32 s51, s1, s50
	s_mul_hi_u32 s12, s1, s6
	s_add_u32 s13, s51, s13
	s_addc_u32 s12, 0, s12
	s_mul_hi_u32 s54, s7, s50
	s_mul_i32 s50, s7, s50
	s_add_u32 s13, s13, s50
	s_mul_hi_u32 s51, s7, s6
	s_addc_u32 s12, s12, s54
	s_addc_u32 s13, s51, 0
	s_mul_i32 s6, s7, s6
	s_add_u32 s6, s12, s6
	s_addc_u32 s12, 0, s13
	s_mul_hi_u32 s13, s33, s6
	s_mul_i32 s6, s33, s6
	s_mul_i32 s12, s33, s12
	v_mov_b32_e32 v2, s6
	s_add_i32 s13, s13, s12
	v_sub_co_u32_e32 v2, vcc, s1, v2
	s_cmp_lg_u64 vcc, 0
	s_subb_u32 s6, s7, s13
	v_subrev_co_u32_e32 v3, vcc, s33, v2
	s_cmp_lg_u64 vcc, 0
	s_subb_u32 s12, s6, 0
	v_subrev_co_u32_e32 v6, vcc, s33, v3
	s_cmp_lg_u64 vcc, 0
	s_subb_u32 s13, s12, 0
	v_cmp_le_u32_e32 vcc, s33, v3
	s_cmp_eq_u32 s12, 0
	v_cndmask_b32_e64 v7, 0, -1, vcc
	s_cselect_b64 vcc, -1, 0
	v_cndmask_b32_e32 v7, -1, v7, vcc
	v_mov_b32_e32 v8, s12
	v_mov_b32_e32 v9, s13
	v_cmp_ne_u32_e32 vcc, 0, v7
	v_cndmask_b32_e32 v7, v8, v9, vcc
	v_cndmask_b32_e32 v6, v3, v6, vcc
	v_cmp_le_u32_e32 vcc, s33, v2
	s_cmp_eq_u32 s6, 0
	v_cndmask_b32_e64 v3, 0, -1, vcc
	s_cselect_b64 vcc, -1, 0
	v_cndmask_b32_e32 v3, -1, v3, vcc
	v_mov_b32_e32 v8, s6
	v_cmp_ne_u32_e32 vcc, 0, v3
	v_cndmask_b32_e32 v3, v8, v7, vcc
	v_cndmask_b32_e32 v2, v2, v6, vcc
	s_cbranch_execnz .LBB204_177
.LBB204_176:                            ;   in Loop: Header=BB204_6 Depth=1
	v_cvt_f32_u32_e32 v2, s33
	s_sub_i32 s6, 0, s33
	v_rcp_iflag_f32_e32 v2, v2
	v_mul_f32_e32 v2, 0x4f7ffffe, v2
	v_cvt_u32_f32_e32 v2, v2
	v_mul_lo_u32 v3, s6, v2
	v_mul_hi_u32 v3, v2, v3
	v_add_u32_e32 v2, v2, v3
	v_mul_hi_u32 v2, s1, v2
	v_mul_lo_u32 v2, v2, s33
	v_sub_u32_e32 v2, s1, v2
	v_subrev_u32_e32 v3, s33, v2
	v_cmp_le_u32_e32 vcc, s33, v2
	v_cndmask_b32_e32 v2, v2, v3, vcc
	v_subrev_u32_e32 v3, s33, v2
	v_cmp_le_u32_e32 vcc, s33, v2
	v_cndmask_b32_e32 v14, v2, v3, vcc
	v_pk_mov_b32 v[2:3], v[14:15], v[14:15] op_sel:[0,1]
.LBB204_177:                            ;   in Loop: Header=BB204_6 Depth=1
	v_mov_b32_e32 v6, s7
	v_sub_co_u32_e32 v2, vcc, s1, v2
	v_subb_co_u32_e32 v3, vcc, v6, v3, vcc
	v_cmp_gt_u64_e32 vcc, v[2:3], v[0:1]
	s_mov_b64 s[6:7], 0
                                        ; implicit-def: $vgpr6
	s_and_saveexec_b64 s[12:13], vcc
	s_cbranch_execz .LBB204_189
; %bb.178:                              ;   in Loop: Header=BB204_6 Depth=1
	s_mov_b64 s[50:51], 0
	v_mov_b32_e32 v8, v35
	v_pk_mov_b32 v[6:7], v[0:1], v[0:1] op_sel:[0,1]
                                        ; implicit-def: $sgpr54_sgpr55
	s_branch .LBB204_180
.LBB204_179:                            ;   in Loop: Header=BB204_180 Depth=2
	s_or_b64 exec, exec, s[6:7]
	s_waitcnt lgkmcnt(0)
	s_barrier
	ds_read_b32 v9, v15 offset:3072
	v_mov_b32_e32 v14, s88
	v_add_co_u32_e64 v6, s[6:7], s33, v6
	v_addc_co_u32_e64 v7, s[6:7], v7, v14, s[6:7]
	s_waitcnt lgkmcnt(0)
	v_cmp_neq_f16_e32 vcc, 0, v9
	v_cmp_ge_u64_e64 s[6:7], v[6:7], v[2:3]
	s_or_b64 s[6:7], s[6:7], vcc
	s_and_b64 s[6:7], exec, s[6:7]
	s_or_b64 s[50:51], s[6:7], s[50:51]
	s_andn2_b64 s[6:7], s[54:55], exec
	s_and_b64 s[54:55], vcc, exec
	v_add_u32_e32 v8, s0, v8
	s_or_b64 s[54:55], s[6:7], s[54:55]
	s_barrier
	s_andn2_b64 exec, exec, s[50:51]
	s_cbranch_execz .LBB204_188
.LBB204_180:                            ;   Parent Loop BB204_6 Depth=1
                                        ; =>  This Inner Loop Header: Depth=2
	v_cmp_gt_u64_e32 vcc, s[4:5], v[6:7]
	v_mov_b32_e32 v9, 0
	s_and_saveexec_b64 s[6:7], vcc
	s_cbranch_execz .LBB204_182
; %bb.181:                              ;   in Loop: Header=BB204_180 Depth=2
	ds_read_u16 v9, v8
.LBB204_182:                            ;   in Loop: Header=BB204_180 Depth=2
	s_or_b64 exec, exec, s[6:7]
	s_and_saveexec_b64 s[6:7], vcc
	s_cbranch_execz .LBB204_179
; %bb.183:                              ;   in Loop: Header=BB204_180 Depth=2
	s_waitcnt lgkmcnt(0)
	v_cmp_lt_i16_e32 vcc, -1, v9
	v_cndmask_b32_e32 v14, v39, v40, vcc
	v_xor_b32_sdwa v14, v14, v9 dst_sel:DWORD dst_unused:UNUSED_PAD src0_sel:DWORD src1_sel:WORD_0
	v_cmp_o_f16_e32 vcc, v9, v9
	v_cndmask_b32_e32 v14, v39, v14, vcc
	v_and_b32_e32 v14, v14, v29
	v_cmp_eq_u32_e32 vcc, v14, v28
	s_and_b64 exec, exec, vcc
	s_cbranch_execz .LBB204_179
; %bb.184:                              ;   in Loop: Header=BB204_180 Depth=2
	s_movk_i32 s1, 0x3c00
	v_perm_b32 v9, v9, s1, v43
	ds_write_b32 v15, v9 offset:3072
	s_branch .LBB204_179
.LBB204_185:                            ;   in Loop: Header=BB204_6 Depth=1
                                        ; implicit-def: $vgpr4_vgpr5
	s_branch .LBB204_130
.LBB204_186:                            ;   in Loop: Header=BB204_6 Depth=1
                                        ; implicit-def: $vgpr4_vgpr5
	s_branch .LBB204_146
.LBB204_187:                            ;   in Loop: Header=BB204_6 Depth=1
	s_mov_b64 s[50:51], -1
	s_mov_b64 s[6:7], 0
                                        ; implicit-def: $sgpr4_sgpr5
                                        ; implicit-def: $vgpr6
	s_mov_b64 s[54:55], s[50:51]
	s_cbranch_execnz .LBB204_190
	s_branch .LBB204_203
.LBB204_188:                            ;   in Loop: Header=BB204_6 Depth=1
	s_or_b64 exec, exec, s[50:51]
	v_lshrrev_b32_e32 v6, 16, v9
	s_and_b64 s[6:7], s[54:55], exec
.LBB204_189:                            ;   in Loop: Header=BB204_6 Depth=1
	s_or_b64 exec, exec, s[12:13]
	s_mov_b64 s[4:5], -1
	s_mov_b64 s[50:51], 0
	s_mov_b64 s[54:55], s[50:51]
	s_branch .LBB204_203
.LBB204_190:                            ;   in Loop: Header=BB204_6 Depth=1
	v_readlane_b32 s54, v56, 31
	v_readlane_b32 s55, v56, 32
	s_mov_b32 s54, s83
	s_cmp_lg_u64 s[54:55], 0
	v_writelane_b32 v56, s54, 31
	v_writelane_b32 v56, s55, 32
	s_cbranch_scc0 .LBB204_223
; %bb.191:                              ;   in Loop: Header=BB204_6 Depth=1
	v_cvt_f32_u32_e32 v2, s33
	s_sub_u32 s1, 0, s33
	s_subb_u32 s4, 0, 0
	v_mac_f32_e32 v2, 0, v41
	v_rcp_f32_e32 v2, v2
	v_mul_f32_e32 v2, 0x5f7ffffc, v2
	v_mul_f32_e32 v3, 0x2f800000, v2
	v_trunc_f32_e32 v3, v3
	v_mac_f32_e32 v2, 0xcf800000, v3
	v_cvt_u32_f32_e32 v3, v3
	v_cvt_u32_f32_e32 v2, v2
	v_readfirstlane_b32 s5, v3
	v_readfirstlane_b32 s6, v2
	s_mul_i32 s7, s1, s5
	s_mul_hi_u32 s13, s1, s6
	s_mul_i32 s12, s4, s6
	s_add_i32 s7, s13, s7
	s_mul_i32 s50, s1, s6
	s_add_i32 s7, s7, s12
	s_mul_hi_u32 s13, s6, s50
	s_mul_hi_u32 s12, s6, s7
	s_mul_i32 s6, s6, s7
	s_add_u32 s6, s13, s6
	s_addc_u32 s12, 0, s12
	s_mul_hi_u32 s51, s5, s50
	s_mul_i32 s50, s5, s50
	s_add_u32 s6, s6, s50
	s_mul_hi_u32 s13, s5, s7
	s_addc_u32 s6, s12, s51
	s_addc_u32 s12, s13, 0
	s_mul_i32 s7, s5, s7
	s_add_u32 s6, s6, s7
	s_addc_u32 s7, 0, s12
	v_add_co_u32_e32 v2, vcc, s6, v2
	s_cmp_lg_u64 vcc, 0
	s_addc_u32 s5, s5, s7
	v_readfirstlane_b32 s7, v2
	s_mul_i32 s6, s1, s5
	s_mul_hi_u32 s12, s1, s7
	s_add_i32 s6, s12, s6
	s_mul_i32 s4, s4, s7
	s_add_i32 s6, s6, s4
	s_mul_i32 s1, s1, s7
	s_mul_hi_u32 s12, s5, s1
	s_mul_i32 s13, s5, s1
	s_mul_i32 s51, s7, s6
	s_mul_hi_u32 s1, s7, s1
	s_mul_hi_u32 s50, s7, s6
	s_add_u32 s1, s1, s51
	s_addc_u32 s7, 0, s50
	s_add_u32 s1, s1, s13
	s_mul_hi_u32 s4, s5, s6
	s_addc_u32 s1, s7, s12
	s_addc_u32 s4, s4, 0
	s_mul_i32 s6, s5, s6
	s_add_u32 s1, s1, s6
	s_addc_u32 s4, 0, s4
	v_add_co_u32_e32 v2, vcc, s1, v2
	s_cmp_lg_u64 vcc, 0
	s_addc_u32 s1, s5, s4
	v_readlane_b32 s13, v56, 29
	v_readfirstlane_b32 s6, v2
	s_mul_i32 s5, s13, s1
	s_mul_hi_u32 s7, s13, s6
	s_mul_hi_u32 s4, s13, s1
	s_add_u32 s5, s7, s5
	s_addc_u32 s4, 0, s4
	s_mul_hi_u32 s12, s55, s6
	s_mul_i32 s6, s55, s6
	s_add_u32 s5, s5, s6
	s_mul_hi_u32 s7, s55, s1
	s_addc_u32 s4, s4, s12
	s_addc_u32 s5, s7, 0
	s_mul_i32 s1, s55, s1
	s_add_u32 s1, s4, s1
	s_addc_u32 s4, 0, s5
	s_mul_hi_u32 s5, s33, s1
	s_mul_i32 s1, s33, s1
	s_mul_i32 s4, s33, s4
	v_mov_b32_e32 v2, s1
	s_add_i32 s5, s5, s4
	v_sub_co_u32_e32 v2, vcc, s13, v2
	s_cmp_lg_u64 vcc, 0
	s_subb_u32 s1, s55, s5
	v_subrev_co_u32_e32 v3, vcc, s33, v2
	s_cmp_lg_u64 vcc, 0
	s_subb_u32 s4, s1, 0
	v_subrev_co_u32_e32 v6, vcc, s33, v3
	s_cmp_lg_u64 vcc, 0
	s_subb_u32 s5, s4, 0
	v_cmp_le_u32_e32 vcc, s33, v3
	s_cmp_eq_u32 s4, 0
	v_cndmask_b32_e64 v7, 0, -1, vcc
	s_cselect_b64 vcc, -1, 0
	v_cndmask_b32_e32 v7, -1, v7, vcc
	v_mov_b32_e32 v8, s4
	v_mov_b32_e32 v9, s5
	v_cmp_ne_u32_e32 vcc, 0, v7
	v_cndmask_b32_e32 v7, v8, v9, vcc
	v_cndmask_b32_e32 v6, v3, v6, vcc
	v_cmp_le_u32_e32 vcc, s33, v2
	s_cmp_eq_u32 s1, 0
	v_cndmask_b32_e64 v3, 0, -1, vcc
	s_cselect_b64 vcc, -1, 0
	v_cndmask_b32_e32 v3, -1, v3, vcc
	v_mov_b32_e32 v8, s1
	v_cmp_ne_u32_e32 vcc, 0, v3
	v_cndmask_b32_e32 v3, v8, v7, vcc
	v_cndmask_b32_e32 v2, v2, v6, vcc
	s_cbranch_execnz .LBB204_193
.LBB204_192:                            ;   in Loop: Header=BB204_6 Depth=1
	v_cvt_f32_u32_e32 v2, s33
	s_sub_i32 s1, 0, s33
	v_rcp_iflag_f32_e32 v2, v2
	v_mul_f32_e32 v2, 0x4f7ffffe, v2
	v_cvt_u32_f32_e32 v2, v2
	v_mul_lo_u32 v3, s1, v2
	v_mul_hi_u32 v3, v2, v3
	v_add_u32_e32 v2, v2, v3
	v_readlane_b32 s1, v56, 29
	v_mul_hi_u32 v2, s1, v2
	v_mul_lo_u32 v2, v2, s33
	v_sub_u32_e32 v2, s1, v2
	v_subrev_u32_e32 v3, s33, v2
	v_cmp_le_u32_e32 vcc, s33, v2
	v_cndmask_b32_e32 v2, v2, v3, vcc
	v_subrev_u32_e32 v3, s33, v2
	v_cmp_le_u32_e32 vcc, s33, v2
	v_cndmask_b32_e32 v14, v2, v3, vcc
	v_pk_mov_b32 v[2:3], v[14:15], v[14:15] op_sel:[0,1]
.LBB204_193:                            ;   in Loop: Header=BB204_6 Depth=1
	v_readlane_b32 s4, v56, 31
	v_readlane_b32 s5, v56, 32
	;; [unrolled: 1-line block ×3, first 2 shown]
	v_mov_b32_e32 v6, s5
	v_sub_co_u32_e32 v2, vcc, s1, v2
	v_subb_co_u32_e32 v3, vcc, v6, v3, vcc
	v_cmp_gt_u64_e32 vcc, v[2:3], v[0:1]
	s_mov_b64 s[6:7], 0
                                        ; implicit-def: $vgpr6
	s_and_saveexec_b64 s[4:5], vcc
	s_cbranch_execz .LBB204_202
; %bb.194:                              ;   in Loop: Header=BB204_6 Depth=1
	s_mov_b64 s[12:13], 0
	v_pk_mov_b32 v[6:7], v[12:13], v[12:13] op_sel:[0,1]
	v_pk_mov_b32 v[8:9], v[0:1], v[0:1] op_sel:[0,1]
                                        ; implicit-def: $sgpr50_sgpr51
	s_branch .LBB204_196
.LBB204_195:                            ;   in Loop: Header=BB204_196 Depth=2
	s_or_b64 exec, exec, s[6:7]
	s_waitcnt lgkmcnt(0)
	s_barrier
	s_waitcnt vmcnt(0)
	ds_read_b32 v14, v15 offset:3072
	v_mov_b32_e32 v30, s88
	v_add_co_u32_e64 v8, s[6:7], s33, v8
	v_addc_co_u32_e64 v9, s[6:7], v9, v30, s[6:7]
	s_waitcnt lgkmcnt(0)
	v_cmp_neq_f16_e32 vcc, 0, v14
	v_cmp_ge_u64_e64 s[6:7], v[8:9], v[2:3]
	s_or_b64 s[54:55], s[6:7], vcc
	v_mov_b32_e32 v30, s61
	v_add_co_u32_e64 v6, s[6:7], s60, v6
	v_addc_co_u32_e64 v7, s[6:7], v7, v30, s[6:7]
	s_and_b64 s[6:7], exec, s[54:55]
	s_or_b64 s[12:13], s[6:7], s[12:13]
	s_andn2_b64 s[6:7], s[50:51], exec
	s_and_b64 s[50:51], vcc, exec
	s_or_b64 s[50:51], s[6:7], s[50:51]
	s_barrier
	s_andn2_b64 exec, exec, s[12:13]
	s_cbranch_execz .LBB204_201
.LBB204_196:                            ;   Parent Loop BB204_6 Depth=1
                                        ; =>  This Inner Loop Header: Depth=2
	v_cmp_gt_u64_e32 vcc, s[56:57], v[8:9]
	v_mov_b32_e32 v14, 0
	s_and_saveexec_b64 s[6:7], vcc
	s_cbranch_execz .LBB204_198
; %bb.197:                              ;   in Loop: Header=BB204_196 Depth=2
	global_load_ushort v14, v[6:7], off
.LBB204_198:                            ;   in Loop: Header=BB204_196 Depth=2
	s_or_b64 exec, exec, s[6:7]
	s_and_saveexec_b64 s[6:7], vcc
	s_cbranch_execz .LBB204_195
; %bb.199:                              ;   in Loop: Header=BB204_196 Depth=2
	s_waitcnt vmcnt(0)
	v_cmp_lt_i16_e32 vcc, -1, v14
	v_cndmask_b32_e32 v30, v39, v40, vcc
	v_xor_b32_sdwa v30, v30, v14 dst_sel:DWORD dst_unused:UNUSED_PAD src0_sel:DWORD src1_sel:WORD_0
	v_cmp_o_f16_e32 vcc, v14, v14
	v_cndmask_b32_e32 v30, v39, v30, vcc
	v_and_b32_e32 v30, v30, v29
	v_cmp_eq_u32_e32 vcc, v30, v28
	s_and_b64 exec, exec, vcc
	s_cbranch_execz .LBB204_195
; %bb.200:                              ;   in Loop: Header=BB204_196 Depth=2
	s_movk_i32 s1, 0x3c00
	v_perm_b32 v14, v14, s1, v43
	ds_write_b32 v15, v14 offset:3072
	s_branch .LBB204_195
.LBB204_201:                            ;   in Loop: Header=BB204_6 Depth=1
	s_or_b64 exec, exec, s[12:13]
	v_lshrrev_b32_e32 v6, 16, v14
	s_and_b64 s[6:7], s[50:51], exec
.LBB204_202:                            ;   in Loop: Header=BB204_6 Depth=1
	s_or_b64 exec, exec, s[4:5]
	s_mov_b64 s[54:55], -1
	s_mov_b64 s[50:51], 0
	s_mov_b64 s[4:5], 0
.LBB204_203:                            ;   in Loop: Header=BB204_6 Depth=1
	s_orn2_b64 s[6:7], s[6:7], exec
.LBB204_204:                            ;   in Loop: Header=BB204_6 Depth=1
	s_or_b64 exec, exec, s[86:87]
	s_mov_b64 s[12:13], 0
                                        ; implicit-def: $vgpr7
	s_and_saveexec_b64 s[86:87], s[6:7]
	s_cbranch_execz .LBB204_269
; %bb.205:                              ;   in Loop: Header=BB204_6 Depth=1
	v_mov_b32_e32 v2, 1
	s_xor_b64 s[12:13], s[52:53], -1
	s_mov_b64 s[78:79], 0
	v_mov_b32_e32 v3, 0
	v_mov_b32_e32 v7, 1
	s_and_saveexec_b64 s[6:7], s[12:13]
	s_cbranch_execz .LBB204_215
; %bb.206:                              ;   in Loop: Header=BB204_6 Depth=1
	v_cmp_ge_u64_e32 vcc, s[22:23], v[4:5]
                                        ; implicit-def: $sgpr1
                                        ; implicit-def: $sgpr12_sgpr13
	s_and_saveexec_b64 s[52:53], vcc
	s_xor_b64 s[52:53], exec, s[52:53]
	s_cbranch_execz .LBB204_212
; %bb.207:                              ;   in Loop: Header=BB204_6 Depth=1
	ds_read_b64 v[2:3], v15 offset:5120
	s_waitcnt lgkmcnt(0)
	v_cmp_ne_u64_e32 vcc, 0, v[2:3]
	s_cbranch_vccnz .LBB204_211
; %bb.208:                              ;   in Loop: Header=BB204_6 Depth=1
	v_readlane_b32 s68, v56, 8
	v_readlane_b32 s69, v56, 9
	s_and_saveexec_b64 s[12:13], s[68:69]
	s_cbranch_execz .LBB204_210
; %bb.209:                              ;   in Loop: Header=BB204_6 Depth=1
	v_pk_mov_b32 v[2:3], s[22:23], s[22:23] op_sel:[0,1]
	ds_write_b64 v15, v[2:3] offset:5128
.LBB204_210:                            ;   in Loop: Header=BB204_6 Depth=1
	s_or_b64 exec, exec, s[12:13]
	s_waitcnt lgkmcnt(0)
	s_barrier
.LBB204_211:                            ;   in Loop: Header=BB204_6 Depth=1
	v_and_b32_e32 v2, s90, v28
	v_lshl_or_b32 v28, 2, s91, v2
	v_or_b32_e32 v29, s82, v29
	s_mov_b64 s[12:13], 0
	s_mov_b32 s1, 8
.LBB204_212:                            ;   in Loop: Header=BB204_6 Depth=1
	s_or_saveexec_b64 s[52:53], s[52:53]
	v_mov_b32_e32 v7, s1
	s_xor_b64 exec, exec, s[52:53]
; %bb.213:                              ;   in Loop: Header=BB204_6 Depth=1
	v_mov_b32_e32 v2, s23
	v_subrev_co_u32_e32 v4, vcc, s22, v4
	v_subb_co_u32_e32 v5, vcc, v5, v2, vcc
	v_mov_b32_e32 v7, 0
	s_or_b64 s[12:13], s[12:13], exec
; %bb.214:                              ;   in Loop: Header=BB204_6 Depth=1
	s_or_b64 exec, exec, s[52:53]
	s_and_b64 s[78:79], s[12:13], exec
	v_pk_mov_b32 v[2:3], v[4:5], v[4:5] op_sel:[0,1]
.LBB204_215:                            ;   in Loop: Header=BB204_6 Depth=1
	s_or_b64 exec, exec, s[6:7]
	s_mov_b64 s[52:53], -1
                                        ; implicit-def: $sgpr6_sgpr7
                                        ; implicit-def: $sgpr70_sgpr71
                                        ; implicit-def: $sgpr12_sgpr13
	s_and_saveexec_b64 s[68:69], s[78:79]
	s_cbranch_execz .LBB204_268
; %bb.216:                              ;   in Loop: Header=BB204_6 Depth=1
	s_cmp_eq_u64 s[24:25], 1
	s_cselect_b64 s[6:7], -1, 0
	v_cmp_eq_u64_e32 vcc, 1, v[2:3]
	v_writelane_b32 v56, s68, 52
	s_and_b64 vcc, s[6:7], vcc
	s_mov_b64 s[78:79], -1
	v_writelane_b32 v56, s69, 53
                                        ; implicit-def: $sgpr6_sgpr7
                                        ; implicit-def: $sgpr70_sgpr71
                                        ; implicit-def: $sgpr12_sgpr13
	s_and_saveexec_b64 s[52:53], vcc
	s_cbranch_execz .LBB204_255
; %bb.217:                              ;   in Loop: Header=BB204_6 Depth=1
	ds_read_b64 v[4:5], v15 offset:5120
	v_readlane_b32 s68, v56, 24
	v_readlane_b32 s69, v56, 25
	s_waitcnt lgkmcnt(0)
	s_barrier
	v_readfirstlane_b32 s12, v4
	v_readfirstlane_b32 s13, v5
	s_and_saveexec_b64 s[6:7], s[68:69]
	s_cbranch_execz .LBB204_219
; %bb.218:                              ;   in Loop: Header=BB204_6 Depth=1
	ds_write_b16 v36, v15
.LBB204_219:                            ;   in Loop: Header=BB204_6 Depth=1
	s_or_b64 exec, exec, s[6:7]
	v_or_b32_e32 v28, s82, v28
	v_or_b32_e32 v29, s82, v29
	s_cmp_eq_u64 s[12:13], 0
	v_writelane_b32 v56, vcc_lo, 54
	s_waitcnt lgkmcnt(0)
	s_barrier
	v_writelane_b32 v56, vcc_hi, 55
	s_cbranch_scc1 .LBB204_224
; %bb.220:                              ;   in Loop: Header=BB204_6 Depth=1
	v_readlane_b32 s1, v56, 28
	s_add_u32 s1, s1, s12
	v_readlane_b32 s6, v56, 30
	s_addc_u32 s7, s6, s13
	s_mov_b32 s6, s83
	s_cmp_lg_u64 s[6:7], 0
	s_cbranch_scc0 .LBB204_225
; %bb.221:                              ;   in Loop: Header=BB204_6 Depth=1
	v_cvt_f32_u32_e32 v4, s33
	s_sub_u32 s6, 0, s33
	s_subb_u32 s70, 0, 0
	v_mac_f32_e32 v4, 0, v41
	v_rcp_f32_e32 v4, v4
	v_mul_f32_e32 v4, 0x5f7ffffc, v4
	v_mul_f32_e32 v5, 0x2f800000, v4
	v_trunc_f32_e32 v5, v5
	v_mac_f32_e32 v4, 0xcf800000, v5
	v_cvt_u32_f32_e32 v5, v5
	v_cvt_u32_f32_e32 v4, v4
	v_readfirstlane_b32 s71, v5
	v_readfirstlane_b32 s78, v4
	s_mul_i32 s79, s6, s71
	s_mul_hi_u32 s81, s6, s78
	s_mul_i32 s80, s70, s78
	s_add_i32 s79, s81, s79
	s_mul_i32 s84, s6, s78
	s_add_i32 s79, s79, s80
	s_mul_hi_u32 s81, s78, s84
	s_mul_hi_u32 s80, s78, s79
	s_mul_i32 s78, s78, s79
	s_add_u32 s78, s81, s78
	s_addc_u32 s80, 0, s80
	s_mul_hi_u32 s85, s71, s84
	s_mul_i32 s84, s71, s84
	s_add_u32 s78, s78, s84
	s_mul_hi_u32 s81, s71, s79
	s_addc_u32 s78, s80, s85
	s_addc_u32 s80, s81, 0
	s_mul_i32 s79, s71, s79
	s_add_u32 s78, s78, s79
	s_addc_u32 s79, 0, s80
	v_add_co_u32_e32 v4, vcc, s78, v4
	s_cmp_lg_u64 vcc, 0
	s_addc_u32 s71, s71, s79
	v_readfirstlane_b32 s79, v4
	s_mul_i32 s78, s6, s71
	s_mul_hi_u32 s80, s6, s79
	s_add_i32 s78, s80, s78
	s_mul_i32 s70, s70, s79
	s_add_i32 s78, s78, s70
	s_mul_i32 s6, s6, s79
	s_mul_hi_u32 s80, s71, s6
	s_mul_i32 s81, s71, s6
	s_mul_i32 s85, s79, s78
	s_mul_hi_u32 s6, s79, s6
	s_mul_hi_u32 s84, s79, s78
	s_add_u32 s6, s6, s85
	s_addc_u32 s79, 0, s84
	s_add_u32 s6, s6, s81
	s_mul_hi_u32 s70, s71, s78
	s_addc_u32 s6, s79, s80
	s_addc_u32 s70, s70, 0
	s_mul_i32 s78, s71, s78
	s_add_u32 s6, s6, s78
	s_addc_u32 s70, 0, s70
	v_add_co_u32_e32 v4, vcc, s6, v4
	s_cmp_lg_u64 vcc, 0
	s_addc_u32 s6, s71, s70
	v_readfirstlane_b32 s78, v4
	s_mul_i32 s71, s1, s6
	s_mul_hi_u32 s79, s1, s78
	s_mul_hi_u32 s70, s1, s6
	s_add_u32 s71, s79, s71
	s_addc_u32 s70, 0, s70
	s_mul_hi_u32 s80, s7, s78
	s_mul_i32 s78, s7, s78
	s_add_u32 s71, s71, s78
	s_mul_hi_u32 s79, s7, s6
	s_addc_u32 s70, s70, s80
	s_addc_u32 s71, s79, 0
	s_mul_i32 s6, s7, s6
	s_add_u32 s6, s70, s6
	s_addc_u32 s70, 0, s71
	s_mul_hi_u32 s71, s33, s6
	s_mul_i32 s6, s33, s6
	s_mul_i32 s70, s33, s70
	v_mov_b32_e32 v4, s6
	s_add_i32 s71, s71, s70
	v_sub_co_u32_e32 v4, vcc, s1, v4
	s_cmp_lg_u64 vcc, 0
	s_subb_u32 s6, s7, s71
	v_subrev_co_u32_e32 v5, vcc, s33, v4
	s_cmp_lg_u64 vcc, 0
	s_subb_u32 s70, s6, 0
	v_subrev_co_u32_e32 v6, vcc, s33, v5
	s_cmp_lg_u64 vcc, 0
	s_subb_u32 s71, s70, 0
	v_cmp_le_u32_e32 vcc, s33, v5
	s_cmp_eq_u32 s70, 0
	v_cndmask_b32_e64 v7, 0, -1, vcc
	s_cselect_b64 vcc, -1, 0
	v_cndmask_b32_e32 v7, -1, v7, vcc
	v_mov_b32_e32 v8, s70
	v_mov_b32_e32 v9, s71
	v_cmp_ne_u32_e32 vcc, 0, v7
	v_cndmask_b32_e32 v7, v8, v9, vcc
	v_cndmask_b32_e32 v6, v5, v6, vcc
	v_cmp_le_u32_e32 vcc, s33, v4
	s_cmp_eq_u32 s6, 0
	v_cndmask_b32_e64 v5, 0, -1, vcc
	s_cselect_b64 vcc, -1, 0
	v_cndmask_b32_e32 v5, -1, v5, vcc
	v_mov_b32_e32 v8, s6
	v_cmp_ne_u32_e32 vcc, 0, v5
	v_cndmask_b32_e32 v5, v8, v7, vcc
	v_cndmask_b32_e32 v4, v4, v6, vcc
	s_mov_b64 s[70:71], 0
	s_branch .LBB204_226
.LBB204_222:                            ;   in Loop: Header=BB204_6 Depth=1
                                        ; implicit-def: $vgpr2_vgpr3
	s_branch .LBB204_176
.LBB204_223:                            ;   in Loop: Header=BB204_6 Depth=1
                                        ; implicit-def: $vgpr2_vgpr3
	s_branch .LBB204_192
.LBB204_224:                            ;   in Loop: Header=BB204_6 Depth=1
	s_mov_b64 s[6:7], -1
	s_mov_b64 s[78:79], 0
                                        ; implicit-def: $sgpr12_sgpr13
                                        ; implicit-def: $vgpr6
	s_branch .LBB204_238
.LBB204_225:                            ;   in Loop: Header=BB204_6 Depth=1
	s_mov_b64 s[70:71], -1
                                        ; implicit-def: $vgpr4_vgpr5
.LBB204_226:                            ;   in Loop: Header=BB204_6 Depth=1
	s_andn2_b64 vcc, exec, s[70:71]
	s_cbranch_vccnz .LBB204_228
; %bb.227:                              ;   in Loop: Header=BB204_6 Depth=1
	v_cvt_f32_u32_e32 v4, s33
	s_sub_i32 s6, 0, s33
	v_rcp_iflag_f32_e32 v4, v4
	v_mul_f32_e32 v4, 0x4f7ffffe, v4
	v_cvt_u32_f32_e32 v4, v4
	v_mul_lo_u32 v5, s6, v4
	v_mul_hi_u32 v5, v4, v5
	v_add_u32_e32 v4, v4, v5
	v_mul_hi_u32 v4, s1, v4
	v_mul_lo_u32 v4, v4, s33
	v_sub_u32_e32 v4, s1, v4
	v_subrev_u32_e32 v5, s33, v4
	v_cmp_le_u32_e32 vcc, s33, v4
	v_cndmask_b32_e32 v4, v4, v5, vcc
	v_subrev_u32_e32 v5, s33, v4
	v_cmp_le_u32_e32 vcc, s33, v4
	v_cndmask_b32_e32 v14, v4, v5, vcc
	v_pk_mov_b32 v[4:5], v[14:15], v[14:15] op_sel:[0,1]
.LBB204_228:                            ;   in Loop: Header=BB204_6 Depth=1
	v_mov_b32_e32 v6, s7
	v_sub_co_u32_e32 v4, vcc, s1, v4
	v_subb_co_u32_e32 v5, vcc, v6, v5, vcc
	v_cmp_gt_u64_e32 vcc, v[4:5], v[0:1]
	s_mov_b64 s[78:79], 0
                                        ; implicit-def: $vgpr6
	s_and_saveexec_b64 s[70:71], vcc
	s_cbranch_execz .LBB204_237
; %bb.229:                              ;   in Loop: Header=BB204_6 Depth=1
	v_mov_b32_e32 v8, v35
	v_pk_mov_b32 v[6:7], v[0:1], v[0:1] op_sel:[0,1]
                                        ; implicit-def: $sgpr80_sgpr81
	s_branch .LBB204_231
.LBB204_230:                            ;   in Loop: Header=BB204_231 Depth=2
	s_or_b64 exec, exec, s[6:7]
	s_waitcnt lgkmcnt(0)
	s_barrier
	ds_read_b32 v9, v15 offset:3072
	v_mov_b32_e32 v14, s88
	v_add_co_u32_e64 v6, s[6:7], s33, v6
	v_addc_co_u32_e64 v7, s[6:7], v7, v14, s[6:7]
	s_waitcnt lgkmcnt(0)
	v_cmp_neq_f16_e32 vcc, 0, v9
	v_cmp_ge_u64_e64 s[6:7], v[6:7], v[4:5]
	s_or_b64 s[6:7], s[6:7], vcc
	s_and_b64 s[6:7], exec, s[6:7]
	s_or_b64 s[78:79], s[6:7], s[78:79]
	s_andn2_b64 s[6:7], s[80:81], exec
	s_and_b64 s[80:81], vcc, exec
	v_add_u32_e32 v8, s0, v8
	s_or_b64 s[80:81], s[6:7], s[80:81]
	s_barrier
	s_andn2_b64 exec, exec, s[78:79]
	s_cbranch_execz .LBB204_236
.LBB204_231:                            ;   Parent Loop BB204_6 Depth=1
                                        ; =>  This Inner Loop Header: Depth=2
	v_cmp_gt_u64_e32 vcc, s[12:13], v[6:7]
	v_mov_b32_e32 v9, 0
	s_and_saveexec_b64 s[6:7], vcc
	s_cbranch_execz .LBB204_233
; %bb.232:                              ;   in Loop: Header=BB204_231 Depth=2
	ds_read_u16 v9, v8
.LBB204_233:                            ;   in Loop: Header=BB204_231 Depth=2
	s_or_b64 exec, exec, s[6:7]
	s_and_saveexec_b64 s[6:7], vcc
	s_cbranch_execz .LBB204_230
; %bb.234:                              ;   in Loop: Header=BB204_231 Depth=2
	s_waitcnt lgkmcnt(0)
	v_cmp_lt_i16_e32 vcc, -1, v9
	v_cndmask_b32_e32 v14, v39, v40, vcc
	v_xor_b32_sdwa v14, v14, v9 dst_sel:DWORD dst_unused:UNUSED_PAD src0_sel:DWORD src1_sel:WORD_0
	v_cmp_o_f16_e32 vcc, v9, v9
	v_cndmask_b32_e32 v14, v39, v14, vcc
	v_and_b32_e32 v14, v14, v29
	v_cmp_eq_u32_e32 vcc, v14, v28
	s_and_b64 exec, exec, vcc
	s_cbranch_execz .LBB204_230
; %bb.235:                              ;   in Loop: Header=BB204_231 Depth=2
	s_movk_i32 s1, 0x3c00
	v_perm_b32 v9, v9, s1, v43
	ds_write_b32 v15, v9 offset:3072
	s_branch .LBB204_230
.LBB204_236:                            ;   in Loop: Header=BB204_6 Depth=1
	s_or_b64 exec, exec, s[78:79]
	v_lshrrev_b32_e32 v6, 16, v9
	s_and_b64 s[78:79], s[80:81], exec
.LBB204_237:                            ;   in Loop: Header=BB204_6 Depth=1
	s_or_b64 exec, exec, s[70:71]
	v_readlane_b32 s84, v56, 46
	v_readlane_b32 s85, v56, 47
	s_mov_b64 s[12:13], -1
	s_mov_b64 s[6:7], 0
.LBB204_238:                            ;   in Loop: Header=BB204_6 Depth=1
	s_and_b64 vcc, exec, s[6:7]
	s_mov_b64 s[70:71], s[6:7]
	s_cbranch_vccz .LBB204_254
; %bb.239:                              ;   in Loop: Header=BB204_6 Depth=1
	v_readlane_b32 s68, v56, 31
	v_readlane_b32 s69, v56, 32
	s_mov_b32 s68, s83
	s_cmp_lg_u64 s[68:69], 0
	v_writelane_b32 v56, s68, 31
	v_writelane_b32 v56, s69, 32
	s_cbranch_scc0 .LBB204_241
; %bb.240:                              ;   in Loop: Header=BB204_6 Depth=1
	v_cvt_f32_u32_e32 v4, s33
	s_sub_u32 s1, 0, s33
	s_subb_u32 s6, 0, 0
	v_readlane_b32 s68, v56, 29
	v_mac_f32_e32 v4, 0, v41
	v_rcp_f32_e32 v4, v4
	v_mul_f32_e32 v4, 0x5f7ffffc, v4
	v_mul_f32_e32 v5, 0x2f800000, v4
	v_trunc_f32_e32 v5, v5
	v_mac_f32_e32 v4, 0xcf800000, v5
	v_cvt_u32_f32_e32 v5, v5
	v_cvt_u32_f32_e32 v4, v4
	v_readfirstlane_b32 s7, v5
	v_readfirstlane_b32 s12, v4
	s_mul_i32 s13, s1, s7
	s_mul_hi_u32 s71, s1, s12
	s_mul_i32 s70, s6, s12
	s_add_i32 s13, s71, s13
	s_mul_i32 s78, s1, s12
	s_add_i32 s13, s13, s70
	s_mul_hi_u32 s71, s12, s78
	s_mul_hi_u32 s70, s12, s13
	s_mul_i32 s12, s12, s13
	s_add_u32 s12, s71, s12
	s_addc_u32 s70, 0, s70
	s_mul_hi_u32 s79, s7, s78
	s_mul_i32 s78, s7, s78
	s_add_u32 s12, s12, s78
	s_mul_hi_u32 s71, s7, s13
	s_addc_u32 s12, s70, s79
	s_addc_u32 s70, s71, 0
	s_mul_i32 s13, s7, s13
	s_add_u32 s12, s12, s13
	s_addc_u32 s13, 0, s70
	v_add_co_u32_e32 v4, vcc, s12, v4
	s_cmp_lg_u64 vcc, 0
	s_addc_u32 s7, s7, s13
	v_readfirstlane_b32 s13, v4
	s_mul_i32 s12, s1, s7
	s_mul_hi_u32 s70, s1, s13
	s_add_i32 s12, s70, s12
	s_mul_i32 s6, s6, s13
	s_add_i32 s12, s12, s6
	s_mul_i32 s1, s1, s13
	s_mul_hi_u32 s70, s7, s1
	s_mul_i32 s71, s7, s1
	s_mul_i32 s79, s13, s12
	s_mul_hi_u32 s1, s13, s1
	s_mul_hi_u32 s78, s13, s12
	s_add_u32 s1, s1, s79
	s_addc_u32 s13, 0, s78
	s_add_u32 s1, s1, s71
	s_mul_hi_u32 s6, s7, s12
	s_addc_u32 s1, s13, s70
	s_addc_u32 s6, s6, 0
	s_mul_i32 s12, s7, s12
	s_add_u32 s1, s1, s12
	s_addc_u32 s6, 0, s6
	v_add_co_u32_e32 v4, vcc, s1, v4
	s_cmp_lg_u64 vcc, 0
	s_addc_u32 s1, s7, s6
	v_readfirstlane_b32 s12, v4
	s_mul_i32 s7, s68, s1
	s_mul_hi_u32 s13, s68, s12
	s_mul_hi_u32 s6, s68, s1
	s_add_u32 s7, s13, s7
	s_addc_u32 s6, 0, s6
	s_mul_hi_u32 s70, s69, s12
	s_mul_i32 s12, s69, s12
	s_add_u32 s7, s7, s12
	s_mul_hi_u32 s13, s69, s1
	s_addc_u32 s6, s6, s70
	s_addc_u32 s7, s13, 0
	s_mul_i32 s1, s69, s1
	s_add_u32 s1, s6, s1
	s_addc_u32 s6, 0, s7
	s_mul_hi_u32 s7, s33, s1
	s_mul_i32 s1, s33, s1
	s_mul_i32 s6, s33, s6
	v_mov_b32_e32 v4, s1
	s_add_i32 s7, s7, s6
	v_sub_co_u32_e32 v4, vcc, s68, v4
	s_cmp_lg_u64 vcc, 0
	s_subb_u32 s1, s69, s7
	v_subrev_co_u32_e32 v5, vcc, s33, v4
	s_cmp_lg_u64 vcc, 0
	s_subb_u32 s6, s1, 0
	v_subrev_co_u32_e32 v6, vcc, s33, v5
	s_cmp_lg_u64 vcc, 0
	s_subb_u32 s7, s6, 0
	v_cmp_le_u32_e32 vcc, s33, v5
	s_cmp_eq_u32 s6, 0
	v_cndmask_b32_e64 v7, 0, -1, vcc
	s_cselect_b64 vcc, -1, 0
	v_cndmask_b32_e32 v7, -1, v7, vcc
	v_mov_b32_e32 v8, s6
	v_mov_b32_e32 v9, s7
	v_cmp_ne_u32_e32 vcc, 0, v7
	v_cndmask_b32_e32 v7, v8, v9, vcc
	v_cndmask_b32_e32 v6, v5, v6, vcc
	v_cmp_le_u32_e32 vcc, s33, v4
	s_cmp_eq_u32 s1, 0
	v_cndmask_b32_e64 v5, 0, -1, vcc
	s_cselect_b64 vcc, -1, 0
	v_cndmask_b32_e32 v5, -1, v5, vcc
	v_mov_b32_e32 v8, s1
	v_cmp_ne_u32_e32 vcc, 0, v5
	v_cndmask_b32_e32 v5, v8, v7, vcc
	v_cndmask_b32_e32 v4, v4, v6, vcc
	s_mov_b64 s[6:7], 0
	s_branch .LBB204_242
.LBB204_241:                            ;   in Loop: Header=BB204_6 Depth=1
	s_mov_b64 s[6:7], -1
                                        ; implicit-def: $vgpr4_vgpr5
.LBB204_242:                            ;   in Loop: Header=BB204_6 Depth=1
	s_andn2_b64 vcc, exec, s[6:7]
	s_cbranch_vccnz .LBB204_244
; %bb.243:                              ;   in Loop: Header=BB204_6 Depth=1
	v_cvt_f32_u32_e32 v4, s33
	s_sub_i32 s1, 0, s33
	v_rcp_iflag_f32_e32 v4, v4
	v_mul_f32_e32 v4, 0x4f7ffffe, v4
	v_cvt_u32_f32_e32 v4, v4
	v_mul_lo_u32 v5, s1, v4
	v_mul_hi_u32 v5, v4, v5
	v_add_u32_e32 v4, v4, v5
	v_readlane_b32 s1, v56, 29
	v_mul_hi_u32 v4, s1, v4
	v_mul_lo_u32 v4, v4, s33
	v_sub_u32_e32 v4, s1, v4
	v_subrev_u32_e32 v5, s33, v4
	v_cmp_le_u32_e32 vcc, s33, v4
	v_cndmask_b32_e32 v4, v4, v5, vcc
	v_subrev_u32_e32 v5, s33, v4
	v_cmp_le_u32_e32 vcc, s33, v4
	v_cndmask_b32_e32 v14, v4, v5, vcc
	v_pk_mov_b32 v[4:5], v[14:15], v[14:15] op_sel:[0,1]
.LBB204_244:                            ;   in Loop: Header=BB204_6 Depth=1
	v_readlane_b32 s6, v56, 31
	v_readlane_b32 s7, v56, 32
	;; [unrolled: 1-line block ×3, first 2 shown]
	v_mov_b32_e32 v6, s7
	v_sub_co_u32_e32 v4, vcc, s1, v4
	v_subb_co_u32_e32 v5, vcc, v6, v5, vcc
	v_cmp_gt_u64_e32 vcc, v[4:5], v[0:1]
	s_mov_b64 s[78:79], 0
                                        ; implicit-def: $vgpr6
	s_and_saveexec_b64 s[12:13], vcc
	s_cbranch_execz .LBB204_253
; %bb.245:                              ;   in Loop: Header=BB204_6 Depth=1
	s_mov_b64 s[70:71], 0
	v_pk_mov_b32 v[6:7], v[12:13], v[12:13] op_sel:[0,1]
	v_pk_mov_b32 v[8:9], v[0:1], v[0:1] op_sel:[0,1]
                                        ; implicit-def: $sgpr78_sgpr79
	s_branch .LBB204_247
.LBB204_246:                            ;   in Loop: Header=BB204_247 Depth=2
	s_or_b64 exec, exec, s[6:7]
	s_waitcnt lgkmcnt(0)
	s_barrier
	s_waitcnt vmcnt(0)
	ds_read_b32 v14, v15 offset:3072
	v_mov_b32_e32 v30, s88
	v_add_co_u32_e64 v8, s[6:7], s33, v8
	v_addc_co_u32_e64 v9, s[6:7], v9, v30, s[6:7]
	s_waitcnt lgkmcnt(0)
	v_cmp_neq_f16_e32 vcc, 0, v14
	v_cmp_ge_u64_e64 s[6:7], v[8:9], v[4:5]
	s_or_b64 s[80:81], s[6:7], vcc
	v_mov_b32_e32 v30, s61
	v_add_co_u32_e64 v6, s[6:7], s60, v6
	v_addc_co_u32_e64 v7, s[6:7], v7, v30, s[6:7]
	s_and_b64 s[6:7], exec, s[80:81]
	s_or_b64 s[70:71], s[6:7], s[70:71]
	s_andn2_b64 s[6:7], s[78:79], exec
	s_and_b64 s[78:79], vcc, exec
	s_or_b64 s[78:79], s[6:7], s[78:79]
	s_barrier
	s_andn2_b64 exec, exec, s[70:71]
	s_cbranch_execz .LBB204_252
.LBB204_247:                            ;   Parent Loop BB204_6 Depth=1
                                        ; =>  This Inner Loop Header: Depth=2
	v_cmp_gt_u64_e32 vcc, s[56:57], v[8:9]
	v_mov_b32_e32 v14, 0
	s_and_saveexec_b64 s[6:7], vcc
	s_cbranch_execz .LBB204_249
; %bb.248:                              ;   in Loop: Header=BB204_247 Depth=2
	global_load_ushort v14, v[6:7], off
.LBB204_249:                            ;   in Loop: Header=BB204_247 Depth=2
	s_or_b64 exec, exec, s[6:7]
	s_and_saveexec_b64 s[6:7], vcc
	s_cbranch_execz .LBB204_246
; %bb.250:                              ;   in Loop: Header=BB204_247 Depth=2
	s_waitcnt vmcnt(0)
	v_cmp_lt_i16_e32 vcc, -1, v14
	v_cndmask_b32_e32 v30, v39, v40, vcc
	v_xor_b32_sdwa v30, v30, v14 dst_sel:DWORD dst_unused:UNUSED_PAD src0_sel:DWORD src1_sel:WORD_0
	v_cmp_o_f16_e32 vcc, v14, v14
	v_cndmask_b32_e32 v30, v39, v30, vcc
	v_and_b32_e32 v30, v30, v29
	v_cmp_eq_u32_e32 vcc, v30, v28
	s_and_b64 exec, exec, vcc
	s_cbranch_execz .LBB204_246
; %bb.251:                              ;   in Loop: Header=BB204_247 Depth=2
	s_movk_i32 s1, 0x3c00
	v_perm_b32 v14, v14, s1, v43
	ds_write_b32 v15, v14 offset:3072
	s_branch .LBB204_246
.LBB204_252:                            ;   in Loop: Header=BB204_6 Depth=1
	s_or_b64 exec, exec, s[70:71]
	v_lshrrev_b32_e32 v6, 16, v14
	s_and_b64 s[78:79], s[78:79], exec
.LBB204_253:                            ;   in Loop: Header=BB204_6 Depth=1
	s_or_b64 exec, exec, s[12:13]
	s_mov_b64 s[70:71], -1
	s_mov_b64 s[6:7], 0
	s_mov_b64 s[12:13], 0
.LBB204_254:                            ;   in Loop: Header=BB204_6 Depth=1
	v_readlane_b32 vcc_lo, v56, 54
	s_orn2_b64 s[78:79], s[78:79], exec
	v_readlane_b32 vcc_hi, v56, 55
.LBB204_255:                            ;   in Loop: Header=BB204_6 Depth=1
	s_or_b64 exec, exec, s[52:53]
	s_mov_b64 s[80:81], 0
                                        ; implicit-def: $vgpr7
                                        ; implicit-def: $vgpr4_vgpr5
	s_and_saveexec_b64 s[52:53], s[78:79]
	v_readlane_b32 s68, v56, 52
	v_readlane_b32 s69, v56, 53
	s_cbranch_execz .LBB204_267
; %bb.256:                              ;   in Loop: Header=BB204_6 Depth=1
	v_mov_b32_e32 v4, 1
	s_xor_b64 s[80:81], vcc, -1
	v_mov_b32_e32 v7, 1
	v_mov_b32_e32 v5, 0
	s_and_saveexec_b64 s[78:79], s[80:81]
	s_cbranch_execz .LBB204_266
; %bb.257:                              ;   in Loop: Header=BB204_6 Depth=1
	v_cmp_ge_u64_e32 vcc, s[24:25], v[2:3]
                                        ; implicit-def: $sgpr1
	s_and_saveexec_b64 s[80:81], vcc
	s_xor_b64 s[80:81], exec, s[80:81]
	s_cbranch_execz .LBB204_263
; %bb.258:                              ;   in Loop: Header=BB204_6 Depth=1
	ds_read_b64 v[4:5], v15 offset:5120
	s_waitcnt lgkmcnt(0)
	v_cmp_ne_u64_e32 vcc, 0, v[4:5]
	s_cbranch_vccnz .LBB204_262
; %bb.259:                              ;   in Loop: Header=BB204_6 Depth=1
	s_mov_b64 s[68:69], s[94:95]
	s_mov_b64 s[84:85], exec
	v_readlane_b32 s94, v56, 8
	v_readlane_b32 s95, v56, 9
	s_and_b64 s[94:95], s[84:85], s[94:95]
	s_mov_b64 exec, s[94:95]
	s_cbranch_execz .LBB204_261
; %bb.260:                              ;   in Loop: Header=BB204_6 Depth=1
	v_pk_mov_b32 v[4:5], s[24:25], s[24:25] op_sel:[0,1]
	ds_write_b64 v15, v[4:5] offset:5128
.LBB204_261:                            ;   in Loop: Header=BB204_6 Depth=1
	s_or_b64 exec, exec, s[84:85]
	s_mov_b64 s[94:95], s[68:69]
	s_waitcnt lgkmcnt(0)
	s_barrier
.LBB204_262:                            ;   in Loop: Header=BB204_6 Depth=1
	v_or_b32_e32 v28, s82, v28
	v_or_b32_e32 v29, s82, v29
	s_mov_b32 s1, 8
.LBB204_263:                            ;   in Loop: Header=BB204_6 Depth=1
	s_or_saveexec_b64 s[80:81], s[80:81]
	v_mov_b32_e32 v7, s1
	s_xor_b64 exec, exec, s[80:81]
; %bb.264:                              ;   in Loop: Header=BB204_6 Depth=1
	v_mov_b32_e32 v4, s25
	v_subrev_co_u32_e32 v2, vcc, s24, v2
	v_subb_co_u32_e32 v3, vcc, v3, v4, vcc
	v_mov_b32_e32 v7, 8
; %bb.265:                              ;   in Loop: Header=BB204_6 Depth=1
	s_or_b64 exec, exec, s[80:81]
	v_readlane_b32 s84, v56, 46
	v_readlane_b32 s68, v56, 52
	v_pk_mov_b32 v[4:5], v[2:3], v[2:3] op_sel:[0,1]
	v_readlane_b32 s85, v56, 47
	v_readlane_b32 s69, v56, 53
.LBB204_266:                            ;   in Loop: Header=BB204_6 Depth=1
	s_or_b64 exec, exec, s[78:79]
	s_mov_b64 s[80:81], exec
.LBB204_267:                            ;   in Loop: Header=BB204_6 Depth=1
	s_or_b64 exec, exec, s[52:53]
	s_orn2_b64 s[52:53], s[80:81], exec
	v_pk_mov_b32 v[2:3], v[4:5], v[4:5] op_sel:[0,1]
.LBB204_268:                            ;   in Loop: Header=BB204_6 Depth=1
	s_or_b64 exec, exec, s[68:69]
	s_andn2_b64 s[50:51], s[50:51], exec
	s_and_b64 s[6:7], s[6:7], exec
	s_or_b64 s[50:51], s[50:51], s[6:7]
	s_andn2_b64 s[6:7], s[54:55], exec
	s_and_b64 s[54:55], s[70:71], exec
	s_or_b64 s[54:55], s[6:7], s[54:55]
	;; [unrolled: 3-line block ×3, first 2 shown]
	s_and_b64 s[12:13], s[52:53], exec
	v_pk_mov_b32 v[4:5], v[2:3], v[2:3] op_sel:[0,1]
.LBB204_269:                            ;   in Loop: Header=BB204_6 Depth=1
	s_or_b64 exec, exec, s[86:87]
	s_and_b64 s[52:53], s[50:51], exec
	s_and_b64 s[50:51], s[54:55], exec
	;; [unrolled: 1-line block ×3, first 2 shown]
	s_orn2_b64 s[4:5], s[12:13], exec
.LBB204_270:                            ;   in Loop: Header=BB204_6 Depth=1
	s_or_b64 exec, exec, s[48:49]
	s_andn2_b64 s[12:13], s[28:29], exec
	s_and_b64 s[28:29], s[52:53], exec
	s_or_b64 s[28:29], s[12:13], s[28:29]
	s_andn2_b64 s[12:13], s[44:45], exec
	s_and_b64 s[44:45], s[50:51], exec
	s_or_b64 s[44:45], s[12:13], s[44:45]
	;; [unrolled: 3-line block ×3, first 2 shown]
	s_and_b64 s[6:7], s[4:5], exec
	v_pk_mov_b32 v[2:3], v[4:5], v[4:5] op_sel:[0,1]
.LBB204_271:                            ;   in Loop: Header=BB204_6 Depth=1
	s_or_b64 exec, exec, s[46:47]
	s_and_b64 s[28:29], s[28:29], exec
	s_and_b64 s[12:13], s[44:45], exec
	;; [unrolled: 1-line block ×3, first 2 shown]
	s_orn2_b64 s[42:43], s[6:7], exec
.LBB204_272:                            ;   in Loop: Header=BB204_6 Depth=1
	s_or_b64 exec, exec, s[26:27]
	s_mov_b64 s[6:7], 0
	s_mov_b64 s[26:27], 0
	s_and_saveexec_b64 s[44:45], s[42:43]
	s_xor_b64 s[42:43], exec, s[44:45]
; %bb.273:                              ;   in Loop: Header=BB204_6 Depth=1
	v_cmp_eq_u32_e32 vcc, 8, v7
	v_cmp_ne_u32_e64 s[6:7], 8, v7
	s_andn2_b64 s[28:29], s[28:29], exec
	s_andn2_b64 s[12:13], s[12:13], exec
	;; [unrolled: 1-line block ×3, first 2 shown]
	s_and_b64 s[26:27], s[6:7], exec
	s_and_b64 s[6:7], vcc, exec
; %bb.274:                              ;   in Loop: Header=BB204_6 Depth=1
	s_or_b64 exec, exec, s[42:43]
	s_andn2_b64 s[20:21], s[20:21], exec
	s_and_b64 s[28:29], s[28:29], exec
	s_or_b64 s[20:21], s[20:21], s[28:29]
	s_andn2_b64 s[28:29], s[36:37], exec
	s_and_b64 s[12:13], s[12:13], exec
	s_or_b64 s[36:37], s[28:29], s[12:13]
	;; [unrolled: 3-line block ×3, first 2 shown]
	s_and_b64 s[26:27], s[26:27], exec
	s_and_b64 s[28:29], s[6:7], exec
.LBB204_275:                            ;   in Loop: Header=BB204_6 Depth=1
	s_or_b64 exec, exec, s[40:41]
	s_and_b64 vcc, exec, s[38:39]
	s_cbranch_vccz .LBB204_91
.LBB204_276:                            ;   in Loop: Header=BB204_6 Depth=1
	s_cmp_eq_u64 s[24:25], 1
	s_cselect_b64 s[4:5], -1, 0
	s_and_b64 s[36:37], s[4:5], s[14:15]
	s_mov_b64 s[6:7], -1
                                        ; implicit-def: $sgpr14_sgpr15
                                        ; implicit-def: $sgpr38_sgpr39
                                        ; implicit-def: $sgpr20_sgpr21
	s_and_saveexec_b64 s[4:5], s[36:37]
	s_cbranch_execz .LBB204_308
; %bb.277:                              ;   in Loop: Header=BB204_6 Depth=1
	ds_read_b64 v[2:3], v15 offset:5120
	s_waitcnt lgkmcnt(0)
	s_barrier
	v_readfirstlane_b32 s12, v2
	v_readfirstlane_b32 s13, v3
	s_mov_b64 s[6:7], exec
	v_readlane_b32 s14, v56, 24
	v_readlane_b32 s15, v56, 25
	s_and_b64 s[14:15], s[6:7], s[14:15]
	s_mov_b64 exec, s[14:15]
	s_cbranch_execz .LBB204_279
; %bb.278:                              ;   in Loop: Header=BB204_6 Depth=1
	ds_write_b16 v36, v15
.LBB204_279:                            ;   in Loop: Header=BB204_6 Depth=1
	s_or_b64 exec, exec, s[6:7]
	v_or_b32_e32 v45, s82, v45
	v_or_b32_e32 v44, s82, v44
	s_cmp_eq_u64 s[12:13], 0
	s_waitcnt lgkmcnt(0)
	s_barrier
	s_cbranch_scc1 .LBB204_291
; %bb.280:                              ;   in Loop: Header=BB204_6 Depth=1
	v_readlane_b32 s1, v56, 28
	s_add_u32 s1, s1, s12
	v_readlane_b32 s6, v56, 30
	s_addc_u32 s7, s6, s13
	s_mov_b32 s6, s83
	s_cmp_lg_u64 s[6:7], 0
	s_cbranch_scc0 .LBB204_335
; %bb.281:                              ;   in Loop: Header=BB204_6 Depth=1
	v_cvt_f32_u32_e32 v2, s33
	s_sub_u32 s6, 0, s33
	s_subb_u32 s14, 0, 0
	v_mac_f32_e32 v2, 0, v41
	v_rcp_f32_e32 v2, v2
	v_mul_f32_e32 v2, 0x5f7ffffc, v2
	v_mul_f32_e32 v3, 0x2f800000, v2
	v_trunc_f32_e32 v3, v3
	v_mac_f32_e32 v2, 0xcf800000, v3
	v_cvt_u32_f32_e32 v3, v3
	v_cvt_u32_f32_e32 v2, v2
	v_readfirstlane_b32 s15, v3
	v_readfirstlane_b32 s20, v2
	s_mul_i32 s21, s6, s15
	s_mul_hi_u32 s35, s6, s20
	s_mul_i32 s34, s14, s20
	s_add_i32 s21, s35, s21
	s_mul_i32 s38, s6, s20
	s_add_i32 s21, s21, s34
	s_mul_hi_u32 s35, s20, s38
	s_mul_hi_u32 s34, s20, s21
	s_mul_i32 s20, s20, s21
	s_add_u32 s20, s35, s20
	s_addc_u32 s34, 0, s34
	s_mul_hi_u32 s39, s15, s38
	s_mul_i32 s38, s15, s38
	s_add_u32 s20, s20, s38
	s_mul_hi_u32 s35, s15, s21
	s_addc_u32 s20, s34, s39
	s_addc_u32 s34, s35, 0
	s_mul_i32 s21, s15, s21
	s_add_u32 s20, s20, s21
	s_addc_u32 s21, 0, s34
	v_add_co_u32_e32 v2, vcc, s20, v2
	s_cmp_lg_u64 vcc, 0
	s_addc_u32 s15, s15, s21
	v_readfirstlane_b32 s21, v2
	s_mul_i32 s20, s6, s15
	s_mul_hi_u32 s34, s6, s21
	s_add_i32 s20, s34, s20
	s_mul_i32 s14, s14, s21
	s_add_i32 s20, s20, s14
	s_mul_i32 s6, s6, s21
	s_mul_hi_u32 s34, s15, s6
	s_mul_i32 s35, s15, s6
	s_mul_i32 s39, s21, s20
	s_mul_hi_u32 s6, s21, s6
	s_mul_hi_u32 s38, s21, s20
	s_add_u32 s6, s6, s39
	s_addc_u32 s21, 0, s38
	s_add_u32 s6, s6, s35
	s_mul_hi_u32 s14, s15, s20
	s_addc_u32 s6, s21, s34
	s_addc_u32 s14, s14, 0
	s_mul_i32 s20, s15, s20
	s_add_u32 s6, s6, s20
	s_addc_u32 s14, 0, s14
	v_add_co_u32_e32 v2, vcc, s6, v2
	s_cmp_lg_u64 vcc, 0
	s_addc_u32 s6, s15, s14
	v_readfirstlane_b32 s20, v2
	s_mul_i32 s15, s1, s6
	s_mul_hi_u32 s21, s1, s20
	s_mul_hi_u32 s14, s1, s6
	s_add_u32 s15, s21, s15
	s_addc_u32 s14, 0, s14
	s_mul_hi_u32 s34, s7, s20
	s_mul_i32 s20, s7, s20
	s_add_u32 s15, s15, s20
	s_mul_hi_u32 s21, s7, s6
	s_addc_u32 s14, s14, s34
	s_addc_u32 s15, s21, 0
	s_mul_i32 s6, s7, s6
	s_add_u32 s6, s14, s6
	s_addc_u32 s14, 0, s15
	s_mul_hi_u32 s15, s33, s6
	s_mul_i32 s6, s33, s6
	s_mul_i32 s14, s33, s14
	v_mov_b32_e32 v2, s6
	s_add_i32 s15, s15, s14
	v_sub_co_u32_e32 v2, vcc, s1, v2
	s_cmp_lg_u64 vcc, 0
	s_subb_u32 s6, s7, s15
	v_subrev_co_u32_e32 v3, vcc, s33, v2
	s_cmp_lg_u64 vcc, 0
	s_subb_u32 s14, s6, 0
	v_subrev_co_u32_e32 v4, vcc, s33, v3
	s_cmp_lg_u64 vcc, 0
	s_subb_u32 s15, s14, 0
	v_cmp_le_u32_e32 vcc, s33, v3
	s_cmp_eq_u32 s14, 0
	v_cndmask_b32_e64 v5, 0, -1, vcc
	s_cselect_b64 vcc, -1, 0
	v_cndmask_b32_e32 v5, -1, v5, vcc
	v_mov_b32_e32 v6, s14
	v_mov_b32_e32 v7, s15
	v_cmp_ne_u32_e32 vcc, 0, v5
	v_cndmask_b32_e32 v5, v6, v7, vcc
	v_cndmask_b32_e32 v4, v3, v4, vcc
	v_cmp_le_u32_e32 vcc, s33, v2
	s_cmp_eq_u32 s6, 0
	v_cndmask_b32_e64 v3, 0, -1, vcc
	s_cselect_b64 vcc, -1, 0
	v_cndmask_b32_e32 v3, -1, v3, vcc
	v_mov_b32_e32 v6, s6
	v_cmp_ne_u32_e32 vcc, 0, v3
	v_cndmask_b32_e32 v3, v6, v5, vcc
	v_cndmask_b32_e32 v2, v2, v4, vcc
	s_cbranch_execnz .LBB204_283
.LBB204_282:                            ;   in Loop: Header=BB204_6 Depth=1
	v_cvt_f32_u32_e32 v2, s33
	s_sub_i32 s6, 0, s33
	v_rcp_iflag_f32_e32 v2, v2
	v_mul_f32_e32 v2, 0x4f7ffffe, v2
	v_cvt_u32_f32_e32 v2, v2
	v_mul_lo_u32 v3, s6, v2
	v_mul_hi_u32 v3, v2, v3
	v_add_u32_e32 v2, v2, v3
	v_mul_hi_u32 v2, s1, v2
	v_mul_lo_u32 v2, v2, s33
	v_sub_u32_e32 v2, s1, v2
	v_subrev_u32_e32 v3, s33, v2
	v_cmp_le_u32_e32 vcc, s33, v2
	v_cndmask_b32_e32 v2, v2, v3, vcc
	v_subrev_u32_e32 v3, s33, v2
	v_cmp_le_u32_e32 vcc, s33, v2
	v_cndmask_b32_e32 v14, v2, v3, vcc
	v_pk_mov_b32 v[2:3], v[14:15], v[14:15] op_sel:[0,1]
.LBB204_283:                            ;   in Loop: Header=BB204_6 Depth=1
	v_mov_b32_e32 v4, s7
	v_sub_co_u32_e32 v2, vcc, s1, v2
	v_subb_co_u32_e32 v3, vcc, v4, v3, vcc
	v_cmp_gt_u64_e32 vcc, v[2:3], v[0:1]
	s_mov_b64 s[6:7], 0
                                        ; implicit-def: $vgpr46
	s_and_saveexec_b64 s[14:15], vcc
	s_cbranch_execz .LBB204_293
; %bb.284:                              ;   in Loop: Header=BB204_6 Depth=1
	s_mov_b64 s[20:21], 0
	v_mov_b32_e32 v6, v35
	v_pk_mov_b32 v[4:5], v[0:1], v[0:1] op_sel:[0,1]
                                        ; implicit-def: $sgpr34_sgpr35
	s_branch .LBB204_286
.LBB204_285:                            ;   in Loop: Header=BB204_286 Depth=2
	s_or_b64 exec, exec, s[6:7]
	s_waitcnt lgkmcnt(0)
	s_barrier
	ds_read_b32 v7, v15 offset:3072
	v_mov_b32_e32 v8, s88
	v_add_co_u32_e64 v4, s[6:7], s33, v4
	v_addc_co_u32_e64 v5, s[6:7], v5, v8, s[6:7]
	s_waitcnt lgkmcnt(0)
	v_cmp_neq_f16_e32 vcc, 0, v7
	v_cmp_ge_u64_e64 s[6:7], v[4:5], v[2:3]
	s_or_b64 s[6:7], s[6:7], vcc
	s_and_b64 s[6:7], exec, s[6:7]
	s_or_b64 s[20:21], s[6:7], s[20:21]
	s_andn2_b64 s[6:7], s[34:35], exec
	s_and_b64 s[34:35], vcc, exec
	v_add_u32_e32 v6, s0, v6
	s_or_b64 s[34:35], s[6:7], s[34:35]
	s_barrier
	s_andn2_b64 exec, exec, s[20:21]
	s_cbranch_execz .LBB204_292
.LBB204_286:                            ;   Parent Loop BB204_6 Depth=1
                                        ; =>  This Inner Loop Header: Depth=2
	v_cmp_gt_u64_e32 vcc, s[12:13], v[4:5]
	v_mov_b32_e32 v7, 0
	s_and_saveexec_b64 s[6:7], vcc
	s_cbranch_execz .LBB204_288
; %bb.287:                              ;   in Loop: Header=BB204_286 Depth=2
	ds_read_u16 v7, v6
.LBB204_288:                            ;   in Loop: Header=BB204_286 Depth=2
	s_or_b64 exec, exec, s[6:7]
	s_and_saveexec_b64 s[6:7], vcc
	s_cbranch_execz .LBB204_285
; %bb.289:                              ;   in Loop: Header=BB204_286 Depth=2
	s_waitcnt lgkmcnt(0)
	v_cmp_lt_i16_e32 vcc, -1, v7
	v_cndmask_b32_e32 v8, v39, v40, vcc
	v_xor_b32_sdwa v8, v8, v7 dst_sel:DWORD dst_unused:UNUSED_PAD src0_sel:DWORD src1_sel:WORD_0
	v_cmp_o_f16_e32 vcc, v7, v7
	v_cndmask_b32_e32 v8, v39, v8, vcc
	v_and_b32_e32 v8, v8, v44
	v_cmp_eq_u32_e32 vcc, v8, v45
	s_and_b64 exec, exec, vcc
	s_cbranch_execz .LBB204_285
; %bb.290:                              ;   in Loop: Header=BB204_286 Depth=2
	s_movk_i32 s1, 0x3c00
	v_perm_b32 v7, v7, s1, v43
	ds_write_b32 v15, v7 offset:3072
	s_branch .LBB204_285
.LBB204_291:                            ;   in Loop: Header=BB204_6 Depth=1
	s_mov_b64 s[14:15], -1
	s_mov_b64 s[6:7], 0
                                        ; implicit-def: $sgpr38_sgpr39
                                        ; implicit-def: $vgpr46
	s_mov_b64 s[20:21], s[14:15]
	s_cbranch_execnz .LBB204_294
	s_branch .LBB204_307
.LBB204_292:                            ;   in Loop: Header=BB204_6 Depth=1
	s_or_b64 exec, exec, s[20:21]
	v_lshrrev_b32_e32 v46, 16, v7
	s_and_b64 s[6:7], s[34:35], exec
.LBB204_293:                            ;   in Loop: Header=BB204_6 Depth=1
	s_or_b64 exec, exec, s[14:15]
	s_mov_b64 s[14:15], 0
	s_mov_b64 s[38:39], -1
	s_mov_b64 s[20:21], s[14:15]
	s_branch .LBB204_307
.LBB204_294:                            ;   in Loop: Header=BB204_6 Depth=1
	v_readlane_b32 s12, v56, 31
	v_readlane_b32 s13, v56, 32
	s_mov_b32 s12, s83
	s_mov_b32 s1, s13
	s_cmp_lg_u64 s[12:13], 0
	v_writelane_b32 v56, s0, 31
	v_writelane_b32 v56, s1, 32
	s_cbranch_scc0 .LBB204_336
; %bb.295:                              ;   in Loop: Header=BB204_6 Depth=1
	v_cvt_f32_u32_e32 v2, s33
	s_sub_u32 s1, 0, s33
	s_subb_u32 s6, 0, 0
	v_mac_f32_e32 v2, 0, v41
	v_rcp_f32_e32 v2, v2
	v_mul_f32_e32 v2, 0x5f7ffffc, v2
	v_mul_f32_e32 v3, 0x2f800000, v2
	v_trunc_f32_e32 v3, v3
	v_mac_f32_e32 v2, 0xcf800000, v3
	v_cvt_u32_f32_e32 v3, v3
	v_cvt_u32_f32_e32 v2, v2
	v_readfirstlane_b32 s7, v3
	v_readfirstlane_b32 s12, v2
	s_mul_i32 s13, s1, s7
	s_mul_hi_u32 s15, s1, s12
	s_mul_i32 s14, s6, s12
	s_add_i32 s13, s15, s13
	s_mul_i32 s20, s1, s12
	s_add_i32 s13, s13, s14
	s_mul_hi_u32 s15, s12, s20
	s_mul_hi_u32 s14, s12, s13
	s_mul_i32 s12, s12, s13
	s_add_u32 s12, s15, s12
	s_addc_u32 s14, 0, s14
	s_mul_hi_u32 s21, s7, s20
	s_mul_i32 s20, s7, s20
	s_add_u32 s12, s12, s20
	s_mul_hi_u32 s15, s7, s13
	s_addc_u32 s12, s14, s21
	s_addc_u32 s14, s15, 0
	s_mul_i32 s13, s7, s13
	s_add_u32 s12, s12, s13
	s_addc_u32 s13, 0, s14
	v_add_co_u32_e32 v2, vcc, s12, v2
	s_cmp_lg_u64 vcc, 0
	s_addc_u32 s7, s7, s13
	v_readfirstlane_b32 s13, v2
	s_mul_i32 s12, s1, s7
	s_mul_hi_u32 s14, s1, s13
	s_add_i32 s12, s14, s12
	s_mul_i32 s6, s6, s13
	s_add_i32 s12, s12, s6
	s_mul_i32 s1, s1, s13
	s_mul_hi_u32 s14, s7, s1
	s_mul_i32 s15, s7, s1
	s_mul_i32 s21, s13, s12
	s_mul_hi_u32 s1, s13, s1
	s_mul_hi_u32 s20, s13, s12
	s_add_u32 s1, s1, s21
	s_addc_u32 s13, 0, s20
	s_add_u32 s1, s1, s15
	s_mul_hi_u32 s6, s7, s12
	s_addc_u32 s1, s13, s14
	s_addc_u32 s6, s6, 0
	s_mul_i32 s12, s7, s12
	s_add_u32 s1, s1, s12
	s_addc_u32 s6, 0, s6
	v_add_co_u32_e32 v2, vcc, s1, v2
	s_cmp_lg_u64 vcc, 0
	s_addc_u32 s1, s7, s6
	v_readlane_b32 s15, v56, 29
	v_readfirstlane_b32 s12, v2
	v_readlane_b32 s20, v56, 31
	s_mul_i32 s7, s15, s1
	s_mul_hi_u32 s13, s15, s12
	v_readlane_b32 s21, v56, 32
	s_add_u32 s7, s13, s7
	s_mul_hi_u32 s13, s21, s1
	v_readlane_b32 s20, v56, 31
	v_readlane_b32 s21, v56, 32
	s_mul_hi_u32 s14, s21, s12
	v_readlane_b32 s20, v56, 31
	s_mul_hi_u32 s6, s15, s1
	v_readlane_b32 s21, v56, 32
	s_addc_u32 s6, 0, s6
	s_mul_i32 s12, s21, s12
	s_add_u32 s7, s7, s12
	s_addc_u32 s6, s6, s14
	s_addc_u32 s7, s13, 0
	v_readlane_b32 s12, v56, 31
	v_readlane_b32 s13, v56, 32
	s_mul_i32 s1, s13, s1
	s_add_u32 s1, s6, s1
	s_addc_u32 s6, 0, s7
	s_mul_hi_u32 s7, s33, s1
	s_mul_i32 s1, s33, s1
	s_mul_i32 s6, s33, s6
	v_mov_b32_e32 v2, s1
	s_add_i32 s7, s7, s6
	v_sub_co_u32_e32 v2, vcc, s15, v2
	v_readlane_b32 s12, v56, 31
	v_readlane_b32 s13, v56, 32
	s_cmp_lg_u64 vcc, 0
	s_subb_u32 s1, s13, s7
	v_subrev_co_u32_e32 v3, vcc, s33, v2
	s_cmp_lg_u64 vcc, 0
	s_subb_u32 s6, s1, 0
	v_subrev_co_u32_e32 v4, vcc, s33, v3
	s_cmp_lg_u64 vcc, 0
	s_subb_u32 s7, s6, 0
	v_cmp_le_u32_e32 vcc, s33, v3
	s_cmp_eq_u32 s6, 0
	v_cndmask_b32_e64 v5, 0, -1, vcc
	s_cselect_b64 vcc, -1, 0
	v_cndmask_b32_e32 v5, -1, v5, vcc
	v_mov_b32_e32 v6, s6
	v_mov_b32_e32 v7, s7
	v_cmp_ne_u32_e32 vcc, 0, v5
	v_cndmask_b32_e32 v5, v6, v7, vcc
	v_cndmask_b32_e32 v4, v3, v4, vcc
	v_cmp_le_u32_e32 vcc, s33, v2
	s_cmp_eq_u32 s1, 0
	v_cndmask_b32_e64 v3, 0, -1, vcc
	s_cselect_b64 vcc, -1, 0
	v_cndmask_b32_e32 v3, -1, v3, vcc
	v_mov_b32_e32 v6, s1
	v_cmp_ne_u32_e32 vcc, 0, v3
	v_cndmask_b32_e32 v3, v6, v5, vcc
	v_cndmask_b32_e32 v2, v2, v4, vcc
	s_cbranch_execnz .LBB204_297
.LBB204_296:                            ;   in Loop: Header=BB204_6 Depth=1
	v_cvt_f32_u32_e32 v2, s33
	s_sub_i32 s1, 0, s33
	v_rcp_iflag_f32_e32 v2, v2
	v_mul_f32_e32 v2, 0x4f7ffffe, v2
	v_cvt_u32_f32_e32 v2, v2
	v_mul_lo_u32 v3, s1, v2
	v_mul_hi_u32 v3, v2, v3
	v_add_u32_e32 v2, v2, v3
	v_readlane_b32 s1, v56, 29
	v_mul_hi_u32 v2, s1, v2
	v_mul_lo_u32 v2, v2, s33
	v_sub_u32_e32 v2, s1, v2
	v_subrev_u32_e32 v3, s33, v2
	v_cmp_le_u32_e32 vcc, s33, v2
	v_cndmask_b32_e32 v2, v2, v3, vcc
	v_subrev_u32_e32 v3, s33, v2
	v_cmp_le_u32_e32 vcc, s33, v2
	v_cndmask_b32_e32 v14, v2, v3, vcc
	v_pk_mov_b32 v[2:3], v[14:15], v[14:15] op_sel:[0,1]
.LBB204_297:                            ;   in Loop: Header=BB204_6 Depth=1
	v_readlane_b32 s1, v56, 29
	v_mov_b32_e32 v4, s13
	v_sub_co_u32_e32 v2, vcc, s1, v2
	v_subb_co_u32_e32 v3, vcc, v4, v3, vcc
	v_cmp_gt_u64_e32 vcc, v[2:3], v[0:1]
	s_mov_b64 s[6:7], 0
                                        ; implicit-def: $vgpr46
	s_and_saveexec_b64 s[12:13], vcc
	s_cbranch_execz .LBB204_306
; %bb.298:                              ;   in Loop: Header=BB204_6 Depth=1
	s_mov_b64 s[14:15], 0
	v_pk_mov_b32 v[4:5], v[12:13], v[12:13] op_sel:[0,1]
	v_pk_mov_b32 v[6:7], v[0:1], v[0:1] op_sel:[0,1]
                                        ; implicit-def: $sgpr20_sgpr21
	s_branch .LBB204_300
.LBB204_299:                            ;   in Loop: Header=BB204_300 Depth=2
	s_or_b64 exec, exec, s[6:7]
	s_waitcnt lgkmcnt(0)
	s_barrier
	s_waitcnt vmcnt(0)
	ds_read_b32 v8, v15 offset:3072
	v_mov_b32_e32 v9, s88
	v_add_co_u32_e64 v6, s[6:7], s33, v6
	v_addc_co_u32_e64 v7, s[6:7], v7, v9, s[6:7]
	s_waitcnt lgkmcnt(0)
	v_cmp_neq_f16_e32 vcc, 0, v8
	v_cmp_ge_u64_e64 s[6:7], v[6:7], v[2:3]
	s_or_b64 s[34:35], s[6:7], vcc
	v_mov_b32_e32 v9, s61
	v_add_co_u32_e64 v4, s[6:7], s60, v4
	v_addc_co_u32_e64 v5, s[6:7], v5, v9, s[6:7]
	s_and_b64 s[6:7], exec, s[34:35]
	s_or_b64 s[14:15], s[6:7], s[14:15]
	s_andn2_b64 s[6:7], s[20:21], exec
	s_and_b64 s[20:21], vcc, exec
	s_or_b64 s[20:21], s[6:7], s[20:21]
	s_barrier
	s_andn2_b64 exec, exec, s[14:15]
	s_cbranch_execz .LBB204_305
.LBB204_300:                            ;   Parent Loop BB204_6 Depth=1
                                        ; =>  This Inner Loop Header: Depth=2
	v_cmp_gt_u64_e32 vcc, s[56:57], v[6:7]
	v_mov_b32_e32 v8, 0
	s_and_saveexec_b64 s[6:7], vcc
	s_cbranch_execz .LBB204_302
; %bb.301:                              ;   in Loop: Header=BB204_300 Depth=2
	global_load_ushort v8, v[4:5], off
.LBB204_302:                            ;   in Loop: Header=BB204_300 Depth=2
	s_or_b64 exec, exec, s[6:7]
	s_and_saveexec_b64 s[6:7], vcc
	s_cbranch_execz .LBB204_299
; %bb.303:                              ;   in Loop: Header=BB204_300 Depth=2
	s_waitcnt vmcnt(0)
	v_cmp_lt_i16_e32 vcc, -1, v8
	v_cndmask_b32_e32 v9, v39, v40, vcc
	v_xor_b32_sdwa v9, v9, v8 dst_sel:DWORD dst_unused:UNUSED_PAD src0_sel:DWORD src1_sel:WORD_0
	v_cmp_o_f16_e32 vcc, v8, v8
	v_cndmask_b32_e32 v9, v39, v9, vcc
	v_and_b32_e32 v9, v9, v44
	v_cmp_eq_u32_e32 vcc, v9, v45
	s_and_b64 exec, exec, vcc
	s_cbranch_execz .LBB204_299
; %bb.304:                              ;   in Loop: Header=BB204_300 Depth=2
	s_movk_i32 s1, 0x3c00
	v_perm_b32 v8, v8, s1, v43
	ds_write_b32 v15, v8 offset:3072
	s_branch .LBB204_299
.LBB204_305:                            ;   in Loop: Header=BB204_6 Depth=1
	s_or_b64 exec, exec, s[14:15]
	v_lshrrev_b32_e32 v46, 16, v8
	s_and_b64 s[6:7], s[20:21], exec
.LBB204_306:                            ;   in Loop: Header=BB204_6 Depth=1
	s_or_b64 exec, exec, s[12:13]
	s_mov_b64 s[38:39], 0
	s_mov_b64 s[14:15], -1
	s_mov_b64 s[20:21], 0
.LBB204_307:                            ;   in Loop: Header=BB204_6 Depth=1
	s_orn2_b64 s[6:7], s[6:7], exec
.LBB204_308:                            ;   in Loop: Header=BB204_6 Depth=1
	s_or_b64 exec, exec, s[4:5]
                                        ; implicit-def: $vgpr7
                                        ; implicit-def: $vgpr2_vgpr3
                                        ; implicit-def: $vgpr28
                                        ; implicit-def: $vgpr29
                                        ; implicit-def: $vgpr6
	s_and_saveexec_b64 s[34:35], s[6:7]
	s_cbranch_execz .LBB204_471
; %bb.309:                              ;   in Loop: Header=BB204_6 Depth=1
	v_mov_b32_e32 v2, 1
	s_xor_b64 s[12:13], s[36:37], -1
	s_mov_b64 s[6:7], 0
	v_mov_b32_e32 v3, 0
	v_mov_b32_e32 v7, 1
	s_and_saveexec_b64 s[4:5], s[12:13]
	s_cbranch_execz .LBB204_319
; %bb.310:                              ;   in Loop: Header=BB204_6 Depth=1
	v_cmp_ge_u64_e32 vcc, s[24:25], v[26:27]
                                        ; implicit-def: $sgpr1
                                        ; implicit-def: $sgpr6_sgpr7
	s_and_saveexec_b64 s[12:13], vcc
	s_xor_b64 s[12:13], exec, s[12:13]
	s_cbranch_execz .LBB204_316
; %bb.311:                              ;   in Loop: Header=BB204_6 Depth=1
	ds_read_b64 v[2:3], v15 offset:5120
	s_waitcnt lgkmcnt(0)
	v_cmp_ne_u64_e32 vcc, 0, v[2:3]
	s_cbranch_vccnz .LBB204_315
; %bb.312:                              ;   in Loop: Header=BB204_6 Depth=1
	s_mov_b64 s[6:7], exec
	v_readlane_b32 s36, v56, 8
	v_readlane_b32 s37, v56, 9
	s_and_b64 s[36:37], s[6:7], s[36:37]
	s_mov_b64 exec, s[36:37]
	s_cbranch_execz .LBB204_314
; %bb.313:                              ;   in Loop: Header=BB204_6 Depth=1
	v_pk_mov_b32 v[2:3], s[24:25], s[24:25] op_sel:[0,1]
	ds_write_b64 v15, v[2:3] offset:5128
.LBB204_314:                            ;   in Loop: Header=BB204_6 Depth=1
	s_or_b64 exec, exec, s[6:7]
	s_waitcnt lgkmcnt(0)
	s_barrier
.LBB204_315:                            ;   in Loop: Header=BB204_6 Depth=1
	v_or_b32_e32 v45, s82, v45
	v_or_b32_e32 v44, s82, v44
	s_mov_b64 s[6:7], 0
	s_mov_b32 s1, 5
.LBB204_316:                            ;   in Loop: Header=BB204_6 Depth=1
	s_or_saveexec_b64 s[12:13], s[12:13]
	v_mov_b32_e32 v7, s1
	s_xor_b64 exec, exec, s[12:13]
; %bb.317:                              ;   in Loop: Header=BB204_6 Depth=1
	v_mov_b32_e32 v2, s25
	v_subrev_co_u32_e32 v26, vcc, s24, v26
	v_subb_co_u32_e32 v27, vcc, v27, v2, vcc
	v_mov_b32_e32 v7, 0
	s_or_b64 s[6:7], s[6:7], exec
; %bb.318:                              ;   in Loop: Header=BB204_6 Depth=1
	s_or_b64 exec, exec, s[12:13]
	s_and_b64 s[6:7], s[6:7], exec
	v_pk_mov_b32 v[2:3], v[26:27], v[26:27] op_sel:[0,1]
.LBB204_319:                            ;   in Loop: Header=BB204_6 Depth=1
	s_or_b64 exec, exec, s[4:5]
	s_mov_b64 s[40:41], -1
                                        ; implicit-def: $sgpr4_sgpr5
                                        ; implicit-def: $sgpr12_sgpr13
                                        ; implicit-def: $sgpr36_sgpr37
	s_and_saveexec_b64 s[24:25], s[6:7]
	s_xor_b64 s[24:25], exec, s[24:25]
	s_cbranch_execz .LBB204_468
; %bb.320:                              ;   in Loop: Header=BB204_6 Depth=1
	s_cmp_eq_u64 s[22:23], 1
	s_cselect_b64 s[4:5], -1, 0
	v_cmp_eq_u64_e32 vcc, 1, v[2:3]
	s_and_b64 s[4:5], s[4:5], vcc
	s_mov_b64 s[12:13], -1
                                        ; implicit-def: $sgpr36_sgpr37
                                        ; implicit-def: $sgpr40_sgpr41
                                        ; implicit-def: $sgpr42_sgpr43
	s_and_saveexec_b64 s[44:45], s[4:5]
	s_cbranch_execz .LBB204_354
; %bb.321:                              ;   in Loop: Header=BB204_6 Depth=1
	ds_read_b64 v[4:5], v15 offset:5120
	s_waitcnt lgkmcnt(0)
	s_barrier
	v_readfirstlane_b32 s12, v4
	v_readfirstlane_b32 s13, v5
	s_mov_b64 s[6:7], exec
	v_readlane_b32 s36, v56, 24
	v_readlane_b32 s37, v56, 25
	s_and_b64 s[36:37], s[6:7], s[36:37]
	s_mov_b64 exec, s[36:37]
	s_cbranch_execz .LBB204_323
; %bb.322:                              ;   in Loop: Header=BB204_6 Depth=1
	ds_write_b16 v36, v15
.LBB204_323:                            ;   in Loop: Header=BB204_6 Depth=1
	s_or_b64 exec, exec, s[6:7]
	v_and_b32_e32 v4, s90, v45
	v_lshl_or_b32 v45, 2, s91, v4
	v_or_b32_e32 v44, s82, v44
	s_cmp_eq_u64 s[12:13], 0
	s_waitcnt lgkmcnt(0)
	s_barrier
	s_cbranch_scc1 .LBB204_337
; %bb.324:                              ;   in Loop: Header=BB204_6 Depth=1
	v_readlane_b32 s1, v56, 28
	s_add_u32 s1, s1, s12
	v_readlane_b32 s6, v56, 30
	s_addc_u32 s7, s6, s13
	s_mov_b32 s6, s83
	s_cmp_lg_u64 s[6:7], 0
	s_cbranch_scc0 .LBB204_381
; %bb.325:                              ;   in Loop: Header=BB204_6 Depth=1
	v_cvt_f32_u32_e32 v4, s33
	s_sub_u32 s6, 0, s33
	s_subb_u32 s36, 0, 0
	v_mac_f32_e32 v4, 0, v41
	v_rcp_f32_e32 v4, v4
	v_mul_f32_e32 v4, 0x5f7ffffc, v4
	v_mul_f32_e32 v5, 0x2f800000, v4
	v_trunc_f32_e32 v5, v5
	v_mac_f32_e32 v4, 0xcf800000, v5
	v_cvt_u32_f32_e32 v5, v5
	v_cvt_u32_f32_e32 v4, v4
	v_readfirstlane_b32 s37, v5
	v_readfirstlane_b32 s40, v4
	s_mul_i32 s41, s6, s37
	s_mul_hi_u32 s43, s6, s40
	s_mul_i32 s42, s36, s40
	s_add_i32 s41, s43, s41
	s_mul_i32 s46, s6, s40
	s_add_i32 s41, s41, s42
	s_mul_hi_u32 s43, s40, s46
	s_mul_hi_u32 s42, s40, s41
	s_mul_i32 s40, s40, s41
	s_add_u32 s40, s43, s40
	s_addc_u32 s42, 0, s42
	s_mul_hi_u32 s47, s37, s46
	s_mul_i32 s46, s37, s46
	s_add_u32 s40, s40, s46
	s_mul_hi_u32 s43, s37, s41
	s_addc_u32 s40, s42, s47
	s_addc_u32 s42, s43, 0
	s_mul_i32 s41, s37, s41
	s_add_u32 s40, s40, s41
	s_addc_u32 s41, 0, s42
	v_add_co_u32_e32 v4, vcc, s40, v4
	s_cmp_lg_u64 vcc, 0
	s_addc_u32 s37, s37, s41
	v_readfirstlane_b32 s41, v4
	s_mul_i32 s40, s6, s37
	s_mul_hi_u32 s42, s6, s41
	s_add_i32 s40, s42, s40
	s_mul_i32 s36, s36, s41
	s_add_i32 s40, s40, s36
	s_mul_i32 s6, s6, s41
	s_mul_hi_u32 s42, s37, s6
	s_mul_i32 s43, s37, s6
	s_mul_i32 s47, s41, s40
	s_mul_hi_u32 s6, s41, s6
	s_mul_hi_u32 s46, s41, s40
	s_add_u32 s6, s6, s47
	s_addc_u32 s41, 0, s46
	s_add_u32 s6, s6, s43
	s_mul_hi_u32 s36, s37, s40
	s_addc_u32 s6, s41, s42
	s_addc_u32 s36, s36, 0
	s_mul_i32 s40, s37, s40
	s_add_u32 s6, s6, s40
	s_addc_u32 s36, 0, s36
	v_add_co_u32_e32 v4, vcc, s6, v4
	s_cmp_lg_u64 vcc, 0
	s_addc_u32 s6, s37, s36
	v_readfirstlane_b32 s40, v4
	s_mul_i32 s37, s1, s6
	s_mul_hi_u32 s41, s1, s40
	s_mul_hi_u32 s36, s1, s6
	s_add_u32 s37, s41, s37
	s_addc_u32 s36, 0, s36
	s_mul_hi_u32 s42, s7, s40
	s_mul_i32 s40, s7, s40
	s_add_u32 s37, s37, s40
	s_mul_hi_u32 s41, s7, s6
	s_addc_u32 s36, s36, s42
	s_addc_u32 s37, s41, 0
	s_mul_i32 s6, s7, s6
	s_add_u32 s6, s36, s6
	s_addc_u32 s36, 0, s37
	s_mul_hi_u32 s37, s33, s6
	s_mul_i32 s6, s33, s6
	s_mul_i32 s36, s33, s36
	v_mov_b32_e32 v4, s6
	s_add_i32 s37, s37, s36
	v_sub_co_u32_e32 v4, vcc, s1, v4
	s_cmp_lg_u64 vcc, 0
	s_subb_u32 s6, s7, s37
	v_subrev_co_u32_e32 v5, vcc, s33, v4
	s_cmp_lg_u64 vcc, 0
	s_subb_u32 s36, s6, 0
	v_subrev_co_u32_e32 v6, vcc, s33, v5
	s_cmp_lg_u64 vcc, 0
	s_subb_u32 s37, s36, 0
	v_cmp_le_u32_e32 vcc, s33, v5
	s_cmp_eq_u32 s36, 0
	v_cndmask_b32_e64 v7, 0, -1, vcc
	s_cselect_b64 vcc, -1, 0
	v_cndmask_b32_e32 v7, -1, v7, vcc
	v_mov_b32_e32 v8, s36
	v_mov_b32_e32 v9, s37
	v_cmp_ne_u32_e32 vcc, 0, v7
	v_cndmask_b32_e32 v7, v8, v9, vcc
	v_cndmask_b32_e32 v6, v5, v6, vcc
	v_cmp_le_u32_e32 vcc, s33, v4
	s_cmp_eq_u32 s6, 0
	v_cndmask_b32_e64 v5, 0, -1, vcc
	s_cselect_b64 vcc, -1, 0
	v_cndmask_b32_e32 v5, -1, v5, vcc
	v_mov_b32_e32 v8, s6
	v_cmp_ne_u32_e32 vcc, 0, v5
	v_cndmask_b32_e32 v5, v8, v7, vcc
	v_cndmask_b32_e32 v4, v4, v6, vcc
	s_cbranch_execnz .LBB204_327
.LBB204_326:                            ;   in Loop: Header=BB204_6 Depth=1
	v_cvt_f32_u32_e32 v4, s33
	s_sub_i32 s6, 0, s33
	v_rcp_iflag_f32_e32 v4, v4
	v_mul_f32_e32 v4, 0x4f7ffffe, v4
	v_cvt_u32_f32_e32 v4, v4
	v_mul_lo_u32 v5, s6, v4
	v_mul_hi_u32 v5, v4, v5
	v_add_u32_e32 v4, v4, v5
	v_mul_hi_u32 v4, s1, v4
	v_mul_lo_u32 v4, v4, s33
	v_sub_u32_e32 v4, s1, v4
	v_subrev_u32_e32 v5, s33, v4
	v_cmp_le_u32_e32 vcc, s33, v4
	v_cndmask_b32_e32 v4, v4, v5, vcc
	v_subrev_u32_e32 v5, s33, v4
	v_cmp_le_u32_e32 vcc, s33, v4
	v_cndmask_b32_e32 v14, v4, v5, vcc
	v_pk_mov_b32 v[4:5], v[14:15], v[14:15] op_sel:[0,1]
.LBB204_327:                            ;   in Loop: Header=BB204_6 Depth=1
	v_mov_b32_e32 v6, s7
	v_sub_co_u32_e32 v4, vcc, s1, v4
	v_subb_co_u32_e32 v5, vcc, v6, v5, vcc
	v_cmp_gt_u64_e32 vcc, v[4:5], v[0:1]
	s_mov_b64 s[6:7], 0
                                        ; implicit-def: $vgpr46
	s_and_saveexec_b64 s[36:37], vcc
	s_cbranch_execz .LBB204_339
; %bb.328:                              ;   in Loop: Header=BB204_6 Depth=1
	s_mov_b64 s[40:41], 0
	v_mov_b32_e32 v8, v35
	v_pk_mov_b32 v[6:7], v[0:1], v[0:1] op_sel:[0,1]
                                        ; implicit-def: $sgpr42_sgpr43
	s_branch .LBB204_330
.LBB204_329:                            ;   in Loop: Header=BB204_330 Depth=2
	s_or_b64 exec, exec, s[6:7]
	s_waitcnt lgkmcnt(0)
	s_barrier
	ds_read_b32 v9, v15 offset:3072
	v_mov_b32_e32 v14, s88
	v_add_co_u32_e64 v6, s[6:7], s33, v6
	v_addc_co_u32_e64 v7, s[6:7], v7, v14, s[6:7]
	s_waitcnt lgkmcnt(0)
	v_cmp_neq_f16_e32 vcc, 0, v9
	v_cmp_ge_u64_e64 s[6:7], v[6:7], v[4:5]
	s_or_b64 s[6:7], s[6:7], vcc
	s_and_b64 s[6:7], exec, s[6:7]
	s_or_b64 s[40:41], s[6:7], s[40:41]
	s_andn2_b64 s[6:7], s[42:43], exec
	s_and_b64 s[42:43], vcc, exec
	v_add_u32_e32 v8, s0, v8
	s_or_b64 s[42:43], s[6:7], s[42:43]
	s_barrier
	s_andn2_b64 exec, exec, s[40:41]
	s_cbranch_execz .LBB204_338
.LBB204_330:                            ;   Parent Loop BB204_6 Depth=1
                                        ; =>  This Inner Loop Header: Depth=2
	v_cmp_gt_u64_e32 vcc, s[12:13], v[6:7]
	v_mov_b32_e32 v9, 0
	s_and_saveexec_b64 s[6:7], vcc
	s_cbranch_execz .LBB204_332
; %bb.331:                              ;   in Loop: Header=BB204_330 Depth=2
	ds_read_u16 v9, v8
.LBB204_332:                            ;   in Loop: Header=BB204_330 Depth=2
	s_or_b64 exec, exec, s[6:7]
	s_and_saveexec_b64 s[6:7], vcc
	s_cbranch_execz .LBB204_329
; %bb.333:                              ;   in Loop: Header=BB204_330 Depth=2
	s_waitcnt lgkmcnt(0)
	v_cmp_lt_i16_e32 vcc, -1, v9
	v_cndmask_b32_e32 v14, v39, v40, vcc
	v_xor_b32_sdwa v14, v14, v9 dst_sel:DWORD dst_unused:UNUSED_PAD src0_sel:DWORD src1_sel:WORD_0
	v_cmp_o_f16_e32 vcc, v9, v9
	v_cndmask_b32_e32 v14, v39, v14, vcc
	v_and_b32_e32 v14, v14, v44
	v_cmp_eq_u32_e32 vcc, v14, v45
	s_and_b64 exec, exec, vcc
	s_cbranch_execz .LBB204_329
; %bb.334:                              ;   in Loop: Header=BB204_330 Depth=2
	s_movk_i32 s1, 0x3c00
	v_perm_b32 v9, v9, s1, v43
	ds_write_b32 v15, v9 offset:3072
	s_branch .LBB204_329
.LBB204_335:                            ;   in Loop: Header=BB204_6 Depth=1
                                        ; implicit-def: $vgpr2_vgpr3
	s_branch .LBB204_282
.LBB204_336:                            ;   in Loop: Header=BB204_6 Depth=1
                                        ; implicit-def: $vgpr2_vgpr3
	s_branch .LBB204_296
.LBB204_337:                            ;   in Loop: Header=BB204_6 Depth=1
	s_mov_b64 s[36:37], -1
	s_mov_b64 s[6:7], 0
                                        ; implicit-def: $sgpr40_sgpr41
                                        ; implicit-def: $vgpr46
	s_mov_b64 s[42:43], s[36:37]
	s_cbranch_execnz .LBB204_340
	s_branch .LBB204_353
.LBB204_338:                            ;   in Loop: Header=BB204_6 Depth=1
	s_or_b64 exec, exec, s[40:41]
	v_lshrrev_b32_e32 v46, 16, v9
	s_and_b64 s[6:7], s[42:43], exec
.LBB204_339:                            ;   in Loop: Header=BB204_6 Depth=1
	s_or_b64 exec, exec, s[36:37]
	s_mov_b64 s[36:37], 0
	s_mov_b64 s[40:41], -1
	s_mov_b64 s[42:43], s[36:37]
	s_branch .LBB204_353
.LBB204_340:                            ;   in Loop: Header=BB204_6 Depth=1
	v_readlane_b32 s42, v56, 31
	v_readlane_b32 s43, v56, 32
	s_mov_b32 s42, s83
	s_cmp_lg_u64 s[42:43], 0
	v_writelane_b32 v56, s42, 31
	v_writelane_b32 v56, s43, 32
	s_cbranch_scc0 .LBB204_382
; %bb.341:                              ;   in Loop: Header=BB204_6 Depth=1
	v_cvt_f32_u32_e32 v4, s33
	s_sub_u32 s1, 0, s33
	s_subb_u32 s6, 0, 0
	v_mac_f32_e32 v4, 0, v41
	v_rcp_f32_e32 v4, v4
	v_mul_f32_e32 v4, 0x5f7ffffc, v4
	v_mul_f32_e32 v5, 0x2f800000, v4
	v_trunc_f32_e32 v5, v5
	v_mac_f32_e32 v4, 0xcf800000, v5
	v_cvt_u32_f32_e32 v5, v5
	v_cvt_u32_f32_e32 v4, v4
	v_readfirstlane_b32 s7, v5
	v_readfirstlane_b32 s12, v4
	s_mul_i32 s13, s1, s7
	s_mul_hi_u32 s37, s1, s12
	s_mul_i32 s36, s6, s12
	s_add_i32 s13, s37, s13
	s_mul_i32 s40, s1, s12
	s_add_i32 s13, s13, s36
	s_mul_hi_u32 s37, s12, s40
	s_mul_hi_u32 s36, s12, s13
	s_mul_i32 s12, s12, s13
	s_add_u32 s12, s37, s12
	s_addc_u32 s36, 0, s36
	s_mul_hi_u32 s41, s7, s40
	s_mul_i32 s40, s7, s40
	s_add_u32 s12, s12, s40
	s_mul_hi_u32 s37, s7, s13
	s_addc_u32 s12, s36, s41
	s_addc_u32 s36, s37, 0
	s_mul_i32 s13, s7, s13
	s_add_u32 s12, s12, s13
	s_addc_u32 s13, 0, s36
	v_add_co_u32_e32 v4, vcc, s12, v4
	s_cmp_lg_u64 vcc, 0
	s_addc_u32 s7, s7, s13
	v_readfirstlane_b32 s13, v4
	s_mul_i32 s12, s1, s7
	s_mul_hi_u32 s36, s1, s13
	s_add_i32 s12, s36, s12
	s_mul_i32 s6, s6, s13
	s_add_i32 s12, s12, s6
	s_mul_i32 s1, s1, s13
	s_mul_hi_u32 s36, s7, s1
	s_mul_i32 s37, s7, s1
	s_mul_i32 s41, s13, s12
	s_mul_hi_u32 s1, s13, s1
	s_mul_hi_u32 s40, s13, s12
	s_add_u32 s1, s1, s41
	s_addc_u32 s13, 0, s40
	s_add_u32 s1, s1, s37
	s_mul_hi_u32 s6, s7, s12
	s_addc_u32 s1, s13, s36
	s_addc_u32 s6, s6, 0
	s_mul_i32 s12, s7, s12
	s_add_u32 s1, s1, s12
	s_addc_u32 s6, 0, s6
	v_add_co_u32_e32 v4, vcc, s1, v4
	s_cmp_lg_u64 vcc, 0
	s_addc_u32 s1, s7, s6
	v_readlane_b32 s37, v56, 29
	v_readfirstlane_b32 s12, v4
	s_mul_i32 s7, s37, s1
	s_mul_hi_u32 s13, s37, s12
	s_mul_hi_u32 s6, s37, s1
	s_add_u32 s7, s13, s7
	s_addc_u32 s6, 0, s6
	s_mul_hi_u32 s36, s43, s12
	s_mul_i32 s12, s43, s12
	s_add_u32 s7, s7, s12
	s_mul_hi_u32 s13, s43, s1
	s_addc_u32 s6, s6, s36
	s_addc_u32 s7, s13, 0
	s_mul_i32 s1, s43, s1
	s_add_u32 s1, s6, s1
	s_addc_u32 s6, 0, s7
	s_mul_hi_u32 s7, s33, s1
	s_mul_i32 s1, s33, s1
	s_mul_i32 s6, s33, s6
	v_mov_b32_e32 v4, s1
	s_add_i32 s7, s7, s6
	v_sub_co_u32_e32 v4, vcc, s37, v4
	s_cmp_lg_u64 vcc, 0
	s_subb_u32 s1, s43, s7
	v_subrev_co_u32_e32 v5, vcc, s33, v4
	s_cmp_lg_u64 vcc, 0
	s_subb_u32 s6, s1, 0
	v_subrev_co_u32_e32 v6, vcc, s33, v5
	s_cmp_lg_u64 vcc, 0
	s_subb_u32 s7, s6, 0
	v_cmp_le_u32_e32 vcc, s33, v5
	s_cmp_eq_u32 s6, 0
	v_cndmask_b32_e64 v7, 0, -1, vcc
	s_cselect_b64 vcc, -1, 0
	v_cndmask_b32_e32 v7, -1, v7, vcc
	v_mov_b32_e32 v8, s6
	v_mov_b32_e32 v9, s7
	v_cmp_ne_u32_e32 vcc, 0, v7
	v_cndmask_b32_e32 v7, v8, v9, vcc
	v_cndmask_b32_e32 v6, v5, v6, vcc
	v_cmp_le_u32_e32 vcc, s33, v4
	s_cmp_eq_u32 s1, 0
	v_cndmask_b32_e64 v5, 0, -1, vcc
	s_cselect_b64 vcc, -1, 0
	v_cndmask_b32_e32 v5, -1, v5, vcc
	v_mov_b32_e32 v8, s1
	v_cmp_ne_u32_e32 vcc, 0, v5
	v_cndmask_b32_e32 v5, v8, v7, vcc
	v_cndmask_b32_e32 v4, v4, v6, vcc
	s_cbranch_execnz .LBB204_343
.LBB204_342:                            ;   in Loop: Header=BB204_6 Depth=1
	v_cvt_f32_u32_e32 v4, s33
	s_sub_i32 s1, 0, s33
	v_rcp_iflag_f32_e32 v4, v4
	v_mul_f32_e32 v4, 0x4f7ffffe, v4
	v_cvt_u32_f32_e32 v4, v4
	v_mul_lo_u32 v5, s1, v4
	v_mul_hi_u32 v5, v4, v5
	v_add_u32_e32 v4, v4, v5
	v_readlane_b32 s1, v56, 29
	v_mul_hi_u32 v4, s1, v4
	v_mul_lo_u32 v4, v4, s33
	v_sub_u32_e32 v4, s1, v4
	v_subrev_u32_e32 v5, s33, v4
	v_cmp_le_u32_e32 vcc, s33, v4
	v_cndmask_b32_e32 v4, v4, v5, vcc
	v_subrev_u32_e32 v5, s33, v4
	v_cmp_le_u32_e32 vcc, s33, v4
	v_cndmask_b32_e32 v14, v4, v5, vcc
	v_pk_mov_b32 v[4:5], v[14:15], v[14:15] op_sel:[0,1]
.LBB204_343:                            ;   in Loop: Header=BB204_6 Depth=1
	v_readlane_b32 s6, v56, 31
	v_readlane_b32 s7, v56, 32
	;; [unrolled: 1-line block ×3, first 2 shown]
	v_mov_b32_e32 v6, s7
	v_sub_co_u32_e32 v4, vcc, s1, v4
	v_subb_co_u32_e32 v5, vcc, v6, v5, vcc
	v_cmp_gt_u64_e32 vcc, v[4:5], v[0:1]
	s_mov_b64 s[6:7], 0
                                        ; implicit-def: $vgpr46
	s_and_saveexec_b64 s[12:13], vcc
	s_cbranch_execz .LBB204_352
; %bb.344:                              ;   in Loop: Header=BB204_6 Depth=1
	s_mov_b64 s[36:37], 0
	v_pk_mov_b32 v[6:7], v[12:13], v[12:13] op_sel:[0,1]
	v_pk_mov_b32 v[8:9], v[0:1], v[0:1] op_sel:[0,1]
                                        ; implicit-def: $sgpr40_sgpr41
	s_branch .LBB204_346
.LBB204_345:                            ;   in Loop: Header=BB204_346 Depth=2
	s_or_b64 exec, exec, s[6:7]
	s_waitcnt lgkmcnt(0)
	s_barrier
	s_waitcnt vmcnt(0)
	ds_read_b32 v14, v15 offset:3072
	v_mov_b32_e32 v26, s88
	v_add_co_u32_e64 v8, s[6:7], s33, v8
	v_addc_co_u32_e64 v9, s[6:7], v9, v26, s[6:7]
	s_waitcnt lgkmcnt(0)
	v_cmp_neq_f16_e32 vcc, 0, v14
	v_cmp_ge_u64_e64 s[6:7], v[8:9], v[4:5]
	s_or_b64 s[42:43], s[6:7], vcc
	v_mov_b32_e32 v26, s61
	v_add_co_u32_e64 v6, s[6:7], s60, v6
	v_addc_co_u32_e64 v7, s[6:7], v7, v26, s[6:7]
	s_and_b64 s[6:7], exec, s[42:43]
	s_or_b64 s[36:37], s[6:7], s[36:37]
	s_andn2_b64 s[6:7], s[40:41], exec
	s_and_b64 s[40:41], vcc, exec
	s_or_b64 s[40:41], s[6:7], s[40:41]
	s_barrier
	s_andn2_b64 exec, exec, s[36:37]
	s_cbranch_execz .LBB204_351
.LBB204_346:                            ;   Parent Loop BB204_6 Depth=1
                                        ; =>  This Inner Loop Header: Depth=2
	v_cmp_gt_u64_e32 vcc, s[56:57], v[8:9]
	v_mov_b32_e32 v14, 0
	s_and_saveexec_b64 s[6:7], vcc
	s_cbranch_execz .LBB204_348
; %bb.347:                              ;   in Loop: Header=BB204_346 Depth=2
	global_load_ushort v14, v[6:7], off
.LBB204_348:                            ;   in Loop: Header=BB204_346 Depth=2
	s_or_b64 exec, exec, s[6:7]
	s_and_saveexec_b64 s[6:7], vcc
	s_cbranch_execz .LBB204_345
; %bb.349:                              ;   in Loop: Header=BB204_346 Depth=2
	s_waitcnt vmcnt(0)
	v_cmp_lt_i16_e32 vcc, -1, v14
	v_cndmask_b32_e32 v26, v39, v40, vcc
	v_xor_b32_sdwa v26, v26, v14 dst_sel:DWORD dst_unused:UNUSED_PAD src0_sel:DWORD src1_sel:WORD_0
	v_cmp_o_f16_e32 vcc, v14, v14
	v_cndmask_b32_e32 v26, v39, v26, vcc
	v_and_b32_e32 v26, v26, v44
	v_cmp_eq_u32_e32 vcc, v26, v45
	s_and_b64 exec, exec, vcc
	s_cbranch_execz .LBB204_345
; %bb.350:                              ;   in Loop: Header=BB204_346 Depth=2
	s_movk_i32 s1, 0x3c00
	v_perm_b32 v14, v14, s1, v43
	ds_write_b32 v15, v14 offset:3072
	s_branch .LBB204_345
.LBB204_351:                            ;   in Loop: Header=BB204_6 Depth=1
	s_or_b64 exec, exec, s[36:37]
	v_lshrrev_b32_e32 v46, 16, v14
	s_and_b64 s[6:7], s[40:41], exec
.LBB204_352:                            ;   in Loop: Header=BB204_6 Depth=1
	s_or_b64 exec, exec, s[12:13]
	s_mov_b64 s[40:41], 0
	s_mov_b64 s[36:37], -1
	s_mov_b64 s[42:43], 0
.LBB204_353:                            ;   in Loop: Header=BB204_6 Depth=1
	s_orn2_b64 s[12:13], s[6:7], exec
.LBB204_354:                            ;   in Loop: Header=BB204_6 Depth=1
	s_or_b64 exec, exec, s[44:45]
	s_mov_b64 s[6:7], 0
                                        ; implicit-def: $vgpr7
	s_and_saveexec_b64 s[44:45], s[12:13]
	s_cbranch_execz .LBB204_467
; %bb.355:                              ;   in Loop: Header=BB204_6 Depth=1
	v_mov_b32_e32 v4, 1
	s_xor_b64 s[6:7], s[4:5], -1
	s_mov_b64 s[12:13], 0
	v_mov_b32_e32 v5, 0
	v_mov_b32_e32 v7, 1
	s_and_saveexec_b64 s[4:5], s[6:7]
	s_cbranch_execz .LBB204_365
; %bb.356:                              ;   in Loop: Header=BB204_6 Depth=1
	v_cmp_ge_u64_e32 vcc, s[22:23], v[2:3]
                                        ; implicit-def: $sgpr1
                                        ; implicit-def: $sgpr6_sgpr7
	s_and_saveexec_b64 s[12:13], vcc
	s_xor_b64 s[12:13], exec, s[12:13]
	s_cbranch_execz .LBB204_362
; %bb.357:                              ;   in Loop: Header=BB204_6 Depth=1
	ds_read_b64 v[4:5], v15 offset:5120
	s_waitcnt lgkmcnt(0)
	v_cmp_ne_u64_e32 vcc, 0, v[4:5]
	s_cbranch_vccnz .LBB204_361
; %bb.358:                              ;   in Loop: Header=BB204_6 Depth=1
	s_mov_b64 s[6:7], exec
	v_readlane_b32 s46, v56, 8
	v_readlane_b32 s47, v56, 9
	s_and_b64 s[46:47], s[6:7], s[46:47]
	s_mov_b64 exec, s[46:47]
	s_cbranch_execz .LBB204_360
; %bb.359:                              ;   in Loop: Header=BB204_6 Depth=1
	v_pk_mov_b32 v[4:5], s[22:23], s[22:23] op_sel:[0,1]
	ds_write_b64 v15, v[4:5] offset:5128
.LBB204_360:                            ;   in Loop: Header=BB204_6 Depth=1
	s_or_b64 exec, exec, s[6:7]
	s_waitcnt lgkmcnt(0)
	s_barrier
.LBB204_361:                            ;   in Loop: Header=BB204_6 Depth=1
	v_and_b32_e32 v4, s90, v45
	v_lshl_or_b32 v45, 2, s91, v4
	v_or_b32_e32 v44, s82, v44
	s_mov_b64 s[6:7], 0
	s_mov_b32 s1, 5
.LBB204_362:                            ;   in Loop: Header=BB204_6 Depth=1
	s_or_saveexec_b64 s[12:13], s[12:13]
	v_mov_b32_e32 v7, s1
	s_xor_b64 exec, exec, s[12:13]
; %bb.363:                              ;   in Loop: Header=BB204_6 Depth=1
	v_mov_b32_e32 v4, s23
	v_subrev_co_u32_e32 v2, vcc, s22, v2
	v_subb_co_u32_e32 v3, vcc, v3, v4, vcc
	v_mov_b32_e32 v7, 0
	s_or_b64 s[6:7], s[6:7], exec
; %bb.364:                              ;   in Loop: Header=BB204_6 Depth=1
	s_or_b64 exec, exec, s[12:13]
	s_and_b64 s[12:13], s[6:7], exec
	v_pk_mov_b32 v[4:5], v[2:3], v[2:3] op_sel:[0,1]
.LBB204_365:                            ;   in Loop: Header=BB204_6 Depth=1
	s_or_b64 exec, exec, s[4:5]
	s_mov_b64 s[4:5], -1
                                        ; implicit-def: $sgpr6_sgpr7
                                        ; implicit-def: $sgpr46_sgpr47
                                        ; implicit-def: $sgpr52_sgpr53
	s_and_saveexec_b64 s[22:23], s[12:13]
	s_cbranch_execz .LBB204_466
; %bb.366:                              ;   in Loop: Header=BB204_6 Depth=1
	s_cmp_eq_u64 s[18:19], 1
	s_cselect_b64 s[4:5], -1, 0
	v_cmp_eq_u64_e32 vcc, 1, v[4:5]
	s_and_b64 s[4:5], s[4:5], vcc
	s_mov_b64 s[6:7], -1
                                        ; implicit-def: $sgpr46_sgpr47
                                        ; implicit-def: $sgpr48_sgpr49
                                        ; implicit-def: $sgpr50_sgpr51
	s_and_saveexec_b64 s[52:53], s[4:5]
	s_cbranch_execz .LBB204_400
; %bb.367:                              ;   in Loop: Header=BB204_6 Depth=1
	ds_read_b64 v[2:3], v15 offset:5120
	s_waitcnt lgkmcnt(0)
	s_barrier
	v_readfirstlane_b32 s12, v2
	v_readfirstlane_b32 s13, v3
	s_mov_b64 s[6:7], exec
	v_readlane_b32 s46, v56, 24
	v_readlane_b32 s47, v56, 25
	s_and_b64 s[46:47], s[6:7], s[46:47]
	s_mov_b64 exec, s[46:47]
	s_cbranch_execz .LBB204_369
; %bb.368:                              ;   in Loop: Header=BB204_6 Depth=1
	ds_write_b16 v36, v15
.LBB204_369:                            ;   in Loop: Header=BB204_6 Depth=1
	s_or_b64 exec, exec, s[6:7]
	v_and_b32_e32 v2, s90, v45
	v_lshl_or_b32 v45, 1, s91, v2
	v_or_b32_e32 v44, s82, v44
	s_cmp_eq_u64 s[12:13], 0
	s_waitcnt lgkmcnt(0)
	s_barrier
	s_cbranch_scc1 .LBB204_383
; %bb.370:                              ;   in Loop: Header=BB204_6 Depth=1
	v_readlane_b32 s1, v56, 28
	s_add_u32 s1, s1, s12
	v_readlane_b32 s6, v56, 30
	s_addc_u32 s7, s6, s13
	s_mov_b32 s6, s83
	s_cmp_lg_u64 s[6:7], 0
	s_cbranch_scc0 .LBB204_418
; %bb.371:                              ;   in Loop: Header=BB204_6 Depth=1
	v_cvt_f32_u32_e32 v2, s33
	s_sub_u32 s6, 0, s33
	s_subb_u32 s46, 0, 0
	v_mac_f32_e32 v2, 0, v41
	v_rcp_f32_e32 v2, v2
	v_mul_f32_e32 v2, 0x5f7ffffc, v2
	v_mul_f32_e32 v3, 0x2f800000, v2
	v_trunc_f32_e32 v3, v3
	v_mac_f32_e32 v2, 0xcf800000, v3
	v_cvt_u32_f32_e32 v3, v3
	v_cvt_u32_f32_e32 v2, v2
	v_readfirstlane_b32 s47, v3
	v_readfirstlane_b32 s48, v2
	s_mul_i32 s49, s6, s47
	s_mul_hi_u32 s51, s6, s48
	s_mul_i32 s50, s46, s48
	s_add_i32 s49, s51, s49
	s_mul_i32 s54, s6, s48
	s_add_i32 s49, s49, s50
	s_mul_hi_u32 s51, s48, s54
	s_mul_hi_u32 s50, s48, s49
	s_mul_i32 s48, s48, s49
	s_add_u32 s48, s51, s48
	s_addc_u32 s50, 0, s50
	s_mul_hi_u32 s55, s47, s54
	s_mul_i32 s54, s47, s54
	s_add_u32 s48, s48, s54
	s_mul_hi_u32 s51, s47, s49
	s_addc_u32 s48, s50, s55
	s_addc_u32 s50, s51, 0
	s_mul_i32 s49, s47, s49
	s_add_u32 s48, s48, s49
	s_addc_u32 s49, 0, s50
	v_add_co_u32_e32 v2, vcc, s48, v2
	s_cmp_lg_u64 vcc, 0
	s_addc_u32 s47, s47, s49
	v_readfirstlane_b32 s49, v2
	s_mul_i32 s48, s6, s47
	s_mul_hi_u32 s50, s6, s49
	s_add_i32 s48, s50, s48
	s_mul_i32 s46, s46, s49
	s_add_i32 s48, s48, s46
	s_mul_i32 s6, s6, s49
	s_mul_hi_u32 s50, s47, s6
	s_mul_i32 s51, s47, s6
	s_mul_i32 s55, s49, s48
	s_mul_hi_u32 s6, s49, s6
	s_mul_hi_u32 s54, s49, s48
	s_add_u32 s6, s6, s55
	s_addc_u32 s49, 0, s54
	s_add_u32 s6, s6, s51
	s_mul_hi_u32 s46, s47, s48
	s_addc_u32 s6, s49, s50
	s_addc_u32 s46, s46, 0
	s_mul_i32 s48, s47, s48
	s_add_u32 s6, s6, s48
	s_addc_u32 s46, 0, s46
	v_add_co_u32_e32 v2, vcc, s6, v2
	s_cmp_lg_u64 vcc, 0
	s_addc_u32 s6, s47, s46
	v_readfirstlane_b32 s48, v2
	s_mul_i32 s47, s1, s6
	s_mul_hi_u32 s49, s1, s48
	s_mul_hi_u32 s46, s1, s6
	s_add_u32 s47, s49, s47
	s_addc_u32 s46, 0, s46
	s_mul_hi_u32 s50, s7, s48
	s_mul_i32 s48, s7, s48
	s_add_u32 s47, s47, s48
	s_mul_hi_u32 s49, s7, s6
	s_addc_u32 s46, s46, s50
	s_addc_u32 s47, s49, 0
	s_mul_i32 s6, s7, s6
	s_add_u32 s6, s46, s6
	s_addc_u32 s46, 0, s47
	s_mul_hi_u32 s47, s33, s6
	s_mul_i32 s6, s33, s6
	s_mul_i32 s46, s33, s46
	v_mov_b32_e32 v2, s6
	s_add_i32 s47, s47, s46
	v_sub_co_u32_e32 v2, vcc, s1, v2
	s_cmp_lg_u64 vcc, 0
	s_subb_u32 s6, s7, s47
	v_subrev_co_u32_e32 v3, vcc, s33, v2
	s_cmp_lg_u64 vcc, 0
	s_subb_u32 s46, s6, 0
	v_subrev_co_u32_e32 v6, vcc, s33, v3
	s_cmp_lg_u64 vcc, 0
	s_subb_u32 s47, s46, 0
	v_cmp_le_u32_e32 vcc, s33, v3
	s_cmp_eq_u32 s46, 0
	v_cndmask_b32_e64 v7, 0, -1, vcc
	s_cselect_b64 vcc, -1, 0
	v_cndmask_b32_e32 v7, -1, v7, vcc
	v_mov_b32_e32 v8, s46
	v_mov_b32_e32 v9, s47
	v_cmp_ne_u32_e32 vcc, 0, v7
	v_cndmask_b32_e32 v7, v8, v9, vcc
	v_cndmask_b32_e32 v6, v3, v6, vcc
	v_cmp_le_u32_e32 vcc, s33, v2
	s_cmp_eq_u32 s6, 0
	v_cndmask_b32_e64 v3, 0, -1, vcc
	s_cselect_b64 vcc, -1, 0
	v_cndmask_b32_e32 v3, -1, v3, vcc
	v_mov_b32_e32 v8, s6
	v_cmp_ne_u32_e32 vcc, 0, v3
	v_cndmask_b32_e32 v3, v8, v7, vcc
	v_cndmask_b32_e32 v2, v2, v6, vcc
	s_cbranch_execnz .LBB204_373
.LBB204_372:                            ;   in Loop: Header=BB204_6 Depth=1
	v_cvt_f32_u32_e32 v2, s33
	s_sub_i32 s6, 0, s33
	v_rcp_iflag_f32_e32 v2, v2
	v_mul_f32_e32 v2, 0x4f7ffffe, v2
	v_cvt_u32_f32_e32 v2, v2
	v_mul_lo_u32 v3, s6, v2
	v_mul_hi_u32 v3, v2, v3
	v_add_u32_e32 v2, v2, v3
	v_mul_hi_u32 v2, s1, v2
	v_mul_lo_u32 v2, v2, s33
	v_sub_u32_e32 v2, s1, v2
	v_subrev_u32_e32 v3, s33, v2
	v_cmp_le_u32_e32 vcc, s33, v2
	v_cndmask_b32_e32 v2, v2, v3, vcc
	v_subrev_u32_e32 v3, s33, v2
	v_cmp_le_u32_e32 vcc, s33, v2
	v_cndmask_b32_e32 v14, v2, v3, vcc
	v_pk_mov_b32 v[2:3], v[14:15], v[14:15] op_sel:[0,1]
.LBB204_373:                            ;   in Loop: Header=BB204_6 Depth=1
	v_mov_b32_e32 v6, s7
	v_sub_co_u32_e32 v2, vcc, s1, v2
	v_subb_co_u32_e32 v3, vcc, v6, v3, vcc
	v_cmp_gt_u64_e32 vcc, v[2:3], v[0:1]
	s_mov_b64 s[6:7], 0
                                        ; implicit-def: $vgpr46
	s_and_saveexec_b64 s[46:47], vcc
	s_cbranch_execz .LBB204_385
; %bb.374:                              ;   in Loop: Header=BB204_6 Depth=1
	s_mov_b64 s[48:49], 0
	v_mov_b32_e32 v8, v35
	v_pk_mov_b32 v[6:7], v[0:1], v[0:1] op_sel:[0,1]
                                        ; implicit-def: $sgpr50_sgpr51
	s_branch .LBB204_376
.LBB204_375:                            ;   in Loop: Header=BB204_376 Depth=2
	s_or_b64 exec, exec, s[6:7]
	s_waitcnt lgkmcnt(0)
	s_barrier
	ds_read_b32 v9, v15 offset:3072
	v_mov_b32_e32 v14, s88
	v_add_co_u32_e64 v6, s[6:7], s33, v6
	v_addc_co_u32_e64 v7, s[6:7], v7, v14, s[6:7]
	s_waitcnt lgkmcnt(0)
	v_cmp_neq_f16_e32 vcc, 0, v9
	v_cmp_ge_u64_e64 s[6:7], v[6:7], v[2:3]
	s_or_b64 s[6:7], s[6:7], vcc
	s_and_b64 s[6:7], exec, s[6:7]
	s_or_b64 s[48:49], s[6:7], s[48:49]
	s_andn2_b64 s[6:7], s[50:51], exec
	s_and_b64 s[50:51], vcc, exec
	v_add_u32_e32 v8, s0, v8
	s_or_b64 s[50:51], s[6:7], s[50:51]
	s_barrier
	s_andn2_b64 exec, exec, s[48:49]
	s_cbranch_execz .LBB204_384
.LBB204_376:                            ;   Parent Loop BB204_6 Depth=1
                                        ; =>  This Inner Loop Header: Depth=2
	v_cmp_gt_u64_e32 vcc, s[12:13], v[6:7]
	v_mov_b32_e32 v9, 0
	s_and_saveexec_b64 s[6:7], vcc
	s_cbranch_execz .LBB204_378
; %bb.377:                              ;   in Loop: Header=BB204_376 Depth=2
	ds_read_u16 v9, v8
.LBB204_378:                            ;   in Loop: Header=BB204_376 Depth=2
	s_or_b64 exec, exec, s[6:7]
	s_and_saveexec_b64 s[6:7], vcc
	s_cbranch_execz .LBB204_375
; %bb.379:                              ;   in Loop: Header=BB204_376 Depth=2
	s_waitcnt lgkmcnt(0)
	v_cmp_lt_i16_e32 vcc, -1, v9
	v_cndmask_b32_e32 v14, v39, v40, vcc
	v_xor_b32_sdwa v14, v14, v9 dst_sel:DWORD dst_unused:UNUSED_PAD src0_sel:DWORD src1_sel:WORD_0
	v_cmp_o_f16_e32 vcc, v9, v9
	v_cndmask_b32_e32 v14, v39, v14, vcc
	v_and_b32_e32 v14, v14, v44
	v_cmp_eq_u32_e32 vcc, v14, v45
	s_and_b64 exec, exec, vcc
	s_cbranch_execz .LBB204_375
; %bb.380:                              ;   in Loop: Header=BB204_376 Depth=2
	s_movk_i32 s1, 0x3c00
	v_perm_b32 v9, v9, s1, v43
	ds_write_b32 v15, v9 offset:3072
	s_branch .LBB204_375
.LBB204_381:                            ;   in Loop: Header=BB204_6 Depth=1
                                        ; implicit-def: $vgpr4_vgpr5
	s_branch .LBB204_326
.LBB204_382:                            ;   in Loop: Header=BB204_6 Depth=1
                                        ; implicit-def: $vgpr4_vgpr5
	s_branch .LBB204_342
.LBB204_383:                            ;   in Loop: Header=BB204_6 Depth=1
	s_mov_b64 s[46:47], -1
	s_mov_b64 s[6:7], 0
                                        ; implicit-def: $sgpr48_sgpr49
                                        ; implicit-def: $vgpr46
	s_mov_b64 s[50:51], s[46:47]
	s_cbranch_execnz .LBB204_386
	s_branch .LBB204_399
.LBB204_384:                            ;   in Loop: Header=BB204_6 Depth=1
	s_or_b64 exec, exec, s[48:49]
	v_lshrrev_b32_e32 v46, 16, v9
	s_and_b64 s[6:7], s[50:51], exec
.LBB204_385:                            ;   in Loop: Header=BB204_6 Depth=1
	s_or_b64 exec, exec, s[46:47]
	s_mov_b64 s[46:47], 0
	s_mov_b64 s[48:49], -1
	s_mov_b64 s[50:51], s[46:47]
	s_branch .LBB204_399
.LBB204_386:                            ;   in Loop: Header=BB204_6 Depth=1
	v_readlane_b32 s50, v56, 31
	v_readlane_b32 s51, v56, 32
	s_mov_b32 s50, s83
	s_cmp_lg_u64 s[50:51], 0
	v_writelane_b32 v56, s50, 31
	v_writelane_b32 v56, s51, 32
	s_cbranch_scc0 .LBB204_419
; %bb.387:                              ;   in Loop: Header=BB204_6 Depth=1
	v_cvt_f32_u32_e32 v2, s33
	s_sub_u32 s1, 0, s33
	s_subb_u32 s6, 0, 0
	v_mac_f32_e32 v2, 0, v41
	v_rcp_f32_e32 v2, v2
	v_mul_f32_e32 v2, 0x5f7ffffc, v2
	v_mul_f32_e32 v3, 0x2f800000, v2
	v_trunc_f32_e32 v3, v3
	v_mac_f32_e32 v2, 0xcf800000, v3
	v_cvt_u32_f32_e32 v3, v3
	v_cvt_u32_f32_e32 v2, v2
	v_readfirstlane_b32 s7, v3
	v_readfirstlane_b32 s12, v2
	s_mul_i32 s13, s1, s7
	s_mul_hi_u32 s47, s1, s12
	s_mul_i32 s46, s6, s12
	s_add_i32 s13, s47, s13
	s_mul_i32 s48, s1, s12
	s_add_i32 s13, s13, s46
	s_mul_hi_u32 s47, s12, s48
	s_mul_hi_u32 s46, s12, s13
	s_mul_i32 s12, s12, s13
	s_add_u32 s12, s47, s12
	s_addc_u32 s46, 0, s46
	s_mul_hi_u32 s49, s7, s48
	s_mul_i32 s48, s7, s48
	s_add_u32 s12, s12, s48
	s_mul_hi_u32 s47, s7, s13
	s_addc_u32 s12, s46, s49
	s_addc_u32 s46, s47, 0
	s_mul_i32 s13, s7, s13
	s_add_u32 s12, s12, s13
	s_addc_u32 s13, 0, s46
	v_add_co_u32_e32 v2, vcc, s12, v2
	s_cmp_lg_u64 vcc, 0
	s_addc_u32 s7, s7, s13
	v_readfirstlane_b32 s13, v2
	s_mul_i32 s12, s1, s7
	s_mul_hi_u32 s46, s1, s13
	s_add_i32 s12, s46, s12
	s_mul_i32 s6, s6, s13
	s_add_i32 s12, s12, s6
	s_mul_i32 s1, s1, s13
	s_mul_hi_u32 s46, s7, s1
	s_mul_i32 s47, s7, s1
	s_mul_i32 s49, s13, s12
	s_mul_hi_u32 s1, s13, s1
	s_mul_hi_u32 s48, s13, s12
	s_add_u32 s1, s1, s49
	s_addc_u32 s13, 0, s48
	s_add_u32 s1, s1, s47
	s_mul_hi_u32 s6, s7, s12
	s_addc_u32 s1, s13, s46
	s_addc_u32 s6, s6, 0
	s_mul_i32 s12, s7, s12
	s_add_u32 s1, s1, s12
	s_addc_u32 s6, 0, s6
	v_add_co_u32_e32 v2, vcc, s1, v2
	s_cmp_lg_u64 vcc, 0
	s_addc_u32 s1, s7, s6
	v_readlane_b32 s47, v56, 29
	v_readfirstlane_b32 s12, v2
	s_mul_i32 s7, s47, s1
	s_mul_hi_u32 s13, s47, s12
	s_mul_hi_u32 s6, s47, s1
	s_add_u32 s7, s13, s7
	s_addc_u32 s6, 0, s6
	s_mul_hi_u32 s46, s51, s12
	s_mul_i32 s12, s51, s12
	s_add_u32 s7, s7, s12
	s_mul_hi_u32 s13, s51, s1
	s_addc_u32 s6, s6, s46
	s_addc_u32 s7, s13, 0
	s_mul_i32 s1, s51, s1
	s_add_u32 s1, s6, s1
	s_addc_u32 s6, 0, s7
	s_mul_hi_u32 s7, s33, s1
	s_mul_i32 s1, s33, s1
	s_mul_i32 s6, s33, s6
	v_mov_b32_e32 v2, s1
	s_add_i32 s7, s7, s6
	v_sub_co_u32_e32 v2, vcc, s47, v2
	s_cmp_lg_u64 vcc, 0
	s_subb_u32 s1, s51, s7
	v_subrev_co_u32_e32 v3, vcc, s33, v2
	s_cmp_lg_u64 vcc, 0
	s_subb_u32 s6, s1, 0
	v_subrev_co_u32_e32 v6, vcc, s33, v3
	s_cmp_lg_u64 vcc, 0
	s_subb_u32 s7, s6, 0
	v_cmp_le_u32_e32 vcc, s33, v3
	s_cmp_eq_u32 s6, 0
	v_cndmask_b32_e64 v7, 0, -1, vcc
	s_cselect_b64 vcc, -1, 0
	v_cndmask_b32_e32 v7, -1, v7, vcc
	v_mov_b32_e32 v8, s6
	v_mov_b32_e32 v9, s7
	v_cmp_ne_u32_e32 vcc, 0, v7
	v_cndmask_b32_e32 v7, v8, v9, vcc
	v_cndmask_b32_e32 v6, v3, v6, vcc
	v_cmp_le_u32_e32 vcc, s33, v2
	s_cmp_eq_u32 s1, 0
	v_cndmask_b32_e64 v3, 0, -1, vcc
	s_cselect_b64 vcc, -1, 0
	v_cndmask_b32_e32 v3, -1, v3, vcc
	v_mov_b32_e32 v8, s1
	v_cmp_ne_u32_e32 vcc, 0, v3
	v_cndmask_b32_e32 v3, v8, v7, vcc
	v_cndmask_b32_e32 v2, v2, v6, vcc
	s_cbranch_execnz .LBB204_389
.LBB204_388:                            ;   in Loop: Header=BB204_6 Depth=1
	v_cvt_f32_u32_e32 v2, s33
	s_sub_i32 s1, 0, s33
	v_rcp_iflag_f32_e32 v2, v2
	v_mul_f32_e32 v2, 0x4f7ffffe, v2
	v_cvt_u32_f32_e32 v2, v2
	v_mul_lo_u32 v3, s1, v2
	v_mul_hi_u32 v3, v2, v3
	v_add_u32_e32 v2, v2, v3
	v_readlane_b32 s1, v56, 29
	v_mul_hi_u32 v2, s1, v2
	v_mul_lo_u32 v2, v2, s33
	v_sub_u32_e32 v2, s1, v2
	v_subrev_u32_e32 v3, s33, v2
	v_cmp_le_u32_e32 vcc, s33, v2
	v_cndmask_b32_e32 v2, v2, v3, vcc
	v_subrev_u32_e32 v3, s33, v2
	v_cmp_le_u32_e32 vcc, s33, v2
	v_cndmask_b32_e32 v14, v2, v3, vcc
	v_pk_mov_b32 v[2:3], v[14:15], v[14:15] op_sel:[0,1]
.LBB204_389:                            ;   in Loop: Header=BB204_6 Depth=1
	v_readlane_b32 s6, v56, 31
	v_readlane_b32 s7, v56, 32
	;; [unrolled: 1-line block ×3, first 2 shown]
	v_mov_b32_e32 v6, s7
	v_sub_co_u32_e32 v2, vcc, s1, v2
	v_subb_co_u32_e32 v3, vcc, v6, v3, vcc
	v_cmp_gt_u64_e32 vcc, v[2:3], v[0:1]
	s_mov_b64 s[6:7], 0
                                        ; implicit-def: $vgpr46
	s_and_saveexec_b64 s[12:13], vcc
	s_cbranch_execz .LBB204_398
; %bb.390:                              ;   in Loop: Header=BB204_6 Depth=1
	s_mov_b64 s[46:47], 0
	v_pk_mov_b32 v[6:7], v[12:13], v[12:13] op_sel:[0,1]
	v_pk_mov_b32 v[8:9], v[0:1], v[0:1] op_sel:[0,1]
                                        ; implicit-def: $sgpr48_sgpr49
	s_branch .LBB204_392
.LBB204_391:                            ;   in Loop: Header=BB204_392 Depth=2
	s_or_b64 exec, exec, s[6:7]
	s_waitcnt lgkmcnt(0)
	s_barrier
	s_waitcnt vmcnt(0)
	ds_read_b32 v14, v15 offset:3072
	v_mov_b32_e32 v26, s88
	v_add_co_u32_e64 v8, s[6:7], s33, v8
	v_addc_co_u32_e64 v9, s[6:7], v9, v26, s[6:7]
	s_waitcnt lgkmcnt(0)
	v_cmp_neq_f16_e32 vcc, 0, v14
	v_cmp_ge_u64_e64 s[6:7], v[8:9], v[2:3]
	s_or_b64 s[50:51], s[6:7], vcc
	v_mov_b32_e32 v26, s61
	v_add_co_u32_e64 v6, s[6:7], s60, v6
	v_addc_co_u32_e64 v7, s[6:7], v7, v26, s[6:7]
	s_and_b64 s[6:7], exec, s[50:51]
	s_or_b64 s[46:47], s[6:7], s[46:47]
	s_andn2_b64 s[6:7], s[48:49], exec
	s_and_b64 s[48:49], vcc, exec
	s_or_b64 s[48:49], s[6:7], s[48:49]
	s_barrier
	s_andn2_b64 exec, exec, s[46:47]
	s_cbranch_execz .LBB204_397
.LBB204_392:                            ;   Parent Loop BB204_6 Depth=1
                                        ; =>  This Inner Loop Header: Depth=2
	v_cmp_gt_u64_e32 vcc, s[56:57], v[8:9]
	v_mov_b32_e32 v14, 0
	s_and_saveexec_b64 s[6:7], vcc
	s_cbranch_execz .LBB204_394
; %bb.393:                              ;   in Loop: Header=BB204_392 Depth=2
	global_load_ushort v14, v[6:7], off
.LBB204_394:                            ;   in Loop: Header=BB204_392 Depth=2
	s_or_b64 exec, exec, s[6:7]
	s_and_saveexec_b64 s[6:7], vcc
	s_cbranch_execz .LBB204_391
; %bb.395:                              ;   in Loop: Header=BB204_392 Depth=2
	s_waitcnt vmcnt(0)
	v_cmp_lt_i16_e32 vcc, -1, v14
	v_cndmask_b32_e32 v26, v39, v40, vcc
	v_xor_b32_sdwa v26, v26, v14 dst_sel:DWORD dst_unused:UNUSED_PAD src0_sel:DWORD src1_sel:WORD_0
	v_cmp_o_f16_e32 vcc, v14, v14
	v_cndmask_b32_e32 v26, v39, v26, vcc
	v_and_b32_e32 v26, v26, v44
	v_cmp_eq_u32_e32 vcc, v26, v45
	s_and_b64 exec, exec, vcc
	s_cbranch_execz .LBB204_391
; %bb.396:                              ;   in Loop: Header=BB204_392 Depth=2
	s_movk_i32 s1, 0x3c00
	v_perm_b32 v14, v14, s1, v43
	ds_write_b32 v15, v14 offset:3072
	s_branch .LBB204_391
.LBB204_397:                            ;   in Loop: Header=BB204_6 Depth=1
	s_or_b64 exec, exec, s[46:47]
	v_lshrrev_b32_e32 v46, 16, v14
	s_and_b64 s[6:7], s[48:49], exec
.LBB204_398:                            ;   in Loop: Header=BB204_6 Depth=1
	s_or_b64 exec, exec, s[12:13]
	s_mov_b64 s[48:49], 0
	s_mov_b64 s[46:47], -1
	s_mov_b64 s[50:51], 0
.LBB204_399:                            ;   in Loop: Header=BB204_6 Depth=1
	s_orn2_b64 s[6:7], s[6:7], exec
.LBB204_400:                            ;   in Loop: Header=BB204_6 Depth=1
	s_or_b64 exec, exec, s[52:53]
	s_mov_b64 s[12:13], 0
                                        ; implicit-def: $vgpr7
	s_and_saveexec_b64 s[52:53], s[6:7]
	s_cbranch_execz .LBB204_465
; %bb.401:                              ;   in Loop: Header=BB204_6 Depth=1
	v_mov_b32_e32 v2, 1
	s_xor_b64 s[6:7], s[4:5], -1
	s_mov_b64 s[54:55], 0
	v_mov_b32_e32 v3, 0
	v_mov_b32_e32 v7, 1
	s_and_saveexec_b64 s[4:5], s[6:7]
	s_cbranch_execz .LBB204_411
; %bb.402:                              ;   in Loop: Header=BB204_6 Depth=1
	v_cmp_ge_u64_e32 vcc, s[18:19], v[4:5]
                                        ; implicit-def: $sgpr1
                                        ; implicit-def: $sgpr6_sgpr7
	s_and_saveexec_b64 s[12:13], vcc
	s_xor_b64 s[12:13], exec, s[12:13]
	s_cbranch_execz .LBB204_408
; %bb.403:                              ;   in Loop: Header=BB204_6 Depth=1
	ds_read_b64 v[2:3], v15 offset:5120
	s_waitcnt lgkmcnt(0)
	v_cmp_ne_u64_e32 vcc, 0, v[2:3]
	s_cbranch_vccnz .LBB204_407
; %bb.404:                              ;   in Loop: Header=BB204_6 Depth=1
	s_mov_b64 s[6:7], exec
	v_readlane_b32 s54, v56, 8
	v_readlane_b32 s55, v56, 9
	s_and_b64 s[54:55], s[6:7], s[54:55]
	s_mov_b64 exec, s[54:55]
	s_cbranch_execz .LBB204_406
; %bb.405:                              ;   in Loop: Header=BB204_6 Depth=1
	v_pk_mov_b32 v[2:3], s[18:19], s[18:19] op_sel:[0,1]
	ds_write_b64 v15, v[2:3] offset:5128
.LBB204_406:                            ;   in Loop: Header=BB204_6 Depth=1
	s_or_b64 exec, exec, s[6:7]
	s_waitcnt lgkmcnt(0)
	s_barrier
.LBB204_407:                            ;   in Loop: Header=BB204_6 Depth=1
	v_and_b32_e32 v2, s90, v45
	v_lshl_or_b32 v45, 1, s91, v2
	v_or_b32_e32 v44, s82, v44
	s_mov_b64 s[6:7], 0
	s_mov_b32 s1, 5
.LBB204_408:                            ;   in Loop: Header=BB204_6 Depth=1
	s_or_saveexec_b64 s[12:13], s[12:13]
	v_mov_b32_e32 v7, s1
	s_xor_b64 exec, exec, s[12:13]
; %bb.409:                              ;   in Loop: Header=BB204_6 Depth=1
	v_mov_b32_e32 v2, s19
	v_subrev_co_u32_e32 v4, vcc, s18, v4
	v_subb_co_u32_e32 v5, vcc, v5, v2, vcc
	v_mov_b32_e32 v7, 0
	s_or_b64 s[6:7], s[6:7], exec
; %bb.410:                              ;   in Loop: Header=BB204_6 Depth=1
	s_or_b64 exec, exec, s[12:13]
	s_and_b64 s[54:55], s[6:7], exec
	v_pk_mov_b32 v[2:3], v[4:5], v[4:5] op_sel:[0,1]
.LBB204_411:                            ;   in Loop: Header=BB204_6 Depth=1
	s_or_b64 exec, exec, s[4:5]
	s_mov_b64 s[4:5], -1
                                        ; implicit-def: $sgpr6_sgpr7
                                        ; implicit-def: $sgpr12_sgpr13
                                        ; implicit-def: $sgpr70_sgpr71
	s_and_saveexec_b64 s[18:19], s[54:55]
	s_cbranch_execz .LBB204_464
; %bb.412:                              ;   in Loop: Header=BB204_6 Depth=1
	s_cmp_eq_u64 s[16:17], 1
	s_cselect_b64 s[4:5], -1, 0
	v_cmp_eq_u64_e32 vcc, 1, v[2:3]
	s_and_b64 s[4:5], s[4:5], vcc
	s_mov_b64 s[78:79], -1
                                        ; implicit-def: $sgpr6_sgpr7
                                        ; implicit-def: $sgpr12_sgpr13
                                        ; implicit-def: $sgpr70_sgpr71
	s_and_saveexec_b64 s[54:55], s[4:5]
	s_cbranch_execz .LBB204_451
; %bb.413:                              ;   in Loop: Header=BB204_6 Depth=1
	ds_read_b64 v[4:5], v15 offset:5120
	v_readlane_b32 s68, v56, 24
	v_readlane_b32 s69, v56, 25
	s_waitcnt lgkmcnt(0)
	s_barrier
	v_readfirstlane_b32 s12, v4
	v_readfirstlane_b32 s13, v5
	s_and_saveexec_b64 s[6:7], s[68:69]
	s_cbranch_execz .LBB204_415
; %bb.414:                              ;   in Loop: Header=BB204_6 Depth=1
	ds_write_b16 v36, v15
.LBB204_415:                            ;   in Loop: Header=BB204_6 Depth=1
	s_or_b64 exec, exec, s[6:7]
	v_and_b32_e32 v45, s90, v45
	v_or_b32_e32 v44, s82, v44
	s_cmp_eq_u64 s[12:13], 0
	s_waitcnt lgkmcnt(0)
	s_barrier
	s_cbranch_scc1 .LBB204_420
; %bb.416:                              ;   in Loop: Header=BB204_6 Depth=1
	v_readlane_b32 s1, v56, 28
	s_add_u32 s1, s1, s12
	v_readlane_b32 s6, v56, 30
	s_addc_u32 s7, s6, s13
	s_mov_b32 s6, s83
	s_cmp_lg_u64 s[6:7], 0
	s_cbranch_scc0 .LBB204_421
; %bb.417:                              ;   in Loop: Header=BB204_6 Depth=1
	v_cvt_f32_u32_e32 v4, s33
	s_sub_u32 s6, 0, s33
	s_subb_u32 s70, 0, 0
	v_mac_f32_e32 v4, 0, v41
	v_rcp_f32_e32 v4, v4
	v_mul_f32_e32 v4, 0x5f7ffffc, v4
	v_mul_f32_e32 v5, 0x2f800000, v4
	v_trunc_f32_e32 v5, v5
	v_mac_f32_e32 v4, 0xcf800000, v5
	v_cvt_u32_f32_e32 v5, v5
	v_cvt_u32_f32_e32 v4, v4
	v_readfirstlane_b32 s71, v5
	v_readfirstlane_b32 s78, v4
	s_mul_i32 s79, s6, s71
	s_mul_hi_u32 s81, s6, s78
	s_mul_i32 s80, s70, s78
	s_add_i32 s79, s81, s79
	s_mul_i32 s84, s6, s78
	s_add_i32 s79, s79, s80
	s_mul_hi_u32 s81, s78, s84
	s_mul_hi_u32 s80, s78, s79
	s_mul_i32 s78, s78, s79
	s_add_u32 s78, s81, s78
	s_addc_u32 s80, 0, s80
	s_mul_hi_u32 s85, s71, s84
	s_mul_i32 s84, s71, s84
	s_add_u32 s78, s78, s84
	s_mul_hi_u32 s81, s71, s79
	s_addc_u32 s78, s80, s85
	s_addc_u32 s80, s81, 0
	s_mul_i32 s79, s71, s79
	s_add_u32 s78, s78, s79
	s_addc_u32 s79, 0, s80
	v_add_co_u32_e32 v4, vcc, s78, v4
	s_cmp_lg_u64 vcc, 0
	s_addc_u32 s71, s71, s79
	v_readfirstlane_b32 s79, v4
	s_mul_i32 s78, s6, s71
	s_mul_hi_u32 s80, s6, s79
	s_add_i32 s78, s80, s78
	s_mul_i32 s70, s70, s79
	s_add_i32 s78, s78, s70
	s_mul_i32 s6, s6, s79
	s_mul_hi_u32 s80, s71, s6
	s_mul_i32 s81, s71, s6
	s_mul_i32 s85, s79, s78
	s_mul_hi_u32 s6, s79, s6
	s_mul_hi_u32 s84, s79, s78
	s_add_u32 s6, s6, s85
	s_addc_u32 s79, 0, s84
	s_add_u32 s6, s6, s81
	s_mul_hi_u32 s70, s71, s78
	s_addc_u32 s6, s79, s80
	s_addc_u32 s70, s70, 0
	s_mul_i32 s78, s71, s78
	s_add_u32 s6, s6, s78
	s_addc_u32 s70, 0, s70
	v_add_co_u32_e32 v4, vcc, s6, v4
	s_cmp_lg_u64 vcc, 0
	s_addc_u32 s6, s71, s70
	v_readfirstlane_b32 s78, v4
	s_mul_i32 s71, s1, s6
	s_mul_hi_u32 s79, s1, s78
	s_mul_hi_u32 s70, s1, s6
	s_add_u32 s71, s79, s71
	s_addc_u32 s70, 0, s70
	s_mul_hi_u32 s80, s7, s78
	s_mul_i32 s78, s7, s78
	s_add_u32 s71, s71, s78
	s_mul_hi_u32 s79, s7, s6
	s_addc_u32 s70, s70, s80
	s_addc_u32 s71, s79, 0
	s_mul_i32 s6, s7, s6
	s_add_u32 s6, s70, s6
	s_addc_u32 s70, 0, s71
	s_mul_hi_u32 s71, s33, s6
	s_mul_i32 s6, s33, s6
	s_mul_i32 s70, s33, s70
	v_mov_b32_e32 v4, s6
	s_add_i32 s71, s71, s70
	v_sub_co_u32_e32 v4, vcc, s1, v4
	s_cmp_lg_u64 vcc, 0
	s_subb_u32 s6, s7, s71
	v_subrev_co_u32_e32 v5, vcc, s33, v4
	s_cmp_lg_u64 vcc, 0
	s_subb_u32 s70, s6, 0
	v_subrev_co_u32_e32 v6, vcc, s33, v5
	s_cmp_lg_u64 vcc, 0
	s_subb_u32 s71, s70, 0
	v_cmp_le_u32_e32 vcc, s33, v5
	s_cmp_eq_u32 s70, 0
	v_cndmask_b32_e64 v7, 0, -1, vcc
	s_cselect_b64 vcc, -1, 0
	v_cndmask_b32_e32 v7, -1, v7, vcc
	v_mov_b32_e32 v8, s70
	v_mov_b32_e32 v9, s71
	v_cmp_ne_u32_e32 vcc, 0, v7
	v_cndmask_b32_e32 v7, v8, v9, vcc
	v_cndmask_b32_e32 v6, v5, v6, vcc
	v_cmp_le_u32_e32 vcc, s33, v4
	s_cmp_eq_u32 s6, 0
	v_cndmask_b32_e64 v5, 0, -1, vcc
	s_cselect_b64 vcc, -1, 0
	v_cndmask_b32_e32 v5, -1, v5, vcc
	v_mov_b32_e32 v8, s6
	v_cmp_ne_u32_e32 vcc, 0, v5
	v_cndmask_b32_e32 v5, v8, v7, vcc
	v_cndmask_b32_e32 v4, v4, v6, vcc
	s_mov_b64 s[70:71], 0
	s_branch .LBB204_422
.LBB204_418:                            ;   in Loop: Header=BB204_6 Depth=1
                                        ; implicit-def: $vgpr2_vgpr3
	s_branch .LBB204_372
.LBB204_419:                            ;   in Loop: Header=BB204_6 Depth=1
                                        ; implicit-def: $vgpr2_vgpr3
	s_branch .LBB204_388
.LBB204_420:                            ;   in Loop: Header=BB204_6 Depth=1
	s_mov_b64 s[6:7], -1
	s_mov_b64 s[78:79], 0
                                        ; implicit-def: $sgpr12_sgpr13
                                        ; implicit-def: $vgpr46
	s_branch .LBB204_434
.LBB204_421:                            ;   in Loop: Header=BB204_6 Depth=1
	s_mov_b64 s[70:71], -1
                                        ; implicit-def: $vgpr4_vgpr5
.LBB204_422:                            ;   in Loop: Header=BB204_6 Depth=1
	s_andn2_b64 vcc, exec, s[70:71]
	s_cbranch_vccnz .LBB204_424
; %bb.423:                              ;   in Loop: Header=BB204_6 Depth=1
	v_cvt_f32_u32_e32 v4, s33
	s_sub_i32 s6, 0, s33
	v_rcp_iflag_f32_e32 v4, v4
	v_mul_f32_e32 v4, 0x4f7ffffe, v4
	v_cvt_u32_f32_e32 v4, v4
	v_mul_lo_u32 v5, s6, v4
	v_mul_hi_u32 v5, v4, v5
	v_add_u32_e32 v4, v4, v5
	v_mul_hi_u32 v4, s1, v4
	v_mul_lo_u32 v4, v4, s33
	v_sub_u32_e32 v4, s1, v4
	v_subrev_u32_e32 v5, s33, v4
	v_cmp_le_u32_e32 vcc, s33, v4
	v_cndmask_b32_e32 v4, v4, v5, vcc
	v_subrev_u32_e32 v5, s33, v4
	v_cmp_le_u32_e32 vcc, s33, v4
	v_cndmask_b32_e32 v14, v4, v5, vcc
	v_pk_mov_b32 v[4:5], v[14:15], v[14:15] op_sel:[0,1]
.LBB204_424:                            ;   in Loop: Header=BB204_6 Depth=1
	v_mov_b32_e32 v6, s7
	v_sub_co_u32_e32 v4, vcc, s1, v4
	v_subb_co_u32_e32 v5, vcc, v6, v5, vcc
	v_cmp_gt_u64_e32 vcc, v[4:5], v[0:1]
	s_mov_b64 s[78:79], 0
                                        ; implicit-def: $vgpr46
	s_and_saveexec_b64 s[70:71], vcc
	s_cbranch_execz .LBB204_433
; %bb.425:                              ;   in Loop: Header=BB204_6 Depth=1
	v_mov_b32_e32 v8, v35
	v_pk_mov_b32 v[6:7], v[0:1], v[0:1] op_sel:[0,1]
                                        ; implicit-def: $sgpr80_sgpr81
	s_branch .LBB204_427
.LBB204_426:                            ;   in Loop: Header=BB204_427 Depth=2
	s_or_b64 exec, exec, s[6:7]
	s_waitcnt lgkmcnt(0)
	s_barrier
	ds_read_b32 v9, v15 offset:3072
	v_mov_b32_e32 v14, s88
	v_add_co_u32_e64 v6, s[6:7], s33, v6
	v_addc_co_u32_e64 v7, s[6:7], v7, v14, s[6:7]
	s_waitcnt lgkmcnt(0)
	v_cmp_neq_f16_e32 vcc, 0, v9
	v_cmp_ge_u64_e64 s[6:7], v[6:7], v[4:5]
	s_or_b64 s[6:7], s[6:7], vcc
	s_and_b64 s[6:7], exec, s[6:7]
	s_or_b64 s[78:79], s[6:7], s[78:79]
	s_andn2_b64 s[6:7], s[80:81], exec
	s_and_b64 s[80:81], vcc, exec
	v_add_u32_e32 v8, s0, v8
	s_or_b64 s[80:81], s[6:7], s[80:81]
	s_barrier
	s_andn2_b64 exec, exec, s[78:79]
	s_cbranch_execz .LBB204_432
.LBB204_427:                            ;   Parent Loop BB204_6 Depth=1
                                        ; =>  This Inner Loop Header: Depth=2
	v_cmp_gt_u64_e32 vcc, s[12:13], v[6:7]
	v_mov_b32_e32 v9, 0
	s_and_saveexec_b64 s[6:7], vcc
	s_cbranch_execz .LBB204_429
; %bb.428:                              ;   in Loop: Header=BB204_427 Depth=2
	ds_read_u16 v9, v8
.LBB204_429:                            ;   in Loop: Header=BB204_427 Depth=2
	s_or_b64 exec, exec, s[6:7]
	s_and_saveexec_b64 s[6:7], vcc
	s_cbranch_execz .LBB204_426
; %bb.430:                              ;   in Loop: Header=BB204_427 Depth=2
	s_waitcnt lgkmcnt(0)
	v_cmp_lt_i16_e32 vcc, -1, v9
	v_cndmask_b32_e32 v14, v39, v40, vcc
	v_xor_b32_sdwa v14, v14, v9 dst_sel:DWORD dst_unused:UNUSED_PAD src0_sel:DWORD src1_sel:WORD_0
	v_cmp_o_f16_e32 vcc, v9, v9
	v_cndmask_b32_e32 v14, v39, v14, vcc
	v_and_b32_e32 v14, v14, v44
	v_cmp_eq_u32_e32 vcc, v14, v45
	s_and_b64 exec, exec, vcc
	s_cbranch_execz .LBB204_426
; %bb.431:                              ;   in Loop: Header=BB204_427 Depth=2
	s_movk_i32 s1, 0x3c00
	v_perm_b32 v9, v9, s1, v43
	ds_write_b32 v15, v9 offset:3072
	s_branch .LBB204_426
.LBB204_432:                            ;   in Loop: Header=BB204_6 Depth=1
	s_or_b64 exec, exec, s[78:79]
	v_lshrrev_b32_e32 v46, 16, v9
	s_and_b64 s[78:79], s[80:81], exec
.LBB204_433:                            ;   in Loop: Header=BB204_6 Depth=1
	s_or_b64 exec, exec, s[70:71]
	v_readlane_b32 s84, v56, 46
	v_readlane_b32 s85, v56, 47
	s_mov_b64 s[6:7], 0
	s_mov_b64 s[12:13], -1
.LBB204_434:                            ;   in Loop: Header=BB204_6 Depth=1
	s_and_b64 vcc, exec, s[6:7]
	s_mov_b64 s[70:71], s[6:7]
	s_cbranch_vccz .LBB204_450
; %bb.435:                              ;   in Loop: Header=BB204_6 Depth=1
	v_readlane_b32 s68, v56, 31
	v_readlane_b32 s69, v56, 32
	s_mov_b32 s68, s83
	s_cmp_lg_u64 s[68:69], 0
	v_writelane_b32 v56, s68, 31
	v_writelane_b32 v56, s69, 32
	s_cbranch_scc0 .LBB204_437
; %bb.436:                              ;   in Loop: Header=BB204_6 Depth=1
	v_cvt_f32_u32_e32 v4, s33
	s_sub_u32 s1, 0, s33
	s_subb_u32 s6, 0, 0
	v_readlane_b32 s68, v56, 29
	v_mac_f32_e32 v4, 0, v41
	v_rcp_f32_e32 v4, v4
	v_mul_f32_e32 v4, 0x5f7ffffc, v4
	v_mul_f32_e32 v5, 0x2f800000, v4
	v_trunc_f32_e32 v5, v5
	v_mac_f32_e32 v4, 0xcf800000, v5
	v_cvt_u32_f32_e32 v5, v5
	v_cvt_u32_f32_e32 v4, v4
	v_readfirstlane_b32 s7, v5
	v_readfirstlane_b32 s12, v4
	s_mul_i32 s13, s1, s7
	s_mul_hi_u32 s71, s1, s12
	s_mul_i32 s70, s6, s12
	s_add_i32 s13, s71, s13
	s_mul_i32 s78, s1, s12
	s_add_i32 s13, s13, s70
	s_mul_hi_u32 s71, s12, s78
	s_mul_hi_u32 s70, s12, s13
	s_mul_i32 s12, s12, s13
	s_add_u32 s12, s71, s12
	s_addc_u32 s70, 0, s70
	s_mul_hi_u32 s79, s7, s78
	s_mul_i32 s78, s7, s78
	s_add_u32 s12, s12, s78
	s_mul_hi_u32 s71, s7, s13
	s_addc_u32 s12, s70, s79
	s_addc_u32 s70, s71, 0
	s_mul_i32 s13, s7, s13
	s_add_u32 s12, s12, s13
	s_addc_u32 s13, 0, s70
	v_add_co_u32_e32 v4, vcc, s12, v4
	s_cmp_lg_u64 vcc, 0
	s_addc_u32 s7, s7, s13
	v_readfirstlane_b32 s13, v4
	s_mul_i32 s12, s1, s7
	s_mul_hi_u32 s70, s1, s13
	s_add_i32 s12, s70, s12
	s_mul_i32 s6, s6, s13
	s_add_i32 s12, s12, s6
	s_mul_i32 s1, s1, s13
	s_mul_hi_u32 s70, s7, s1
	s_mul_i32 s71, s7, s1
	s_mul_i32 s79, s13, s12
	s_mul_hi_u32 s1, s13, s1
	s_mul_hi_u32 s78, s13, s12
	s_add_u32 s1, s1, s79
	s_addc_u32 s13, 0, s78
	s_add_u32 s1, s1, s71
	s_mul_hi_u32 s6, s7, s12
	s_addc_u32 s1, s13, s70
	s_addc_u32 s6, s6, 0
	s_mul_i32 s12, s7, s12
	s_add_u32 s1, s1, s12
	s_addc_u32 s6, 0, s6
	v_add_co_u32_e32 v4, vcc, s1, v4
	s_cmp_lg_u64 vcc, 0
	s_addc_u32 s1, s7, s6
	v_readfirstlane_b32 s12, v4
	s_mul_i32 s7, s68, s1
	s_mul_hi_u32 s13, s68, s12
	s_mul_hi_u32 s6, s68, s1
	s_add_u32 s7, s13, s7
	s_addc_u32 s6, 0, s6
	s_mul_hi_u32 s70, s69, s12
	s_mul_i32 s12, s69, s12
	s_add_u32 s7, s7, s12
	s_mul_hi_u32 s13, s69, s1
	s_addc_u32 s6, s6, s70
	s_addc_u32 s7, s13, 0
	s_mul_i32 s1, s69, s1
	s_add_u32 s1, s6, s1
	s_addc_u32 s6, 0, s7
	s_mul_hi_u32 s7, s33, s1
	s_mul_i32 s1, s33, s1
	s_mul_i32 s6, s33, s6
	v_mov_b32_e32 v4, s1
	s_add_i32 s7, s7, s6
	v_sub_co_u32_e32 v4, vcc, s68, v4
	s_cmp_lg_u64 vcc, 0
	s_subb_u32 s1, s69, s7
	v_subrev_co_u32_e32 v5, vcc, s33, v4
	s_cmp_lg_u64 vcc, 0
	s_subb_u32 s6, s1, 0
	v_subrev_co_u32_e32 v6, vcc, s33, v5
	s_cmp_lg_u64 vcc, 0
	s_subb_u32 s7, s6, 0
	v_cmp_le_u32_e32 vcc, s33, v5
	s_cmp_eq_u32 s6, 0
	v_cndmask_b32_e64 v7, 0, -1, vcc
	s_cselect_b64 vcc, -1, 0
	v_cndmask_b32_e32 v7, -1, v7, vcc
	v_mov_b32_e32 v8, s6
	v_mov_b32_e32 v9, s7
	v_cmp_ne_u32_e32 vcc, 0, v7
	v_cndmask_b32_e32 v7, v8, v9, vcc
	v_cndmask_b32_e32 v6, v5, v6, vcc
	v_cmp_le_u32_e32 vcc, s33, v4
	s_cmp_eq_u32 s1, 0
	v_cndmask_b32_e64 v5, 0, -1, vcc
	s_cselect_b64 vcc, -1, 0
	v_cndmask_b32_e32 v5, -1, v5, vcc
	v_mov_b32_e32 v8, s1
	v_cmp_ne_u32_e32 vcc, 0, v5
	v_cndmask_b32_e32 v5, v8, v7, vcc
	v_cndmask_b32_e32 v4, v4, v6, vcc
	s_mov_b64 s[6:7], 0
	s_branch .LBB204_438
.LBB204_437:                            ;   in Loop: Header=BB204_6 Depth=1
	s_mov_b64 s[6:7], -1
                                        ; implicit-def: $vgpr4_vgpr5
.LBB204_438:                            ;   in Loop: Header=BB204_6 Depth=1
	s_andn2_b64 vcc, exec, s[6:7]
	s_cbranch_vccnz .LBB204_440
; %bb.439:                              ;   in Loop: Header=BB204_6 Depth=1
	v_cvt_f32_u32_e32 v4, s33
	s_sub_i32 s1, 0, s33
	v_rcp_iflag_f32_e32 v4, v4
	v_mul_f32_e32 v4, 0x4f7ffffe, v4
	v_cvt_u32_f32_e32 v4, v4
	v_mul_lo_u32 v5, s1, v4
	v_mul_hi_u32 v5, v4, v5
	v_add_u32_e32 v4, v4, v5
	v_readlane_b32 s1, v56, 29
	v_mul_hi_u32 v4, s1, v4
	v_mul_lo_u32 v4, v4, s33
	v_sub_u32_e32 v4, s1, v4
	v_subrev_u32_e32 v5, s33, v4
	v_cmp_le_u32_e32 vcc, s33, v4
	v_cndmask_b32_e32 v4, v4, v5, vcc
	v_subrev_u32_e32 v5, s33, v4
	v_cmp_le_u32_e32 vcc, s33, v4
	v_cndmask_b32_e32 v14, v4, v5, vcc
	v_pk_mov_b32 v[4:5], v[14:15], v[14:15] op_sel:[0,1]
.LBB204_440:                            ;   in Loop: Header=BB204_6 Depth=1
	v_readlane_b32 s6, v56, 31
	v_readlane_b32 s7, v56, 32
	;; [unrolled: 1-line block ×3, first 2 shown]
	v_mov_b32_e32 v6, s7
	v_sub_co_u32_e32 v4, vcc, s1, v4
	v_subb_co_u32_e32 v5, vcc, v6, v5, vcc
	v_cmp_gt_u64_e32 vcc, v[4:5], v[0:1]
	s_mov_b64 s[78:79], 0
                                        ; implicit-def: $vgpr46
	s_and_saveexec_b64 s[12:13], vcc
	s_cbranch_execz .LBB204_449
; %bb.441:                              ;   in Loop: Header=BB204_6 Depth=1
	s_mov_b64 s[70:71], 0
	v_pk_mov_b32 v[6:7], v[12:13], v[12:13] op_sel:[0,1]
	v_pk_mov_b32 v[8:9], v[0:1], v[0:1] op_sel:[0,1]
                                        ; implicit-def: $sgpr78_sgpr79
	s_branch .LBB204_443
.LBB204_442:                            ;   in Loop: Header=BB204_443 Depth=2
	s_or_b64 exec, exec, s[6:7]
	s_waitcnt lgkmcnt(0)
	s_barrier
	s_waitcnt vmcnt(0)
	ds_read_b32 v14, v15 offset:3072
	v_mov_b32_e32 v26, s88
	v_add_co_u32_e64 v8, s[6:7], s33, v8
	v_addc_co_u32_e64 v9, s[6:7], v9, v26, s[6:7]
	s_waitcnt lgkmcnt(0)
	v_cmp_neq_f16_e32 vcc, 0, v14
	v_cmp_ge_u64_e64 s[6:7], v[8:9], v[4:5]
	s_or_b64 s[80:81], s[6:7], vcc
	v_mov_b32_e32 v26, s61
	v_add_co_u32_e64 v6, s[6:7], s60, v6
	v_addc_co_u32_e64 v7, s[6:7], v7, v26, s[6:7]
	s_and_b64 s[6:7], exec, s[80:81]
	s_or_b64 s[70:71], s[6:7], s[70:71]
	s_andn2_b64 s[6:7], s[78:79], exec
	s_and_b64 s[78:79], vcc, exec
	s_or_b64 s[78:79], s[6:7], s[78:79]
	s_barrier
	s_andn2_b64 exec, exec, s[70:71]
	s_cbranch_execz .LBB204_448
.LBB204_443:                            ;   Parent Loop BB204_6 Depth=1
                                        ; =>  This Inner Loop Header: Depth=2
	v_cmp_gt_u64_e32 vcc, s[56:57], v[8:9]
	v_mov_b32_e32 v14, 0
	s_and_saveexec_b64 s[6:7], vcc
	s_cbranch_execz .LBB204_445
; %bb.444:                              ;   in Loop: Header=BB204_443 Depth=2
	global_load_ushort v14, v[6:7], off
.LBB204_445:                            ;   in Loop: Header=BB204_443 Depth=2
	s_or_b64 exec, exec, s[6:7]
	s_and_saveexec_b64 s[6:7], vcc
	s_cbranch_execz .LBB204_442
; %bb.446:                              ;   in Loop: Header=BB204_443 Depth=2
	s_waitcnt vmcnt(0)
	v_cmp_lt_i16_e32 vcc, -1, v14
	v_cndmask_b32_e32 v26, v39, v40, vcc
	v_xor_b32_sdwa v26, v26, v14 dst_sel:DWORD dst_unused:UNUSED_PAD src0_sel:DWORD src1_sel:WORD_0
	v_cmp_o_f16_e32 vcc, v14, v14
	v_cndmask_b32_e32 v26, v39, v26, vcc
	v_and_b32_e32 v26, v26, v44
	v_cmp_eq_u32_e32 vcc, v26, v45
	s_and_b64 exec, exec, vcc
	s_cbranch_execz .LBB204_442
; %bb.447:                              ;   in Loop: Header=BB204_443 Depth=2
	s_movk_i32 s1, 0x3c00
	v_perm_b32 v14, v14, s1, v43
	ds_write_b32 v15, v14 offset:3072
	s_branch .LBB204_442
.LBB204_448:                            ;   in Loop: Header=BB204_6 Depth=1
	s_or_b64 exec, exec, s[70:71]
	v_lshrrev_b32_e32 v46, 16, v14
	s_and_b64 s[78:79], s[78:79], exec
.LBB204_449:                            ;   in Loop: Header=BB204_6 Depth=1
	s_or_b64 exec, exec, s[12:13]
	s_mov_b64 s[12:13], 0
	s_mov_b64 s[6:7], -1
	s_mov_b64 s[70:71], 0
.LBB204_450:                            ;   in Loop: Header=BB204_6 Depth=1
	s_orn2_b64 s[78:79], s[78:79], exec
.LBB204_451:                            ;   in Loop: Header=BB204_6 Depth=1
	s_or_b64 exec, exec, s[54:55]
	s_mov_b64 s[80:81], 0
                                        ; implicit-def: $vgpr7
                                        ; implicit-def: $vgpr4_vgpr5
	s_and_saveexec_b64 s[54:55], s[78:79]
	s_cbranch_execz .LBB204_463
; %bb.452:                              ;   in Loop: Header=BB204_6 Depth=1
	v_mov_b32_e32 v4, 1
	s_xor_b64 s[78:79], s[4:5], -1
	v_mov_b32_e32 v7, 1
	v_mov_b32_e32 v5, 0
	s_and_saveexec_b64 s[4:5], s[78:79]
	s_cbranch_execz .LBB204_462
; %bb.453:                              ;   in Loop: Header=BB204_6 Depth=1
	v_cmp_ge_u64_e32 vcc, s[16:17], v[2:3]
                                        ; implicit-def: $sgpr1
	s_and_saveexec_b64 s[78:79], vcc
	s_xor_b64 s[78:79], exec, s[78:79]
	s_cbranch_execz .LBB204_459
; %bb.454:                              ;   in Loop: Header=BB204_6 Depth=1
	ds_read_b64 v[4:5], v15 offset:5120
	s_waitcnt lgkmcnt(0)
	v_cmp_ne_u64_e32 vcc, 0, v[4:5]
	s_cbranch_vccnz .LBB204_458
; %bb.455:                              ;   in Loop: Header=BB204_6 Depth=1
	v_readlane_b32 s68, v56, 8
	v_readlane_b32 s69, v56, 9
	s_and_saveexec_b64 s[80:81], s[68:69]
	s_cbranch_execz .LBB204_457
; %bb.456:                              ;   in Loop: Header=BB204_6 Depth=1
	v_pk_mov_b32 v[4:5], s[16:17], s[16:17] op_sel:[0,1]
	ds_write_b64 v15, v[4:5] offset:5128
.LBB204_457:                            ;   in Loop: Header=BB204_6 Depth=1
	s_or_b64 exec, exec, s[80:81]
	v_readlane_b32 s84, v56, 46
	v_readlane_b32 s85, v56, 47
	s_waitcnt lgkmcnt(0)
	s_barrier
.LBB204_458:                            ;   in Loop: Header=BB204_6 Depth=1
	v_and_b32_e32 v45, s90, v45
	v_or_b32_e32 v44, s82, v44
	s_mov_b32 s1, 5
.LBB204_459:                            ;   in Loop: Header=BB204_6 Depth=1
	s_or_saveexec_b64 s[78:79], s[78:79]
	v_mov_b32_e32 v7, s1
	s_xor_b64 exec, exec, s[78:79]
; %bb.460:                              ;   in Loop: Header=BB204_6 Depth=1
	v_mov_b32_e32 v4, s17
	v_subrev_co_u32_e32 v2, vcc, s16, v2
	v_subb_co_u32_e32 v3, vcc, v3, v4, vcc
	v_mov_b32_e32 v7, 5
; %bb.461:                              ;   in Loop: Header=BB204_6 Depth=1
	s_or_b64 exec, exec, s[78:79]
	v_pk_mov_b32 v[4:5], v[2:3], v[2:3] op_sel:[0,1]
.LBB204_462:                            ;   in Loop: Header=BB204_6 Depth=1
	s_or_b64 exec, exec, s[4:5]
	s_mov_b64 s[80:81], exec
.LBB204_463:                            ;   in Loop: Header=BB204_6 Depth=1
	s_or_b64 exec, exec, s[54:55]
	s_orn2_b64 s[4:5], s[80:81], exec
	v_pk_mov_b32 v[2:3], v[4:5], v[4:5] op_sel:[0,1]
.LBB204_464:                            ;   in Loop: Header=BB204_6 Depth=1
	s_or_b64 exec, exec, s[18:19]
	s_andn2_b64 s[16:17], s[46:47], exec
	s_and_b64 s[6:7], s[6:7], exec
	s_or_b64 s[46:47], s[16:17], s[6:7]
	s_andn2_b64 s[6:7], s[48:49], exec
	s_and_b64 s[12:13], s[12:13], exec
	s_or_b64 s[48:49], s[6:7], s[12:13]
	;; [unrolled: 3-line block ×3, first 2 shown]
	s_and_b64 s[12:13], s[4:5], exec
	v_pk_mov_b32 v[4:5], v[2:3], v[2:3] op_sel:[0,1]
.LBB204_465:                            ;   in Loop: Header=BB204_6 Depth=1
	s_or_b64 exec, exec, s[52:53]
	s_and_b64 s[52:53], s[46:47], exec
	s_and_b64 s[46:47], s[48:49], exec
	;; [unrolled: 1-line block ×3, first 2 shown]
	s_orn2_b64 s[4:5], s[12:13], exec
.LBB204_466:                            ;   in Loop: Header=BB204_6 Depth=1
	s_or_b64 exec, exec, s[22:23]
	s_andn2_b64 s[12:13], s[36:37], exec
	s_and_b64 s[16:17], s[52:53], exec
	s_or_b64 s[36:37], s[12:13], s[16:17]
	s_andn2_b64 s[12:13], s[40:41], exec
	s_and_b64 s[16:17], s[46:47], exec
	s_or_b64 s[40:41], s[12:13], s[16:17]
	;; [unrolled: 3-line block ×3, first 2 shown]
	s_and_b64 s[6:7], s[4:5], exec
	v_pk_mov_b32 v[2:3], v[4:5], v[4:5] op_sel:[0,1]
.LBB204_467:                            ;   in Loop: Header=BB204_6 Depth=1
	s_or_b64 exec, exec, s[44:45]
	s_and_b64 s[36:37], s[36:37], exec
	s_and_b64 s[12:13], s[40:41], exec
	;; [unrolled: 1-line block ×3, first 2 shown]
	s_orn2_b64 s[40:41], s[6:7], exec
.LBB204_468:                            ;   in Loop: Header=BB204_6 Depth=1
	s_or_b64 exec, exec, s[24:25]
	s_mov_b64 s[6:7], s[28:29]
	s_mov_b64 s[16:17], s[26:27]
	s_and_saveexec_b64 s[18:19], s[40:41]
; %bb.469:                              ;   in Loop: Header=BB204_6 Depth=1
	v_cmp_ne_u32_e64 s[6:7], 5, v7
	v_cmp_eq_u32_e32 vcc, 5, v7
	s_andn2_b64 s[16:17], s[26:27], exec
	s_and_b64 s[6:7], s[6:7], exec
	s_or_b64 s[16:17], s[16:17], s[6:7]
	s_andn2_b64 s[6:7], s[28:29], exec
	s_and_b64 s[22:23], vcc, exec
	s_andn2_b64 s[36:37], s[36:37], exec
	s_andn2_b64 s[12:13], s[12:13], exec
	;; [unrolled: 1-line block ×3, first 2 shown]
	s_or_b64 s[6:7], s[6:7], s[22:23]
; %bb.470:                              ;   in Loop: Header=BB204_6 Depth=1
	s_or_b64 exec, exec, s[18:19]
	s_andn2_b64 s[14:15], s[14:15], exec
	s_and_b64 s[18:19], s[36:37], exec
	s_or_b64 s[14:15], s[14:15], s[18:19]
	s_andn2_b64 s[18:19], s[38:39], exec
	s_and_b64 s[12:13], s[12:13], exec
	s_or_b64 s[38:39], s[18:19], s[12:13]
	;; [unrolled: 3-line block ×5, first 2 shown]
	v_mov_b32_e32 v28, v45
	v_mov_b32_e32 v29, v44
	;; [unrolled: 1-line block ×3, first 2 shown]
.LBB204_471:                            ;   in Loop: Header=BB204_6 Depth=1
	s_or_b64 exec, exec, s[34:35]
	s_mov_b64 s[36:37], s[20:21]
	s_mov_b64 s[34:35], s[20:21]
	s_and_saveexec_b64 s[4:5], s[28:29]
.LBB204_472:                            ;   in Loop: Header=BB204_6 Depth=1
	v_mov_b32_e32 v7, 0
	s_andn2_b64 s[20:21], s[20:21], exec
	s_andn2_b64 s[14:15], s[14:15], exec
	;; [unrolled: 1-line block ×5, first 2 shown]
	s_or_b64 s[26:27], s[26:27], exec
.LBB204_473:                            ;   in Loop: Header=BB204_6 Depth=1
	s_or_b64 exec, exec, s[4:5]
	s_andn2_b64 s[4:5], s[10:11], exec
	s_and_b64 s[10:11], s[20:21], exec
	s_or_b64 s[10:11], s[4:5], s[10:11]
	s_andn2_b64 s[4:5], s[8:9], exec
	s_and_b64 s[8:9], s[14:15], exec
	s_or_b64 s[8:9], s[4:5], s[8:9]
	;; [unrolled: 3-line block ×3, first 2 shown]
	v_readlane_b32 s4, v56, 50
	v_readlane_b32 s5, v56, 51
	s_andn2_b64 s[4:5], s[4:5], exec
	s_and_b64 s[12:13], s[36:37], exec
	s_or_b64 s[24:25], s[4:5], s[12:13]
	v_readlane_b32 s4, v56, 48
	v_readlane_b32 s5, v56, 49
	s_andn2_b64 s[4:5], s[4:5], exec
	s_and_b64 s[12:13], s[34:35], exec
	s_mov_b64 s[6:7], -1
	s_or_b64 s[22:23], s[4:5], s[12:13]
                                        ; implicit-def: $vgpr44
                                        ; implicit-def: $vgpr45
                                        ; implicit-def: $vgpr26_vgpr27
                                        ; implicit-def: $vgpr46
	s_and_saveexec_b64 s[4:5], s[26:27]
	s_xor_b64 s[4:5], exec, s[4:5]
	s_cbranch_execz .LBB204_5
; %bb.474:                              ;   in Loop: Header=BB204_6 Depth=1
	v_cmp_eq_u32_e32 vcc, 0, v7
	s_mov_b64 s[12:13], -1
	s_and_saveexec_b64 s[14:15], vcc
	s_cbranch_execz .LBB204_4
; %bb.475:                              ;   in Loop: Header=BB204_6 Depth=1
	v_readlane_b32 s1, v56, 45
	s_xor_b32 s1, s1, 1
	v_writelane_b32 v56, s1, 45
	v_readlane_b32 s6, v56, 44
	s_add_i32 s1, s6, -2
	s_cmp_eq_u32 s6, 0
	s_cselect_b64 s[6:7], -1, 0
	s_xor_b64 s[12:13], exec, -1
	s_orn2_b64 s[6:7], s[6:7], exec
	v_writelane_b32 v56, s1, 44
	s_branch .LBB204_4
.LBB204_476:
	s_or_b64 exec, exec, s[74:75]
	s_xor_b64 s[4:5], s[92:93], -1
	s_xor_b64 s[12:13], s[76:77], -1
	;; [unrolled: 1-line block ×5, first 2 shown]
	s_mov_b64 s[6:7], 0
	s_and_saveexec_b64 s[8:9], s[0:1]
	s_xor_b64 s[8:9], exec, s[8:9]
	s_cbranch_execnz .LBB204_481
; %bb.477:
	s_andn2_saveexec_b64 s[0:1], s[8:9]
	s_cbranch_execnz .LBB204_500
.LBB204_478:
	s_or_b64 exec, exec, s[0:1]
	s_and_saveexec_b64 s[0:1], s[6:7]
.LBB204_479:
	; divergent unreachable
.LBB204_480:
	s_endpgm
.LBB204_481:
	s_and_saveexec_b64 s[0:1], s[10:11]
	s_xor_b64 s[10:11], exec, s[0:1]
	s_cbranch_execz .LBB204_498
; %bb.482:
	s_and_saveexec_b64 s[0:1], s[12:13]
	s_xor_b64 s[12:13], exec, s[0:1]
	s_cbranch_execz .LBB204_496
; %bb.483:
	;; [unrolled: 4-line block ×3, first 2 shown]
	s_and_saveexec_b64 s[0:1], s[2:3]
	s_xor_b64 s[2:3], exec, s[0:1]
; %bb.485:
	v_and_b32_e32 v2, 0x8000, v28
	v_mov_b32_e32 v3, 0x8000
	v_mov_b32_e32 v4, 0xffff
	v_cmp_eq_u32_e32 vcc, 0, v2
	v_cndmask_b32_e32 v2, v3, v4, vcc
	v_xor_b32_e32 v6, v2, v28
; %bb.486:
	s_or_b64 exec, exec, s[2:3]
	s_mov_b64 s[2:3], exec
	v_readlane_b32 s4, v56, 10
	v_readlane_b32 s5, v56, 11
	s_load_dwordx2 s[42:43], s[4:5], 0x0
	v_readlane_b32 s0, v56, 8
	v_readlane_b32 s1, v56, 9
	;; [unrolled: 1-line block ×3, first 2 shown]
	s_and_b64 s[0:1], s[2:3], s[0:1]
	v_readlane_b32 s45, v56, 17
	v_readlane_b32 s6, v56, 12
	;; [unrolled: 1-line block ×3, first 2 shown]
	s_mov_b64 exec, s[0:1]
	s_cbranch_execz .LBB204_488
; %bb.487:
	v_mov_b32_e32 v2, 0
	v_mov_b32_e32 v3, v2
	ds_write_b64 v2, v[2:3] offset:5136
.LBB204_488:
	s_or_b64 exec, exec, s[2:3]
	v_mov_b32_e32 v21, 0
	s_waitcnt lgkmcnt(0)
	s_barrier
	s_mov_b64 s[2:3], exec
	v_readlane_b32 s0, v56, 22
	v_readlane_b32 s1, v56, 23
	s_and_b64 s[0:1], s[2:3], s[0:1]
	s_mov_b64 exec, s[0:1]
	s_cbranch_execz .LBB204_490
; %bb.489:
	global_load_ushort v21, v[12:13], off
.LBB204_490:
	s_or_b64 exec, exec, s[2:3]
	v_readlane_b32 s2, v56, 4
	s_add_u32 s0, s56, 63
	v_readlane_b32 s3, v56, 5
	v_readlane_b32 s18, v56, 0
	s_addc_u32 s17, s57, 0
	s_and_b32 s16, s0, 0xffffffc0
	s_mul_i32 s0, s3, s6
	s_mul_hi_u32 s1, s2, s6
	v_readlane_b32 s19, v56, 1
	s_add_i32 s1, s1, s0
	s_mul_i32 s0, s2, s6
	s_mul_i32 s2, s19, s6
	s_mul_hi_u32 s3, s18, s6
	s_add_i32 s3, s3, s2
	s_mul_i32 s2, s18, s6
	s_lshl_b64 s[0:1], s[0:1], 1
	v_readlane_b32 s6, v56, 6
	s_load_dwordx2 s[18:19], s[4:5], 0x368
	s_load_dwordx2 s[20:21], s[4:5], 0x510
	v_mov_b32_e32 v19, 0xffff
	v_mov_b32_e32 v20, 0x8000
	v_cmp_lt_i16_e32 vcc, -1, v6
	v_readlane_b32 s7, v56, 7
	s_add_u32 s0, s6, s0
	v_cndmask_b32_e32 v2, v19, v20, vcc
	s_addc_u32 s1, s7, s1
	s_lshl_b64 s[2:3], s[2:3], 3
	v_readlane_b32 s6, v56, 2
	v_xor_b32_sdwa v2, v2, v6 dst_sel:DWORD dst_unused:UNUSED_PAD src0_sel:DWORD src1_sel:WORD_0
	v_cmp_o_f16_e32 vcc, v6, v6
	v_readlane_b32 s7, v56, 3
	s_add_u32 s38, s6, s2
	v_cndmask_b32_e32 v18, v19, v2, vcc
	s_addc_u32 s39, s7, s3
	v_cmp_gt_u64_e32 vcc, s[16:17], v[0:1]
	s_mov_b64 s[24:25], -1
	s_mov_b64 s[2:3], 0
	s_mov_b64 s[4:5], 0
	s_and_saveexec_b64 s[22:23], vcc
	s_cbranch_execnz .LBB204_501
; %bb.491:
	s_or_b64 exec, exec, s[22:23]
	s_and_saveexec_b64 s[6:7], s[24:25]
	s_cbranch_execnz .LBB204_518
.LBB204_492:
	s_or_b64 exec, exec, s[6:7]
	s_and_saveexec_b64 s[0:1], s[4:5]
	s_xor_b64 s[0:1], exec, s[0:1]
	s_cbranch_execnz .LBB204_541
.LBB204_493:
	s_or_b64 exec, exec, s[0:1]
	s_and_b64 s[6:7], s[2:3], exec
.LBB204_494:
	s_andn2_saveexec_b64 s[0:1], s[14:15]
	s_cbranch_execnz .LBB204_543
.LBB204_495:
	s_or_b64 exec, exec, s[0:1]
	s_and_b64 s[6:7], s[6:7], exec
.LBB204_496:
	s_andn2_saveexec_b64 s[0:1], s[12:13]
	s_cbranch_execnz .LBB204_542
.LBB204_497:
	s_or_b64 exec, exec, s[0:1]
	s_and_b64 s[6:7], s[6:7], exec
.LBB204_498:
	s_andn2_saveexec_b64 s[0:1], s[10:11]
	s_cbranch_execnz .LBB204_537
.LBB204_499:
	s_or_b64 exec, exec, s[0:1]
	s_and_b64 s[6:7], s[6:7], exec
	s_andn2_saveexec_b64 s[0:1], s[8:9]
	s_cbranch_execz .LBB204_478
.LBB204_500:
	s_or_b64 s[6:7], s[6:7], exec
	s_trap 2
	s_or_b64 exec, exec, s[0:1]
	s_and_saveexec_b64 s[0:1], s[6:7]
	s_cbranch_execnz .LBB204_479
	s_branch .LBB204_480
.LBB204_501:
	v_add_u32_e32 v5, s33, v0
	v_mad_u64_u32 v[2:3], s[4:5], s62, v5, 0
	v_mov_b32_e32 v4, v3
	v_mad_u64_u32 v[4:5], s[4:5], s63, v5, v[4:5]
	v_readlane_b32 s4, v56, 14
	v_mov_b32_e32 v3, v4
	v_readlane_b32 s5, v56, 15
	s_add_u32 s4, s42, s4
	v_lshlrev_b64 v[2:3], 1, v[2:3]
	s_addc_u32 s5, s43, s5
	v_mov_b32_e32 v4, s5
	v_add_co_u32_e64 v2, s[4:5], s4, v2
	v_addc_co_u32_e64 v3, s[4:5], v4, v3, s[4:5]
	s_mov_b64 s[24:25], 0
	v_mov_b32_e32 v22, s88
	v_mov_b32_e32 v5, 0
	v_pk_mov_b32 v[14:15], v[0:1], v[0:1] op_sel:[0,1]
                                        ; implicit-def: $sgpr26_sgpr27
                                        ; implicit-def: $vgpr8_vgpr9
	s_branch .LBB204_503
.LBB204_502:                            ;   in Loop: Header=BB204_503 Depth=1
	s_or_b64 exec, exec, s[28:29]
	s_xor_b64 s[4:5], s[34:35], -1
	s_and_b64 s[6:7], exec, s[6:7]
	s_or_b64 s[24:25], s[6:7], s[24:25]
	s_andn2_b64 s[6:7], s[26:27], exec
	s_and_b64 s[4:5], s[4:5], exec
	s_or_b64 s[26:27], s[6:7], s[4:5]
	v_pk_mov_b32 v[14:15], v[6:7], v[6:7] op_sel:[0,1]
	s_waitcnt vmcnt(0)
	v_mov_b32_e32 v21, v23
	s_andn2_b64 exec, exec, s[24:25]
	s_cbranch_execz .LBB204_517
.LBB204_503:                            ; =>This Inner Loop Header: Depth=1
	v_add_co_u32_e64 v6, s[4:5], s33, v14
	v_addc_co_u32_e64 v7, s[4:5], v15, v22, s[4:5]
	v_cmp_gt_u64_e64 s[4:5], s[56:57], v[6:7]
	v_mov_b32_e32 v23, 0
	s_and_saveexec_b64 s[6:7], s[4:5]
	s_cbranch_execz .LBB204_505
; %bb.504:                              ;   in Loop: Header=BB204_503 Depth=1
	global_load_ushort v23, v[2:3], off
.LBB204_505:                            ;   in Loop: Header=BB204_503 Depth=1
	s_or_b64 exec, exec, s[6:7]
	v_cmp_gt_u64_e64 s[4:5], s[56:57], v[14:15]
	s_mov_b64 s[28:29], 0
	s_and_saveexec_b64 s[6:7], s[4:5]
	s_cbranch_execz .LBB204_507
; %bb.506:                              ;   in Loop: Header=BB204_503 Depth=1
	s_waitcnt vmcnt(0)
	v_cmp_lt_i16_e64 s[4:5], -1, v21
	v_cndmask_b32_e64 v4, v19, v20, s[4:5]
	v_xor_b32_sdwa v4, v4, v21 dst_sel:DWORD dst_unused:UNUSED_PAD src0_sel:DWORD src1_sel:WORD_0
	v_cmp_o_f16_e64 s[4:5], v21, v21
	v_cndmask_b32_e64 v4, v19, v4, s[4:5]
	v_cmp_gt_u32_e64 s[4:5], v4, v18
	v_cndmask_b32_e64 v16, 0, 1, s[4:5]
	v_cmp_lt_u32_e64 s[4:5], v4, v18
	v_cndmask_b32_e64 v4, 0, 1, s[4:5]
	v_cndmask_b32_e64 v4, v4, v16, s[44:45]
	v_and_b32_e32 v4, 1, v4
	v_cmp_eq_u32_e64 s[4:5], 1, v4
	s_and_b64 s[28:29], s[4:5], exec
.LBB204_507:                            ;   in Loop: Header=BB204_503 Depth=1
	s_or_b64 exec, exec, s[6:7]
	v_cndmask_b32_e64 v4, 0, 1, s[28:29]
	v_cmp_ne_u32_e64 s[4:5], 0, v4
	s_cmp_lg_u64 s[4:5], 0
	s_cselect_b64 s[6:7], -1, 0
	s_and_b64 s[6:7], s[94:95], s[6:7]
	s_and_saveexec_b64 s[30:31], s[6:7]
	s_cbranch_execz .LBB204_511
; %bb.508:                              ;   in Loop: Header=BB204_503 Depth=1
	s_mov_b64 s[36:37], exec
	v_mbcnt_lo_u32_b32 v4, s36, 0
	v_mbcnt_hi_u32_b32 v16, s37, v4
	s_bcnt1_i32_b64 s40, s[4:5]
	v_cmp_eq_u32_e64 s[6:7], 0, v16
                                        ; implicit-def: $vgpr8_vgpr9
	s_and_saveexec_b64 s[34:35], s[6:7]
	s_cbranch_execz .LBB204_510
; %bb.509:                              ;   in Loop: Header=BB204_503 Depth=1
	s_bcnt1_i32_b64 s6, s[36:37]
	s_mul_i32 s6, s40, s6
	v_mov_b32_e32 v4, s6
	s_waitcnt lgkmcnt(0)
	ds_add_rtn_u64 v[8:9], v5, v[4:5] offset:5136
.LBB204_510:                            ;   in Loop: Header=BB204_503 Depth=1
	s_or_b64 exec, exec, s[34:35]
	s_waitcnt lgkmcnt(0)
	v_readfirstlane_b32 s6, v9
	v_readfirstlane_b32 s7, v8
	v_mov_b32_e32 v8, s7
	v_mov_b32_e32 v9, s6
	v_mad_u64_u32 v[8:9], s[6:7], s40, v16, v[8:9]
.LBB204_511:                            ;   in Loop: Header=BB204_503 Depth=1
	s_or_b64 exec, exec, s[30:31]
	s_waitcnt lgkmcnt(0)
	ds_bpermute_b32 v8, v32, v8
	ds_bpermute_b32 v9, v32, v9
	s_mov_b64 s[6:7], -1
	s_mov_b64 s[36:37], -1
                                        ; implicit-def: $sgpr34_sgpr35
	s_and_saveexec_b64 s[30:31], s[28:29]
	s_cbranch_execz .LBB204_515
; %bb.512:                              ;   in Loop: Header=BB204_503 Depth=1
	v_and_b32_e32 v16, s4, v10
	v_and_b32_e32 v4, s5, v11
	v_bcnt_u32_b32 v16, v16, 0
	v_bcnt_u32_b32 v4, v4, v16
	s_waitcnt lgkmcnt(0)
	v_add_co_u32_e64 v16, s[4:5], v8, v4
	v_addc_co_u32_e64 v17, s[4:5], 0, v9, s[4:5]
	v_cmp_gt_u64_e64 s[4:5], s[58:59], v[16:17]
	s_mov_b64 s[28:29], 0
	s_and_saveexec_b64 s[34:35], s[4:5]
	s_cbranch_execz .LBB204_514
; %bb.513:                              ;   in Loop: Header=BB204_503 Depth=1
	v_mul_lo_u32 v4, v17, s18
	v_mul_lo_u32 v26, v16, s19
	v_mad_u64_u32 v[24:25], s[4:5], v16, s18, 0
	v_add3_u32 v25, v25, v26, v4
	v_mul_lo_u32 v4, v17, s20
	v_mul_lo_u32 v26, v16, s21
	v_mad_u64_u32 v[16:17], s[4:5], v16, s20, 0
	v_lshlrev_b64 v[24:25], 1, v[24:25]
	v_add3_u32 v17, v17, v26, v4
	v_mov_b32_e32 v4, s1
	v_add_co_u32_e64 v24, s[4:5], s0, v24
	v_addc_co_u32_e64 v25, s[4:5], v4, v25, s[4:5]
	v_lshlrev_b64 v[16:17], 3, v[16:17]
	v_mov_b32_e32 v4, s39
	v_add_co_u32_e64 v16, s[4:5], s38, v16
	s_mov_b64 s[28:29], exec
	v_addc_co_u32_e64 v17, s[4:5], v4, v17, s[4:5]
	s_waitcnt vmcnt(0)
	global_store_short v[24:25], v21, off
	global_store_dwordx2 v[16:17], v[14:15], off
.LBB204_514:                            ;   in Loop: Header=BB204_503 Depth=1
	s_or_b64 exec, exec, s[34:35]
	s_mov_b64 s[34:35], -1
	s_orn2_b64 s[36:37], s[28:29], exec
.LBB204_515:                            ;   in Loop: Header=BB204_503 Depth=1
	s_or_b64 exec, exec, s[30:31]
	s_and_saveexec_b64 s[28:29], s[36:37]
	s_cbranch_execz .LBB204_502
; %bb.516:                              ;   in Loop: Header=BB204_503 Depth=1
	v_mov_b32_e32 v4, s61
	v_add_co_u32_e64 v2, s[4:5], s60, v2
	v_addc_co_u32_e64 v3, s[4:5], v3, v4, s[4:5]
	v_cmp_le_u64_e64 s[4:5], s[16:17], v[6:7]
	s_andn2_b64 s[34:35], s[34:35], exec
	s_orn2_b64 s[6:7], s[4:5], exec
	s_branch .LBB204_502
.LBB204_517:
	s_or_b64 exec, exec, s[24:25]
	s_mov_b64 s[4:5], exec
	s_orn2_b64 s[24:25], s[26:27], exec
	s_or_b64 exec, exec, s[22:23]
	s_and_saveexec_b64 s[6:7], s[24:25]
	s_cbranch_execz .LBB204_492
.LBB204_518:
	v_mov_b32_e32 v17, 0
	s_waitcnt lgkmcnt(0)
	s_barrier
	s_mov_b64 s[2:3], exec
	v_readlane_b32 s22, v56, 22
	v_readlane_b32 s23, v56, 23
	s_and_b64 s[22:23], s[2:3], s[22:23]
	s_mov_b64 exec, s[22:23]
	s_cbranch_execz .LBB204_520
; %bb.519:
	global_load_ushort v17, v[12:13], off
.LBB204_520:
	s_or_b64 exec, exec, s[2:3]
	s_mov_b64 s[2:3], 0
	s_and_saveexec_b64 s[22:23], vcc
	s_cbranch_execz .LBB204_540
; %bb.521:
	v_add_u32_e32 v5, s33, v0
	v_mad_u64_u32 v[2:3], s[2:3], s62, v5, 0
	v_mov_b32_e32 v4, v3
	v_mad_u64_u32 v[4:5], s[2:3], s63, v5, v[4:5]
	v_readlane_b32 s2, v56, 14
	v_mov_b32_e32 v3, v4
	v_readlane_b32 s3, v56, 15
	s_add_u32 s2, s42, s2
	v_lshlrev_b64 v[2:3], 1, v[2:3]
	s_addc_u32 s3, s43, s3
	v_mov_b32_e32 v4, s3
	v_add_co_u32_e32 v2, vcc, s2, v2
	v_addc_co_u32_e32 v3, vcc, v4, v3, vcc
	s_mov_b64 s[24:25], 0
	v_mov_b32_e32 v14, s88
	v_mov_b32_e32 v15, 0xffff
	;; [unrolled: 1-line block ×4, first 2 shown]
                                        ; implicit-def: $sgpr26_sgpr27
                                        ; implicit-def: $vgpr6_vgpr7
	s_branch .LBB204_524
.LBB204_522:                            ;   in Loop: Header=BB204_524 Depth=1
	s_or_b64 exec, exec, s[30:31]
	s_orn2_b64 s[34:35], s[34:35], exec
	s_orn2_b64 s[30:31], s[28:29], exec
	v_mov_b32_e32 v17, v19
	v_pk_mov_b32 v[0:1], v[8:9], v[8:9] op_sel:[0,1]
.LBB204_523:                            ;   in Loop: Header=BB204_524 Depth=1
	s_or_b64 exec, exec, s[2:3]
	s_xor_b64 s[2:3], s[34:35], -1
	s_and_b64 s[28:29], exec, s[30:31]
	s_or_b64 s[24:25], s[28:29], s[24:25]
	s_andn2_b64 s[26:27], s[26:27], exec
	s_and_b64 s[2:3], s[2:3], exec
	s_or_b64 s[26:27], s[26:27], s[2:3]
	s_andn2_b64 exec, exec, s[24:25]
	s_cbranch_execz .LBB204_538
.LBB204_524:                            ; =>This Inner Loop Header: Depth=1
	v_add_co_u32_e32 v8, vcc, s33, v0
	v_addc_co_u32_e32 v9, vcc, v1, v14, vcc
	v_cmp_gt_u64_e32 vcc, s[56:57], v[8:9]
	v_mov_b32_e32 v19, 0
	s_and_saveexec_b64 s[2:3], vcc
	s_cbranch_execz .LBB204_526
; %bb.525:                              ;   in Loop: Header=BB204_524 Depth=1
	global_load_ushort v19, v[2:3], off
.LBB204_526:                            ;   in Loop: Header=BB204_524 Depth=1
	s_or_b64 exec, exec, s[2:3]
	s_waitcnt vmcnt(0)
	v_cmp_lt_i16_e64 s[2:3], -1, v17
	v_cndmask_b32_e64 v4, v15, v16, s[2:3]
	v_xor_b32_sdwa v4, v4, v17 dst_sel:DWORD dst_unused:UNUSED_PAD src0_sel:DWORD src1_sel:WORD_0
	v_cmp_o_f16_e64 s[2:3], v17, v17
	v_cndmask_b32_e64 v4, v15, v4, s[2:3]
	v_cmp_gt_u64_e32 vcc, s[56:57], v[0:1]
	v_cmp_eq_u32_e64 s[2:3], v4, v18
	s_and_b64 s[28:29], vcc, s[2:3]
	v_cndmask_b32_e64 v4, 0, 1, s[28:29]
	v_cmp_ne_u32_e32 vcc, 0, v4
	s_cmp_lg_u64 vcc, 0
	s_cselect_b64 s[2:3], -1, 0
	s_and_b64 s[2:3], s[94:95], s[2:3]
	s_and_saveexec_b64 s[30:31], s[2:3]
	s_cbranch_execz .LBB204_530
; %bb.527:                              ;   in Loop: Header=BB204_524 Depth=1
	s_mov_b64 s[36:37], exec
	v_mbcnt_lo_u32_b32 v4, s36, 0
	v_mbcnt_hi_u32_b32 v12, s37, v4
	s_bcnt1_i32_b64 s40, vcc
	v_cmp_eq_u32_e64 s[2:3], 0, v12
                                        ; implicit-def: $vgpr6_vgpr7
	s_and_saveexec_b64 s[34:35], s[2:3]
	s_cbranch_execz .LBB204_529
; %bb.528:                              ;   in Loop: Header=BB204_524 Depth=1
	s_bcnt1_i32_b64 s2, s[36:37]
	s_mul_i32 s2, s40, s2
	v_mov_b32_e32 v4, s2
	ds_add_rtn_u64 v[6:7], v5, v[4:5] offset:5136
.LBB204_529:                            ;   in Loop: Header=BB204_524 Depth=1
	s_or_b64 exec, exec, s[34:35]
	s_waitcnt lgkmcnt(0)
	v_readfirstlane_b32 s2, v7
	v_readfirstlane_b32 s3, v6
	v_mov_b32_e32 v6, s3
	v_mov_b32_e32 v7, s2
	v_mad_u64_u32 v[6:7], s[2:3], s40, v12, v[6:7]
.LBB204_530:                            ;   in Loop: Header=BB204_524 Depth=1
	s_or_b64 exec, exec, s[30:31]
	ds_bpermute_b32 v6, v32, v6
	ds_bpermute_b32 v7, v32, v7
	s_cmp_eq_u64 vcc, 0
	s_cselect_b64 s[34:35], -1, 0
	s_mov_b64 s[30:31], -1
	s_waitcnt lgkmcnt(0)
	v_cmp_gt_u64_e64 s[2:3], s[58:59], v[6:7]
	s_or_b64 s[36:37], s[34:35], s[2:3]
	s_mov_b64 s[34:35], -1
	s_and_saveexec_b64 s[2:3], s[36:37]
	s_cbranch_execz .LBB204_523
; %bb.531:                              ;   in Loop: Header=BB204_524 Depth=1
	v_and_b32_e32 v12, vcc_lo, v10
	v_and_b32_e32 v4, vcc_hi, v11
	v_bcnt_u32_b32 v12, v12, 0
	v_bcnt_u32_b32 v4, v4, v12
	v_mov_b32_e32 v13, s59
	v_sub_co_u32_e32 v12, vcc, s58, v6
	v_subb_co_u32_e32 v13, vcc, v13, v7, vcc
	v_cmp_gt_u64_e32 vcc, v[12:13], v[4:5]
	s_and_b64 s[40:41], s[28:29], vcc
	s_mov_b64 s[28:29], -1
	s_mov_b64 s[36:37], -1
	s_and_saveexec_b64 s[30:31], s[40:41]
	s_cbranch_execz .LBB204_535
; %bb.532:                              ;   in Loop: Header=BB204_524 Depth=1
	v_add_co_u32_e32 v12, vcc, v6, v4
	v_addc_co_u32_e32 v13, vcc, 0, v7, vcc
	v_cmp_gt_u64_e32 vcc, s[58:59], v[12:13]
	s_mov_b64 s[36:37], 0
	s_and_saveexec_b64 s[34:35], vcc
	s_cbranch_execz .LBB204_534
; %bb.533:                              ;   in Loop: Header=BB204_524 Depth=1
	v_mul_lo_u32 v4, v13, s18
	v_mul_lo_u32 v22, v12, s19
	v_mad_u64_u32 v[20:21], s[40:41], v12, s18, 0
	v_add3_u32 v21, v21, v22, v4
	v_mul_lo_u32 v4, v13, s20
	v_mul_lo_u32 v22, v12, s21
	v_mad_u64_u32 v[12:13], s[40:41], v12, s20, 0
	v_lshlrev_b64 v[20:21], 1, v[20:21]
	v_add3_u32 v13, v13, v22, v4
	v_mov_b32_e32 v4, s1
	v_add_co_u32_e32 v20, vcc, s0, v20
	v_addc_co_u32_e32 v21, vcc, v4, v21, vcc
	v_lshlrev_b64 v[12:13], 3, v[12:13]
	v_mov_b32_e32 v4, s39
	v_add_co_u32_e32 v12, vcc, s38, v12
	s_mov_b64 s[36:37], exec
	v_addc_co_u32_e32 v13, vcc, v4, v13, vcc
	global_store_short v[20:21], v17, off
	global_store_dwordx2 v[12:13], v[0:1], off
.LBB204_534:                            ;   in Loop: Header=BB204_524 Depth=1
	s_or_b64 exec, exec, s[34:35]
	s_xor_b64 s[34:35], exec, -1
	s_orn2_b64 s[36:37], s[36:37], exec
.LBB204_535:                            ;   in Loop: Header=BB204_524 Depth=1
	s_or_b64 exec, exec, s[30:31]
	s_and_saveexec_b64 s[30:31], s[36:37]
	s_cbranch_execz .LBB204_522
; %bb.536:                              ;   in Loop: Header=BB204_524 Depth=1
	v_mov_b32_e32 v0, s61
	v_add_co_u32_e32 v2, vcc, s60, v2
	v_addc_co_u32_e32 v3, vcc, v3, v0, vcc
	v_cmp_le_u64_e32 vcc, s[16:17], v[8:9]
	s_or_b64 s[34:35], s[34:35], exec
	s_orn2_b64 s[28:29], vcc, exec
	s_branch .LBB204_522
.LBB204_537:
	s_or_b64 s[6:7], s[6:7], exec
	s_trap 2
	s_branch .LBB204_499
.LBB204_538:
	s_or_b64 exec, exec, s[24:25]
	s_mov_b64 s[0:1], 0
	s_and_saveexec_b64 s[2:3], s[26:27]
	s_xor_b64 s[2:3], exec, s[2:3]
	s_cbranch_execnz .LBB204_544
.LBB204_539:
	s_or_b64 exec, exec, s[2:3]
	s_and_b64 s[2:3], s[0:1], exec
.LBB204_540:
	s_or_b64 exec, exec, s[22:23]
	s_and_b64 s[2:3], s[2:3], exec
	s_andn2_b64 s[4:5], s[4:5], exec
	s_or_b64 exec, exec, s[6:7]
	s_and_saveexec_b64 s[0:1], s[4:5]
	s_xor_b64 s[0:1], exec, s[0:1]
	s_cbranch_execz .LBB204_493
.LBB204_541:
	s_trap 2
	s_or_b64 s[2:3], s[2:3], exec
	s_branch .LBB204_493
.LBB204_542:
	s_or_b64 s[6:7], s[6:7], exec
	s_trap 2
	s_branch .LBB204_497
.LBB204_543:
	s_trap 2
	s_or_b64 s[6:7], s[6:7], exec
	s_branch .LBB204_495
.LBB204_544:
	s_mov_b64 s[0:1], exec
	s_trap 2
	s_branch .LBB204_539
	.section	.rodata,"a",@progbits
	.p2align	6, 0x0
	.amdhsa_kernel _ZN2at6native6sbtopk10gatherTopKIN3c104HalfEmLi1ELb0EEEvNS_4cuda6detail10TensorInfoIKT_T0_EESA_SA_bSA_SA_NS7_IS8_SA_EESA_NS7_IlSA_EESA_PS8_
		.amdhsa_group_segment_fixed_size 5152
		.amdhsa_private_segment_fixed_size 0
		.amdhsa_kernarg_size 1568
		.amdhsa_user_sgpr_count 6
		.amdhsa_user_sgpr_private_segment_buffer 1
		.amdhsa_user_sgpr_dispatch_ptr 0
		.amdhsa_user_sgpr_queue_ptr 0
		.amdhsa_user_sgpr_kernarg_segment_ptr 1
		.amdhsa_user_sgpr_dispatch_id 0
		.amdhsa_user_sgpr_flat_scratch_init 0
		.amdhsa_user_sgpr_kernarg_preload_length 0
		.amdhsa_user_sgpr_kernarg_preload_offset 0
		.amdhsa_user_sgpr_private_segment_size 0
		.amdhsa_uses_dynamic_stack 0
		.amdhsa_system_sgpr_private_segment_wavefront_offset 0
		.amdhsa_system_sgpr_workgroup_id_x 1
		.amdhsa_system_sgpr_workgroup_id_y 1
		.amdhsa_system_sgpr_workgroup_id_z 1
		.amdhsa_system_sgpr_workgroup_info 0
		.amdhsa_system_vgpr_workitem_id 0
		.amdhsa_next_free_vgpr 57
		.amdhsa_next_free_sgpr 96
		.amdhsa_accum_offset 60
		.amdhsa_reserve_vcc 1
		.amdhsa_reserve_flat_scratch 0
		.amdhsa_float_round_mode_32 0
		.amdhsa_float_round_mode_16_64 0
		.amdhsa_float_denorm_mode_32 3
		.amdhsa_float_denorm_mode_16_64 3
		.amdhsa_dx10_clamp 1
		.amdhsa_ieee_mode 1
		.amdhsa_fp16_overflow 0
		.amdhsa_tg_split 0
		.amdhsa_exception_fp_ieee_invalid_op 0
		.amdhsa_exception_fp_denorm_src 0
		.amdhsa_exception_fp_ieee_div_zero 0
		.amdhsa_exception_fp_ieee_overflow 0
		.amdhsa_exception_fp_ieee_underflow 0
		.amdhsa_exception_fp_ieee_inexact 0
		.amdhsa_exception_int_div_zero 0
	.end_amdhsa_kernel
	.section	.text._ZN2at6native6sbtopk10gatherTopKIN3c104HalfEmLi1ELb0EEEvNS_4cuda6detail10TensorInfoIKT_T0_EESA_SA_bSA_SA_NS7_IS8_SA_EESA_NS7_IlSA_EESA_PS8_,"axG",@progbits,_ZN2at6native6sbtopk10gatherTopKIN3c104HalfEmLi1ELb0EEEvNS_4cuda6detail10TensorInfoIKT_T0_EESA_SA_bSA_SA_NS7_IS8_SA_EESA_NS7_IlSA_EESA_PS8_,comdat
.Lfunc_end204:
	.size	_ZN2at6native6sbtopk10gatherTopKIN3c104HalfEmLi1ELb0EEEvNS_4cuda6detail10TensorInfoIKT_T0_EESA_SA_bSA_SA_NS7_IS8_SA_EESA_NS7_IlSA_EESA_PS8_, .Lfunc_end204-_ZN2at6native6sbtopk10gatherTopKIN3c104HalfEmLi1ELb0EEEvNS_4cuda6detail10TensorInfoIKT_T0_EESA_SA_bSA_SA_NS7_IS8_SA_EESA_NS7_IlSA_EESA_PS8_
                                        ; -- End function
	.section	.AMDGPU.csdata,"",@progbits
; Kernel info:
; codeLenInByte = 27672
; NumSgprs: 100
; NumVgprs: 57
; NumAgprs: 0
; TotalNumVgprs: 57
; ScratchSize: 0
; MemoryBound: 0
; FloatMode: 240
; IeeeMode: 1
; LDSByteSize: 5152 bytes/workgroup (compile time only)
; SGPRBlocks: 12
; VGPRBlocks: 7
; NumSGPRsForWavesPerEU: 100
; NumVGPRsForWavesPerEU: 57
; AccumOffset: 60
; Occupancy: 8
; WaveLimiterHint : 1
; COMPUTE_PGM_RSRC2:SCRATCH_EN: 0
; COMPUTE_PGM_RSRC2:USER_SGPR: 6
; COMPUTE_PGM_RSRC2:TRAP_HANDLER: 0
; COMPUTE_PGM_RSRC2:TGID_X_EN: 1
; COMPUTE_PGM_RSRC2:TGID_Y_EN: 1
; COMPUTE_PGM_RSRC2:TGID_Z_EN: 1
; COMPUTE_PGM_RSRC2:TIDIG_COMP_CNT: 0
; COMPUTE_PGM_RSRC3_GFX90A:ACCUM_OFFSET: 14
; COMPUTE_PGM_RSRC3_GFX90A:TG_SPLIT: 0
	.section	.text._ZN2at6native6mbtopk23computeBlockDigitCountsIN3c104HalfEmjLi2EEEvNS_4cuda6detail10TensorInfoIKT_T0_EEjPjjSA_iijT1_PSD_Ps,"axG",@progbits,_ZN2at6native6mbtopk23computeBlockDigitCountsIN3c104HalfEmjLi2EEEvNS_4cuda6detail10TensorInfoIKT_T0_EEjPjjSA_iijT1_PSD_Ps,comdat
	.protected	_ZN2at6native6mbtopk23computeBlockDigitCountsIN3c104HalfEmjLi2EEEvNS_4cuda6detail10TensorInfoIKT_T0_EEjPjjSA_iijT1_PSD_Ps ; -- Begin function _ZN2at6native6mbtopk23computeBlockDigitCountsIN3c104HalfEmjLi2EEEvNS_4cuda6detail10TensorInfoIKT_T0_EEjPjjSA_iijT1_PSD_Ps
	.globl	_ZN2at6native6mbtopk23computeBlockDigitCountsIN3c104HalfEmjLi2EEEvNS_4cuda6detail10TensorInfoIKT_T0_EEjPjjSA_iijT1_PSD_Ps
	.p2align	8
	.type	_ZN2at6native6mbtopk23computeBlockDigitCountsIN3c104HalfEmjLi2EEEvNS_4cuda6detail10TensorInfoIKT_T0_EEjPjjSA_iijT1_PSD_Ps,@function
_ZN2at6native6mbtopk23computeBlockDigitCountsIN3c104HalfEmjLi2EEEvNS_4cuda6detail10TensorInfoIKT_T0_EEjPjjSA_iijT1_PSD_Ps: ; @_ZN2at6native6mbtopk23computeBlockDigitCountsIN3c104HalfEmjLi2EEEvNS_4cuda6detail10TensorInfoIKT_T0_EEjPjjSA_iijT1_PSD_Ps
; %bb.0:
	s_load_dwordx4 s[12:15], s[4:5], 0x1c0
	s_load_dword s2, s[4:5], 0x1b0
	s_load_dwordx2 s[0:1], s[4:5], 0x1e0
	s_waitcnt lgkmcnt(0)
	v_cvt_f32_u32_e32 v1, s14
	s_sub_i32 s3, 0, s14
	s_mul_i32 s1, s1, s8
	s_add_i32 s1, s1, s7
	v_rcp_iflag_f32_e32 v1, v1
	s_mul_i32 s18, s1, s0
	s_add_i32 s18, s18, s6
	s_mov_b32 s7, 0
	v_mul_f32_e32 v1, 0x4f7ffffe, v1
	v_cvt_u32_f32_e32 v1, v1
	v_readfirstlane_b32 s0, v1
	s_mul_i32 s3, s3, s0
	s_mul_hi_u32 s1, s0, s3
	s_add_i32 s0, s0, s1
	s_mul_hi_u32 s0, s18, s0
	s_mul_i32 s1, s0, s14
	s_sub_i32 s1, s18, s1
	s_add_i32 s3, s0, 1
	s_sub_i32 s6, s1, s14
	s_cmp_ge_u32 s1, s14
	s_cselect_b32 s0, s3, s0
	s_cselect_b32 s1, s6, s1
	s_add_i32 s3, s0, 1
	s_cmp_ge_u32 s1, s14
	s_cselect_b32 s6, s3, s0
	s_cmp_ge_u32 s6, s2
	s_cbranch_scc1 .LBB205_25
; %bb.1:
	s_load_dwordx4 s[0:3], s[4:5], 0x1d0
	s_load_dwordx2 s[8:9], s[4:5], 0x10
	s_lshl_b64 s[10:11], s[6:7], 2
	s_waitcnt lgkmcnt(0)
	s_add_u32 s0, s0, s10
	v_pk_mov_b32 v[2:3], s[8:9], s[8:9] op_sel:[0,1]
	v_cmp_lt_u64_e32 vcc, s[6:7], v[2:3]
	s_addc_u32 s1, s1, s11
	s_mov_b64 s[10:11], 0
	s_cbranch_vccnz .LBB205_3
; %bb.2:
	v_cvt_f32_u32_e32 v1, s8
	s_sub_i32 s7, 0, s8
	v_rcp_iflag_f32_e32 v1, v1
	v_mul_f32_e32 v1, 0x4f7ffffe, v1
	v_cvt_u32_f32_e32 v1, v1
	v_readfirstlane_b32 s10, v1
	s_mul_i32 s7, s7, s10
	s_mul_hi_u32 s7, s10, s7
	s_add_i32 s10, s10, s7
	s_mul_hi_u32 s7, s6, s10
	s_mul_i32 s11, s7, s8
	s_sub_i32 s11, s6, s11
	s_add_i32 s10, s7, 1
	s_sub_i32 s16, s11, s8
	s_cmp_ge_u32 s11, s8
	s_cselect_b32 s7, s10, s7
	s_cselect_b32 s11, s16, s11
	s_add_i32 s10, s7, 1
	s_cmp_ge_u32 s11, s8
	s_cselect_b32 s10, s10, s7
.LBB205_3:
	s_movk_i32 s7, 0x100
	v_cmp_gt_u32_e32 vcc, s7, v0
	v_lshlrev_b32_e32 v1, 2, v0
	s_and_saveexec_b64 s[16:17], vcc
	s_cbranch_execz .LBB205_5
; %bb.4:
	v_mov_b32_e32 v2, 0
	ds_write_b32 v1, v2
.LBB205_5:
	s_or_b64 exec, exec, s[16:17]
	s_load_dword s16, s[4:5], 0x1a0
	s_mul_i32 s7, s6, s14
	s_sub_i32 s7, s18, s7
	s_add_i32 s11, s7, 1
	s_mul_i32 s7, s13, s7
	s_lshl_b32 s17, s7, 8
	s_waitcnt lgkmcnt(0)
	s_sub_i32 s7, s16, s17
	s_add_u32 s7, s7, 0xff
	s_addc_u32 s19, 0, 0
	v_mov_b32_e32 v2, s7
	v_alignbit_b32 v2, s19, v2, 8
	s_cmp_lt_u32 s11, s14
	v_readfirstlane_b32 s7, v2
	s_cselect_b32 s13, s13, s7
	s_cmp_lt_i32 s13, 1
	s_mov_b32 s7, 0
	s_barrier
	s_cbranch_scc1 .LBB205_21
; %bb.6:
	s_load_dwordx2 s[24:25], s[4:5], 0x0
	s_load_dwordx4 s[20:23], s[4:5], 0xd0
	s_load_dword s11, s[0:1], 0x0
	s_mul_i32 s0, s10, s9
	s_mul_hi_u32 s1, s10, s8
	s_add_i32 s1, s1, s0
	s_mul_i32 s0, s10, s8
	s_sub_u32 s0, s6, s0
	s_subb_u32 s1, 0, s1
	s_waitcnt lgkmcnt(0)
	s_mul_i32 s6, s0, s23
	s_mul_hi_u32 s8, s0, s22
	s_add_i32 s6, s8, s6
	s_mul_i32 s1, s1, s22
	s_add_i32 s1, s6, s1
	s_mul_i32 s6, s10, s21
	s_mul_hi_u32 s8, s10, s20
	s_add_i32 s9, s8, s6
	s_mul_i32 s8, s10, s20
	s_lshl_b64 s[8:9], s[8:9], 1
	s_mul_i32 s0, s0, s22
	s_add_u32 s6, s24, s8
	s_load_dwordx2 s[4:5], s[4:5], 0x1b8
	s_addc_u32 s8, s25, s9
	s_lshl_b64 s[0:1], s[0:1], 1
	s_add_u32 s9, s6, s0
	s_addc_u32 s10, s8, s1
	s_and_b32 s8, s12, 0xff
	s_cmp_eq_u32 s13, 1
	v_add_u32_e32 v2, s17, v0
	s_cbranch_scc1 .LBB205_16
; %bb.7:
	s_and_b32 s12, s13, 0x7ffffffe
	s_mov_b32 s14, 0
	v_mov_b32_e32 v3, 1
	v_mov_b32_e32 v4, 0xffff
	;; [unrolled: 1-line block ×4, first 2 shown]
	s_branch .LBB205_9
.LBB205_8:                              ;   in Loop: Header=BB205_9 Depth=1
	s_or_b64 exec, exec, s[6:7]
	s_add_i32 s14, s14, 2
	s_cmp_eq_u32 s12, s14
	v_add_u32_e32 v6, 0x200, v6
	s_cbranch_scc1 .LBB205_15
.LBB205_9:                              ; =>This Inner Loop Header: Depth=1
	v_cmp_gt_u32_e64 s[0:1], s16, v6
	s_and_saveexec_b64 s[6:7], s[0:1]
	s_cbranch_execz .LBB205_12
; %bb.10:                               ;   in Loop: Header=BB205_9 Depth=1
	s_waitcnt lgkmcnt(0)
	v_mad_u64_u32 v[8:9], s[0:1], v6, s4, 0
	v_mov_b32_e32 v10, v9
	v_mad_u64_u32 v[10:11], s[0:1], v6, s5, v[10:11]
	v_mov_b32_e32 v9, v10
	v_lshlrev_b64 v[8:9], 1, v[8:9]
	v_mov_b32_e32 v7, s10
	v_add_co_u32_e64 v8, s[0:1], s9, v8
	v_addc_co_u32_e64 v9, s[0:1], v7, v9, s[0:1]
	global_load_ushort v7, v[8:9], off
	s_waitcnt vmcnt(0)
	v_cmp_lt_i16_e64 s[0:1], -1, v7
	v_cndmask_b32_e64 v8, v4, v5, s[0:1]
	v_xor_b32_sdwa v8, v8, v7 dst_sel:DWORD dst_unused:UNUSED_PAD src0_sel:DWORD src1_sel:WORD_0
	v_cmp_o_f16_e64 s[0:1], v7, v7
	v_cndmask_b32_e64 v7, v4, v8, s[0:1]
	v_xor_b32_e32 v8, s11, v7
	v_and_b32_e32 v8, s15, v8
	v_cmp_eq_u32_e64 s[0:1], 0, v8
	s_and_b64 exec, exec, s[0:1]
	s_cbranch_execz .LBB205_12
; %bb.11:                               ;   in Loop: Header=BB205_9 Depth=1
	v_bfe_u32 v7, v7, s8, 8
	v_lshlrev_b32_e32 v7, 2, v7
	ds_add_u32 v7, v3
.LBB205_12:                             ;   in Loop: Header=BB205_9 Depth=1
	s_or_b64 exec, exec, s[6:7]
	v_add_u32_e32 v7, 0x100, v6
	v_cmp_gt_u32_e64 s[0:1], s16, v7
	s_and_saveexec_b64 s[6:7], s[0:1]
	s_cbranch_execz .LBB205_8
; %bb.13:                               ;   in Loop: Header=BB205_9 Depth=1
	s_waitcnt lgkmcnt(0)
	v_mad_u64_u32 v[8:9], s[0:1], v7, s4, 0
	v_mov_b32_e32 v10, v9
	v_mad_u64_u32 v[10:11], s[0:1], v7, s5, v[10:11]
	v_mov_b32_e32 v9, v10
	v_lshlrev_b64 v[8:9], 1, v[8:9]
	v_mov_b32_e32 v7, s10
	v_add_co_u32_e64 v8, s[0:1], s9, v8
	v_addc_co_u32_e64 v9, s[0:1], v7, v9, s[0:1]
	global_load_ushort v7, v[8:9], off
	s_waitcnt vmcnt(0)
	v_cmp_lt_i16_e64 s[0:1], -1, v7
	v_cndmask_b32_e64 v8, v4, v5, s[0:1]
	v_xor_b32_sdwa v8, v8, v7 dst_sel:DWORD dst_unused:UNUSED_PAD src0_sel:DWORD src1_sel:WORD_0
	v_cmp_o_f16_e64 s[0:1], v7, v7
	v_cndmask_b32_e64 v7, v4, v8, s[0:1]
	v_xor_b32_e32 v8, s11, v7
	v_and_b32_e32 v8, s15, v8
	v_cmp_eq_u32_e64 s[0:1], 0, v8
	s_and_b64 exec, exec, s[0:1]
	s_cbranch_execz .LBB205_8
; %bb.14:                               ;   in Loop: Header=BB205_9 Depth=1
	v_bfe_u32 v7, v7, s8, 8
	v_lshlrev_b32_e32 v7, 2, v7
	ds_add_u32 v7, v3
	s_branch .LBB205_8
.LBB205_15:
	s_lshl_b32 s7, s12, 8
.LBB205_16:
	s_bitcmp0_b32 s13, 0
	s_cbranch_scc1 .LBB205_21
; %bb.17:
	v_add_u32_e32 v2, s7, v2
	v_cmp_gt_u32_e64 s[0:1], s16, v2
	s_and_saveexec_b64 s[6:7], s[0:1]
	s_cbranch_execz .LBB205_20
; %bb.18:
	s_waitcnt lgkmcnt(0)
	v_mad_u64_u32 v[4:5], s[0:1], v2, s4, 0
	v_mov_b32_e32 v6, v5
	v_mad_u64_u32 v[2:3], s[0:1], v2, s5, v[6:7]
	v_mov_b32_e32 v5, v2
	v_lshlrev_b64 v[2:3], 1, v[4:5]
	v_mov_b32_e32 v4, s10
	v_add_co_u32_e64 v2, s[0:1], s9, v2
	v_addc_co_u32_e64 v3, s[0:1], v4, v3, s[0:1]
	global_load_ushort v2, v[2:3], off
	v_mov_b32_e32 v3, 0xffff
	v_mov_b32_e32 v4, 0x8000
	s_waitcnt vmcnt(0)
	v_cmp_lt_i16_e64 s[0:1], -1, v2
	v_cndmask_b32_e64 v4, v3, v4, s[0:1]
	v_xor_b32_sdwa v4, v4, v2 dst_sel:DWORD dst_unused:UNUSED_PAD src0_sel:DWORD src1_sel:WORD_0
	v_cmp_o_f16_e64 s[0:1], v2, v2
	v_cndmask_b32_e64 v2, v3, v4, s[0:1]
	v_xor_b32_e32 v3, s11, v2
	v_and_b32_e32 v3, s15, v3
	v_cmp_eq_u32_e64 s[0:1], 0, v3
	s_and_b64 exec, exec, s[0:1]
	s_cbranch_execz .LBB205_20
; %bb.19:
	v_bfe_u32 v2, v2, s8, 8
	v_lshlrev_b32_e32 v2, 2, v2
	v_mov_b32_e32 v3, 1
	ds_add_u32 v2, v3
.LBB205_20:
	s_or_b64 exec, exec, s[6:7]
.LBB205_21:
	v_mov_b32_e32 v2, 0
	s_waitcnt lgkmcnt(0)
	s_barrier
	s_and_saveexec_b64 s[0:1], vcc
	s_cbranch_execz .LBB205_23
; %bb.22:
	ds_read_b32 v2, v1
.LBB205_23:
	s_or_b64 exec, exec, s[0:1]
	s_and_saveexec_b64 s[0:1], vcc
	s_cbranch_execz .LBB205_25
; %bb.24:
	v_lshl_or_b32 v0, s18, 8, v0
	v_mov_b32_e32 v1, 0
	v_lshlrev_b64 v[0:1], 1, v[0:1]
	v_mov_b32_e32 v3, s3
	v_add_co_u32_e32 v0, vcc, s2, v0
	v_addc_co_u32_e32 v1, vcc, v3, v1, vcc
	s_waitcnt lgkmcnt(0)
	global_store_short v[0:1], v2, off
.LBB205_25:
	s_endpgm
	.section	.rodata,"a",@progbits
	.p2align	6, 0x0
	.amdhsa_kernel _ZN2at6native6mbtopk23computeBlockDigitCountsIN3c104HalfEmjLi2EEEvNS_4cuda6detail10TensorInfoIKT_T0_EEjPjjSA_iijT1_PSD_Ps
		.amdhsa_group_segment_fixed_size 1024
		.amdhsa_private_segment_fixed_size 0
		.amdhsa_kernarg_size 736
		.amdhsa_user_sgpr_count 6
		.amdhsa_user_sgpr_private_segment_buffer 1
		.amdhsa_user_sgpr_dispatch_ptr 0
		.amdhsa_user_sgpr_queue_ptr 0
		.amdhsa_user_sgpr_kernarg_segment_ptr 1
		.amdhsa_user_sgpr_dispatch_id 0
		.amdhsa_user_sgpr_flat_scratch_init 0
		.amdhsa_user_sgpr_kernarg_preload_length 0
		.amdhsa_user_sgpr_kernarg_preload_offset 0
		.amdhsa_user_sgpr_private_segment_size 0
		.amdhsa_uses_dynamic_stack 0
		.amdhsa_system_sgpr_private_segment_wavefront_offset 0
		.amdhsa_system_sgpr_workgroup_id_x 1
		.amdhsa_system_sgpr_workgroup_id_y 1
		.amdhsa_system_sgpr_workgroup_id_z 1
		.amdhsa_system_sgpr_workgroup_info 0
		.amdhsa_system_vgpr_workitem_id 0
		.amdhsa_next_free_vgpr 12
		.amdhsa_next_free_sgpr 26
		.amdhsa_accum_offset 12
		.amdhsa_reserve_vcc 1
		.amdhsa_reserve_flat_scratch 0
		.amdhsa_float_round_mode_32 0
		.amdhsa_float_round_mode_16_64 0
		.amdhsa_float_denorm_mode_32 3
		.amdhsa_float_denorm_mode_16_64 3
		.amdhsa_dx10_clamp 1
		.amdhsa_ieee_mode 1
		.amdhsa_fp16_overflow 0
		.amdhsa_tg_split 0
		.amdhsa_exception_fp_ieee_invalid_op 0
		.amdhsa_exception_fp_denorm_src 0
		.amdhsa_exception_fp_ieee_div_zero 0
		.amdhsa_exception_fp_ieee_overflow 0
		.amdhsa_exception_fp_ieee_underflow 0
		.amdhsa_exception_fp_ieee_inexact 0
		.amdhsa_exception_int_div_zero 0
	.end_amdhsa_kernel
	.section	.text._ZN2at6native6mbtopk23computeBlockDigitCountsIN3c104HalfEmjLi2EEEvNS_4cuda6detail10TensorInfoIKT_T0_EEjPjjSA_iijT1_PSD_Ps,"axG",@progbits,_ZN2at6native6mbtopk23computeBlockDigitCountsIN3c104HalfEmjLi2EEEvNS_4cuda6detail10TensorInfoIKT_T0_EEjPjjSA_iijT1_PSD_Ps,comdat
.Lfunc_end205:
	.size	_ZN2at6native6mbtopk23computeBlockDigitCountsIN3c104HalfEmjLi2EEEvNS_4cuda6detail10TensorInfoIKT_T0_EEjPjjSA_iijT1_PSD_Ps, .Lfunc_end205-_ZN2at6native6mbtopk23computeBlockDigitCountsIN3c104HalfEmjLi2EEEvNS_4cuda6detail10TensorInfoIKT_T0_EEjPjjSA_iijT1_PSD_Ps
                                        ; -- End function
	.section	.AMDGPU.csdata,"",@progbits
; Kernel info:
; codeLenInByte = 1256
; NumSgprs: 30
; NumVgprs: 12
; NumAgprs: 0
; TotalNumVgprs: 12
; ScratchSize: 0
; MemoryBound: 0
; FloatMode: 240
; IeeeMode: 1
; LDSByteSize: 1024 bytes/workgroup (compile time only)
; SGPRBlocks: 3
; VGPRBlocks: 1
; NumSGPRsForWavesPerEU: 30
; NumVGPRsForWavesPerEU: 12
; AccumOffset: 12
; Occupancy: 8
; WaveLimiterHint : 1
; COMPUTE_PGM_RSRC2:SCRATCH_EN: 0
; COMPUTE_PGM_RSRC2:USER_SGPR: 6
; COMPUTE_PGM_RSRC2:TRAP_HANDLER: 0
; COMPUTE_PGM_RSRC2:TGID_X_EN: 1
; COMPUTE_PGM_RSRC2:TGID_Y_EN: 1
; COMPUTE_PGM_RSRC2:TGID_Z_EN: 1
; COMPUTE_PGM_RSRC2:TIDIG_COMP_CNT: 0
; COMPUTE_PGM_RSRC3_GFX90A:ACCUM_OFFSET: 2
; COMPUTE_PGM_RSRC3_GFX90A:TG_SPLIT: 0
	.section	.text._ZN2at6native6mbtopk10gatherTopKIN3c104HalfEmLi2EEEvNS_4cuda6detail10TensorInfoIKT_T0_EESA_SA_bjSA_NS7_IS8_SA_EESA_NS7_IlSA_EESA_jjPS8_PjSF_j,"axG",@progbits,_ZN2at6native6mbtopk10gatherTopKIN3c104HalfEmLi2EEEvNS_4cuda6detail10TensorInfoIKT_T0_EESA_SA_bjSA_NS7_IS8_SA_EESA_NS7_IlSA_EESA_jjPS8_PjSF_j,comdat
	.protected	_ZN2at6native6mbtopk10gatherTopKIN3c104HalfEmLi2EEEvNS_4cuda6detail10TensorInfoIKT_T0_EESA_SA_bjSA_NS7_IS8_SA_EESA_NS7_IlSA_EESA_jjPS8_PjSF_j ; -- Begin function _ZN2at6native6mbtopk10gatherTopKIN3c104HalfEmLi2EEEvNS_4cuda6detail10TensorInfoIKT_T0_EESA_SA_bjSA_NS7_IS8_SA_EESA_NS7_IlSA_EESA_jjPS8_PjSF_j
	.globl	_ZN2at6native6mbtopk10gatherTopKIN3c104HalfEmLi2EEEvNS_4cuda6detail10TensorInfoIKT_T0_EESA_SA_bjSA_NS7_IS8_SA_EESA_NS7_IlSA_EESA_jjPS8_PjSF_j
	.p2align	8
	.type	_ZN2at6native6mbtopk10gatherTopKIN3c104HalfEmLi2EEEvNS_4cuda6detail10TensorInfoIKT_T0_EESA_SA_bjSA_NS7_IS8_SA_EESA_NS7_IlSA_EESA_jjPS8_PjSF_j,@function
_ZN2at6native6mbtopk10gatherTopKIN3c104HalfEmLi2EEEvNS_4cuda6detail10TensorInfoIKT_T0_EESA_SA_bjSA_NS7_IS8_SA_EESA_NS7_IlSA_EESA_jjPS8_PjSF_j: ; @_ZN2at6native6mbtopk10gatherTopKIN3c104HalfEmLi2EEEvNS_4cuda6detail10TensorInfoIKT_T0_EESA_SA_bjSA_NS7_IS8_SA_EESA_NS7_IlSA_EESA_jjPS8_PjSF_j
; %bb.0:
	s_load_dwordx2 s[0:1], s[4:5], 0x538
	s_load_dword s2, s[4:5], 0x530
	s_waitcnt lgkmcnt(0)
	s_mul_i32 s1, s1, s8
	s_add_i32 s1, s1, s7
	s_mul_i32 s0, s1, s0
	s_add_i32 s0, s0, s6
	s_cmp_ge_u32 s0, s2
	s_cbranch_scc1 .LBB206_48
; %bb.1:
	s_load_dwordx2 s[34:35], s[4:5], 0x510
	s_load_dwordx2 s[38:39], s[4:5], 0x1d0
	s_load_dwordx4 s[8:11], s[4:5], 0x1a0
	s_load_dwordx2 s[36:37], s[4:5], 0x10
	s_mov_b32 s7, 0
	s_waitcnt lgkmcnt(0)
	v_cvt_f32_u32_e32 v1, s35
	s_sub_i32 s2, 0, s35
	s_lshl_b32 s1, s34, 8
	v_rcp_iflag_f32_e32 v1, v1
	v_mul_f32_e32 v1, 0x4f7ffffe, v1
	v_cvt_u32_f32_e32 v1, v1
	v_readfirstlane_b32 s3, v1
	s_mul_i32 s2, s2, s3
	s_mul_hi_u32 s2, s3, s2
	s_add_i32 s3, s3, s2
	s_mul_hi_u32 s2, s0, s3
	s_mul_i32 s3, s2, s35
	s_sub_i32 s3, s0, s3
	s_add_i32 s6, s2, 1
	s_sub_i32 s12, s3, s35
	s_cmp_ge_u32 s3, s35
	s_cselect_b32 s2, s6, s2
	s_cselect_b32 s3, s12, s3
	s_add_i32 s6, s2, 1
	s_cmp_ge_u32 s3, s35
	s_cselect_b32 s6, s6, s2
	s_mul_i32 s20, s6, s35
	s_sub_i32 s28, s0, s20
	s_add_i32 s0, s28, 1
	s_cmp_lt_u32 s0, s35
	s_mul_i32 s33, s28, s1
	s_cbranch_scc1 .LBB206_3
; %bb.2:
	s_sub_u32 s0, s8, s33
	s_subb_u32 s1, s9, 0
	s_add_u32 s0, s0, 0xff
	s_addc_u32 s1, s1, 0
	s_ashr_i32 s2, s1, 31
	s_lshr_b32 s2, s2, 24
	s_add_u32 s0, s0, s2
	s_addc_u32 s1, s1, 0
	v_mov_b32_e32 v1, s0
	v_alignbit_b32 v1, s1, v1, 8
	v_readfirstlane_b32 s34, v1
.LBB206_3:
	s_load_dwordx2 s[40:41], s[4:5], 0x378
	v_pk_mov_b32 v[2:3], s[36:37], s[36:37] op_sel:[0,1]
	v_cmp_lt_u64_e32 vcc, s[6:7], v[2:3]
	s_mov_b64 s[44:45], 0
	s_mov_b64 s[42:43], 0
	s_cbranch_vccnz .LBB206_5
; %bb.4:
	v_cvt_f32_u32_e32 v1, s36
	s_sub_i32 s0, 0, s36
	v_rcp_iflag_f32_e32 v1, v1
	v_mul_f32_e32 v1, 0x4f7ffffe, v1
	v_cvt_u32_f32_e32 v1, v1
	v_readfirstlane_b32 s1, v1
	s_mul_i32 s0, s0, s1
	s_mul_hi_u32 s0, s1, s0
	s_add_i32 s1, s1, s0
	s_mul_hi_u32 s0, s6, s1
	s_mul_i32 s2, s0, s36
	s_sub_i32 s2, s6, s2
	s_add_i32 s1, s0, 1
	s_sub_i32 s3, s2, s36
	s_cmp_ge_u32 s2, s36
	s_cselect_b32 s0, s1, s0
	s_cselect_b32 s2, s3, s2
	s_add_i32 s1, s0, 1
	s_cmp_ge_u32 s2, s36
	s_cselect_b32 s42, s1, s0
.LBB206_5:
	v_pk_mov_b32 v[2:3], s[38:39], s[38:39] op_sel:[0,1]
	v_cmp_lt_u64_e32 vcc, s[6:7], v[2:3]
	s_cbranch_vccnz .LBB206_7
; %bb.6:
	v_cvt_f32_u32_e32 v1, s38
	s_sub_i32 s0, 0, s38
	v_rcp_iflag_f32_e32 v1, v1
	v_mul_f32_e32 v1, 0x4f7ffffe, v1
	v_cvt_u32_f32_e32 v1, v1
	v_readfirstlane_b32 s1, v1
	s_mul_i32 s0, s0, s1
	s_mul_hi_u32 s0, s1, s0
	s_add_i32 s1, s1, s0
	s_mul_hi_u32 s0, s6, s1
	s_mul_i32 s2, s0, s38
	s_sub_i32 s2, s6, s2
	s_add_i32 s1, s0, 1
	s_sub_i32 s3, s2, s38
	s_cmp_ge_u32 s2, s38
	s_cselect_b32 s0, s1, s0
	s_cselect_b32 s2, s3, s2
	s_add_i32 s1, s0, 1
	s_cmp_ge_u32 s2, s38
	s_cselect_b32 s44, s1, s0
.LBB206_7:
	s_waitcnt lgkmcnt(0)
	v_pk_mov_b32 v[2:3], s[40:41], s[40:41] op_sel:[0,1]
	v_cmp_lt_u64_e32 vcc, s[6:7], v[2:3]
	s_mov_b64 s[46:47], 0
	s_cbranch_vccnz .LBB206_9
; %bb.8:
	v_cvt_f32_u32_e32 v1, s40
	s_sub_i32 s0, 0, s40
	v_rcp_iflag_f32_e32 v1, v1
	v_mul_f32_e32 v1, 0x4f7ffffe, v1
	v_cvt_u32_f32_e32 v1, v1
	v_readfirstlane_b32 s1, v1
	s_mul_i32 s0, s0, s1
	s_mul_hi_u32 s0, s1, s0
	s_add_i32 s1, s1, s0
	s_mul_hi_u32 s0, s6, s1
	s_mul_i32 s2, s0, s40
	s_sub_i32 s2, s6, s2
	s_add_i32 s1, s0, 1
	s_sub_i32 s3, s2, s40
	s_cmp_ge_u32 s2, s40
	s_cselect_b32 s0, s1, s0
	s_cselect_b32 s2, s3, s2
	s_add_i32 s1, s0, 1
	s_cmp_ge_u32 s2, s40
	s_cselect_b32 s46, s1, s0
.LBB206_9:
	s_load_dwordx4 s[12:15], s[4:5], 0x518
	s_load_dwordx2 s[48:49], s[4:5], 0x0
	s_lshl_b64 s[0:1], s[6:7], 1
	v_mov_b32_e32 v1, 0
	s_mov_b32 s21, 0
	s_waitcnt lgkmcnt(0)
	s_add_u32 s0, s12, s0
	s_addc_u32 s1, s13, s1
	global_load_ushort v1, v1, s[0:1]
	v_cmp_ne_u32_e64 s[0:1], 0, v0
	v_cmp_eq_u32_e64 s[2:3], 0, v0
	s_waitcnt vmcnt(0)
	v_readfirstlane_b32 s7, v1
	s_and_saveexec_b64 s[12:13], s[2:3]
	s_cbranch_execz .LBB206_25
; %bb.10:
	s_load_dwordx2 s[22:23], s[4:5], 0x528
	s_lshl_b64 s[24:25], s[20:21], 2
	s_add_u32 s16, s14, s24
	s_addc_u32 s17, s15, s25
	s_mov_b32 s20, 0
	s_waitcnt lgkmcnt(0)
	s_add_u32 s18, s22, s24
	s_addc_u32 s19, s23, s25
	s_mov_b32 s29, 0
	s_cmp_lt_u32 s35, 4
	s_cbranch_scc1 .LBB206_22
; %bb.11:
	s_mov_b32 s30, 0
.LBB206_12:                             ; =>This Inner Loop Header: Depth=1
	s_add_u32 s16, s14, s24
	s_addc_u32 s17, s15, s25
	s_load_dwordx4 s[16:19], s[16:17], 0x0
	s_add_u32 s26, s22, s24
	s_addc_u32 s27, s23, s25
	s_cmp_ge_u32 s30, s28
	s_cbranch_scc0 .LBB206_19
; %bb.13:                               ;   in Loop: Header=BB206_12 Depth=1
	s_add_i32 s31, s30, 1
	s_cmp_ge_u32 s31, s28
	s_cbranch_scc0 .LBB206_20
.LBB206_14:                             ;   in Loop: Header=BB206_12 Depth=1
	s_add_i32 s31, s31, 1
	s_cmp_ge_u32 s31, s28
	s_cbranch_scc0 .LBB206_21
.LBB206_15:                             ;   in Loop: Header=BB206_12 Depth=1
	s_add_i32 s31, s31, 1
	s_cmp_ge_u32 s31, s28
	s_cbranch_scc1 .LBB206_17
.LBB206_16:                             ;   in Loop: Header=BB206_12 Depth=1
	s_load_dword s26, s[26:27], 0xc
	s_waitcnt lgkmcnt(0)
	s_add_i32 s21, s21, s19
	s_add_i32 s20, s26, s20
.LBB206_17:                             ;   in Loop: Header=BB206_12 Depth=1
	s_waitcnt lgkmcnt(0)
	s_add_i32 s16, s16, s29
	s_add_i32 s16, s16, s17
	s_add_i32 s16, s16, s18
	s_add_i32 s29, s16, s19
	s_add_u32 s14, s14, 16
	s_addc_u32 s15, s15, 0
	s_add_u32 s22, s22, 16
	s_addc_u32 s23, s23, 0
	s_add_i32 s27, s31, 4
	s_add_u32 s18, s22, s24
	s_addc_u32 s19, s23, s25
	s_add_u32 s16, s14, s24
	s_addc_u32 s17, s15, s25
	s_add_i32 s26, s31, 1
	s_cmp_ge_u32 s27, s35
	s_cbranch_scc1 .LBB206_23
; %bb.18:                               ;   in Loop: Header=BB206_12 Depth=1
	s_mov_b32 s30, s26
	s_branch .LBB206_12
.LBB206_19:                             ;   in Loop: Header=BB206_12 Depth=1
	s_load_dword s31, s[26:27], 0x0
	s_waitcnt lgkmcnt(0)
	s_add_i32 s21, s16, s21
	s_add_i32 s20, s31, s20
	;; [unrolled: 1-line block ×3, first 2 shown]
	s_cmp_ge_u32 s31, s28
	s_cbranch_scc1 .LBB206_14
.LBB206_20:                             ;   in Loop: Header=BB206_12 Depth=1
	s_load_dword s43, s[26:27], 0x4
	s_waitcnt lgkmcnt(0)
	s_add_i32 s21, s21, s17
	s_add_i32 s20, s43, s20
	;; [unrolled: 1-line block ×3, first 2 shown]
	s_cmp_ge_u32 s31, s28
	s_cbranch_scc1 .LBB206_15
.LBB206_21:                             ;   in Loop: Header=BB206_12 Depth=1
	s_load_dword s43, s[26:27], 0x8
	s_waitcnt lgkmcnt(0)
	s_add_i32 s21, s21, s18
	s_add_i32 s20, s43, s20
	;; [unrolled: 1-line block ×3, first 2 shown]
	s_cmp_ge_u32 s31, s28
	s_cbranch_scc0 .LBB206_16
	s_branch .LBB206_17
.LBB206_22:
	s_mov_b32 s14, 0
	s_cmp_ge_u32 s14, s35
	s_cbranch_scc0 .LBB206_46
	s_branch .LBB206_24
.LBB206_23:
	s_add_i32 s14, s30, 4
	s_cmp_ge_u32 s14, s35
	s_cbranch_scc0 .LBB206_46
.LBB206_24:
	v_mov_b32_e32 v2, s20
	v_mov_b32_e32 v3, s29
	;; [unrolled: 1-line block ×4, first 2 shown]
	ds_write_b96 v1, v[2:4] offset:1056
.LBB206_25:
	s_or_b64 exec, exec, s[12:13]
	s_load_dwordx4 s[12:15], s[4:5], 0x1b8
	s_load_dwordx4 s[24:27], s[4:5], 0xd0
	;; [unrolled: 1-line block ×5, first 2 shown]
	s_cmp_eq_u32 s34, 0
	s_waitcnt lgkmcnt(0)
	s_barrier
	s_cbranch_scc1 .LBB206_48
; %bb.26:
	s_mul_i32 s35, s44, s39
	s_mul_hi_u32 s39, s44, s38
	s_add_i32 s39, s39, s35
	s_mul_i32 s35, s44, s38
	s_sub_u32 s35, s6, s35
	s_subb_u32 s38, 0, s39
	s_mul_i32 s31, s35, s31
	s_mul_hi_u32 s39, s35, s30
	s_mul_i32 s38, s38, s30
	s_mul_i32 s30, s35, s30
	;; [unrolled: 1-line block ×3, first 2 shown]
	s_mul_hi_u32 s35, s44, s28
	s_add_i32 s31, s39, s31
	s_add_i32 s29, s35, s29
	s_mul_i32 s35, s42, s37
	s_mul_hi_u32 s37, s42, s36
	s_add_i32 s31, s31, s38
	s_add_i32 s37, s37, s35
	s_mul_i32 s35, s42, s36
	s_sub_u32 s35, s6, s35
	s_subb_u32 s36, 0, s37
	s_mul_i32 s27, s35, s27
	s_mul_hi_u32 s37, s35, s26
	s_add_i32 s27, s37, s27
	s_mul_i32 s36, s36, s26
	s_mul_i32 s26, s35, s26
	;; [unrolled: 1-line block ×3, first 2 shown]
	s_mul_hi_u32 s35, s42, s24
	s_add_i32 s27, s27, s36
	s_add_i32 s25, s35, s25
	s_mul_i32 s35, s46, s41
	s_mul_hi_u32 s36, s46, s40
	s_add_i32 s36, s36, s35
	s_mul_i32 s35, s46, s40
	s_sub_u32 s6, s6, s35
	s_subb_u32 s35, 0, s36
	s_mul_i32 s23, s6, s23
	s_mul_hi_u32 s36, s6, s22
	s_mul_i32 s24, s42, s24
	s_add_i32 s23, s36, s23
	s_mul_i32 s35, s35, s22
	s_mul_i32 s36, s6, s22
	s_mul_i32 s6, s46, s21
	s_mul_hi_u32 s21, s46, s20
	s_add_i32 s37, s23, s35
	s_add_i32 s39, s21, s6
	s_mul_i32 s38, s46, s20
	s_lshl_b64 s[20:21], s[24:25], 1
	s_add_u32 s6, s48, s20
	s_addc_u32 s22, s49, s21
	s_lshl_b64 s[20:21], s[26:27], 1
	s_mul_i32 s28, s44, s28
	s_add_u32 s20, s6, s20
	s_addc_u32 s21, s22, s21
	s_lshl_b64 s[22:23], s[28:29], 1
	s_add_u32 s6, s14, s22
	s_addc_u32 s23, s15, s23
	s_lshl_b64 s[14:15], s[30:31], 1
	s_add_u32 s22, s6, s14
	s_addc_u32 s23, s23, s15
	s_lshl_b64 s[14:15], s[38:39], 3
	s_add_u32 s6, s18, s14
	s_addc_u32 s18, s19, s15
	s_lshl_b64 s[14:15], s[36:37], 3
	s_add_u32 s24, s6, s14
	v_mov_b32_e32 v1, 0
	s_addc_u32 s25, s18, s15
	s_and_b32 s14, 0xffff, s7
	s_sext_i32_i16 s6, s7
	ds_read_b96 v[2:4], v1 offset:1056
	s_cmp_gt_i32 s6, -1
	s_mov_b32 s6, 0x8000
	s_cselect_b32 s15, s6, 0xffff
	v_cmp_o_f16_e64 s[6:7], s7, s7
	s_xor_b32 s14, s15, s14
	s_and_b64 s[6:7], s[6:7], exec
	s_load_dword s6, s[4:5], 0x1b0
	s_waitcnt lgkmcnt(0)
	v_add_u32_e32 v2, v2, v3
	v_lshrrev_b32_e32 v3, 5, v0
	v_add_lshl_u32 v5, v3, v0, 2
	v_lshlrev_b32_e32 v3, 2, v0
	v_lshrrev_b32_e32 v6, 3, v0
	s_cselect_b32 s26, s14, 0xffff
	s_load_dwordx2 s[14:15], s[4:5], 0x508
	v_add_lshl_u32 v8, v6, v3, 2
	v_add_u32_e32 v3, -1, v0
	v_lshrrev_b32_e32 v6, 5, v3
	v_add_lshl_u32 v9, v6, v3, 2
	v_mbcnt_lo_u32_b32 v3, -1, 0
	s_bitcmp1_b32 s6, 0
	v_mbcnt_hi_u32_b32 v12, -1, v3
	s_cselect_b64 s[4:5], -1, 0
	v_cmp_gt_u32_e64 s[6:7], 64, v0
	v_add_u32_e32 v0, s33, v0
	v_mov_b32_e32 v10, 0xffff
	v_mov_b32_e32 v11, 0x8000
	v_and_b32_e32 v13, 15, v12
	v_bfe_i32 v14, v12, 4, 1
	v_add_u32_e32 v15, -1, v12
	v_and_b32_e32 v16, 64, v12
                                        ; implicit-def: $vgpr17
	s_branch .LBB206_29
.LBB206_27:                             ;   in Loop: Header=BB206_29 Depth=1
	s_or_b64 exec, exec, s[18:19]
	v_add_u32_e32 v2, v3, v2
.LBB206_28:                             ;   in Loop: Header=BB206_29 Depth=1
	s_add_i32 s34, s34, -1
	v_add_u32_e32 v4, v18, v4
	s_cmp_lg_u32 s34, 0
	v_add_u32_e32 v0, 0x100, v0
	s_cbranch_scc0 .LBB206_48
.LBB206_29:                             ; =>This Inner Loop Header: Depth=1
	v_cmp_gt_u64_e32 vcc, s[8:9], v[0:1]
	v_mov_b32_e32 v3, v1
	v_mov_b32_e32 v6, v1
	s_and_saveexec_b64 s[18:19], vcc
	s_cbranch_execz .LBB206_31
; %bb.30:                               ;   in Loop: Header=BB206_29 Depth=1
	v_mad_u64_u32 v[6:7], s[28:29], v0, s12, 0
	v_mov_b32_e32 v18, v7
	v_mad_u64_u32 v[18:19], s[28:29], v0, s13, v[18:19]
	v_mov_b32_e32 v7, v18
	v_lshlrev_b64 v[6:7], 1, v[6:7]
	v_mov_b32_e32 v3, s21
	v_add_co_u32_e32 v6, vcc, s20, v6
	v_addc_co_u32_e32 v7, vcc, v3, v7, vcc
	global_load_ushort v17, v[6:7], off
	s_waitcnt vmcnt(0)
	v_cmp_lt_i16_e32 vcc, -1, v17
	v_cndmask_b32_e32 v3, v10, v11, vcc
	v_xor_b32_sdwa v3, v3, v17 dst_sel:DWORD dst_unused:UNUSED_PAD src0_sel:DWORD src1_sel:WORD_0
	v_cmp_o_f16_e32 vcc, v17, v17
	v_cndmask_b32_e32 v6, v10, v3, vcc
	v_cmp_lt_u32_e32 vcc, s26, v6
	v_cndmask_b32_e64 v3, 0, 1, vcc
	v_cmp_gt_u32_e32 vcc, s26, v6
	v_cndmask_b32_e64 v7, 0, 1, vcc
	v_cndmask_b32_e64 v3, v7, v3, s[4:5]
	v_cmp_eq_u32_e32 vcc, s26, v6
	v_and_b32_e32 v3, 1, v3
	v_cndmask_b32_e64 v6, 0, 1, vcc
.LBB206_31:                             ;   in Loop: Header=BB206_29 Depth=1
	s_or_b64 exec, exec, s[18:19]
	ds_write_b32 v5, v3
	s_waitcnt lgkmcnt(0)
	s_barrier
	s_and_saveexec_b64 s[18:19], s[6:7]
	s_cbranch_execz .LBB206_33
; %bb.32:                               ;   in Loop: Header=BB206_29 Depth=1
	ds_read2_b32 v[18:19], v8 offset1:1
	ds_read2_b32 v[20:21], v8 offset0:2 offset1:3
	v_cmp_ne_u32_e32 vcc, 0, v13
	; wave barrier
	s_waitcnt lgkmcnt(1)
	v_add_u32_e32 v7, v19, v18
	s_waitcnt lgkmcnt(0)
	v_add3_u32 v7, v7, v20, v21
	s_nop 1
	v_mov_b32_dpp v19, v7 row_shr:1 row_mask:0xf bank_mask:0xf
	v_cndmask_b32_e32 v19, 0, v19, vcc
	v_add_u32_e32 v7, v19, v7
	v_cmp_lt_u32_e32 vcc, 1, v13
	s_nop 0
	v_mov_b32_dpp v19, v7 row_shr:2 row_mask:0xf bank_mask:0xf
	v_cndmask_b32_e32 v19, 0, v19, vcc
	v_add_u32_e32 v7, v7, v19
	v_cmp_lt_u32_e32 vcc, 3, v13
	;; [unrolled: 5-line block ×4, first 2 shown]
	s_nop 0
	v_mov_b32_dpp v19, v7 row_bcast:15 row_mask:0xf bank_mask:0xf
	v_and_b32_e32 v19, v14, v19
	v_add_u32_e32 v7, v7, v19
	s_nop 1
	v_mov_b32_dpp v19, v7 row_bcast:31 row_mask:0xf bank_mask:0xf
	v_cndmask_b32_e32 v19, 0, v19, vcc
	v_cmp_lt_i32_e32 vcc, v15, v16
	v_add_u32_e32 v7, v7, v19
	v_cndmask_b32_e32 v19, v15, v12, vcc
	v_lshlrev_b32_e32 v19, 2, v19
	ds_bpermute_b32 v7, v19, v7
	s_waitcnt lgkmcnt(0)
	v_add_u32_e32 v7, v7, v18
	v_cndmask_b32_e64 v7, v7, v3, s[2:3]
	ds_write_b32 v8, v7
	; wave barrier
	ds_read2_b32 v[18:19], v8 offset0:1 offset1:2
	ds_read_b32 v20, v8 offset:12
	s_waitcnt lgkmcnt(1)
	v_add_u32_e32 v7, v18, v7
	v_add_u32_e32 v18, v19, v7
	ds_write2_b32 v8, v7, v18 offset0:1 offset1:2
	s_waitcnt lgkmcnt(1)
	v_add_u32_e32 v7, v20, v18
	ds_write_b32 v8, v7 offset:12
.LBB206_33:                             ;   in Loop: Header=BB206_29 Depth=1
	s_or_b64 exec, exec, s[18:19]
	v_mov_b32_e32 v7, 0
	s_waitcnt lgkmcnt(0)
	s_barrier
	s_and_saveexec_b64 s[18:19], s[0:1]
	s_cbranch_execz .LBB206_35
; %bb.34:                               ;   in Loop: Header=BB206_29 Depth=1
	ds_read_b32 v7, v9
.LBB206_35:                             ;   in Loop: Header=BB206_29 Depth=1
	s_or_b64 exec, exec, s[18:19]
	ds_read_b32 v18, v1 offset:1048
	v_cmp_ne_u32_e32 vcc, 0, v3
	s_waitcnt lgkmcnt(0)
	s_barrier
	s_and_saveexec_b64 s[18:19], vcc
	s_cbranch_execz .LBB206_37
; %bb.36:                               ;   in Loop: Header=BB206_29 Depth=1
	v_add_u32_e32 v3, v7, v4
	v_mad_u64_u32 v[20:21], s[28:29], v3, s16, 0
	v_mov_b32_e32 v22, v21
	v_mad_u64_u32 v[22:23], s[28:29], v3, s17, v[22:23]
	v_mov_b32_e32 v21, v22
	v_lshlrev_b64 v[20:21], 1, v[20:21]
	v_mov_b32_e32 v7, s23
	v_add_co_u32_e32 v20, vcc, s22, v20
	v_addc_co_u32_e32 v21, vcc, v7, v21, vcc
	global_store_short v[20:21], v17, off
	v_mad_u64_u32 v[20:21], s[28:29], v3, s14, 0
	v_mov_b32_e32 v22, v21
	v_mad_u64_u32 v[22:23], s[28:29], v3, s15, v[22:23]
	v_mov_b32_e32 v21, v22
	v_lshlrev_b64 v[20:21], 3, v[20:21]
	v_mov_b32_e32 v3, s25
	v_add_co_u32_e32 v20, vcc, s24, v20
	v_addc_co_u32_e32 v21, vcc, v3, v21, vcc
	global_store_dwordx2 v[20:21], v[0:1], off
.LBB206_37:                             ;   in Loop: Header=BB206_29 Depth=1
	s_or_b64 exec, exec, s[18:19]
	v_mov_b32_e32 v3, v1
	v_cmp_le_u64_e32 vcc, s[10:11], v[2:3]
	s_cbranch_vccnz .LBB206_28
; %bb.38:                               ;   in Loop: Header=BB206_29 Depth=1
	ds_write_b32 v5, v6
	s_waitcnt lgkmcnt(0)
	s_barrier
	s_and_saveexec_b64 s[18:19], s[6:7]
	s_cbranch_execz .LBB206_40
; %bb.39:                               ;   in Loop: Header=BB206_29 Depth=1
	ds_read2_b32 v[20:21], v8 offset1:1
	ds_read2_b32 v[22:23], v8 offset0:2 offset1:3
	v_cmp_ne_u32_e32 vcc, 0, v13
	; wave barrier
	s_waitcnt lgkmcnt(1)
	v_add_u32_e32 v3, v21, v20
	s_waitcnt lgkmcnt(0)
	v_add3_u32 v3, v3, v22, v23
	s_nop 1
	v_mov_b32_dpp v7, v3 row_shr:1 row_mask:0xf bank_mask:0xf
	v_cndmask_b32_e32 v7, 0, v7, vcc
	v_add_u32_e32 v3, v7, v3
	v_cmp_lt_u32_e32 vcc, 1, v13
	s_nop 0
	v_mov_b32_dpp v7, v3 row_shr:2 row_mask:0xf bank_mask:0xf
	v_cndmask_b32_e32 v7, 0, v7, vcc
	v_add_u32_e32 v3, v3, v7
	v_cmp_lt_u32_e32 vcc, 3, v13
	;; [unrolled: 5-line block ×4, first 2 shown]
	s_nop 0
	v_mov_b32_dpp v7, v3 row_bcast:15 row_mask:0xf bank_mask:0xf
	v_and_b32_e32 v7, v14, v7
	v_add_u32_e32 v3, v3, v7
	s_nop 1
	v_mov_b32_dpp v7, v3 row_bcast:31 row_mask:0xf bank_mask:0xf
	v_cndmask_b32_e32 v7, 0, v7, vcc
	v_cmp_lt_i32_e32 vcc, v15, v16
	v_add_u32_e32 v3, v3, v7
	v_cndmask_b32_e32 v7, v15, v12, vcc
	v_lshlrev_b32_e32 v7, 2, v7
	ds_bpermute_b32 v3, v7, v3
	s_waitcnt lgkmcnt(0)
	v_add_u32_e32 v3, v3, v20
	v_cndmask_b32_e64 v3, v3, v6, s[2:3]
	ds_write_b32 v8, v3
	; wave barrier
	ds_read2_b32 v[20:21], v8 offset0:1 offset1:2
	ds_read_b32 v7, v8 offset:12
	s_waitcnt lgkmcnt(1)
	v_add_u32_e32 v3, v20, v3
	v_add_u32_e32 v19, v21, v3
	ds_write2_b32 v8, v3, v19 offset0:1 offset1:2
	s_waitcnt lgkmcnt(1)
	v_add_u32_e32 v3, v7, v19
	ds_write_b32 v8, v3 offset:12
.LBB206_40:                             ;   in Loop: Header=BB206_29 Depth=1
	s_or_b64 exec, exec, s[18:19]
	v_mov_b32_e32 v7, 0
	s_waitcnt lgkmcnt(0)
	s_barrier
	s_and_saveexec_b64 s[18:19], s[0:1]
	s_cbranch_execz .LBB206_42
; %bb.41:                               ;   in Loop: Header=BB206_29 Depth=1
	ds_read_b32 v7, v9
.LBB206_42:                             ;   in Loop: Header=BB206_29 Depth=1
	s_or_b64 exec, exec, s[18:19]
	ds_read_b32 v3, v1 offset:1048
	v_cmp_ne_u32_e32 vcc, 0, v6
	s_waitcnt lgkmcnt(0)
	s_barrier
	s_and_saveexec_b64 s[18:19], vcc
	s_cbranch_execz .LBB206_27
; %bb.43:                               ;   in Loop: Header=BB206_29 Depth=1
	v_add_u32_e32 v6, v7, v2
	v_mov_b32_e32 v7, v1
	v_cmp_gt_u64_e32 vcc, s[10:11], v[6:7]
	s_and_b64 exec, exec, vcc
	s_cbranch_execz .LBB206_27
; %bb.44:                               ;   in Loop: Header=BB206_29 Depth=1
	v_mad_u64_u32 v[20:21], s[28:29], v6, s16, 0
	v_mov_b32_e32 v22, v21
	v_mad_u64_u32 v[22:23], s[28:29], v6, s17, v[22:23]
	v_mov_b32_e32 v21, v22
	v_lshlrev_b64 v[20:21], 1, v[20:21]
	v_mov_b32_e32 v7, s23
	v_add_co_u32_e32 v20, vcc, s22, v20
	v_addc_co_u32_e32 v21, vcc, v7, v21, vcc
	global_store_short v[20:21], v17, off
	v_mad_u64_u32 v[20:21], s[28:29], v6, s14, 0
	v_mov_b32_e32 v22, v21
	v_mad_u64_u32 v[6:7], s[28:29], v6, s15, v[22:23]
	v_mov_b32_e32 v21, v6
	v_lshlrev_b64 v[6:7], 3, v[20:21]
	v_mov_b32_e32 v19, s25
	v_add_co_u32_e32 v6, vcc, s24, v6
	v_addc_co_u32_e32 v7, vcc, v19, v7, vcc
	global_store_dwordx2 v[6:7], v[0:1], off
	s_branch .LBB206_27
.LBB206_45:                             ;   in Loop: Header=BB206_46 Depth=1
	s_add_u32 s16, s16, 4
	s_addc_u32 s17, s17, 0
	s_waitcnt lgkmcnt(0)
	s_add_i32 s29, s15, s29
	s_add_u32 s18, s18, 4
	s_addc_u32 s19, s19, 0
	s_add_i32 s14, s14, 1
	s_cmp_lt_u32 s14, s35
	s_cbranch_scc0 .LBB206_24
.LBB206_46:                             ; =>This Inner Loop Header: Depth=1
	s_load_dword s15, s[16:17], 0x0
	s_cmp_ge_u32 s14, s28
	s_cbranch_scc1 .LBB206_45
; %bb.47:                               ;   in Loop: Header=BB206_46 Depth=1
	s_load_dword s22, s[18:19], 0x0
	s_waitcnt lgkmcnt(0)
	s_add_i32 s21, s15, s21
	s_add_i32 s20, s22, s20
	s_branch .LBB206_45
.LBB206_48:
	s_endpgm
	.section	.rodata,"a",@progbits
	.p2align	6, 0x0
	.amdhsa_kernel _ZN2at6native6mbtopk10gatherTopKIN3c104HalfEmLi2EEEvNS_4cuda6detail10TensorInfoIKT_T0_EESA_SA_bjSA_NS7_IS8_SA_EESA_NS7_IlSA_EESA_jjPS8_PjSF_j
		.amdhsa_group_segment_fixed_size 1068
		.amdhsa_private_segment_fixed_size 0
		.amdhsa_kernarg_size 1592
		.amdhsa_user_sgpr_count 6
		.amdhsa_user_sgpr_private_segment_buffer 1
		.amdhsa_user_sgpr_dispatch_ptr 0
		.amdhsa_user_sgpr_queue_ptr 0
		.amdhsa_user_sgpr_kernarg_segment_ptr 1
		.amdhsa_user_sgpr_dispatch_id 0
		.amdhsa_user_sgpr_flat_scratch_init 0
		.amdhsa_user_sgpr_kernarg_preload_length 0
		.amdhsa_user_sgpr_kernarg_preload_offset 0
		.amdhsa_user_sgpr_private_segment_size 0
		.amdhsa_uses_dynamic_stack 0
		.amdhsa_system_sgpr_private_segment_wavefront_offset 0
		.amdhsa_system_sgpr_workgroup_id_x 1
		.amdhsa_system_sgpr_workgroup_id_y 1
		.amdhsa_system_sgpr_workgroup_id_z 1
		.amdhsa_system_sgpr_workgroup_info 0
		.amdhsa_system_vgpr_workitem_id 0
		.amdhsa_next_free_vgpr 24
		.amdhsa_next_free_sgpr 50
		.amdhsa_accum_offset 24
		.amdhsa_reserve_vcc 1
		.amdhsa_reserve_flat_scratch 0
		.amdhsa_float_round_mode_32 0
		.amdhsa_float_round_mode_16_64 0
		.amdhsa_float_denorm_mode_32 3
		.amdhsa_float_denorm_mode_16_64 3
		.amdhsa_dx10_clamp 1
		.amdhsa_ieee_mode 1
		.amdhsa_fp16_overflow 0
		.amdhsa_tg_split 0
		.amdhsa_exception_fp_ieee_invalid_op 0
		.amdhsa_exception_fp_denorm_src 0
		.amdhsa_exception_fp_ieee_div_zero 0
		.amdhsa_exception_fp_ieee_overflow 0
		.amdhsa_exception_fp_ieee_underflow 0
		.amdhsa_exception_fp_ieee_inexact 0
		.amdhsa_exception_int_div_zero 0
	.end_amdhsa_kernel
	.section	.text._ZN2at6native6mbtopk10gatherTopKIN3c104HalfEmLi2EEEvNS_4cuda6detail10TensorInfoIKT_T0_EESA_SA_bjSA_NS7_IS8_SA_EESA_NS7_IlSA_EESA_jjPS8_PjSF_j,"axG",@progbits,_ZN2at6native6mbtopk10gatherTopKIN3c104HalfEmLi2EEEvNS_4cuda6detail10TensorInfoIKT_T0_EESA_SA_bjSA_NS7_IS8_SA_EESA_NS7_IlSA_EESA_jjPS8_PjSF_j,comdat
.Lfunc_end206:
	.size	_ZN2at6native6mbtopk10gatherTopKIN3c104HalfEmLi2EEEvNS_4cuda6detail10TensorInfoIKT_T0_EESA_SA_bjSA_NS7_IS8_SA_EESA_NS7_IlSA_EESA_jjPS8_PjSF_j, .Lfunc_end206-_ZN2at6native6mbtopk10gatherTopKIN3c104HalfEmLi2EEEvNS_4cuda6detail10TensorInfoIKT_T0_EESA_SA_bjSA_NS7_IS8_SA_EESA_NS7_IlSA_EESA_jjPS8_PjSF_j
                                        ; -- End function
	.section	.AMDGPU.csdata,"",@progbits
; Kernel info:
; codeLenInByte = 2792
; NumSgprs: 54
; NumVgprs: 24
; NumAgprs: 0
; TotalNumVgprs: 24
; ScratchSize: 0
; MemoryBound: 0
; FloatMode: 240
; IeeeMode: 1
; LDSByteSize: 1068 bytes/workgroup (compile time only)
; SGPRBlocks: 6
; VGPRBlocks: 2
; NumSGPRsForWavesPerEU: 54
; NumVGPRsForWavesPerEU: 24
; AccumOffset: 24
; Occupancy: 8
; WaveLimiterHint : 1
; COMPUTE_PGM_RSRC2:SCRATCH_EN: 0
; COMPUTE_PGM_RSRC2:USER_SGPR: 6
; COMPUTE_PGM_RSRC2:TRAP_HANDLER: 0
; COMPUTE_PGM_RSRC2:TGID_X_EN: 1
; COMPUTE_PGM_RSRC2:TGID_Y_EN: 1
; COMPUTE_PGM_RSRC2:TGID_Z_EN: 1
; COMPUTE_PGM_RSRC2:TIDIG_COMP_CNT: 0
; COMPUTE_PGM_RSRC3_GFX90A:ACCUM_OFFSET: 5
; COMPUTE_PGM_RSRC3_GFX90A:TG_SPLIT: 0
	.section	.text._ZN2at6native6sbtopk10gatherTopKIN3c104HalfEmLi2ELb0EEEvNS_4cuda6detail10TensorInfoIKT_T0_EESA_SA_bSA_SA_NS7_IS8_SA_EESA_NS7_IlSA_EESA_PS8_,"axG",@progbits,_ZN2at6native6sbtopk10gatherTopKIN3c104HalfEmLi2ELb0EEEvNS_4cuda6detail10TensorInfoIKT_T0_EESA_SA_bSA_SA_NS7_IS8_SA_EESA_NS7_IlSA_EESA_PS8_,comdat
	.protected	_ZN2at6native6sbtopk10gatherTopKIN3c104HalfEmLi2ELb0EEEvNS_4cuda6detail10TensorInfoIKT_T0_EESA_SA_bSA_SA_NS7_IS8_SA_EESA_NS7_IlSA_EESA_PS8_ ; -- Begin function _ZN2at6native6sbtopk10gatherTopKIN3c104HalfEmLi2ELb0EEEvNS_4cuda6detail10TensorInfoIKT_T0_EESA_SA_bSA_SA_NS7_IS8_SA_EESA_NS7_IlSA_EESA_PS8_
	.globl	_ZN2at6native6sbtopk10gatherTopKIN3c104HalfEmLi2ELb0EEEvNS_4cuda6detail10TensorInfoIKT_T0_EESA_SA_bSA_SA_NS7_IS8_SA_EESA_NS7_IlSA_EESA_PS8_
	.p2align	8
	.type	_ZN2at6native6sbtopk10gatherTopKIN3c104HalfEmLi2ELb0EEEvNS_4cuda6detail10TensorInfoIKT_T0_EESA_SA_bSA_SA_NS7_IS8_SA_EESA_NS7_IlSA_EESA_PS8_,@function
_ZN2at6native6sbtopk10gatherTopKIN3c104HalfEmLi2ELb0EEEvNS_4cuda6detail10TensorInfoIKT_T0_EESA_SA_bSA_SA_NS7_IS8_SA_EESA_NS7_IlSA_EESA_PS8_: ; @_ZN2at6native6sbtopk10gatherTopKIN3c104HalfEmLi2ELb0EEEvNS_4cuda6detail10TensorInfoIKT_T0_EESA_SA_bSA_SA_NS7_IS8_SA_EESA_NS7_IlSA_EESA_PS8_
; %bb.0:
	s_load_dwordx4 s[56:59], s[4:5], 0x1b8
	s_load_dwordx2 s[10:11], s[4:5], 0x520
	s_add_u32 s20, s4, 0x520
	s_addc_u32 s21, s5, 0
	s_mov_b32 s23, 0
	s_waitcnt lgkmcnt(0)
	v_mov_b32_e32 v2, s56
	s_mul_i32 s0, s11, s8
	s_add_i32 s0, s0, s7
	s_mul_i32 s0, s0, s10
	v_mov_b32_e32 v3, s57
	s_add_i32 s22, s0, s6
	v_cmp_ge_u64_e32 vcc, s[22:23], v[2:3]
	s_cbranch_vccnz .LBB207_486
; %bb.1:
	s_load_dwordx2 s[8:9], s[4:5], 0x10
	s_load_dwordx2 s[16:17], s[4:5], 0x380
	;; [unrolled: 1-line block ×3, first 2 shown]
	s_mov_b64 s[0:1], 0
                                        ; implicit-def: $vgpr48 : SGPR spill to VGPR lane
	s_mov_b64 s[12:13], 0
	s_waitcnt lgkmcnt(0)
	v_pk_mov_b32 v[2:3], s[8:9], s[8:9] op_sel:[0,1]
	v_cmp_lt_u64_e32 vcc, s[22:23], v[2:3]
	v_writelane_b32 v48, s0, 0
	v_writelane_b32 v48, s1, 1
	s_cbranch_vccnz .LBB207_3
; %bb.2:
	v_cvt_f32_u32_e32 v1, s8
	s_sub_i32 s0, 0, s8
	v_rcp_iflag_f32_e32 v1, v1
	v_mul_f32_e32 v1, 0x4f7ffffe, v1
	v_cvt_u32_f32_e32 v1, v1
	v_readfirstlane_b32 s1, v1
	s_mul_i32 s0, s0, s1
	s_mul_hi_u32 s0, s1, s0
	s_add_i32 s1, s1, s0
	s_mul_hi_u32 s0, s22, s1
	s_mul_i32 s2, s0, s8
	s_sub_i32 s2, s22, s2
	s_add_i32 s1, s0, 1
	s_sub_i32 s3, s2, s8
	s_cmp_ge_u32 s2, s8
	s_cselect_b32 s0, s1, s0
	s_cselect_b32 s2, s3, s2
	s_add_i32 s1, s0, 1
	s_cmp_ge_u32 s2, s8
	s_cselect_b32 s12, s1, s0
.LBB207_3:
	v_pk_mov_b32 v[2:3], s[14:15], s[14:15] op_sel:[0,1]
	v_cmp_lt_u64_e32 vcc, s[22:23], v[2:3]
	s_cbranch_vccnz .LBB207_5
; %bb.4:
	v_cvt_f32_u32_e32 v1, s14
	s_sub_i32 s0, 0, s14
	v_rcp_iflag_f32_e32 v1, v1
	v_mul_f32_e32 v1, 0x4f7ffffe, v1
	v_cvt_u32_f32_e32 v1, v1
	v_readfirstlane_b32 s1, v1
	s_mul_i32 s0, s0, s1
	s_mul_hi_u32 s0, s1, s0
	s_add_i32 s1, s1, s0
	s_mul_hi_u32 s0, s22, s1
	s_mul_i32 s2, s0, s14
	s_sub_i32 s2, s22, s2
	s_add_i32 s1, s0, 1
	s_sub_i32 s3, s2, s14
	s_cmp_ge_u32 s2, s14
	s_cselect_b32 s0, s1, s0
	s_cselect_b32 s2, s3, s2
	s_add_i32 s1, s0, 1
	s_cmp_ge_u32 s2, s14
	s_cselect_b32 s0, s1, s0
	v_writelane_b32 v48, s0, 0
	v_writelane_b32 v48, s1, 1
.LBB207_5:
	v_writelane_b32 v48, s14, 2
	v_writelane_b32 v48, s15, 3
	s_load_dwordx2 s[14:15], s[4:5], 0x0
	v_pk_mov_b32 v[2:3], s[16:17], s[16:17] op_sel:[0,1]
	v_cmp_lt_u64_e32 vcc, s[22:23], v[2:3]
	s_mov_b64 s[0:1], 0
	v_writelane_b32 v48, s0, 4
	v_writelane_b32 v48, s1, 5
	s_cbranch_vccnz .LBB207_7
; %bb.6:
	v_cvt_f32_u32_e32 v1, s16
	s_sub_i32 s0, 0, s16
	v_rcp_iflag_f32_e32 v1, v1
	v_mul_f32_e32 v1, 0x4f7ffffe, v1
	v_cvt_u32_f32_e32 v1, v1
	v_readfirstlane_b32 s1, v1
	s_mul_i32 s0, s0, s1
	s_mul_hi_u32 s0, s1, s0
	s_add_i32 s1, s1, s0
	s_mul_hi_u32 s0, s22, s1
	s_mul_i32 s2, s0, s16
	s_sub_i32 s2, s22, s2
	s_add_i32 s1, s0, 1
	s_sub_i32 s3, s2, s16
	s_cmp_ge_u32 s2, s16
	s_cselect_b32 s0, s1, s0
	s_cselect_b32 s2, s3, s2
	s_add_i32 s1, s0, 1
	s_cmp_ge_u32 s2, s16
	s_cselect_b32 s0, s1, s0
	v_writelane_b32 v48, s0, 4
	v_writelane_b32 v48, s1, 5
.LBB207_7:
	s_load_dwordx2 s[0:1], s[4:5], 0x370
	v_writelane_b32 v48, s16, 6
	v_writelane_b32 v48, s17, 7
	s_mov_b32 s85, 0
	v_cmp_eq_u32_e64 s[18:19], 0, v0
	s_waitcnt lgkmcnt(0)
	v_writelane_b32 v48, s0, 8
	v_writelane_b32 v48, s1, 9
	s_load_dwordx2 s[0:1], s[4:5], 0x1c8
	s_waitcnt lgkmcnt(0)
	v_writelane_b32 v48, s0, 10
	v_writelane_b32 v48, s1, 11
	s_load_dwordx4 s[0:3], s[4:5], 0xd0
	s_load_dwordx4 s[60:63], s[4:5], 0x1a0
	s_mov_b64 s[16:17], exec
	v_writelane_b32 v48, s18, 12
	v_writelane_b32 v48, s19, 13
	s_and_b64 s[18:19], s[16:17], s[18:19]
	s_mov_b64 exec, s[18:19]
	s_cbranch_execz .LBB207_9
; %bb.8:
	v_mov_b32_e32 v2, 0
	s_waitcnt lgkmcnt(0)
	v_mov_b32_e32 v4, s60
	v_mov_b32_e32 v5, s61
	;; [unrolled: 1-line block ×3, first 2 shown]
	ds_write_b32 v2, v2 offset:5144
	ds_write_b128 v2, v[2:5] offset:5120
.LBB207_9:
	s_or_b64 exec, exec, s[16:17]
	s_mul_i32 s7, s12, s9
	s_mul_hi_u32 s9, s12, s8
	s_add_i32 s9, s9, s7
	s_mul_i32 s7, s12, s8
	s_mov_b32 s8, s22
	v_writelane_b32 v48, s8, 14
	s_sub_u32 s7, s22, s7
	v_writelane_b32 v48, s9, 15
	s_subb_u32 s8, 0, s9
	s_waitcnt lgkmcnt(0)
	s_mul_i32 s3, s7, s3
	s_mul_hi_u32 s9, s7, s2
	s_mul_i32 s8, s8, s2
	s_mul_i32 s2, s7, s2
	;; [unrolled: 1-line block ×3, first 2 shown]
	s_mul_hi_u32 s7, s12, s0
	s_add_i32 s3, s9, s3
	s_add_i32 s1, s7, s1
	s_mul_i32 s0, s12, s0
	s_add_i32 s3, s3, s8
	s_lshl_b64 s[0:1], s[0:1], 1
	s_add_u32 s7, s14, s0
	s_addc_u32 s8, s15, s1
	s_lshl_b64 s[0:1], s[2:3], 1
	s_add_u32 s33, s7, s0
	s_load_dword s9, s[4:5], 0x1b0
	s_addc_u32 s86, s8, s1
	s_load_dwordx4 s[0:3], s[4:5], 0x298
	v_mbcnt_lo_u32_b32 v1, -1, 0
	v_mbcnt_hi_u32_b32 v25, -1, v1
	s_waitcnt lgkmcnt(0)
	s_bitcmp1_b32 s9, 0
	v_cmp_gt_u32_e32 vcc, 64, v0
	v_writelane_b32 v48, s0, 16
	v_writelane_b32 v48, s1, 17
	;; [unrolled: 1-line block ×4, first 2 shown]
	s_cselect_b64 s[0:1], -1, 0
	v_writelane_b32 v48, s0, 20
	v_writelane_b32 v48, s1, 21
	s_xor_b64 s[0:1], s[0:1], -1
	v_writelane_b32 v48, s0, 22
	v_cmp_gt_i32_e64 s[2:3], 4, v25
	v_writelane_b32 v48, s1, 23
	s_and_b64 s[2:3], vcc, s[2:3]
	v_mov_b32_e32 v2, 0x600
	v_writelane_b32 v48, s2, 24
	v_mov_b32_e32 v3, 0
	v_writelane_b32 v48, s3, 25
	v_cmp_gt_u64_e64 s[2:3], s[60:61], v[2:3]
	v_writelane_b32 v48, s2, 26
	v_writelane_b32 v48, s3, 27
	v_mad_u64_u32 v[2:3], s[2:3], v0, s58, 0
	v_mov_b32_e32 v15, 0
	v_mov_b32_e32 v4, v3
	;; [unrolled: 1-line block ×3, first 2 shown]
	v_mad_u64_u32 v[4:5], s[2:3], v0, s59, v[4:5]
	v_cmp_gt_u64_e64 s[2:3], s[60:61], v[0:1]
	v_writelane_b32 v48, s2, 28
	v_writelane_b32 v48, s3, 29
	v_cmp_gt_u32_e64 s[2:3], 2, v0
	v_writelane_b32 v48, s2, 30
	s_barrier
	v_writelane_b32 v48, s3, 31
	s_load_dword s2, s[20:21], 0xc
	v_mov_b32_e32 v3, v4
	v_lshlrev_b64 v[2:3], 1, v[2:3]
	v_add_co_u32_e32 v12, vcc, s33, v2
	s_waitcnt lgkmcnt(0)
	s_and_b32 s87, s2, 0xffff
	s_bfe_u32 s3, s2, 0xa0006
	v_cmp_gt_u16_e64 s[8:9], s2, 63
	v_writelane_b32 v48, s8, 32
	s_add_u32 s2, s87, -1
	v_writelane_b32 v48, s9, 33
	s_addc_u32 s7, 0, -1
	v_writelane_b32 v48, s2, 34
	s_add_u32 s2, s2, s60
	s_addc_u32 s93, s7, s61
	s_cmp_lt_u32 s6, s10
	v_writelane_b32 v48, s2, 35
	s_cselect_b32 s2, 12, 18
	s_add_u32 s6, s20, s2
	v_writelane_b32 v48, s7, 36
	s_addc_u32 s7, s21, 0
	v_writelane_b32 v48, s6, 37
	v_writelane_b32 v48, s7, 38
	s_add_i32 s2, s3, -1
	s_bfe_u32 s6, s87, 0x30006
	s_cmp_gt_u32 s2, 6
	s_cselect_b64 s[8:9], -1, 0
	v_writelane_b32 v48, s8, 39
	s_and_b32 s94, s3, 0x3f8
	v_writelane_b32 v48, s9, 40
	s_cmp_lg_u32 s6, 0
	v_writelane_b32 v48, s6, 41
	s_cselect_b64 s[2:3], -1, 0
	v_writelane_b32 v48, s2, 42
	v_writelane_b32 v48, s3, 43
	;; [unrolled: 1-line block ×4, first 2 shown]
	s_load_dwordx4 s[4:7], s[4:5], 0x440
	v_lshrrev_b32_e32 v2, 4, v0
	v_mov_b32_e32 v26, s86
	v_and_b32_e32 v27, 60, v2
	v_lshlrev_b32_e32 v2, 2, v25
	s_waitcnt lgkmcnt(0)
	v_writelane_b32 v48, s4, 46
	v_addc_co_u32_e32 v13, vcc, v26, v3, vcc
	v_and_b32_e32 v24, 0x100, v2
	v_lshlrev_b64 v[2:3], v25, -1
	v_writelane_b32 v48, s5, 47
	v_lshlrev_b32_e32 v28, 1, v0
	v_not_b32_e32 v10, v2
	v_mov_b32_e32 v2, 0xc00
	v_writelane_b32 v48, s6, 48
	v_cmp_eq_u32_e64 s[0:1], 0, v25
	v_lshlrev_b32_e32 v16, 2, v0
	v_mov_b32_e32 v17, v15
	v_add_u32_e32 v29, 0xc00, v28
	v_not_b32_e32 v11, v3
	s_mov_b32 s88, s85
	v_lshlrev_b32_e32 v30, 3, v0
	v_lshl_or_b32 v31, v25, 3, v2
	s_lshl_b32 s95, s87, 1
	s_mov_b32 s89, 14
	s_mov_b64 s[64:65], 0
	v_pk_mov_b32 v[18:19], s[62:63], s[62:63] op_sel:[0,1]
	v_mov_b32_e32 v32, 0xffff
	v_mov_b32_e32 v33, 0x8000
	;; [unrolled: 1-line block ×3, first 2 shown]
	v_mov_b32_e32 v35, -1
	v_mov_b32_e32 v36, 0x5040100
	v_writelane_b32 v48, s7, 49
	v_mov_b32_e32 v39, 0
	s_mov_b32 s2, 0
	v_mov_b32_e32 v38, 0
	v_mov_b32_e32 v37, 0
                                        ; implicit-def: $sgpr68_sgpr69
                                        ; implicit-def: $sgpr70_sgpr71
                                        ; implicit-def: $sgpr78_sgpr79
                                        ; implicit-def: $sgpr30_sgpr31
                                        ; implicit-def: $sgpr76_sgpr77
                                        ; implicit-def: $sgpr72_sgpr73
                                        ; implicit-def: $sgpr74_sgpr75
                                        ; implicit-def: $sgpr66_sgpr67
                                        ; implicit-def: $sgpr80_sgpr81
                                        ; implicit-def: $sgpr82_sgpr83
	v_writelane_b32 v48, s2, 50
	s_branch .LBB207_12
.LBB207_10:                             ;   in Loop: Header=BB207_12 Depth=1
	s_or_b64 exec, exec, s[8:9]
	s_andn2_b64 s[8:9], s[82:83], exec
	s_and_b64 s[6:7], s[6:7], exec
	s_or_b64 s[82:83], s[8:9], s[6:7]
	s_andn2_b64 s[80:81], s[80:81], exec
	s_andn2_b64 s[66:67], s[66:67], exec
	;; [unrolled: 1-line block ×4, first 2 shown]
	s_orn2_b64 s[4:5], s[4:5], exec
	v_mov_b32_e32 v37, v9
	v_mov_b32_e32 v38, v8
	v_pk_mov_b32 v[18:19], v[2:3], v[2:3] op_sel:[0,1]
	v_mov_b32_e32 v39, v6
.LBB207_11:                             ;   in Loop: Header=BB207_12 Depth=1
	s_or_b64 exec, exec, s[2:3]
	s_and_b64 s[2:3], exec, s[4:5]
	s_or_b64 s[64:65], s[2:3], s[64:65]
	s_andn2_b64 s[2:3], s[76:77], exec
	s_and_b64 s[4:5], s[82:83], exec
	s_or_b64 s[76:77], s[2:3], s[4:5]
	s_andn2_b64 s[2:3], s[30:31], exec
	s_and_b64 s[4:5], s[80:81], exec
	;; [unrolled: 3-line block ×5, first 2 shown]
	s_or_b64 s[68:69], s[2:3], s[4:5]
	s_andn2_b64 exec, exec, s[64:65]
	s_cbranch_execz .LBB207_482
.LBB207_12:                             ; =>This Loop Header: Depth=1
                                        ;     Child Loop BB207_17 Depth 2
                                        ;     Child Loop BB207_32 Depth 2
	;; [unrolled: 1-line block ×24, first 2 shown]
	ds_read_b128 v[2:5], v15 offset:5120
	s_waitcnt lgkmcnt(0)
	v_readfirstlane_b32 s3, v3
	v_readfirstlane_b32 s2, v2
	s_cmp_lg_u64 s[2:3], 0
	s_cbranch_scc1 .LBB207_39
; %bb.13:                               ;   in Loop: Header=BB207_12 Depth=1
	v_readlane_b32 s2, v48, 26
	v_readlane_b32 s3, v48, 27
	s_and_b64 vcc, exec, s[2:3]
	s_cbranch_vccz .LBB207_25
; %bb.14:                               ;   in Loop: Header=BB207_12 Depth=1
	s_mov_b64 s[2:3], 0x601
	v_cmp_gt_u64_e32 vcc, s[2:3], v[4:5]
	s_mov_b64 s[2:3], 0
	s_mov_b64 s[4:5], 0
	s_cbranch_vccz .LBB207_26
; %bb.15:                               ;   in Loop: Header=BB207_12 Depth=1
	v_readlane_b32 s4, v48, 37
	v_readlane_b32 s5, v48, 38
	global_load_ushort v5, v[12:13], off
	v_pk_mov_b32 v[2:3], v[0:1], v[0:1] op_sel:[0,1]
	s_nop 2
	global_load_ushort v4, v15, s[4:5]
	s_mov_b64 s[4:5], 0
	s_branch .LBB207_17
.LBB207_16:                             ;   in Loop: Header=BB207_17 Depth=2
	s_or_b64 exec, exec, s[6:7]
	s_waitcnt vmcnt(0)
	v_mov_b32_e32 v5, v6
	s_andn2_b64 exec, exec, s[4:5]
	s_cbranch_execz .LBB207_98
.LBB207_17:                             ;   Parent Loop BB207_12 Depth=1
                                        ; =>  This Inner Loop Header: Depth=2
	s_waitcnt vmcnt(0)
	v_add_co_u32_sdwa v2, vcc, v2, v4 dst_sel:DWORD dst_unused:UNUSED_PAD src0_sel:DWORD src1_sel:WORD_0
	v_addc_co_u32_e32 v3, vcc, 0, v3, vcc
	v_cmp_gt_u64_e64 s[6:7], s[60:61], v[2:3]
	v_cmp_le_u64_e32 vcc, s[60:61], v[2:3]
	s_waitcnt lgkmcnt(0)
	v_mov_b32_e32 v7, 0
	v_mov_b32_e32 v6, 0
	s_and_saveexec_b64 s[8:9], s[6:7]
	s_cbranch_execz .LBB207_19
; %bb.18:                               ;   in Loop: Header=BB207_17 Depth=2
	v_mul_lo_u32 v6, v3, s58
	v_mul_lo_u32 v14, v2, s59
	v_mad_u64_u32 v[8:9], s[6:7], v2, s58, 0
	v_add3_u32 v9, v9, v14, v6
	v_lshlrev_b64 v[8:9], 1, v[8:9]
	v_add_co_u32_e64 v8, s[6:7], s33, v8
	v_addc_co_u32_e64 v9, s[6:7], v26, v9, s[6:7]
	global_load_ushort v6, v[8:9], off
.LBB207_19:                             ;   in Loop: Header=BB207_17 Depth=2
	s_or_b64 exec, exec, s[8:9]
	v_cmp_lt_i16_e64 s[6:7], -1, v5
	v_cndmask_b32_e64 v8, v32, v33, s[6:7]
	v_xor_b32_sdwa v8, v8, v5 dst_sel:DWORD dst_unused:UNUSED_PAD src0_sel:DWORD src1_sel:WORD_0
	v_cmp_o_f16_e64 s[6:7], v5, v5
	v_cndmask_b32_e64 v8, v32, v8, s[6:7]
	v_and_b32_e32 v8, v8, v37
	v_cmp_eq_u32_e64 s[14:15], v8, v38
	s_cmp_lg_u64 s[14:15], 0
	s_cselect_b64 s[6:7], -1, 0
	s_and_b64 s[6:7], s[0:1], s[6:7]
	s_and_saveexec_b64 s[8:9], s[6:7]
	s_cbranch_execz .LBB207_23
; %bb.20:                               ;   in Loop: Header=BB207_17 Depth=2
	s_mov_b64 s[12:13], exec
	v_mbcnt_lo_u32_b32 v7, s12, 0
	v_mbcnt_hi_u32_b32 v7, s13, v7
	s_bcnt1_i32_b64 s16, s[14:15]
	v_cmp_eq_u32_e64 s[6:7], 0, v7
                                        ; implicit-def: $vgpr8
	s_and_saveexec_b64 s[10:11], s[6:7]
	s_cbranch_execz .LBB207_22
; %bb.21:                               ;   in Loop: Header=BB207_17 Depth=2
	s_bcnt1_i32_b64 s6, s[12:13]
	s_mul_i32 s6, s16, s6
	v_mov_b32_e32 v8, s6
	ds_add_rtn_u32 v8, v15, v8 offset:5144
.LBB207_22:                             ;   in Loop: Header=BB207_17 Depth=2
	s_or_b64 exec, exec, s[10:11]
	s_waitcnt lgkmcnt(0)
	v_readfirstlane_b32 s6, v8
	v_mov_b32_e32 v8, s6
	v_mad_u32_u24 v7, s16, v7, v8
.LBB207_23:                             ;   in Loop: Header=BB207_17 Depth=2
	s_or_b64 exec, exec, s[8:9]
	ds_bpermute_b32 v7, v24, v7
	s_and_b64 s[6:7], exec, vcc
	s_or_b64 s[4:5], s[6:7], s[4:5]
	s_and_saveexec_b64 s[6:7], s[14:15]
	s_cbranch_execz .LBB207_16
; %bb.24:                               ;   in Loop: Header=BB207_17 Depth=2
	v_and_b32_e32 v9, s14, v10
	v_and_b32_e32 v8, s15, v11
	v_bcnt_u32_b32 v9, v9, 0
	v_bcnt_u32_b32 v8, v8, v9
	v_lshlrev_b32_e32 v8, 1, v8
	s_waitcnt lgkmcnt(0)
	v_lshl_add_u32 v7, v7, 1, v8
	ds_write_b16 v7, v5
	s_branch .LBB207_16
.LBB207_25:                             ;   in Loop: Header=BB207_12 Depth=1
	s_mov_b64 s[2:3], -1
	s_mov_b64 s[4:5], 0
.LBB207_26:                             ;   in Loop: Header=BB207_12 Depth=1
	s_and_b64 vcc, exec, s[2:3]
	s_cbranch_vccz .LBB207_37
.LBB207_27:                             ;   in Loop: Header=BB207_12 Depth=1
	v_mov_b32_e32 v4, 0
	s_mov_b64 s[2:3], exec
	v_readlane_b32 s4, v48, 28
	v_readlane_b32 s5, v48, 29
	s_and_b64 s[4:5], s[2:3], s[4:5]
	s_mov_b64 exec, s[4:5]
	s_cbranch_execz .LBB207_29
; %bb.28:                               ;   in Loop: Header=BB207_12 Depth=1
	global_load_ushort v4, v[12:13], off
.LBB207_29:                             ;   in Loop: Header=BB207_12 Depth=1
	s_or_b64 exec, exec, s[2:3]
	s_mov_b64 s[2:3], exec
	v_readlane_b32 s4, v48, 28
	v_readlane_b32 s5, v48, 29
	s_and_b64 s[4:5], s[2:3], s[4:5]
	s_mov_b64 exec, s[4:5]
	s_cbranch_execz .LBB207_34
; %bb.30:                               ;   in Loop: Header=BB207_12 Depth=1
	v_readlane_b32 s4, v48, 37
	v_readlane_b32 s5, v48, 38
	v_mov_b32_e32 v5, v28
	s_nop 3
	global_load_ushort v2, v15, s[4:5]
	s_mov_b64 s[4:5], 0
	s_waitcnt vmcnt(0)
	v_and_b32_e32 v6, 0xffff, v2
	v_lshlrev_b32_e32 v7, 1, v6
	v_pk_mov_b32 v[2:3], v[0:1], v[0:1] op_sel:[0,1]
	s_branch .LBB207_32
.LBB207_31:                             ;   in Loop: Header=BB207_32 Depth=2
	s_or_b64 exec, exec, s[8:9]
	s_and_b64 s[6:7], exec, vcc
	s_or_b64 s[4:5], s[6:7], s[4:5]
	ds_write_b16 v5, v4
	v_add_u32_e32 v5, v5, v7
	s_waitcnt vmcnt(0)
	v_mov_b32_e32 v4, v8
	s_andn2_b64 exec, exec, s[4:5]
	s_cbranch_execz .LBB207_34
.LBB207_32:                             ;   Parent Loop BB207_12 Depth=1
                                        ; =>  This Inner Loop Header: Depth=2
	v_add_co_u32_e32 v2, vcc, v2, v6
	v_addc_co_u32_e32 v3, vcc, 0, v3, vcc
	v_cmp_gt_u64_e64 s[6:7], s[60:61], v[2:3]
	v_cmp_le_u64_e32 vcc, s[60:61], v[2:3]
	v_mov_b32_e32 v8, 0
	s_and_saveexec_b64 s[8:9], s[6:7]
	s_cbranch_execz .LBB207_31
; %bb.33:                               ;   in Loop: Header=BB207_32 Depth=2
	v_mul_lo_u32 v14, v3, s58
	v_mul_lo_u32 v20, v2, s59
	v_mad_u64_u32 v[8:9], s[6:7], v2, s58, 0
	v_add3_u32 v9, v9, v20, v14
	v_lshlrev_b64 v[8:9], 1, v[8:9]
	v_mov_b32_e32 v14, s86
	v_add_co_u32_e64 v8, s[6:7], s33, v8
	v_addc_co_u32_e64 v9, s[6:7], v14, v9, s[6:7]
	global_load_ushort v8, v[8:9], off
	s_branch .LBB207_31
.LBB207_34:                             ;   in Loop: Header=BB207_12 Depth=1
	s_or_b64 exec, exec, s[2:3]
	s_waitcnt lgkmcnt(0)
	s_barrier
	s_mov_b64 s[2:3], exec
	v_readlane_b32 s4, v48, 12
	v_readlane_b32 s5, v48, 13
	s_and_b64 s[4:5], s[2:3], s[4:5]
	s_mov_b64 exec, s[4:5]
	s_cbranch_execz .LBB207_36
; %bb.35:                               ;   in Loop: Header=BB207_12 Depth=1
	v_pk_mov_b32 v[2:3], s[60:61], s[60:61] op_sel:[0,1]
	ds_write_b64 v15, v[2:3] offset:5120
.LBB207_36:                             ;   in Loop: Header=BB207_12 Depth=1
	s_or_b64 exec, exec, s[2:3]
	s_mov_b64 s[4:5], -1
	s_waitcnt lgkmcnt(0)
	s_barrier
                                        ; implicit-def: $sgpr2_sgpr3
.LBB207_37:                             ;   in Loop: Header=BB207_12 Depth=1
	s_and_b64 vcc, exec, s[4:5]
	s_cbranch_vccz .LBB207_39
; %bb.38:                               ;   in Loop: Header=BB207_12 Depth=1
	ds_read_b64 v[2:3], v15 offset:5120
	s_waitcnt lgkmcnt(0)
	v_readfirstlane_b32 s2, v2
.LBB207_39:                             ;   in Loop: Header=BB207_12 Depth=1
	s_cmp_lt_i32 s2, 1
	s_cbranch_scc0 .LBB207_54
; %bb.40:                               ;   in Loop: Header=BB207_12 Depth=1
	v_readlane_b32 s4, v48, 37
	v_readlane_b32 s5, v48, 38
	s_nop 4
	global_load_ushort v40, v15, s[4:5]
	s_mov_b32 s4, s85
	s_mov_b32 s5, s61
	s_waitcnt vmcnt(0)
	v_readfirstlane_b32 s3, v40
	s_and_b32 s3, 0xffff, s3
	s_lshl_b32 s3, s3, 2
	s_cmp_lg_u64 s[4:5], 0
	s_cbranch_scc0 .LBB207_74
; %bb.41:                               ;   in Loop: Header=BB207_12 Depth=1
	v_cvt_f32_u32_e32 v2, s3
	s_sub_u32 s4, 0, s3
	s_subb_u32 s5, 0, 0
	v_mac_f32_e32 v2, 0, v34
	v_rcp_f32_e32 v2, v2
	v_mul_f32_e32 v2, 0x5f7ffffc, v2
	v_mul_f32_e32 v3, 0x2f800000, v2
	v_trunc_f32_e32 v3, v3
	v_mac_f32_e32 v2, 0xcf800000, v3
	v_cvt_u32_f32_e32 v3, v3
	v_cvt_u32_f32_e32 v2, v2
	v_readfirstlane_b32 s6, v3
	v_readfirstlane_b32 s7, v2
	s_mul_i32 s8, s4, s6
	s_mul_hi_u32 s10, s4, s7
	s_mul_i32 s9, s5, s7
	s_add_i32 s8, s10, s8
	s_mul_i32 s11, s4, s7
	s_add_i32 s8, s8, s9
	s_mul_hi_u32 s10, s7, s11
	s_mul_hi_u32 s9, s7, s8
	s_mul_i32 s7, s7, s8
	s_add_u32 s7, s10, s7
	s_addc_u32 s9, 0, s9
	s_mul_hi_u32 s12, s6, s11
	s_mul_i32 s11, s6, s11
	s_add_u32 s7, s7, s11
	s_mul_hi_u32 s10, s6, s8
	s_addc_u32 s7, s9, s12
	s_addc_u32 s9, s10, 0
	s_mul_i32 s8, s6, s8
	s_add_u32 s7, s7, s8
	s_addc_u32 s8, 0, s9
	v_add_co_u32_e32 v2, vcc, s7, v2
	s_cmp_lg_u64 vcc, 0
	s_addc_u32 s6, s6, s8
	v_readfirstlane_b32 s8, v2
	s_mul_i32 s7, s4, s6
	s_mul_hi_u32 s9, s4, s8
	s_add_i32 s7, s9, s7
	s_mul_i32 s5, s5, s8
	s_add_i32 s7, s7, s5
	s_mul_i32 s4, s4, s8
	s_mul_hi_u32 s9, s6, s4
	s_mul_i32 s10, s6, s4
	s_mul_i32 s12, s8, s7
	s_mul_hi_u32 s4, s8, s4
	s_mul_hi_u32 s11, s8, s7
	s_add_u32 s4, s4, s12
	s_addc_u32 s8, 0, s11
	s_add_u32 s4, s4, s10
	s_mul_hi_u32 s5, s6, s7
	s_addc_u32 s4, s8, s9
	s_addc_u32 s5, s5, 0
	s_mul_i32 s7, s6, s7
	s_add_u32 s4, s4, s7
	s_addc_u32 s5, 0, s5
	v_add_co_u32_e32 v2, vcc, s4, v2
	s_cmp_lg_u64 vcc, 0
	s_addc_u32 s4, s6, s5
	v_readfirstlane_b32 s7, v2
	s_mul_i32 s6, s60, s4
	s_mul_hi_u32 s8, s60, s7
	s_mul_hi_u32 s5, s60, s4
	s_add_u32 s6, s8, s6
	s_addc_u32 s5, 0, s5
	s_mul_hi_u32 s9, s61, s7
	s_mul_i32 s7, s61, s7
	s_add_u32 s6, s6, s7
	s_mul_hi_u32 s8, s61, s4
	s_addc_u32 s5, s5, s9
	s_addc_u32 s6, s8, 0
	s_mul_i32 s4, s61, s4
	s_add_u32 s4, s5, s4
	s_addc_u32 s5, 0, s6
	s_mul_hi_u32 s6, s3, s4
	s_mul_i32 s4, s3, s4
	s_mul_i32 s5, s3, s5
	v_mov_b32_e32 v2, s4
	s_add_i32 s6, s6, s5
	v_sub_co_u32_e32 v2, vcc, s60, v2
	s_cmp_lg_u64 vcc, 0
	s_subb_u32 s4, s61, s6
	v_subrev_co_u32_e32 v3, vcc, s3, v2
	s_cmp_lg_u64 vcc, 0
	s_subb_u32 s5, s4, 0
	v_subrev_co_u32_e32 v4, vcc, s3, v3
	s_cmp_lg_u64 vcc, 0
	s_subb_u32 s6, s5, 0
	v_cmp_le_u32_e32 vcc, s3, v3
	s_cmp_eq_u32 s5, 0
	v_cndmask_b32_e64 v5, 0, -1, vcc
	s_cselect_b64 vcc, -1, 0
	v_cndmask_b32_e32 v5, -1, v5, vcc
	v_mov_b32_e32 v6, s5
	v_mov_b32_e32 v7, s6
	v_cmp_ne_u32_e32 vcc, 0, v5
	v_cndmask_b32_e32 v5, v6, v7, vcc
	v_cndmask_b32_e32 v4, v3, v4, vcc
	v_cmp_le_u32_e32 vcc, s3, v2
	s_cmp_eq_u32 s4, 0
	v_cndmask_b32_e64 v3, 0, -1, vcc
	s_cselect_b64 vcc, -1, 0
	v_cndmask_b32_e32 v3, -1, v3, vcc
	v_mov_b32_e32 v6, s4
	v_cmp_ne_u32_e32 vcc, 0, v3
	v_cndmask_b32_e32 v3, v6, v5, vcc
	v_cndmask_b32_e32 v2, v2, v4, vcc
	s_cbranch_execnz .LBB207_43
.LBB207_42:                             ;   in Loop: Header=BB207_12 Depth=1
	v_cvt_f32_u32_e32 v2, s3
	s_sub_i32 s4, 0, s3
	v_rcp_iflag_f32_e32 v2, v2
	v_mul_f32_e32 v2, 0x4f7ffffe, v2
	v_cvt_u32_f32_e32 v2, v2
	v_mul_lo_u32 v3, s4, v2
	v_mul_hi_u32 v3, v2, v3
	v_add_u32_e32 v2, v2, v3
	v_mul_hi_u32 v2, s60, v2
	v_mul_lo_u32 v2, v2, s3
	v_sub_u32_e32 v2, s60, v2
	v_subrev_u32_e32 v3, s3, v2
	v_cmp_le_u32_e32 vcc, s3, v2
	v_cndmask_b32_e32 v2, v2, v3, vcc
	v_subrev_u32_e32 v3, s3, v2
	v_cmp_le_u32_e32 vcc, s3, v2
	v_cndmask_b32_e32 v14, v2, v3, vcc
	v_pk_mov_b32 v[2:3], v[14:15], v[14:15] op_sel:[0,1]
.LBB207_43:                             ;   in Loop: Header=BB207_12 Depth=1
	v_mov_b32_e32 v4, s61
	v_sub_co_u32_e32 v20, vcc, s60, v2
	v_subb_co_u32_e32 v21, vcc, v4, v3, vcc
	v_pk_mov_b32 v[2:3], 0, 0
	v_cmp_gt_u64_e32 vcc, v[20:21], v[16:17]
	s_mov_b64 s[54:55], 0
	v_pk_mov_b32 v[4:5], v[2:3], v[2:3] op_sel:[0,1]
	v_pk_mov_b32 v[6:7], v[2:3], v[2:3] op_sel:[0,1]
	v_pk_mov_b32 v[8:9], v[2:3], v[2:3] op_sel:[0,1]
	s_and_saveexec_b64 s[8:9], vcc
	s_cbranch_execz .LBB207_47
; %bb.44:                               ;   in Loop: Header=BB207_12 Depth=1
	s_and_b32 s84, s89, 0xfe
	s_mov_b64 s[10:11], 0
	s_mov_b64 s[56:57], 0
	s_mov_b64 s[90:91], 0
	s_mov_b64 s[12:13], 0
	v_pk_mov_b32 v[22:23], v[16:17], v[16:17] op_sel:[0,1]
.LBB207_45:                             ;   Parent Loop BB207_12 Depth=1
                                        ; =>  This Inner Loop Header: Depth=2
	v_mul_lo_u32 v4, v23, s58
	v_mul_lo_u32 v5, v22, s59
	v_mad_u64_u32 v[2:3], s[4:5], v22, s58, 0
	v_add3_u32 v3, v3, v5, v4
	v_lshlrev_b64 v[2:3], 1, v[2:3]
	v_mov_b32_e32 v6, s86
	v_add_co_u32_e64 v2, s[6:7], s33, v2
	s_lshl_b64 s[4:5], s[58:59], 1
	v_addc_co_u32_e64 v3, s[6:7], v6, v3, s[6:7]
	v_mov_b32_e32 v4, s5
	global_load_ushort v5, v[2:3], off
	v_add_co_u32_e64 v2, s[6:7], s4, v2
	v_addc_co_u32_e64 v3, s[6:7], v3, v4, s[6:7]
	global_load_ushort v6, v[2:3], off
	v_add_co_u32_e64 v2, s[6:7], s4, v2
	v_addc_co_u32_e64 v3, s[6:7], v3, v4, s[6:7]
	;; [unrolled: 3-line block ×3, first 2 shown]
	global_load_ushort v2, v[2:3], off
	v_add_co_u32_e32 v22, vcc, s3, v22
	v_addc_co_u32_e32 v23, vcc, 0, v23, vcc
	v_cmp_ge_u64_e32 vcc, v[22:23], v[20:21]
	s_waitcnt vmcnt(3)
	v_cmp_lt_i16_e64 s[6:7], -1, v5
	v_cndmask_b32_e64 v3, v32, v33, s[6:7]
	v_xor_b32_sdwa v3, v3, v5 dst_sel:DWORD dst_unused:UNUSED_PAD src0_sel:DWORD src1_sel:WORD_0
	s_waitcnt vmcnt(2)
	v_cmp_lt_i16_e64 s[6:7], -1, v6
	v_cndmask_b32_e64 v4, v32, v33, s[6:7]
	v_cmp_o_f16_e64 s[6:7], v5, v5
	v_cndmask_b32_e64 v3, v32, v3, s[6:7]
	v_xor_b32_sdwa v4, v4, v6 dst_sel:DWORD dst_unused:UNUSED_PAD src0_sel:DWORD src1_sel:WORD_0
	s_waitcnt vmcnt(1)
	v_cmp_lt_i16_e64 s[6:7], -1, v7
	v_cndmask_b32_e64 v5, v32, v33, s[6:7]
	v_cmp_o_f16_e64 s[6:7], v6, v6
	v_cndmask_b32_e64 v4, v32, v4, s[6:7]
	v_xor_b32_sdwa v5, v5, v7 dst_sel:DWORD dst_unused:UNUSED_PAD src0_sel:DWORD src1_sel:WORD_0
	s_waitcnt vmcnt(0)
	v_cmp_lt_i16_e64 s[6:7], -1, v2
	v_cndmask_b32_e64 v6, v32, v33, s[6:7]
	v_and_b32_e32 v8, v3, v37
	v_bfe_u32 v3, v3, s84, 2
	v_cmp_o_f16_e64 s[6:7], v7, v7
	v_cndmask_b32_e64 v5, v32, v5, s[6:7]
	v_xor_b32_sdwa v6, v6, v2 dst_sel:DWORD dst_unused:UNUSED_PAD src0_sel:DWORD src1_sel:WORD_0
	v_cmp_eq_u32_e64 s[14:15], v8, v38
	v_and_b32_e32 v7, v4, v37
	v_bfe_u32 v4, v4, s84, 2
	v_cmp_eq_u32_e64 s[6:7], 0, v3
	v_cmp_o_f16_e64 s[16:17], v2, v2
	v_cmp_eq_u32_e64 s[34:35], 1, v3
	v_cmp_eq_u32_e64 s[36:37], 2, v3
	;; [unrolled: 1-line block ×3, first 2 shown]
	v_cndmask_b32_e64 v2, v32, v6, s[16:17]
	v_cmp_eq_u32_e64 s[16:17], v7, v38
	v_and_b32_e32 v3, v5, v37
	v_bfe_u32 v5, v5, s84, 2
	v_cmp_eq_u32_e64 s[26:27], 0, v4
	s_and_b64 s[4:5], s[14:15], s[6:7]
	v_cmp_eq_u32_e64 s[38:39], 1, v4
	v_cmp_eq_u32_e64 s[40:41], 2, v4
	;; [unrolled: 1-line block ×3, first 2 shown]
	v_cndmask_b32_e64 v4, 0, 1, s[4:5]
	v_cmp_eq_u32_e64 s[22:23], v3, v38
	v_and_b32_e32 v3, v2, v37
	v_bfe_u32 v2, v2, s84, 2
	v_cmp_eq_u32_e64 s[6:7], 0, v5
	s_and_b64 s[4:5], s[16:17], s[26:27]
	v_cmp_ne_u32_e64 s[46:47], 0, v4
	v_cndmask_b32_e64 v4, 0, 1, s[4:5]
	v_cmp_eq_u32_e64 s[26:27], v3, v38
	v_cmp_eq_u32_e64 s[48:49], 0, v2
	s_and_b64 s[4:5], s[22:23], s[6:7]
	v_cmp_eq_u32_e64 s[50:51], 1, v2
	v_cmp_eq_u32_e64 s[52:53], 2, v2
	;; [unrolled: 1-line block ×3, first 2 shown]
	v_cndmask_b32_e64 v2, 0, 1, s[4:5]
	s_and_b64 s[4:5], s[26:27], s[48:49]
	v_cmp_ne_u32_e64 s[6:7], 0, v2
	v_cndmask_b32_e64 v2, 0, 1, s[4:5]
	s_bcnt1_i32_b64 s92, s[46:47]
	v_cmp_ne_u32_e64 s[46:47], 0, v4
	s_bcnt1_i32_b64 s4, s[6:7]
	v_cmp_ne_u32_e64 s[6:7], 0, v2
	s_bcnt1_i32_b64 s46, s[46:47]
	s_bcnt1_i32_b64 s5, s[6:7]
	s_add_u32 s6, s92, s12
	s_addc_u32 s7, 0, s13
	s_add_u32 s6, s6, s46
	s_addc_u32 s7, s7, 0
	;; [unrolled: 2-line block ×4, first 2 shown]
	s_and_b64 s[4:5], s[14:15], s[34:35]
	v_cmp_eq_u32_e64 s[42:43], 1, v5
	v_cndmask_b32_e64 v4, 0, 1, s[4:5]
	s_and_b64 s[4:5], s[16:17], s[38:39]
	v_cmp_eq_u32_e64 s[44:45], 2, v5
	v_cmp_eq_u32_e64 s[24:25], 3, v5
	v_cndmask_b32_e64 v5, 0, 1, s[4:5]
	s_and_b64 s[4:5], s[22:23], s[42:43]
	v_cndmask_b32_e64 v6, 0, 1, s[4:5]
	s_and_b64 s[4:5], s[26:27], s[50:51]
	v_cndmask_b32_e64 v7, 0, 1, s[4:5]
	v_cmp_ne_u32_e64 s[6:7], 0, v4
	v_cmp_ne_u32_e64 s[34:35], 0, v5
	;; [unrolled: 1-line block ×4, first 2 shown]
	s_bcnt1_i32_b64 s4, s[6:7]
	s_bcnt1_i32_b64 s5, s[34:35]
	;; [unrolled: 1-line block ×4, first 2 shown]
	s_add_u32 s4, s4, s90
	s_addc_u32 s34, 0, s91
	s_add_u32 s4, s4, s5
	s_addc_u32 s5, s34, 0
	;; [unrolled: 2-line block ×4, first 2 shown]
	s_and_b64 s[4:5], s[14:15], s[36:37]
	v_cndmask_b32_e64 v6, 0, 1, s[4:5]
	s_and_b64 s[4:5], s[16:17], s[40:41]
	v_cndmask_b32_e64 v7, 0, 1, s[4:5]
	;; [unrolled: 2-line block ×4, first 2 shown]
	v_cmp_ne_u32_e64 s[6:7], 0, v6
	v_cmp_ne_u32_e64 s[34:35], 0, v7
	;; [unrolled: 1-line block ×4, first 2 shown]
	s_bcnt1_i32_b64 s4, s[6:7]
	s_bcnt1_i32_b64 s5, s[34:35]
	;; [unrolled: 1-line block ×4, first 2 shown]
	s_add_u32 s4, s4, s56
	s_addc_u32 s34, 0, s57
	s_add_u32 s4, s4, s5
	s_addc_u32 s5, s34, 0
	;; [unrolled: 2-line block ×4, first 2 shown]
	s_and_b64 s[4:5], s[14:15], s[18:19]
	v_cndmask_b32_e64 v8, 0, 1, s[4:5]
	s_and_b64 s[4:5], s[16:17], s[20:21]
	v_cndmask_b32_e64 v9, 0, 1, s[4:5]
	s_and_b64 s[4:5], s[22:23], s[24:25]
	v_cndmask_b32_e64 v14, 0, 1, s[4:5]
	s_and_b64 s[4:5], s[26:27], s[28:29]
	v_cndmask_b32_e64 v41, 0, 1, s[4:5]
	v_cmp_ne_u32_e64 s[6:7], 0, v8
	v_cmp_ne_u32_e64 s[14:15], 0, v9
	;; [unrolled: 1-line block ×4, first 2 shown]
	s_bcnt1_i32_b64 s4, s[6:7]
	s_bcnt1_i32_b64 s5, s[14:15]
	;; [unrolled: 1-line block ×4, first 2 shown]
	s_add_u32 s4, s4, s10
	s_addc_u32 s10, 0, s11
	s_add_u32 s4, s4, s5
	s_addc_u32 s5, s10, 0
	;; [unrolled: 2-line block ×4, first 2 shown]
	v_pk_mov_b32 v[2:3], s[12:13], s[12:13] op_sel:[0,1]
	v_pk_mov_b32 v[4:5], s[90:91], s[90:91] op_sel:[0,1]
	;; [unrolled: 1-line block ×3, first 2 shown]
	s_or_b64 s[54:55], vcc, s[54:55]
	v_pk_mov_b32 v[8:9], s[10:11], s[10:11] op_sel:[0,1]
	s_andn2_b64 exec, exec, s[54:55]
	s_cbranch_execnz .LBB207_45
; %bb.46:                               ;   in Loop: Header=BB207_12 Depth=1
	s_or_b64 exec, exec, s[54:55]
.LBB207_47:                             ;   in Loop: Header=BB207_12 Depth=1
	s_or_b64 exec, exec, s[8:9]
	v_add_co_u32_e32 v20, vcc, v20, v0
	v_addc_co_u32_e32 v21, vcc, 0, v21, vcc
	v_cmp_gt_u64_e32 vcc, s[60:61], v[20:21]
	v_mov_b32_e32 v14, 0
	s_and_saveexec_b64 s[4:5], vcc
	s_cbranch_execz .LBB207_49
; %bb.48:                               ;   in Loop: Header=BB207_12 Depth=1
	v_mul_lo_u32 v14, v21, s58
	v_mul_lo_u32 v41, v20, s59
	v_mad_u64_u32 v[22:23], s[6:7], v20, s58, 0
	v_add3_u32 v23, v23, v41, v14
	v_lshlrev_b64 v[22:23], 1, v[22:23]
	v_mov_b32_e32 v14, s86
	v_add_co_u32_e64 v22, s[6:7], s33, v22
	v_addc_co_u32_e64 v23, s[6:7], v14, v23, s[6:7]
	global_load_ushort v14, v[22:23], off
.LBB207_49:                             ;   in Loop: Header=BB207_12 Depth=1
	s_or_b64 exec, exec, s[4:5]
	s_and_saveexec_b64 s[4:5], vcc
	s_cbranch_execz .LBB207_56
; %bb.50:                               ;   in Loop: Header=BB207_12 Depth=1
	s_and_b32 s3, s89, 0xfe
	s_mov_b64 s[8:9], 0
	s_branch .LBB207_52
.LBB207_51:                             ;   in Loop: Header=BB207_52 Depth=2
	s_or_b64 exec, exec, s[10:11]
	s_and_b64 s[6:7], exec, vcc
	s_waitcnt vmcnt(0)
	v_cmp_lt_i16_e32 vcc, -1, v14
	v_cndmask_b32_e32 v23, v32, v33, vcc
	v_xor_b32_sdwa v23, v23, v14 dst_sel:DWORD dst_unused:UNUSED_PAD src0_sel:DWORD src1_sel:WORD_0
	v_cmp_o_f16_e32 vcc, v14, v14
	v_cndmask_b32_e32 v14, v32, v23, vcc
	v_and_b32_e32 v23, v14, v37
	v_bfe_u32 v14, v14, s3, 2
	s_or_b64 s[8:9], s[6:7], s[8:9]
	v_cmp_eq_u32_e32 vcc, v23, v38
	v_cmp_eq_u32_e64 s[6:7], 0, v14
	s_and_b64 s[6:7], vcc, s[6:7]
	v_cndmask_b32_e64 v23, 0, 1, s[6:7]
	v_cmp_ne_u32_e64 s[6:7], 0, v23
	s_bcnt1_i32_b64 s6, s[6:7]
	v_add_co_u32_e64 v2, s[6:7], s6, v2
	v_addc_co_u32_e64 v3, s[6:7], 0, v3, s[6:7]
	v_cmp_eq_u32_e64 s[6:7], 1, v14
	s_and_b64 s[6:7], vcc, s[6:7]
	v_cndmask_b32_e64 v23, 0, 1, s[6:7]
	v_cmp_ne_u32_e64 s[6:7], 0, v23
	s_bcnt1_i32_b64 s6, s[6:7]
	v_add_co_u32_e64 v4, s[6:7], s6, v4
	v_addc_co_u32_e64 v5, s[6:7], 0, v5, s[6:7]
	;; [unrolled: 7-line block ×3, first 2 shown]
	v_cmp_eq_u32_e64 s[6:7], 3, v14
	s_and_b64 s[6:7], vcc, s[6:7]
	v_cndmask_b32_e64 v14, 0, 1, s[6:7]
	v_cmp_ne_u32_e32 vcc, 0, v14
	s_bcnt1_i32_b64 s6, vcc
	v_add_co_u32_e32 v8, vcc, s6, v8
	v_addc_co_u32_e32 v9, vcc, 0, v9, vcc
	v_mov_b32_e32 v14, v22
	s_andn2_b64 exec, exec, s[8:9]
	s_cbranch_execz .LBB207_55
.LBB207_52:                             ;   Parent Loop BB207_12 Depth=1
                                        ; =>  This Inner Loop Header: Depth=2
	v_add_co_u32_sdwa v20, vcc, v20, v40 dst_sel:DWORD dst_unused:UNUSED_PAD src0_sel:DWORD src1_sel:WORD_0
	v_addc_co_u32_e32 v21, vcc, 0, v21, vcc
	v_cmp_gt_u64_e64 s[6:7], s[60:61], v[20:21]
	v_cmp_le_u64_e32 vcc, s[60:61], v[20:21]
	v_mov_b32_e32 v22, 0
	s_and_saveexec_b64 s[10:11], s[6:7]
	s_cbranch_execz .LBB207_51
; %bb.53:                               ;   in Loop: Header=BB207_52 Depth=2
	v_mul_lo_u32 v41, v21, s58
	v_mul_lo_u32 v42, v20, s59
	v_mad_u64_u32 v[22:23], s[6:7], v20, s58, 0
	v_add3_u32 v23, v23, v42, v41
	v_lshlrev_b64 v[22:23], 1, v[22:23]
	v_mov_b32_e32 v41, s86
	v_add_co_u32_e64 v22, s[6:7], s33, v22
	v_addc_co_u32_e64 v23, s[6:7], v41, v23, s[6:7]
	global_load_ushort v22, v[22:23], off
	s_branch .LBB207_51
.LBB207_54:                             ;   in Loop: Header=BB207_12 Depth=1
                                        ; implicit-def: $vgpr8_vgpr9
                                        ; implicit-def: $vgpr4_vgpr5
	s_cbranch_execnz .LBB207_57
	s_branch .LBB207_66
.LBB207_55:                             ;   in Loop: Header=BB207_12 Depth=1
	s_or_b64 exec, exec, s[8:9]
.LBB207_56:                             ;   in Loop: Header=BB207_12 Depth=1
	s_or_b64 exec, exec, s[4:5]
	s_branch .LBB207_66
.LBB207_57:                             ;   in Loop: Header=BB207_12 Depth=1
	v_readlane_b32 s4, v48, 37
	v_readlane_b32 s5, v48, 38
	s_mov_b64 s[8:9], 0
	s_nop 3
	global_load_ushort v8, v15, s[4:5]
	s_waitcnt vmcnt(0)
	v_readfirstlane_b32 s3, v8
	s_and_b32 s3, 0xffff, s3
	s_lshl_b32 s3, s3, 2
	v_cvt_f32_u32_e32 v2, s3
	s_sub_i32 s4, 0, s3
	v_and_b32_e32 v22, 0xffff, v8
	v_rcp_iflag_f32_e32 v6, v2
	v_pk_mov_b32 v[2:3], 0, 0
	v_pk_mov_b32 v[4:5], v[2:3], v[2:3] op_sel:[0,1]
	v_mul_f32_e32 v6, 0x4f7ffffe, v6
	v_cvt_u32_f32_e32 v9, v6
	v_pk_mov_b32 v[6:7], v[2:3], v[2:3] op_sel:[0,1]
	v_readfirstlane_b32 s5, v9
	s_mul_i32 s4, s4, s5
	s_mul_hi_u32 s4, s5, s4
	s_add_i32 s5, s5, s4
	s_mul_hi_u32 s4, s2, s5
	s_mul_i32 s4, s4, s3
	s_sub_i32 s4, s2, s4
	s_sub_i32 s5, s4, s3
	s_cmp_ge_u32 s4, s3
	s_cselect_b32 s4, s5, s4
	s_sub_i32 s5, s4, s3
	s_cmp_ge_u32 s4, s3
	s_cselect_b32 s4, s5, s4
	s_sub_i32 s84, s2, s4
	v_cmp_gt_u32_e32 vcc, s84, v16
	v_pk_mov_b32 v[8:9], v[2:3], v[2:3] op_sel:[0,1]
	s_and_saveexec_b64 s[10:11], vcc
	s_cbranch_execz .LBB207_61
; %bb.58:                               ;   in Loop: Header=BB207_12 Depth=1
	s_and_b32 s92, s89, 0xfe
	v_lshlrev_b32_e32 v14, 3, v22
	v_mov_b32_e32 v23, v30
	s_mov_b64 s[12:13], 0
	s_mov_b64 s[56:57], 0
	;; [unrolled: 1-line block ×4, first 2 shown]
	v_pk_mov_b32 v[20:21], v[16:17], v[16:17] op_sel:[0,1]
.LBB207_59:                             ;   Parent Loop BB207_12 Depth=1
                                        ; =>  This Inner Loop Header: Depth=2
	ds_read_b64 v[2:3], v23
	v_add_co_u32_e32 v20, vcc, s3, v20
	v_addc_co_u32_e32 v21, vcc, 0, v21, vcc
	s_waitcnt lgkmcnt(0)
	v_cmp_lt_i16_e64 s[6:7], -1, v2
	v_cndmask_b32_e64 v4, v32, v33, s[6:7]
	v_cmp_gt_i16_sdwa s[6:7], v2, v35 src0_sel:WORD_1 src1_sel:DWORD
	v_cndmask_b32_e64 v5, v32, v33, s[6:7]
	v_cmp_lt_i16_e64 s[6:7], -1, v3
	v_cndmask_b32_e64 v6, v32, v33, s[6:7]
	v_cmp_gt_i16_sdwa s[6:7], v3, v35 src0_sel:WORD_1 src1_sel:DWORD
	v_cndmask_b32_e64 v7, v32, v33, s[6:7]
	v_xor_b32_sdwa v6, v6, v3 dst_sel:DWORD dst_unused:UNUSED_PAD src0_sel:DWORD src1_sel:WORD_0
	v_cmp_o_f16_e64 s[14:15], v3, v3
	v_xor_b32_sdwa v7, v7, v3 dst_sel:DWORD dst_unused:UNUSED_PAD src0_sel:DWORD src1_sel:WORD_1
	v_cmp_o_f16_sdwa s[16:17], v3, v3 src0_sel:WORD_1 src1_sel:WORD_1
	v_xor_b32_sdwa v3, v4, v2 dst_sel:DWORD dst_unused:UNUSED_PAD src0_sel:DWORD src1_sel:WORD_0
	v_cmp_o_f16_e64 s[18:19], v2, v2
	v_xor_b32_sdwa v5, v5, v2 dst_sel:DWORD dst_unused:UNUSED_PAD src0_sel:DWORD src1_sel:WORD_1
	v_cmp_o_f16_sdwa s[6:7], v2, v2 src0_sel:WORD_1 src1_sel:WORD_1
	v_cndmask_b32_e64 v2, v32, v3, s[18:19]
	v_cndmask_b32_e64 v3, v32, v5, s[6:7]
	v_cndmask_b32_e64 v4, v32, v6, s[14:15]
	v_and_b32_e32 v6, v2, v37
	v_bfe_u32 v2, v2, s92, 2
	v_cndmask_b32_e64 v5, v32, v7, s[16:17]
	v_and_b32_e32 v7, v3, v37
	v_bfe_u32 v3, v3, s92, 2
	v_cmp_eq_u32_e64 s[20:21], v6, v38
	v_cmp_eq_u32_e64 s[6:7], 0, v2
	v_and_b32_e32 v8, v4, v37
	v_bfe_u32 v4, v4, s92, 2
	v_cmp_eq_u32_e64 s[18:19], v7, v38
	v_cmp_eq_u32_e64 s[34:35], 0, v3
	s_and_b64 s[6:7], s[20:21], s[6:7]
	v_and_b32_e32 v9, v5, v37
	v_bfe_u32 v5, v5, s92, 2
	v_cmp_eq_u32_e64 s[16:17], v8, v38
	v_cmp_eq_u32_e64 s[36:37], 0, v4
	v_cmp_eq_u32_e64 s[40:41], 1, v2
	v_cmp_eq_u32_e64 s[48:49], 2, v2
	v_cmp_eq_u32_e64 s[28:29], 3, v2
	v_cndmask_b32_e64 v2, 0, 1, s[6:7]
	s_and_b64 s[6:7], s[18:19], s[34:35]
	v_cmp_eq_u32_e64 s[14:15], v9, v38
	v_cmp_eq_u32_e64 s[38:39], 0, v5
	;; [unrolled: 1-line block ×5, first 2 shown]
	v_cndmask_b32_e64 v3, 0, 1, s[6:7]
	s_and_b64 s[6:7], s[16:17], s[36:37]
	v_cmp_eq_u32_e64 s[44:45], 1, v4
	v_cmp_eq_u32_e64 s[52:53], 2, v4
	;; [unrolled: 1-line block ×3, first 2 shown]
	v_cndmask_b32_e64 v4, 0, 1, s[6:7]
	s_and_b64 s[6:7], s[14:15], s[38:39]
	v_cmp_eq_u32_e64 s[46:47], 1, v5
	v_cmp_eq_u32_e64 s[54:55], 2, v5
	;; [unrolled: 1-line block ×3, first 2 shown]
	v_cndmask_b32_e64 v5, 0, 1, s[6:7]
	v_cmp_ne_u32_e64 s[6:7], 0, v2
	v_cmp_ne_u32_e64 s[34:35], 0, v3
	v_cmp_ne_u32_e64 s[36:37], 0, v4
	v_cmp_ne_u32_e64 s[38:39], 0, v5
	s_bcnt1_i32_b64 s6, s[6:7]
	s_bcnt1_i32_b64 s7, s[34:35]
	s_bcnt1_i32_b64 s34, s[36:37]
	s_bcnt1_i32_b64 s35, s[38:39]
	s_add_u32 s4, s6, s4
	s_addc_u32 s5, 0, s5
	s_add_u32 s4, s4, s7
	s_addc_u32 s5, s5, 0
	s_add_u32 s4, s4, s34
	s_addc_u32 s5, s5, 0
	s_add_u32 s4, s4, s35
	s_addc_u32 s5, s5, 0
	s_and_b64 s[6:7], s[20:21], s[40:41]
	v_cndmask_b32_e64 v4, 0, 1, s[6:7]
	s_and_b64 s[6:7], s[18:19], s[42:43]
	v_cndmask_b32_e64 v5, 0, 1, s[6:7]
	s_and_b64 s[6:7], s[16:17], s[44:45]
	v_cndmask_b32_e64 v6, 0, 1, s[6:7]
	s_and_b64 s[6:7], s[14:15], s[46:47]
	v_cndmask_b32_e64 v7, 0, 1, s[6:7]
	v_cmp_ne_u32_e64 s[6:7], 0, v4
	v_cmp_ne_u32_e64 s[34:35], 0, v5
	v_cmp_ne_u32_e64 s[36:37], 0, v6
	v_cmp_ne_u32_e64 s[38:39], 0, v7
	s_bcnt1_i32_b64 s6, s[6:7]
	s_bcnt1_i32_b64 s7, s[34:35]
	s_bcnt1_i32_b64 s34, s[36:37]
	s_bcnt1_i32_b64 s35, s[38:39]
	s_add_u32 s6, s6, s90
	s_addc_u32 s36, 0, s91
	s_add_u32 s6, s6, s7
	s_addc_u32 s7, s36, 0
	s_add_u32 s6, s6, s34
	s_addc_u32 s7, s7, 0
	s_add_u32 s90, s6, s35
	s_addc_u32 s91, s7, 0
	s_and_b64 s[6:7], s[20:21], s[48:49]
	v_cndmask_b32_e64 v6, 0, 1, s[6:7]
	s_and_b64 s[6:7], s[18:19], s[50:51]
	v_cndmask_b32_e64 v7, 0, 1, s[6:7]
	s_and_b64 s[6:7], s[16:17], s[52:53]
	v_cndmask_b32_e64 v8, 0, 1, s[6:7]
	s_and_b64 s[6:7], s[14:15], s[54:55]
	;; [unrolled: 24-line block ×3, first 2 shown]
	v_cndmask_b32_e64 v41, 0, 1, s[6:7]
	v_cmp_ne_u32_e64 s[6:7], 0, v8
	v_cmp_ne_u32_e64 s[14:15], 0, v9
	;; [unrolled: 1-line block ×4, first 2 shown]
	s_bcnt1_i32_b64 s6, s[6:7]
	s_bcnt1_i32_b64 s7, s[14:15]
	;; [unrolled: 1-line block ×4, first 2 shown]
	s_add_u32 s6, s6, s12
	s_addc_u32 s12, 0, s13
	s_add_u32 s6, s6, s7
	s_addc_u32 s7, s12, 0
	;; [unrolled: 2-line block ×3, first 2 shown]
	s_add_u32 s12, s6, s15
	v_cmp_le_u64_e32 vcc, s[84:85], v[20:21]
	s_addc_u32 s13, s7, 0
	v_add_u32_e32 v23, v23, v14
	v_pk_mov_b32 v[2:3], s[4:5], s[4:5] op_sel:[0,1]
	v_pk_mov_b32 v[4:5], s[90:91], s[90:91] op_sel:[0,1]
	;; [unrolled: 1-line block ×3, first 2 shown]
	s_or_b64 s[8:9], vcc, s[8:9]
	v_pk_mov_b32 v[8:9], s[12:13], s[12:13] op_sel:[0,1]
	s_andn2_b64 exec, exec, s[8:9]
	s_cbranch_execnz .LBB207_59
; %bb.60:                               ;   in Loop: Header=BB207_12 Depth=1
	s_or_b64 exec, exec, s[8:9]
.LBB207_61:                             ;   in Loop: Header=BB207_12 Depth=1
	s_or_b64 exec, exec, s[10:11]
	v_add_u32_e32 v14, s84, v0
	v_cmp_gt_u32_e32 vcc, s2, v14
	s_and_saveexec_b64 s[4:5], vcc
	s_cbranch_execz .LBB207_65
; %bb.62:                               ;   in Loop: Header=BB207_12 Depth=1
	s_and_b32 s84, s2, 0x7fffffff
	s_and_b32 s8, s89, 0xfe
	v_lshlrev_b32_e32 v23, 1, v14
	v_lshlrev_b32_e32 v40, 1, v22
	s_mov_b64 s[2:3], 0
	v_pk_mov_b32 v[20:21], v[14:15], v[14:15] op_sel:[0,1]
.LBB207_63:                             ;   Parent Loop BB207_12 Depth=1
                                        ; =>  This Inner Loop Header: Depth=2
	ds_read_u16 v14, v23
	v_add_co_u32_e32 v20, vcc, v20, v22
	v_addc_co_u32_e32 v21, vcc, 0, v21, vcc
	s_waitcnt lgkmcnt(0)
	v_cmp_lt_i16_e64 s[6:7], -1, v14
	v_cndmask_b32_e64 v41, v32, v33, s[6:7]
	v_xor_b32_sdwa v41, v41, v14 dst_sel:DWORD dst_unused:UNUSED_PAD src0_sel:DWORD src1_sel:WORD_0
	v_cmp_o_f16_e64 s[6:7], v14, v14
	v_cndmask_b32_e64 v14, v32, v41, s[6:7]
	v_and_b32_e32 v41, v14, v37
	v_bfe_u32 v14, v14, s8, 2
	v_cmp_eq_u32_e64 s[6:7], v41, v38
	v_cmp_eq_u32_e64 s[14:15], 0, v14
	;; [unrolled: 1-line block ×3, first 2 shown]
	s_and_b64 s[10:11], s[6:7], s[14:15]
	v_cmp_eq_u32_e64 s[18:19], 2, v14
	v_cmp_eq_u32_e64 s[20:21], 3, v14
	v_cndmask_b32_e64 v14, 0, 1, s[10:11]
	s_and_b64 s[10:11], s[6:7], s[16:17]
	v_cndmask_b32_e64 v41, 0, 1, s[10:11]
	s_and_b64 s[10:11], s[6:7], s[18:19]
	s_and_b64 s[6:7], s[6:7], s[20:21]
	v_cndmask_b32_e64 v42, 0, 1, s[10:11]
	v_cndmask_b32_e64 v43, 0, 1, s[6:7]
	v_cmp_ne_u32_e64 s[6:7], 0, v14
	v_cmp_ne_u32_e64 s[14:15], 0, v41
	;; [unrolled: 1-line block ×4, first 2 shown]
	v_cmp_le_u64_e32 vcc, s[84:85], v[20:21]
	s_bcnt1_i32_b64 s6, s[6:7]
	s_bcnt1_i32_b64 s7, s[14:15]
	;; [unrolled: 1-line block ×4, first 2 shown]
	s_or_b64 s[2:3], vcc, s[2:3]
	v_add_co_u32_e32 v2, vcc, s6, v2
	v_addc_co_u32_e32 v3, vcc, 0, v3, vcc
	v_add_co_u32_e32 v4, vcc, s7, v4
	v_addc_co_u32_e32 v5, vcc, 0, v5, vcc
	;; [unrolled: 2-line block ×3, first 2 shown]
	v_add_co_u32_e32 v8, vcc, s10, v8
	v_add_u32_e32 v23, v23, v40
	v_addc_co_u32_e32 v9, vcc, 0, v9, vcc
	s_andn2_b64 exec, exec, s[2:3]
	s_cbranch_execnz .LBB207_63
; %bb.64:                               ;   in Loop: Header=BB207_12 Depth=1
	s_or_b64 exec, exec, s[2:3]
.LBB207_65:                             ;   in Loop: Header=BB207_12 Depth=1
	s_or_b64 exec, exec, s[4:5]
.LBB207_66:                             ;   in Loop: Header=BB207_12 Depth=1
	v_readlane_b32 s2, v48, 50
	s_lshl_b32 s4, s2, 6
	s_and_saveexec_b64 s[2:3], s[0:1]
	s_cbranch_execz .LBB207_68
; %bb.67:                               ;   in Loop: Header=BB207_12 Depth=1
	s_waitcnt vmcnt(0)
	v_or_b32_e32 v14, s4, v27
	v_lshlrev_b32_e32 v14, 3, v14
	ds_write_b128 v14, v[2:5] offset:3072
	ds_write_b128 v14, v[6:9] offset:3088
.LBB207_68:                             ;   in Loop: Header=BB207_12 Depth=1
	s_or_b64 exec, exec, s[2:3]
	s_waitcnt lgkmcnt(0)
	s_barrier
	s_mov_b64 s[2:3], exec
	v_readlane_b32 s6, v48, 24
	v_readlane_b32 s7, v48, 25
	s_and_b64 s[6:7], s[2:3], s[6:7]
	s_mov_b64 exec, s[6:7]
	s_cbranch_execz .LBB207_80
; %bb.69:                               ;   in Loop: Header=BB207_12 Depth=1
	v_readlane_b32 s6, v48, 32
	v_readlane_b32 s7, v48, 33
	s_andn2_b64 vcc, exec, s[6:7]
	v_pk_mov_b32 v[2:3], 0, 0
	s_cbranch_vccnz .LBB207_79
; %bb.70:                               ;   in Loop: Header=BB207_12 Depth=1
	v_readlane_b32 s6, v48, 39
	v_readlane_b32 s7, v48, 40
	s_andn2_b64 vcc, exec, s[6:7]
	s_cbranch_vccnz .LBB207_75
; %bb.71:                               ;   in Loop: Header=BB207_12 Depth=1
	v_readlane_b32 s5, v48, 50
	s_waitcnt vmcnt(0)
	v_lshl_add_u32 v4, s5, 9, v31
	s_mov_b32 s5, 0
	v_pk_mov_b32 v[2:3], 0, 0
.LBB207_72:                             ;   Parent Loop BB207_12 Depth=1
                                        ; =>  This Inner Loop Header: Depth=2
	ds_read2_b64 v[6:9], v4 offset1:4
	ds_read2_b64 v[20:23], v4 offset0:8 offset1:12
	ds_read2_b64 v[40:43], v4 offset0:16 offset1:20
	;; [unrolled: 1-line block ×3, first 2 shown]
	s_add_i32 s5, s5, 8
	s_waitcnt lgkmcnt(3)
	v_add_co_u32_e32 v2, vcc, v6, v2
	v_addc_co_u32_e32 v3, vcc, v7, v3, vcc
	v_add_co_u32_e32 v2, vcc, v8, v2
	v_addc_co_u32_e32 v3, vcc, v9, v3, vcc
	s_waitcnt lgkmcnt(2)
	v_add_co_u32_e32 v2, vcc, v20, v2
	v_addc_co_u32_e32 v3, vcc, v21, v3, vcc
	v_add_co_u32_e32 v2, vcc, v22, v2
	v_addc_co_u32_e32 v3, vcc, v23, v3, vcc
	;; [unrolled: 5-line block ×3, first 2 shown]
	s_waitcnt lgkmcnt(0)
	v_add_co_u32_e32 v2, vcc, v44, v2
	v_addc_co_u32_e32 v3, vcc, v45, v3, vcc
	v_add_co_u32_e32 v2, vcc, v46, v2
	v_add_u32_e32 v4, 0x100, v4
	s_cmp_eq_u32 s94, s5
	v_addc_co_u32_e32 v3, vcc, v47, v3, vcc
	s_cbranch_scc0 .LBB207_72
; %bb.73:                               ;   in Loop: Header=BB207_12 Depth=1
	s_mov_b32 s5, s94
	s_branch .LBB207_76
.LBB207_74:                             ;   in Loop: Header=BB207_12 Depth=1
                                        ; implicit-def: $vgpr2_vgpr3
	s_branch .LBB207_42
.LBB207_75:                             ;   in Loop: Header=BB207_12 Depth=1
	s_mov_b32 s5, 0
	v_pk_mov_b32 v[2:3], 0, 0
.LBB207_76:                             ;   in Loop: Header=BB207_12 Depth=1
	v_readlane_b32 s6, v48, 42
	v_readlane_b32 s7, v48, 43
	s_andn2_b64 vcc, exec, s[6:7]
	s_cbranch_vccnz .LBB207_79
; %bb.77:                               ;   in Loop: Header=BB207_12 Depth=1
	v_readlane_b32 s6, v48, 50
	s_lshl_b32 s6, s6, 9
	s_lshl_b32 s5, s5, 5
	s_add_i32 s6, s6, s5
	s_waitcnt vmcnt(0)
	v_add_u32_e32 v4, s6, v31
	v_readlane_b32 s5, v48, 41
.LBB207_78:                             ;   Parent Loop BB207_12 Depth=1
                                        ; =>  This Inner Loop Header: Depth=2
	ds_read_b64 v[6:7], v4
	s_add_i32 s5, s5, -1
	v_add_u32_e32 v4, 32, v4
	s_cmp_lg_u32 s5, 0
	s_waitcnt lgkmcnt(0)
	v_add_co_u32_e32 v2, vcc, v6, v2
	v_addc_co_u32_e32 v3, vcc, v7, v3, vcc
	s_cbranch_scc1 .LBB207_78
.LBB207_79:                             ;   in Loop: Header=BB207_12 Depth=1
	s_waitcnt vmcnt(0)
	v_add_lshl_u32 v4, s4, v25, 3
	ds_write_b64 v4, v[2:3] offset:3072
.LBB207_80:                             ;   in Loop: Header=BB207_12 Depth=1
	s_or_b64 exec, exec, s[2:3]
	s_lshl_b32 s2, s4, 3
	v_mov_b32_e32 v6, s2
	s_waitcnt lgkmcnt(0)
	s_barrier
	s_waitcnt vmcnt(0)
	ds_read_b128 v[2:5], v6 offset:3072
	ds_read_b128 v[6:9], v6 offset:3088
	s_and_b32 s49, s89, 0xfe
	v_readlane_b32 s2, v48, 22
	s_lshl_b32 s84, 3, s49
	v_readlane_b32 s3, v48, 23
	s_waitcnt lgkmcnt(1)
	v_readfirstlane_b32 s17, v3
	v_readfirstlane_b32 s16, v2
	v_readfirstlane_b32 s19, v5
	v_readfirstlane_b32 s18, v4
	s_waitcnt lgkmcnt(0)
	v_readfirstlane_b32 s23, v7
	v_readfirstlane_b32 s22, v6
	;; [unrolled: 1-line block ×4, first 2 shown]
	s_not_b32 s48, s84
	s_andn2_b64 vcc, exec, s[2:3]
	v_cmp_eq_u64_e64 s[14:15], 1, v[18:19]
	s_cbranch_vccnz .LBB207_96
; %bb.81:                               ;   in Loop: Header=BB207_12 Depth=1
	s_cmp_eq_u64 s[16:17], 1
	s_cselect_b64 s[2:3], -1, 0
	s_and_b64 s[2:3], s[2:3], s[14:15]
	s_mov_b64 s[4:5], -1
	v_mov_b32_e32 v8, v38
	v_mov_b32_e32 v9, v37
	;; [unrolled: 1-line block ×3, first 2 shown]
                                        ; implicit-def: $sgpr20_sgpr21
                                        ; implicit-def: $sgpr36_sgpr37
                                        ; implicit-def: $sgpr34_sgpr35
	s_and_saveexec_b64 s[8:9], s[2:3]
	s_cbranch_execz .LBB207_118
; %bb.82:                               ;   in Loop: Header=BB207_12 Depth=1
	ds_read_b64 v[2:3], v15 offset:5120
	s_waitcnt lgkmcnt(0)
	s_barrier
	v_readfirstlane_b32 s4, v2
	v_readfirstlane_b32 s5, v3
	s_mov_b64 s[6:7], exec
	v_readlane_b32 s10, v48, 30
	v_readlane_b32 s11, v48, 31
	s_and_b64 s[10:11], s[6:7], s[10:11]
	s_mov_b64 exec, s[10:11]
	s_cbranch_execz .LBB207_84
; %bb.83:                               ;   in Loop: Header=BB207_12 Depth=1
	ds_write_b16 v29, v15
.LBB207_84:                             ;   in Loop: Header=BB207_12 Depth=1
	s_or_b64 exec, exec, s[6:7]
	v_and_b32_e32 v8, s48, v38
	v_or_b32_e32 v9, s84, v37
	s_cmp_eq_u64 s[4:5], 0
	s_waitcnt lgkmcnt(0)
	s_barrier
	s_cbranch_scc1 .LBB207_101
; %bb.85:                               ;   in Loop: Header=BB207_12 Depth=1
	v_readlane_b32 s6, v48, 34
	s_add_u32 s12, s6, s4
	v_readlane_b32 s6, v48, 36
	s_addc_u32 s7, s6, s5
	s_mov_b32 s6, s85
	s_cmp_lg_u64 s[6:7], 0
	s_cbranch_scc0 .LBB207_145
; %bb.86:                               ;   in Loop: Header=BB207_12 Depth=1
	v_cvt_f32_u32_e32 v2, s87
	s_sub_u32 s6, 0, s87
	s_subb_u32 s10, 0, 0
	v_mac_f32_e32 v2, 0, v34
	v_rcp_f32_e32 v2, v2
	v_mul_f32_e32 v2, 0x5f7ffffc, v2
	v_mul_f32_e32 v3, 0x2f800000, v2
	v_trunc_f32_e32 v3, v3
	v_mac_f32_e32 v2, 0xcf800000, v3
	v_cvt_u32_f32_e32 v3, v3
	v_cvt_u32_f32_e32 v2, v2
	v_readfirstlane_b32 s11, v3
	v_readfirstlane_b32 s13, v2
	s_mul_i32 s20, s6, s11
	s_mul_hi_u32 s26, s6, s13
	s_mul_i32 s21, s10, s13
	s_add_i32 s20, s26, s20
	s_mul_i32 s27, s6, s13
	s_add_i32 s20, s20, s21
	s_mul_hi_u32 s26, s13, s27
	s_mul_hi_u32 s21, s13, s20
	s_mul_i32 s13, s13, s20
	s_add_u32 s13, s26, s13
	s_addc_u32 s21, 0, s21
	s_mul_hi_u32 s28, s11, s27
	s_mul_i32 s27, s11, s27
	s_add_u32 s13, s13, s27
	s_mul_hi_u32 s26, s11, s20
	s_addc_u32 s13, s21, s28
	s_addc_u32 s21, s26, 0
	s_mul_i32 s20, s11, s20
	s_add_u32 s13, s13, s20
	s_addc_u32 s20, 0, s21
	v_add_co_u32_e32 v2, vcc, s13, v2
	s_cmp_lg_u64 vcc, 0
	s_addc_u32 s11, s11, s20
	v_readfirstlane_b32 s20, v2
	s_mul_i32 s13, s6, s11
	s_mul_hi_u32 s21, s6, s20
	s_add_i32 s13, s21, s13
	s_mul_i32 s10, s10, s20
	s_add_i32 s13, s13, s10
	s_mul_i32 s6, s6, s20
	s_mul_hi_u32 s21, s11, s6
	s_mul_i32 s26, s11, s6
	s_mul_i32 s28, s20, s13
	s_mul_hi_u32 s6, s20, s6
	s_mul_hi_u32 s27, s20, s13
	s_add_u32 s6, s6, s28
	s_addc_u32 s20, 0, s27
	s_add_u32 s6, s6, s26
	s_mul_hi_u32 s10, s11, s13
	s_addc_u32 s6, s20, s21
	s_addc_u32 s10, s10, 0
	s_mul_i32 s13, s11, s13
	s_add_u32 s6, s6, s13
	s_addc_u32 s10, 0, s10
	v_add_co_u32_e32 v2, vcc, s6, v2
	s_cmp_lg_u64 vcc, 0
	s_addc_u32 s6, s11, s10
	v_readfirstlane_b32 s13, v2
	s_mul_i32 s11, s12, s6
	s_mul_hi_u32 s20, s12, s13
	s_mul_hi_u32 s10, s12, s6
	s_add_u32 s11, s20, s11
	s_addc_u32 s10, 0, s10
	s_mul_hi_u32 s21, s7, s13
	s_mul_i32 s13, s7, s13
	s_add_u32 s11, s11, s13
	s_mul_hi_u32 s20, s7, s6
	s_addc_u32 s10, s10, s21
	s_addc_u32 s11, s20, 0
	s_mul_i32 s6, s7, s6
	s_add_u32 s6, s10, s6
	s_addc_u32 s10, 0, s11
	s_mul_hi_u32 s11, s87, s6
	s_mul_i32 s6, s87, s6
	s_mul_i32 s10, s87, s10
	v_mov_b32_e32 v2, s6
	s_add_i32 s11, s11, s10
	v_sub_co_u32_e32 v2, vcc, s12, v2
	s_cmp_lg_u64 vcc, 0
	s_subb_u32 s6, s7, s11
	v_subrev_co_u32_e32 v3, vcc, s87, v2
	s_cmp_lg_u64 vcc, 0
	s_subb_u32 s10, s6, 0
	v_subrev_co_u32_e32 v4, vcc, s87, v3
	s_cmp_lg_u64 vcc, 0
	s_subb_u32 s11, s10, 0
	v_cmp_le_u32_e32 vcc, s87, v3
	s_cmp_eq_u32 s10, 0
	v_cndmask_b32_e64 v5, 0, -1, vcc
	s_cselect_b64 vcc, -1, 0
	v_cndmask_b32_e32 v5, -1, v5, vcc
	v_mov_b32_e32 v6, s10
	v_mov_b32_e32 v7, s11
	v_cmp_ne_u32_e32 vcc, 0, v5
	v_cndmask_b32_e32 v5, v6, v7, vcc
	v_cndmask_b32_e32 v4, v3, v4, vcc
	v_cmp_le_u32_e32 vcc, s87, v2
	s_cmp_eq_u32 s6, 0
	v_cndmask_b32_e64 v3, 0, -1, vcc
	s_cselect_b64 vcc, -1, 0
	v_cndmask_b32_e32 v3, -1, v3, vcc
	v_mov_b32_e32 v6, s6
	v_cmp_ne_u32_e32 vcc, 0, v3
	v_cndmask_b32_e32 v3, v6, v5, vcc
	v_cndmask_b32_e32 v2, v2, v4, vcc
	s_cbranch_execnz .LBB207_88
.LBB207_87:                             ;   in Loop: Header=BB207_12 Depth=1
	v_cvt_f32_u32_e32 v2, s87
	s_sub_i32 s6, 0, s87
	v_rcp_iflag_f32_e32 v2, v2
	v_mul_f32_e32 v2, 0x4f7ffffe, v2
	v_cvt_u32_f32_e32 v2, v2
	v_mul_lo_u32 v3, s6, v2
	v_mul_hi_u32 v3, v2, v3
	v_add_u32_e32 v2, v2, v3
	v_mul_hi_u32 v2, s12, v2
	v_mul_lo_u32 v2, v2, s87
	v_sub_u32_e32 v2, s12, v2
	v_subrev_u32_e32 v3, s87, v2
	v_cmp_le_u32_e32 vcc, s87, v2
	v_cndmask_b32_e32 v2, v2, v3, vcc
	v_subrev_u32_e32 v3, s87, v2
	v_cmp_le_u32_e32 vcc, s87, v2
	v_cndmask_b32_e32 v14, v2, v3, vcc
	v_pk_mov_b32 v[2:3], v[14:15], v[14:15] op_sel:[0,1]
.LBB207_88:                             ;   in Loop: Header=BB207_12 Depth=1
	v_mov_b32_e32 v4, s7
	v_sub_co_u32_e32 v2, vcc, s12, v2
	v_subb_co_u32_e32 v3, vcc, v4, v3, vcc
	v_cmp_gt_u64_e32 vcc, v[2:3], v[0:1]
	s_mov_b64 s[6:7], 0
                                        ; implicit-def: $vgpr6
	s_and_saveexec_b64 s[10:11], vcc
	s_cbranch_execz .LBB207_103
; %bb.89:                               ;   in Loop: Header=BB207_12 Depth=1
	s_mov_b64 s[12:13], 0
	v_mov_b32_e32 v6, v28
	v_pk_mov_b32 v[4:5], v[0:1], v[0:1] op_sel:[0,1]
                                        ; implicit-def: $sgpr20_sgpr21
	s_branch .LBB207_91
.LBB207_90:                             ;   in Loop: Header=BB207_91 Depth=2
	s_or_b64 exec, exec, s[6:7]
	s_waitcnt lgkmcnt(0)
	s_barrier
	ds_read_b32 v7, v15 offset:3072
	v_mov_b32_e32 v14, s88
	v_add_co_u32_e64 v4, s[6:7], s87, v4
	v_addc_co_u32_e64 v5, s[6:7], v5, v14, s[6:7]
	s_waitcnt lgkmcnt(0)
	v_cmp_neq_f16_e32 vcc, 0, v7
	v_cmp_ge_u64_e64 s[6:7], v[4:5], v[2:3]
	s_or_b64 s[6:7], s[6:7], vcc
	s_and_b64 s[6:7], exec, s[6:7]
	s_or_b64 s[12:13], s[6:7], s[12:13]
	s_andn2_b64 s[6:7], s[20:21], exec
	s_and_b64 s[20:21], vcc, exec
	v_add_u32_e32 v6, s95, v6
	s_or_b64 s[20:21], s[6:7], s[20:21]
	s_barrier
	s_andn2_b64 exec, exec, s[12:13]
	s_cbranch_execz .LBB207_102
.LBB207_91:                             ;   Parent Loop BB207_12 Depth=1
                                        ; =>  This Inner Loop Header: Depth=2
	v_cmp_gt_u64_e32 vcc, s[4:5], v[4:5]
	v_mov_b32_e32 v7, 0
	s_and_saveexec_b64 s[6:7], vcc
	s_cbranch_execz .LBB207_93
; %bb.92:                               ;   in Loop: Header=BB207_91 Depth=2
	ds_read_u16 v7, v6
.LBB207_93:                             ;   in Loop: Header=BB207_91 Depth=2
	s_or_b64 exec, exec, s[6:7]
	s_and_saveexec_b64 s[6:7], vcc
	s_cbranch_execz .LBB207_90
; %bb.94:                               ;   in Loop: Header=BB207_91 Depth=2
	s_waitcnt lgkmcnt(0)
	v_cmp_lt_i16_e32 vcc, -1, v7
	v_cndmask_b32_e32 v14, v32, v33, vcc
	v_xor_b32_sdwa v14, v14, v7 dst_sel:DWORD dst_unused:UNUSED_PAD src0_sel:DWORD src1_sel:WORD_0
	v_cmp_o_f16_e32 vcc, v7, v7
	v_cndmask_b32_e32 v14, v32, v14, vcc
	v_and_b32_e32 v14, v14, v9
	v_cmp_eq_u32_e32 vcc, v14, v8
	s_and_b64 exec, exec, vcc
	s_cbranch_execz .LBB207_90
; %bb.95:                               ;   in Loop: Header=BB207_91 Depth=2
	s_movk_i32 s26, 0x3c00
	v_perm_b32 v7, v7, s26, v36
	ds_write_b32 v15, v7 offset:3072
	s_branch .LBB207_90
.LBB207_96:                             ;   in Loop: Header=BB207_12 Depth=1
	s_mov_b64 s[28:29], 0
	s_mov_b64 s[26:27], 0
                                        ; implicit-def: $sgpr34_sgpr35
                                        ; implicit-def: $sgpr36_sgpr37
                                        ; implicit-def: $sgpr20_sgpr21
                                        ; implicit-def: $vgpr7
                                        ; implicit-def: $vgpr2_vgpr3
                                        ; implicit-def: $vgpr8
                                        ; implicit-def: $vgpr9
                                        ; implicit-def: $vgpr6
	s_cbranch_execnz .LBB207_282
.LBB207_97:                             ;   in Loop: Header=BB207_12 Depth=1
	s_mov_b64 s[14:15], s[20:21]
	s_mov_b64 s[38:39], s[20:21]
	s_and_saveexec_b64 s[2:3], s[28:29]
	s_cbranch_execnz .LBB207_478
	s_branch .LBB207_479
.LBB207_98:                             ;   in Loop: Header=BB207_12 Depth=1
	s_or_b64 exec, exec, s[4:5]
	s_waitcnt lgkmcnt(0)
	s_barrier
	s_mov_b64 s[4:5], exec
	v_readlane_b32 s6, v48, 12
	v_readlane_b32 s7, v48, 13
	s_and_b64 s[6:7], s[4:5], s[6:7]
	s_mov_b64 exec, s[6:7]
	s_cbranch_execz .LBB207_100
; %bb.99:                               ;   in Loop: Header=BB207_12 Depth=1
	ds_read_b32 v2, v15 offset:5144
	s_waitcnt lgkmcnt(0)
	v_ashrrev_i32_e32 v3, 31, v2
	ds_write_b64 v15, v[2:3] offset:5120
.LBB207_100:                            ;   in Loop: Header=BB207_12 Depth=1
	s_or_b64 exec, exec, s[4:5]
	s_waitcnt lgkmcnt(0)
	s_barrier
	s_mov_b64 s[4:5], -1
	s_and_b64 vcc, exec, s[2:3]
	s_cbranch_vccnz .LBB207_27
	s_branch .LBB207_37
.LBB207_101:                            ;   in Loop: Header=BB207_12 Depth=1
	s_mov_b64 s[20:21], -1
	s_mov_b64 s[6:7], 0
                                        ; implicit-def: $sgpr34_sgpr35
                                        ; implicit-def: $vgpr6
	s_mov_b64 s[36:37], s[20:21]
	s_cbranch_execnz .LBB207_104
	s_branch .LBB207_117
.LBB207_102:                            ;   in Loop: Header=BB207_12 Depth=1
	s_or_b64 exec, exec, s[12:13]
	v_lshrrev_b32_e32 v6, 16, v7
	s_and_b64 s[6:7], s[20:21], exec
.LBB207_103:                            ;   in Loop: Header=BB207_12 Depth=1
	s_or_b64 exec, exec, s[10:11]
	s_mov_b64 s[34:35], -1
	s_mov_b64 s[20:21], 0
	s_mov_b64 s[36:37], s[20:21]
	s_branch .LBB207_117
.LBB207_104:                            ;   in Loop: Header=BB207_12 Depth=1
	s_mov_b32 s92, s85
	s_cmp_lg_u64 s[92:93], 0
	s_cbranch_scc0 .LBB207_146
; %bb.105:                              ;   in Loop: Header=BB207_12 Depth=1
	v_cvt_f32_u32_e32 v2, s87
	s_sub_u32 s4, 0, s87
	s_subb_u32 s5, 0, 0
	v_mac_f32_e32 v2, 0, v34
	v_rcp_f32_e32 v2, v2
	v_mul_f32_e32 v2, 0x5f7ffffc, v2
	v_mul_f32_e32 v3, 0x2f800000, v2
	v_trunc_f32_e32 v3, v3
	v_mac_f32_e32 v2, 0xcf800000, v3
	v_cvt_u32_f32_e32 v3, v3
	v_cvt_u32_f32_e32 v2, v2
	v_readfirstlane_b32 s6, v3
	v_readfirstlane_b32 s7, v2
	s_mul_i32 s10, s4, s6
	s_mul_hi_u32 s12, s4, s7
	s_mul_i32 s11, s5, s7
	s_add_i32 s10, s12, s10
	s_mul_i32 s13, s4, s7
	s_add_i32 s10, s10, s11
	s_mul_hi_u32 s12, s7, s13
	s_mul_hi_u32 s11, s7, s10
	s_mul_i32 s7, s7, s10
	s_add_u32 s7, s12, s7
	s_addc_u32 s11, 0, s11
	s_mul_hi_u32 s20, s6, s13
	s_mul_i32 s13, s6, s13
	s_add_u32 s7, s7, s13
	s_mul_hi_u32 s12, s6, s10
	s_addc_u32 s7, s11, s20
	s_addc_u32 s11, s12, 0
	s_mul_i32 s10, s6, s10
	s_add_u32 s7, s7, s10
	s_addc_u32 s10, 0, s11
	v_add_co_u32_e32 v2, vcc, s7, v2
	s_cmp_lg_u64 vcc, 0
	s_addc_u32 s6, s6, s10
	v_readfirstlane_b32 s10, v2
	s_mul_i32 s7, s4, s6
	s_mul_hi_u32 s11, s4, s10
	s_add_i32 s7, s11, s7
	s_mul_i32 s5, s5, s10
	s_add_i32 s7, s7, s5
	s_mul_i32 s4, s4, s10
	s_mul_hi_u32 s11, s6, s4
	s_mul_i32 s12, s6, s4
	s_mul_i32 s20, s10, s7
	s_mul_hi_u32 s4, s10, s4
	s_mul_hi_u32 s13, s10, s7
	s_add_u32 s4, s4, s20
	s_addc_u32 s10, 0, s13
	s_add_u32 s4, s4, s12
	s_mul_hi_u32 s5, s6, s7
	s_addc_u32 s4, s10, s11
	s_addc_u32 s5, s5, 0
	s_mul_i32 s7, s6, s7
	s_add_u32 s4, s4, s7
	s_addc_u32 s5, 0, s5
	v_add_co_u32_e32 v2, vcc, s4, v2
	s_cmp_lg_u64 vcc, 0
	s_addc_u32 s4, s6, s5
	v_readlane_b32 s12, v48, 35
	v_readfirstlane_b32 s7, v2
	s_mul_i32 s6, s12, s4
	s_mul_hi_u32 s10, s12, s7
	s_mul_hi_u32 s5, s12, s4
	s_add_u32 s6, s10, s6
	s_addc_u32 s5, 0, s5
	s_mul_hi_u32 s11, s93, s7
	s_mul_i32 s7, s93, s7
	s_add_u32 s6, s6, s7
	s_mul_hi_u32 s10, s93, s4
	s_addc_u32 s5, s5, s11
	s_addc_u32 s6, s10, 0
	s_mul_i32 s4, s93, s4
	s_add_u32 s4, s5, s4
	s_addc_u32 s5, 0, s6
	s_mul_hi_u32 s6, s87, s4
	s_mul_i32 s4, s87, s4
	s_mul_i32 s5, s87, s5
	v_mov_b32_e32 v2, s4
	s_add_i32 s6, s6, s5
	v_sub_co_u32_e32 v2, vcc, s12, v2
	s_cmp_lg_u64 vcc, 0
	s_subb_u32 s4, s93, s6
	v_subrev_co_u32_e32 v3, vcc, s87, v2
	s_cmp_lg_u64 vcc, 0
	s_subb_u32 s5, s4, 0
	v_subrev_co_u32_e32 v4, vcc, s87, v3
	s_cmp_lg_u64 vcc, 0
	s_subb_u32 s6, s5, 0
	v_cmp_le_u32_e32 vcc, s87, v3
	s_cmp_eq_u32 s5, 0
	v_cndmask_b32_e64 v5, 0, -1, vcc
	s_cselect_b64 vcc, -1, 0
	v_cndmask_b32_e32 v5, -1, v5, vcc
	v_mov_b32_e32 v6, s5
	v_mov_b32_e32 v7, s6
	v_cmp_ne_u32_e32 vcc, 0, v5
	v_cndmask_b32_e32 v5, v6, v7, vcc
	v_cndmask_b32_e32 v4, v3, v4, vcc
	v_cmp_le_u32_e32 vcc, s87, v2
	s_cmp_eq_u32 s4, 0
	v_cndmask_b32_e64 v3, 0, -1, vcc
	s_cselect_b64 vcc, -1, 0
	v_cndmask_b32_e32 v3, -1, v3, vcc
	v_mov_b32_e32 v6, s4
	v_cmp_ne_u32_e32 vcc, 0, v3
	v_cndmask_b32_e32 v3, v6, v5, vcc
	v_cndmask_b32_e32 v2, v2, v4, vcc
	s_cbranch_execnz .LBB207_107
.LBB207_106:                            ;   in Loop: Header=BB207_12 Depth=1
	v_cvt_f32_u32_e32 v2, s87
	s_sub_i32 s4, 0, s87
	v_rcp_iflag_f32_e32 v2, v2
	v_mul_f32_e32 v2, 0x4f7ffffe, v2
	v_cvt_u32_f32_e32 v2, v2
	v_mul_lo_u32 v3, s4, v2
	v_mul_hi_u32 v3, v2, v3
	v_add_u32_e32 v2, v2, v3
	v_readlane_b32 s4, v48, 35
	v_mul_hi_u32 v2, s4, v2
	v_mul_lo_u32 v2, v2, s87
	v_sub_u32_e32 v2, s4, v2
	v_subrev_u32_e32 v3, s87, v2
	v_cmp_le_u32_e32 vcc, s87, v2
	v_cndmask_b32_e32 v2, v2, v3, vcc
	v_subrev_u32_e32 v3, s87, v2
	v_cmp_le_u32_e32 vcc, s87, v2
	v_cndmask_b32_e32 v14, v2, v3, vcc
	v_pk_mov_b32 v[2:3], v[14:15], v[14:15] op_sel:[0,1]
.LBB207_107:                            ;   in Loop: Header=BB207_12 Depth=1
	v_readlane_b32 s4, v48, 35
	v_mov_b32_e32 v4, s93
	v_sub_co_u32_e32 v2, vcc, s4, v2
	v_subb_co_u32_e32 v3, vcc, v4, v3, vcc
	v_cmp_gt_u64_e32 vcc, v[2:3], v[0:1]
	s_mov_b64 s[6:7], 0
                                        ; implicit-def: $vgpr6
	s_and_saveexec_b64 s[4:5], vcc
	s_cbranch_execz .LBB207_116
; %bb.108:                              ;   in Loop: Header=BB207_12 Depth=1
	s_mov_b64 s[10:11], 0
	v_pk_mov_b32 v[4:5], v[0:1], v[0:1] op_sel:[0,1]
                                        ; implicit-def: $sgpr12_sgpr13
	s_branch .LBB207_110
.LBB207_109:                            ;   in Loop: Header=BB207_110 Depth=2
	s_or_b64 exec, exec, s[6:7]
	s_waitcnt lgkmcnt(0)
	s_barrier
	s_waitcnt vmcnt(0)
	ds_read_b32 v6, v15 offset:3072
	v_mov_b32_e32 v7, s88
	v_add_co_u32_e64 v4, s[6:7], s87, v4
	v_addc_co_u32_e64 v5, s[6:7], v5, v7, s[6:7]
	s_waitcnt lgkmcnt(0)
	v_cmp_neq_f16_e32 vcc, 0, v6
	v_cmp_ge_u64_e64 s[6:7], v[4:5], v[2:3]
	s_or_b64 s[6:7], s[6:7], vcc
	s_and_b64 s[6:7], exec, s[6:7]
	s_or_b64 s[10:11], s[6:7], s[10:11]
	s_andn2_b64 s[6:7], s[12:13], exec
	s_and_b64 s[12:13], vcc, exec
	s_or_b64 s[12:13], s[6:7], s[12:13]
	s_barrier
	s_andn2_b64 exec, exec, s[10:11]
	s_cbranch_execz .LBB207_115
.LBB207_110:                            ;   Parent Loop BB207_12 Depth=1
                                        ; =>  This Inner Loop Header: Depth=2
	v_cmp_gt_u64_e32 vcc, s[60:61], v[4:5]
	v_mov_b32_e32 v6, 0
	s_and_saveexec_b64 s[20:21], vcc
	s_cbranch_execz .LBB207_112
; %bb.111:                              ;   in Loop: Header=BB207_110 Depth=2
	v_mul_lo_u32 v14, v5, s58
	v_mul_lo_u32 v20, v4, s59
	v_mad_u64_u32 v[6:7], s[6:7], v4, s58, 0
	v_add3_u32 v7, v7, v20, v14
	v_lshlrev_b64 v[6:7], 1, v[6:7]
	v_mov_b32_e32 v14, s86
	v_add_co_u32_e64 v6, s[6:7], s33, v6
	v_addc_co_u32_e64 v7, s[6:7], v14, v7, s[6:7]
	global_load_ushort v6, v[6:7], off
.LBB207_112:                            ;   in Loop: Header=BB207_110 Depth=2
	s_or_b64 exec, exec, s[20:21]
	s_and_saveexec_b64 s[6:7], vcc
	s_cbranch_execz .LBB207_109
; %bb.113:                              ;   in Loop: Header=BB207_110 Depth=2
	s_waitcnt vmcnt(0)
	v_cmp_lt_i16_e32 vcc, -1, v6
	v_cndmask_b32_e32 v7, v32, v33, vcc
	v_xor_b32_sdwa v7, v7, v6 dst_sel:DWORD dst_unused:UNUSED_PAD src0_sel:DWORD src1_sel:WORD_0
	v_cmp_o_f16_e32 vcc, v6, v6
	v_cndmask_b32_e32 v7, v32, v7, vcc
	v_and_b32_e32 v7, v7, v9
	v_cmp_eq_u32_e32 vcc, v7, v8
	s_and_b64 exec, exec, vcc
	s_cbranch_execz .LBB207_109
; %bb.114:                              ;   in Loop: Header=BB207_110 Depth=2
	s_movk_i32 s20, 0x3c00
	v_perm_b32 v6, v6, s20, v36
	ds_write_b32 v15, v6 offset:3072
	s_branch .LBB207_109
.LBB207_115:                            ;   in Loop: Header=BB207_12 Depth=1
	s_or_b64 exec, exec, s[10:11]
	v_lshrrev_b32_e32 v6, 16, v6
	s_and_b64 s[6:7], s[12:13], exec
.LBB207_116:                            ;   in Loop: Header=BB207_12 Depth=1
	s_or_b64 exec, exec, s[4:5]
	s_mov_b64 s[36:37], -1
	s_mov_b64 s[20:21], 0
	s_mov_b64 s[34:35], 0
.LBB207_117:                            ;   in Loop: Header=BB207_12 Depth=1
	s_orn2_b64 s[4:5], s[6:7], exec
.LBB207_118:                            ;   in Loop: Header=BB207_12 Depth=1
	s_or_b64 exec, exec, s[8:9]
	s_mov_b64 s[38:39], 0
	s_mov_b64 s[28:29], 0
	;; [unrolled: 1-line block ×3, first 2 shown]
                                        ; implicit-def: $vgpr7
                                        ; implicit-def: $vgpr2_vgpr3
	s_and_saveexec_b64 s[40:41], s[4:5]
	s_cbranch_execz .LBB207_281
; %bb.119:                              ;   in Loop: Header=BB207_12 Depth=1
	v_mov_b32_e32 v2, 1
	s_xor_b64 s[4:5], s[2:3], -1
	s_mov_b64 s[6:7], 0
	v_mov_b32_e32 v3, 0
	v_mov_b32_e32 v7, 1
	s_and_saveexec_b64 s[2:3], s[4:5]
	s_cbranch_execz .LBB207_129
; %bb.120:                              ;   in Loop: Header=BB207_12 Depth=1
	v_cmp_ge_u64_e32 vcc, s[16:17], v[18:19]
                                        ; implicit-def: $sgpr8
                                        ; implicit-def: $sgpr4_sgpr5
	s_and_saveexec_b64 s[6:7], vcc
	s_xor_b64 s[6:7], exec, s[6:7]
	s_cbranch_execz .LBB207_126
; %bb.121:                              ;   in Loop: Header=BB207_12 Depth=1
	ds_read_b64 v[2:3], v15 offset:5120
	s_waitcnt lgkmcnt(0)
	v_cmp_ne_u64_e32 vcc, 0, v[2:3]
	s_cbranch_vccnz .LBB207_125
; %bb.122:                              ;   in Loop: Header=BB207_12 Depth=1
	s_mov_b64 s[4:5], exec
	v_readlane_b32 s8, v48, 12
	v_readlane_b32 s9, v48, 13
	s_and_b64 s[8:9], s[4:5], s[8:9]
	s_mov_b64 exec, s[8:9]
	s_cbranch_execz .LBB207_124
; %bb.123:                              ;   in Loop: Header=BB207_12 Depth=1
	v_pk_mov_b32 v[2:3], s[16:17], s[16:17] op_sel:[0,1]
	ds_write_b64 v15, v[2:3] offset:5128
.LBB207_124:                            ;   in Loop: Header=BB207_12 Depth=1
	s_or_b64 exec, exec, s[4:5]
	s_waitcnt lgkmcnt(0)
	s_barrier
.LBB207_125:                            ;   in Loop: Header=BB207_12 Depth=1
	v_and_b32_e32 v8, s48, v8
	v_or_b32_e32 v9, s84, v9
	s_mov_b64 s[4:5], 0
	s_mov_b32 s8, 8
.LBB207_126:                            ;   in Loop: Header=BB207_12 Depth=1
	s_or_saveexec_b64 s[6:7], s[6:7]
	v_mov_b32_e32 v7, s8
	v_pk_mov_b32 v[2:3], v[18:19], v[18:19] op_sel:[0,1]
	s_xor_b64 exec, exec, s[6:7]
; %bb.127:                              ;   in Loop: Header=BB207_12 Depth=1
	v_mov_b32_e32 v3, s17
	v_subrev_co_u32_e32 v2, vcc, s16, v18
	v_subb_co_u32_e32 v3, vcc, v19, v3, vcc
	v_mov_b32_e32 v7, 0
	s_or_b64 s[4:5], s[4:5], exec
; %bb.128:                              ;   in Loop: Header=BB207_12 Depth=1
	s_or_b64 exec, exec, s[6:7]
	s_and_b64 s[6:7], s[4:5], exec
.LBB207_129:                            ;   in Loop: Header=BB207_12 Depth=1
	s_or_b64 exec, exec, s[2:3]
	s_mov_b64 s[12:13], -1
                                        ; implicit-def: $sgpr2_sgpr3
                                        ; implicit-def: $sgpr4_sgpr5
                                        ; implicit-def: $sgpr8_sgpr9
	s_and_saveexec_b64 s[10:11], s[6:7]
	s_xor_b64 s[26:27], exec, s[10:11]
	s_cbranch_execz .LBB207_278
; %bb.130:                              ;   in Loop: Header=BB207_12 Depth=1
	s_cmp_eq_u64 s[18:19], 1
	s_cselect_b64 s[2:3], -1, 0
	v_cmp_eq_u64_e32 vcc, 1, v[2:3]
	s_and_b64 s[2:3], s[2:3], vcc
	s_mov_b64 s[4:5], -1
                                        ; implicit-def: $sgpr28_sgpr29
                                        ; implicit-def: $sgpr44_sgpr45
                                        ; implicit-def: $sgpr42_sgpr43
	s_and_saveexec_b64 s[8:9], s[2:3]
	s_cbranch_execz .LBB207_164
; %bb.131:                              ;   in Loop: Header=BB207_12 Depth=1
	ds_read_b64 v[4:5], v15 offset:5120
	s_waitcnt lgkmcnt(0)
	s_barrier
	v_readfirstlane_b32 s4, v4
	v_readfirstlane_b32 s5, v5
	s_mov_b64 s[6:7], exec
	v_readlane_b32 s10, v48, 30
	v_readlane_b32 s11, v48, 31
	s_and_b64 s[10:11], s[6:7], s[10:11]
	s_mov_b64 exec, s[10:11]
	s_cbranch_execz .LBB207_133
; %bb.132:                              ;   in Loop: Header=BB207_12 Depth=1
	ds_write_b16 v29, v15
.LBB207_133:                            ;   in Loop: Header=BB207_12 Depth=1
	s_or_b64 exec, exec, s[6:7]
	v_and_b32_e32 v4, s48, v8
	v_lshl_or_b32 v8, 1, s49, v4
	v_or_b32_e32 v9, s84, v9
	s_cmp_eq_u64 s[4:5], 0
	s_waitcnt lgkmcnt(0)
	s_barrier
	s_cbranch_scc1 .LBB207_147
; %bb.134:                              ;   in Loop: Header=BB207_12 Depth=1
	v_readlane_b32 s6, v48, 34
	s_add_u32 s12, s6, s4
	v_readlane_b32 s6, v48, 36
	s_addc_u32 s7, s6, s5
	s_mov_b32 s6, s85
	s_cmp_lg_u64 s[6:7], 0
	s_cbranch_scc0 .LBB207_191
; %bb.135:                              ;   in Loop: Header=BB207_12 Depth=1
	v_cvt_f32_u32_e32 v4, s87
	s_sub_u32 s6, 0, s87
	s_subb_u32 s10, 0, 0
	v_mac_f32_e32 v4, 0, v34
	v_rcp_f32_e32 v4, v4
	v_mul_f32_e32 v4, 0x5f7ffffc, v4
	v_mul_f32_e32 v5, 0x2f800000, v4
	v_trunc_f32_e32 v5, v5
	v_mac_f32_e32 v4, 0xcf800000, v5
	v_cvt_u32_f32_e32 v5, v5
	v_cvt_u32_f32_e32 v4, v4
	v_readfirstlane_b32 s11, v5
	v_readfirstlane_b32 s13, v4
	s_mul_i32 s28, s6, s11
	s_mul_hi_u32 s42, s6, s13
	s_mul_i32 s29, s10, s13
	s_add_i32 s28, s42, s28
	s_mul_i32 s43, s6, s13
	s_add_i32 s28, s28, s29
	s_mul_hi_u32 s42, s13, s43
	s_mul_hi_u32 s29, s13, s28
	s_mul_i32 s13, s13, s28
	s_add_u32 s13, s42, s13
	s_addc_u32 s29, 0, s29
	s_mul_hi_u32 s44, s11, s43
	s_mul_i32 s43, s11, s43
	s_add_u32 s13, s13, s43
	s_mul_hi_u32 s42, s11, s28
	s_addc_u32 s13, s29, s44
	s_addc_u32 s29, s42, 0
	s_mul_i32 s28, s11, s28
	s_add_u32 s13, s13, s28
	s_addc_u32 s28, 0, s29
	v_add_co_u32_e32 v4, vcc, s13, v4
	s_cmp_lg_u64 vcc, 0
	s_addc_u32 s11, s11, s28
	v_readfirstlane_b32 s28, v4
	s_mul_i32 s13, s6, s11
	s_mul_hi_u32 s29, s6, s28
	s_add_i32 s13, s29, s13
	s_mul_i32 s10, s10, s28
	s_add_i32 s13, s13, s10
	s_mul_i32 s6, s6, s28
	s_mul_hi_u32 s29, s11, s6
	s_mul_i32 s42, s11, s6
	s_mul_i32 s44, s28, s13
	s_mul_hi_u32 s6, s28, s6
	s_mul_hi_u32 s43, s28, s13
	s_add_u32 s6, s6, s44
	s_addc_u32 s28, 0, s43
	s_add_u32 s6, s6, s42
	s_mul_hi_u32 s10, s11, s13
	s_addc_u32 s6, s28, s29
	s_addc_u32 s10, s10, 0
	s_mul_i32 s13, s11, s13
	s_add_u32 s6, s6, s13
	s_addc_u32 s10, 0, s10
	v_add_co_u32_e32 v4, vcc, s6, v4
	s_cmp_lg_u64 vcc, 0
	s_addc_u32 s6, s11, s10
	v_readfirstlane_b32 s13, v4
	s_mul_i32 s11, s12, s6
	s_mul_hi_u32 s28, s12, s13
	s_mul_hi_u32 s10, s12, s6
	s_add_u32 s11, s28, s11
	s_addc_u32 s10, 0, s10
	s_mul_hi_u32 s29, s7, s13
	s_mul_i32 s13, s7, s13
	s_add_u32 s11, s11, s13
	s_mul_hi_u32 s28, s7, s6
	s_addc_u32 s10, s10, s29
	s_addc_u32 s11, s28, 0
	s_mul_i32 s6, s7, s6
	s_add_u32 s6, s10, s6
	s_addc_u32 s10, 0, s11
	s_mul_hi_u32 s11, s87, s6
	s_mul_i32 s6, s87, s6
	s_mul_i32 s10, s87, s10
	v_mov_b32_e32 v4, s6
	s_add_i32 s11, s11, s10
	v_sub_co_u32_e32 v4, vcc, s12, v4
	s_cmp_lg_u64 vcc, 0
	s_subb_u32 s6, s7, s11
	v_subrev_co_u32_e32 v5, vcc, s87, v4
	s_cmp_lg_u64 vcc, 0
	s_subb_u32 s10, s6, 0
	v_subrev_co_u32_e32 v6, vcc, s87, v5
	s_cmp_lg_u64 vcc, 0
	s_subb_u32 s11, s10, 0
	v_cmp_le_u32_e32 vcc, s87, v5
	s_cmp_eq_u32 s10, 0
	v_cndmask_b32_e64 v7, 0, -1, vcc
	s_cselect_b64 vcc, -1, 0
	v_cndmask_b32_e32 v7, -1, v7, vcc
	v_mov_b32_e32 v14, s10
	v_mov_b32_e32 v20, s11
	v_cmp_ne_u32_e32 vcc, 0, v7
	v_cndmask_b32_e32 v7, v14, v20, vcc
	v_cndmask_b32_e32 v6, v5, v6, vcc
	v_cmp_le_u32_e32 vcc, s87, v4
	s_cmp_eq_u32 s6, 0
	v_cndmask_b32_e64 v5, 0, -1, vcc
	s_cselect_b64 vcc, -1, 0
	v_cndmask_b32_e32 v5, -1, v5, vcc
	v_mov_b32_e32 v14, s6
	v_cmp_ne_u32_e32 vcc, 0, v5
	v_cndmask_b32_e32 v5, v14, v7, vcc
	v_cndmask_b32_e32 v4, v4, v6, vcc
	s_cbranch_execnz .LBB207_137
.LBB207_136:                            ;   in Loop: Header=BB207_12 Depth=1
	v_cvt_f32_u32_e32 v4, s87
	s_sub_i32 s6, 0, s87
	v_rcp_iflag_f32_e32 v4, v4
	v_mul_f32_e32 v4, 0x4f7ffffe, v4
	v_cvt_u32_f32_e32 v4, v4
	v_mul_lo_u32 v5, s6, v4
	v_mul_hi_u32 v5, v4, v5
	v_add_u32_e32 v4, v4, v5
	v_mul_hi_u32 v4, s12, v4
	v_mul_lo_u32 v4, v4, s87
	v_sub_u32_e32 v4, s12, v4
	v_subrev_u32_e32 v5, s87, v4
	v_cmp_le_u32_e32 vcc, s87, v4
	v_cndmask_b32_e32 v4, v4, v5, vcc
	v_subrev_u32_e32 v5, s87, v4
	v_cmp_le_u32_e32 vcc, s87, v4
	v_cndmask_b32_e32 v14, v4, v5, vcc
	v_pk_mov_b32 v[4:5], v[14:15], v[14:15] op_sel:[0,1]
.LBB207_137:                            ;   in Loop: Header=BB207_12 Depth=1
	v_mov_b32_e32 v6, s7
	v_sub_co_u32_e32 v4, vcc, s12, v4
	v_subb_co_u32_e32 v5, vcc, v6, v5, vcc
	v_cmp_gt_u64_e32 vcc, v[4:5], v[0:1]
	s_mov_b64 s[6:7], 0
                                        ; implicit-def: $vgpr6
	s_and_saveexec_b64 s[10:11], vcc
	s_cbranch_execz .LBB207_149
; %bb.138:                              ;   in Loop: Header=BB207_12 Depth=1
	s_mov_b64 s[12:13], 0
	v_mov_b32_e32 v14, v28
	v_pk_mov_b32 v[6:7], v[0:1], v[0:1] op_sel:[0,1]
                                        ; implicit-def: $sgpr28_sgpr29
	s_branch .LBB207_140
.LBB207_139:                            ;   in Loop: Header=BB207_140 Depth=2
	s_or_b64 exec, exec, s[6:7]
	s_waitcnt lgkmcnt(0)
	s_barrier
	ds_read_b32 v20, v15 offset:3072
	v_mov_b32_e32 v21, s88
	v_add_co_u32_e64 v6, s[6:7], s87, v6
	v_addc_co_u32_e64 v7, s[6:7], v7, v21, s[6:7]
	s_waitcnt lgkmcnt(0)
	v_cmp_neq_f16_e32 vcc, 0, v20
	v_cmp_ge_u64_e64 s[6:7], v[6:7], v[4:5]
	s_or_b64 s[6:7], s[6:7], vcc
	s_and_b64 s[6:7], exec, s[6:7]
	s_or_b64 s[12:13], s[6:7], s[12:13]
	s_andn2_b64 s[6:7], s[28:29], exec
	s_and_b64 s[28:29], vcc, exec
	v_add_u32_e32 v14, s95, v14
	s_or_b64 s[28:29], s[6:7], s[28:29]
	s_barrier
	s_andn2_b64 exec, exec, s[12:13]
	s_cbranch_execz .LBB207_148
.LBB207_140:                            ;   Parent Loop BB207_12 Depth=1
                                        ; =>  This Inner Loop Header: Depth=2
	v_cmp_gt_u64_e32 vcc, s[4:5], v[6:7]
	v_mov_b32_e32 v20, 0
	s_and_saveexec_b64 s[6:7], vcc
	s_cbranch_execz .LBB207_142
; %bb.141:                              ;   in Loop: Header=BB207_140 Depth=2
	ds_read_u16 v20, v14
.LBB207_142:                            ;   in Loop: Header=BB207_140 Depth=2
	s_or_b64 exec, exec, s[6:7]
	s_and_saveexec_b64 s[6:7], vcc
	s_cbranch_execz .LBB207_139
; %bb.143:                              ;   in Loop: Header=BB207_140 Depth=2
	s_waitcnt lgkmcnt(0)
	v_cmp_lt_i16_e32 vcc, -1, v20
	v_cndmask_b32_e32 v21, v32, v33, vcc
	v_xor_b32_sdwa v21, v21, v20 dst_sel:DWORD dst_unused:UNUSED_PAD src0_sel:DWORD src1_sel:WORD_0
	v_cmp_o_f16_e32 vcc, v20, v20
	v_cndmask_b32_e32 v21, v32, v21, vcc
	v_and_b32_e32 v21, v21, v9
	v_cmp_eq_u32_e32 vcc, v21, v8
	s_and_b64 exec, exec, vcc
	s_cbranch_execz .LBB207_139
; %bb.144:                              ;   in Loop: Header=BB207_140 Depth=2
	s_movk_i32 s42, 0x3c00
	v_perm_b32 v20, v20, s42, v36
	ds_write_b32 v15, v20 offset:3072
	s_branch .LBB207_139
.LBB207_145:                            ;   in Loop: Header=BB207_12 Depth=1
                                        ; implicit-def: $vgpr2_vgpr3
	s_branch .LBB207_87
.LBB207_146:                            ;   in Loop: Header=BB207_12 Depth=1
                                        ; implicit-def: $vgpr2_vgpr3
	s_branch .LBB207_106
.LBB207_147:                            ;   in Loop: Header=BB207_12 Depth=1
	s_mov_b64 s[28:29], -1
	s_mov_b64 s[6:7], 0
                                        ; implicit-def: $sgpr42_sgpr43
                                        ; implicit-def: $vgpr6
	s_mov_b64 s[44:45], s[28:29]
	s_cbranch_execnz .LBB207_150
	s_branch .LBB207_163
.LBB207_148:                            ;   in Loop: Header=BB207_12 Depth=1
	s_or_b64 exec, exec, s[12:13]
	v_lshrrev_b32_e32 v6, 16, v20
	s_and_b64 s[6:7], s[28:29], exec
.LBB207_149:                            ;   in Loop: Header=BB207_12 Depth=1
	s_or_b64 exec, exec, s[10:11]
	s_mov_b64 s[42:43], -1
	s_mov_b64 s[28:29], 0
	s_mov_b64 s[44:45], s[28:29]
	s_branch .LBB207_163
.LBB207_150:                            ;   in Loop: Header=BB207_12 Depth=1
	s_mov_b32 s92, s85
	s_cmp_lg_u64 s[92:93], 0
	s_cbranch_scc0 .LBB207_192
; %bb.151:                              ;   in Loop: Header=BB207_12 Depth=1
	v_cvt_f32_u32_e32 v4, s87
	s_sub_u32 s4, 0, s87
	s_subb_u32 s5, 0, 0
	v_mac_f32_e32 v4, 0, v34
	v_rcp_f32_e32 v4, v4
	v_mul_f32_e32 v4, 0x5f7ffffc, v4
	v_mul_f32_e32 v5, 0x2f800000, v4
	v_trunc_f32_e32 v5, v5
	v_mac_f32_e32 v4, 0xcf800000, v5
	v_cvt_u32_f32_e32 v5, v5
	v_cvt_u32_f32_e32 v4, v4
	v_readfirstlane_b32 s6, v5
	v_readfirstlane_b32 s7, v4
	s_mul_i32 s10, s4, s6
	s_mul_hi_u32 s12, s4, s7
	s_mul_i32 s11, s5, s7
	s_add_i32 s10, s12, s10
	s_mul_i32 s13, s4, s7
	s_add_i32 s10, s10, s11
	s_mul_hi_u32 s12, s7, s13
	s_mul_hi_u32 s11, s7, s10
	s_mul_i32 s7, s7, s10
	s_add_u32 s7, s12, s7
	s_addc_u32 s11, 0, s11
	s_mul_hi_u32 s28, s6, s13
	s_mul_i32 s13, s6, s13
	s_add_u32 s7, s7, s13
	s_mul_hi_u32 s12, s6, s10
	s_addc_u32 s7, s11, s28
	s_addc_u32 s11, s12, 0
	s_mul_i32 s10, s6, s10
	s_add_u32 s7, s7, s10
	s_addc_u32 s10, 0, s11
	v_add_co_u32_e32 v4, vcc, s7, v4
	s_cmp_lg_u64 vcc, 0
	s_addc_u32 s6, s6, s10
	v_readfirstlane_b32 s10, v4
	s_mul_i32 s7, s4, s6
	s_mul_hi_u32 s11, s4, s10
	s_add_i32 s7, s11, s7
	s_mul_i32 s5, s5, s10
	s_add_i32 s7, s7, s5
	s_mul_i32 s4, s4, s10
	s_mul_hi_u32 s11, s6, s4
	s_mul_i32 s12, s6, s4
	s_mul_i32 s28, s10, s7
	s_mul_hi_u32 s4, s10, s4
	s_mul_hi_u32 s13, s10, s7
	s_add_u32 s4, s4, s28
	s_addc_u32 s10, 0, s13
	s_add_u32 s4, s4, s12
	s_mul_hi_u32 s5, s6, s7
	s_addc_u32 s4, s10, s11
	s_addc_u32 s5, s5, 0
	s_mul_i32 s7, s6, s7
	s_add_u32 s4, s4, s7
	s_addc_u32 s5, 0, s5
	v_add_co_u32_e32 v4, vcc, s4, v4
	s_cmp_lg_u64 vcc, 0
	s_addc_u32 s4, s6, s5
	v_readlane_b32 s12, v48, 35
	v_readfirstlane_b32 s7, v4
	s_mul_i32 s6, s12, s4
	s_mul_hi_u32 s10, s12, s7
	s_mul_hi_u32 s5, s12, s4
	s_add_u32 s6, s10, s6
	s_addc_u32 s5, 0, s5
	s_mul_hi_u32 s11, s93, s7
	s_mul_i32 s7, s93, s7
	s_add_u32 s6, s6, s7
	s_mul_hi_u32 s10, s93, s4
	s_addc_u32 s5, s5, s11
	s_addc_u32 s6, s10, 0
	s_mul_i32 s4, s93, s4
	s_add_u32 s4, s5, s4
	s_addc_u32 s5, 0, s6
	s_mul_hi_u32 s6, s87, s4
	s_mul_i32 s4, s87, s4
	s_mul_i32 s5, s87, s5
	v_mov_b32_e32 v4, s4
	s_add_i32 s6, s6, s5
	v_sub_co_u32_e32 v4, vcc, s12, v4
	s_cmp_lg_u64 vcc, 0
	s_subb_u32 s4, s93, s6
	v_subrev_co_u32_e32 v5, vcc, s87, v4
	s_cmp_lg_u64 vcc, 0
	s_subb_u32 s5, s4, 0
	v_subrev_co_u32_e32 v6, vcc, s87, v5
	s_cmp_lg_u64 vcc, 0
	s_subb_u32 s6, s5, 0
	v_cmp_le_u32_e32 vcc, s87, v5
	s_cmp_eq_u32 s5, 0
	v_cndmask_b32_e64 v7, 0, -1, vcc
	s_cselect_b64 vcc, -1, 0
	v_cndmask_b32_e32 v7, -1, v7, vcc
	v_mov_b32_e32 v14, s5
	v_mov_b32_e32 v20, s6
	v_cmp_ne_u32_e32 vcc, 0, v7
	v_cndmask_b32_e32 v7, v14, v20, vcc
	v_cndmask_b32_e32 v6, v5, v6, vcc
	v_cmp_le_u32_e32 vcc, s87, v4
	s_cmp_eq_u32 s4, 0
	v_cndmask_b32_e64 v5, 0, -1, vcc
	s_cselect_b64 vcc, -1, 0
	v_cndmask_b32_e32 v5, -1, v5, vcc
	v_mov_b32_e32 v14, s4
	v_cmp_ne_u32_e32 vcc, 0, v5
	v_cndmask_b32_e32 v5, v14, v7, vcc
	v_cndmask_b32_e32 v4, v4, v6, vcc
	s_cbranch_execnz .LBB207_153
.LBB207_152:                            ;   in Loop: Header=BB207_12 Depth=1
	v_cvt_f32_u32_e32 v4, s87
	s_sub_i32 s4, 0, s87
	v_rcp_iflag_f32_e32 v4, v4
	v_mul_f32_e32 v4, 0x4f7ffffe, v4
	v_cvt_u32_f32_e32 v4, v4
	v_mul_lo_u32 v5, s4, v4
	v_mul_hi_u32 v5, v4, v5
	v_add_u32_e32 v4, v4, v5
	v_readlane_b32 s4, v48, 35
	v_mul_hi_u32 v4, s4, v4
	v_mul_lo_u32 v4, v4, s87
	v_sub_u32_e32 v4, s4, v4
	v_subrev_u32_e32 v5, s87, v4
	v_cmp_le_u32_e32 vcc, s87, v4
	v_cndmask_b32_e32 v4, v4, v5, vcc
	v_subrev_u32_e32 v5, s87, v4
	v_cmp_le_u32_e32 vcc, s87, v4
	v_cndmask_b32_e32 v14, v4, v5, vcc
	v_pk_mov_b32 v[4:5], v[14:15], v[14:15] op_sel:[0,1]
.LBB207_153:                            ;   in Loop: Header=BB207_12 Depth=1
	v_readlane_b32 s4, v48, 35
	v_mov_b32_e32 v6, s93
	v_sub_co_u32_e32 v4, vcc, s4, v4
	v_subb_co_u32_e32 v5, vcc, v6, v5, vcc
	v_cmp_gt_u64_e32 vcc, v[4:5], v[0:1]
	s_mov_b64 s[6:7], 0
                                        ; implicit-def: $vgpr6
	s_and_saveexec_b64 s[4:5], vcc
	s_cbranch_execz .LBB207_162
; %bb.154:                              ;   in Loop: Header=BB207_12 Depth=1
	s_mov_b64 s[10:11], 0
	v_pk_mov_b32 v[6:7], v[0:1], v[0:1] op_sel:[0,1]
                                        ; implicit-def: $sgpr12_sgpr13
	s_branch .LBB207_156
.LBB207_155:                            ;   in Loop: Header=BB207_156 Depth=2
	s_or_b64 exec, exec, s[6:7]
	s_waitcnt lgkmcnt(0)
	s_barrier
	s_waitcnt vmcnt(0)
	ds_read_b32 v14, v15 offset:3072
	v_mov_b32_e32 v20, s88
	v_add_co_u32_e64 v6, s[6:7], s87, v6
	v_addc_co_u32_e64 v7, s[6:7], v7, v20, s[6:7]
	s_waitcnt lgkmcnt(0)
	v_cmp_neq_f16_e32 vcc, 0, v14
	v_cmp_ge_u64_e64 s[6:7], v[6:7], v[4:5]
	s_or_b64 s[6:7], s[6:7], vcc
	s_and_b64 s[6:7], exec, s[6:7]
	s_or_b64 s[10:11], s[6:7], s[10:11]
	s_andn2_b64 s[6:7], s[12:13], exec
	s_and_b64 s[12:13], vcc, exec
	s_or_b64 s[12:13], s[6:7], s[12:13]
	s_barrier
	s_andn2_b64 exec, exec, s[10:11]
	s_cbranch_execz .LBB207_161
.LBB207_156:                            ;   Parent Loop BB207_12 Depth=1
                                        ; =>  This Inner Loop Header: Depth=2
	v_cmp_gt_u64_e32 vcc, s[60:61], v[6:7]
	v_mov_b32_e32 v14, 0
	s_and_saveexec_b64 s[28:29], vcc
	s_cbranch_execz .LBB207_158
; %bb.157:                              ;   in Loop: Header=BB207_156 Depth=2
	v_mul_lo_u32 v14, v7, s58
	v_mul_lo_u32 v22, v6, s59
	v_mad_u64_u32 v[20:21], s[6:7], v6, s58, 0
	v_add3_u32 v21, v21, v22, v14
	v_lshlrev_b64 v[20:21], 1, v[20:21]
	v_mov_b32_e32 v14, s86
	v_add_co_u32_e64 v20, s[6:7], s33, v20
	v_addc_co_u32_e64 v21, s[6:7], v14, v21, s[6:7]
	global_load_ushort v14, v[20:21], off
.LBB207_158:                            ;   in Loop: Header=BB207_156 Depth=2
	s_or_b64 exec, exec, s[28:29]
	s_and_saveexec_b64 s[6:7], vcc
	s_cbranch_execz .LBB207_155
; %bb.159:                              ;   in Loop: Header=BB207_156 Depth=2
	s_waitcnt vmcnt(0)
	v_cmp_lt_i16_e32 vcc, -1, v14
	v_cndmask_b32_e32 v20, v32, v33, vcc
	v_xor_b32_sdwa v20, v20, v14 dst_sel:DWORD dst_unused:UNUSED_PAD src0_sel:DWORD src1_sel:WORD_0
	v_cmp_o_f16_e32 vcc, v14, v14
	v_cndmask_b32_e32 v20, v32, v20, vcc
	v_and_b32_e32 v20, v20, v9
	v_cmp_eq_u32_e32 vcc, v20, v8
	s_and_b64 exec, exec, vcc
	s_cbranch_execz .LBB207_155
; %bb.160:                              ;   in Loop: Header=BB207_156 Depth=2
	s_movk_i32 s28, 0x3c00
	v_perm_b32 v14, v14, s28, v36
	ds_write_b32 v15, v14 offset:3072
	s_branch .LBB207_155
.LBB207_161:                            ;   in Loop: Header=BB207_12 Depth=1
	s_or_b64 exec, exec, s[10:11]
	v_lshrrev_b32_e32 v6, 16, v14
	s_and_b64 s[6:7], s[12:13], exec
.LBB207_162:                            ;   in Loop: Header=BB207_12 Depth=1
	s_or_b64 exec, exec, s[4:5]
	s_mov_b64 s[44:45], -1
	s_mov_b64 s[28:29], 0
	s_mov_b64 s[42:43], 0
.LBB207_163:                            ;   in Loop: Header=BB207_12 Depth=1
	s_orn2_b64 s[4:5], s[6:7], exec
.LBB207_164:                            ;   in Loop: Header=BB207_12 Depth=1
	s_or_b64 exec, exec, s[8:9]
	s_mov_b64 s[6:7], 0
                                        ; implicit-def: $vgpr7
	s_and_saveexec_b64 s[46:47], s[4:5]
	s_cbranch_execz .LBB207_277
; %bb.165:                              ;   in Loop: Header=BB207_12 Depth=1
	v_mov_b32_e32 v4, 1
	s_xor_b64 s[4:5], s[2:3], -1
	v_mov_b32_e32 v5, 0
	v_mov_b32_e32 v7, 1
	s_and_saveexec_b64 s[2:3], s[4:5]
	s_cbranch_execz .LBB207_175
; %bb.166:                              ;   in Loop: Header=BB207_12 Depth=1
	v_cmp_ge_u64_e32 vcc, s[18:19], v[2:3]
                                        ; implicit-def: $sgpr8
                                        ; implicit-def: $sgpr4_sgpr5
	s_and_saveexec_b64 s[6:7], vcc
	s_xor_b64 s[6:7], exec, s[6:7]
	s_cbranch_execz .LBB207_172
; %bb.167:                              ;   in Loop: Header=BB207_12 Depth=1
	ds_read_b64 v[4:5], v15 offset:5120
	s_waitcnt lgkmcnt(0)
	v_cmp_ne_u64_e32 vcc, 0, v[4:5]
	s_cbranch_vccnz .LBB207_171
; %bb.168:                              ;   in Loop: Header=BB207_12 Depth=1
	s_mov_b64 s[4:5], exec
	v_readlane_b32 s8, v48, 12
	v_readlane_b32 s9, v48, 13
	s_and_b64 s[8:9], s[4:5], s[8:9]
	s_mov_b64 exec, s[8:9]
	s_cbranch_execz .LBB207_170
; %bb.169:                              ;   in Loop: Header=BB207_12 Depth=1
	v_pk_mov_b32 v[4:5], s[18:19], s[18:19] op_sel:[0,1]
	ds_write_b64 v15, v[4:5] offset:5128
.LBB207_170:                            ;   in Loop: Header=BB207_12 Depth=1
	s_or_b64 exec, exec, s[4:5]
	s_waitcnt lgkmcnt(0)
	s_barrier
.LBB207_171:                            ;   in Loop: Header=BB207_12 Depth=1
	v_and_b32_e32 v4, s48, v8
	v_lshl_or_b32 v8, 1, s49, v4
	v_or_b32_e32 v9, s84, v9
	s_mov_b64 s[4:5], 0
	s_mov_b32 s8, 8
.LBB207_172:                            ;   in Loop: Header=BB207_12 Depth=1
	s_or_saveexec_b64 s[6:7], s[6:7]
	v_mov_b32_e32 v7, s8
	s_xor_b64 exec, exec, s[6:7]
; %bb.173:                              ;   in Loop: Header=BB207_12 Depth=1
	v_mov_b32_e32 v4, s19
	v_subrev_co_u32_e32 v2, vcc, s18, v2
	v_subb_co_u32_e32 v3, vcc, v3, v4, vcc
	v_mov_b32_e32 v7, 0
	s_or_b64 s[4:5], s[4:5], exec
; %bb.174:                              ;   in Loop: Header=BB207_12 Depth=1
	s_or_b64 exec, exec, s[6:7]
	s_and_b64 s[6:7], s[4:5], exec
	v_pk_mov_b32 v[4:5], v[2:3], v[2:3] op_sel:[0,1]
.LBB207_175:                            ;   in Loop: Header=BB207_12 Depth=1
	s_or_b64 exec, exec, s[2:3]
	s_mov_b64 s[2:3], -1
                                        ; implicit-def: $sgpr4_sgpr5
                                        ; implicit-def: $sgpr8_sgpr9
                                        ; implicit-def: $sgpr10_sgpr11
	s_and_saveexec_b64 s[50:51], s[6:7]
	s_cbranch_execz .LBB207_276
; %bb.176:                              ;   in Loop: Header=BB207_12 Depth=1
	s_cmp_eq_u64 s[22:23], 1
	s_cselect_b64 s[2:3], -1, 0
	v_cmp_eq_u64_e32 vcc, 1, v[4:5]
	s_and_b64 s[8:9], s[2:3], vcc
	s_mov_b64 s[4:5], -1
                                        ; implicit-def: $sgpr2_sgpr3
                                        ; implicit-def: $sgpr52_sgpr53
                                        ; implicit-def: $vcc
	s_and_saveexec_b64 s[54:55], s[8:9]
	s_cbranch_execz .LBB207_210
; %bb.177:                              ;   in Loop: Header=BB207_12 Depth=1
	ds_read_b64 v[2:3], v15 offset:5120
	s_waitcnt lgkmcnt(0)
	s_barrier
	v_readfirstlane_b32 s2, v2
	v_readfirstlane_b32 s3, v3
	s_mov_b64 s[4:5], exec
	v_readlane_b32 s6, v48, 30
	v_readlane_b32 s7, v48, 31
	s_and_b64 s[6:7], s[4:5], s[6:7]
	s_mov_b64 exec, s[6:7]
	s_cbranch_execz .LBB207_179
; %bb.178:                              ;   in Loop: Header=BB207_12 Depth=1
	ds_write_b16 v29, v15
.LBB207_179:                            ;   in Loop: Header=BB207_12 Depth=1
	s_or_b64 exec, exec, s[4:5]
	v_and_b32_e32 v2, s48, v8
	v_lshl_or_b32 v8, 2, s49, v2
	v_or_b32_e32 v9, s84, v9
	s_cmp_eq_u64 s[2:3], 0
	s_waitcnt lgkmcnt(0)
	s_barrier
	s_cbranch_scc1 .LBB207_193
; %bb.180:                              ;   in Loop: Header=BB207_12 Depth=1
	v_readlane_b32 s4, v48, 34
	s_add_u32 s10, s4, s2
	v_readlane_b32 s4, v48, 36
	s_addc_u32 s5, s4, s3
	s_mov_b32 s4, s85
	s_cmp_lg_u64 s[4:5], 0
	s_cbranch_scc0 .LBB207_228
; %bb.181:                              ;   in Loop: Header=BB207_12 Depth=1
	v_cvt_f32_u32_e32 v2, s87
	s_sub_u32 s4, 0, s87
	s_subb_u32 s6, 0, 0
	v_mac_f32_e32 v2, 0, v34
	v_rcp_f32_e32 v2, v2
	v_mul_f32_e32 v2, 0x5f7ffffc, v2
	v_mul_f32_e32 v3, 0x2f800000, v2
	v_trunc_f32_e32 v3, v3
	v_mac_f32_e32 v2, 0xcf800000, v3
	v_cvt_u32_f32_e32 v3, v3
	v_cvt_u32_f32_e32 v2, v2
	v_readfirstlane_b32 s7, v3
	v_readfirstlane_b32 s11, v2
	s_mul_i32 s12, s4, s7
	s_mul_hi_u32 s52, s4, s11
	s_mul_i32 s13, s6, s11
	s_add_i32 s12, s52, s12
	s_mul_i32 s53, s4, s11
	s_add_i32 s12, s12, s13
	s_mul_hi_u32 s52, s11, s53
	s_mul_hi_u32 s13, s11, s12
	s_mul_i32 s11, s11, s12
	s_add_u32 s11, s52, s11
	s_addc_u32 s13, 0, s13
	s_mul_hi_u32 s56, s7, s53
	s_mul_i32 s53, s7, s53
	s_add_u32 s11, s11, s53
	s_mul_hi_u32 s52, s7, s12
	s_addc_u32 s11, s13, s56
	s_addc_u32 s13, s52, 0
	s_mul_i32 s12, s7, s12
	s_add_u32 s11, s11, s12
	s_addc_u32 s12, 0, s13
	v_add_co_u32_e32 v2, vcc, s11, v2
	s_cmp_lg_u64 vcc, 0
	s_addc_u32 s7, s7, s12
	v_readfirstlane_b32 s12, v2
	s_mul_i32 s11, s4, s7
	s_mul_hi_u32 s13, s4, s12
	s_add_i32 s11, s13, s11
	s_mul_i32 s6, s6, s12
	s_add_i32 s11, s11, s6
	s_mul_i32 s4, s4, s12
	s_mul_hi_u32 s13, s7, s4
	s_mul_i32 s52, s7, s4
	s_mul_i32 s56, s12, s11
	s_mul_hi_u32 s4, s12, s4
	s_mul_hi_u32 s53, s12, s11
	s_add_u32 s4, s4, s56
	s_addc_u32 s12, 0, s53
	s_add_u32 s4, s4, s52
	s_mul_hi_u32 s6, s7, s11
	s_addc_u32 s4, s12, s13
	s_addc_u32 s6, s6, 0
	s_mul_i32 s11, s7, s11
	s_add_u32 s4, s4, s11
	s_addc_u32 s6, 0, s6
	v_add_co_u32_e32 v2, vcc, s4, v2
	s_cmp_lg_u64 vcc, 0
	s_addc_u32 s4, s7, s6
	v_readfirstlane_b32 s11, v2
	s_mul_i32 s7, s10, s4
	s_mul_hi_u32 s12, s10, s11
	s_mul_hi_u32 s6, s10, s4
	s_add_u32 s7, s12, s7
	s_addc_u32 s6, 0, s6
	s_mul_hi_u32 s13, s5, s11
	s_mul_i32 s11, s5, s11
	s_add_u32 s7, s7, s11
	s_mul_hi_u32 s12, s5, s4
	s_addc_u32 s6, s6, s13
	s_addc_u32 s7, s12, 0
	s_mul_i32 s4, s5, s4
	s_add_u32 s4, s6, s4
	s_addc_u32 s6, 0, s7
	s_mul_hi_u32 s7, s87, s4
	s_mul_i32 s4, s87, s4
	s_mul_i32 s6, s87, s6
	v_mov_b32_e32 v2, s4
	s_add_i32 s7, s7, s6
	v_sub_co_u32_e32 v2, vcc, s10, v2
	s_cmp_lg_u64 vcc, 0
	s_subb_u32 s4, s5, s7
	v_subrev_co_u32_e32 v3, vcc, s87, v2
	s_cmp_lg_u64 vcc, 0
	s_subb_u32 s6, s4, 0
	v_subrev_co_u32_e32 v6, vcc, s87, v3
	s_cmp_lg_u64 vcc, 0
	s_subb_u32 s7, s6, 0
	v_cmp_le_u32_e32 vcc, s87, v3
	s_cmp_eq_u32 s6, 0
	v_cndmask_b32_e64 v7, 0, -1, vcc
	s_cselect_b64 vcc, -1, 0
	v_cndmask_b32_e32 v7, -1, v7, vcc
	v_mov_b32_e32 v14, s6
	v_mov_b32_e32 v20, s7
	v_cmp_ne_u32_e32 vcc, 0, v7
	v_cndmask_b32_e32 v7, v14, v20, vcc
	v_cndmask_b32_e32 v6, v3, v6, vcc
	v_cmp_le_u32_e32 vcc, s87, v2
	s_cmp_eq_u32 s4, 0
	v_cndmask_b32_e64 v3, 0, -1, vcc
	s_cselect_b64 vcc, -1, 0
	v_cndmask_b32_e32 v3, -1, v3, vcc
	v_mov_b32_e32 v14, s4
	v_cmp_ne_u32_e32 vcc, 0, v3
	v_cndmask_b32_e32 v3, v14, v7, vcc
	v_cndmask_b32_e32 v2, v2, v6, vcc
	s_cbranch_execnz .LBB207_183
.LBB207_182:                            ;   in Loop: Header=BB207_12 Depth=1
	v_cvt_f32_u32_e32 v2, s87
	s_sub_i32 s4, 0, s87
	v_rcp_iflag_f32_e32 v2, v2
	v_mul_f32_e32 v2, 0x4f7ffffe, v2
	v_cvt_u32_f32_e32 v2, v2
	v_mul_lo_u32 v3, s4, v2
	v_mul_hi_u32 v3, v2, v3
	v_add_u32_e32 v2, v2, v3
	v_mul_hi_u32 v2, s10, v2
	v_mul_lo_u32 v2, v2, s87
	v_sub_u32_e32 v2, s10, v2
	v_subrev_u32_e32 v3, s87, v2
	v_cmp_le_u32_e32 vcc, s87, v2
	v_cndmask_b32_e32 v2, v2, v3, vcc
	v_subrev_u32_e32 v3, s87, v2
	v_cmp_le_u32_e32 vcc, s87, v2
	v_cndmask_b32_e32 v14, v2, v3, vcc
	v_pk_mov_b32 v[2:3], v[14:15], v[14:15] op_sel:[0,1]
.LBB207_183:                            ;   in Loop: Header=BB207_12 Depth=1
	v_mov_b32_e32 v6, s5
	v_sub_co_u32_e32 v2, vcc, s10, v2
	v_subb_co_u32_e32 v3, vcc, v6, v3, vcc
	v_cmp_gt_u64_e32 vcc, v[2:3], v[0:1]
	s_mov_b64 s[4:5], 0
                                        ; implicit-def: $vgpr6
	s_and_saveexec_b64 s[10:11], vcc
	s_cbranch_execz .LBB207_195
; %bb.184:                              ;   in Loop: Header=BB207_12 Depth=1
	v_mov_b32_e32 v14, v28
	v_pk_mov_b32 v[6:7], v[0:1], v[0:1] op_sel:[0,1]
                                        ; implicit-def: $sgpr12_sgpr13
	s_branch .LBB207_186
.LBB207_185:                            ;   in Loop: Header=BB207_186 Depth=2
	s_or_b64 exec, exec, s[6:7]
	s_waitcnt lgkmcnt(0)
	s_barrier
	ds_read_b32 v20, v15 offset:3072
	v_mov_b32_e32 v21, s88
	v_add_co_u32_e64 v6, s[6:7], s87, v6
	v_addc_co_u32_e64 v7, s[6:7], v7, v21, s[6:7]
	s_waitcnt lgkmcnt(0)
	v_cmp_neq_f16_e32 vcc, 0, v20
	v_cmp_ge_u64_e64 s[6:7], v[6:7], v[2:3]
	s_or_b64 s[6:7], s[6:7], vcc
	s_and_b64 s[6:7], exec, s[6:7]
	s_or_b64 s[4:5], s[6:7], s[4:5]
	s_andn2_b64 s[6:7], s[12:13], exec
	s_and_b64 s[12:13], vcc, exec
	v_add_u32_e32 v14, s95, v14
	s_or_b64 s[12:13], s[6:7], s[12:13]
	s_barrier
	s_andn2_b64 exec, exec, s[4:5]
	s_cbranch_execz .LBB207_194
.LBB207_186:                            ;   Parent Loop BB207_12 Depth=1
                                        ; =>  This Inner Loop Header: Depth=2
	v_cmp_gt_u64_e32 vcc, s[2:3], v[6:7]
	v_mov_b32_e32 v20, 0
	s_and_saveexec_b64 s[6:7], vcc
	s_cbranch_execz .LBB207_188
; %bb.187:                              ;   in Loop: Header=BB207_186 Depth=2
	ds_read_u16 v20, v14
.LBB207_188:                            ;   in Loop: Header=BB207_186 Depth=2
	s_or_b64 exec, exec, s[6:7]
	s_and_saveexec_b64 s[6:7], vcc
	s_cbranch_execz .LBB207_185
; %bb.189:                              ;   in Loop: Header=BB207_186 Depth=2
	s_waitcnt lgkmcnt(0)
	v_cmp_lt_i16_e32 vcc, -1, v20
	v_cndmask_b32_e32 v21, v32, v33, vcc
	v_xor_b32_sdwa v21, v21, v20 dst_sel:DWORD dst_unused:UNUSED_PAD src0_sel:DWORD src1_sel:WORD_0
	v_cmp_o_f16_e32 vcc, v20, v20
	v_cndmask_b32_e32 v21, v32, v21, vcc
	v_and_b32_e32 v21, v21, v9
	v_cmp_eq_u32_e32 vcc, v21, v8
	s_and_b64 exec, exec, vcc
	s_cbranch_execz .LBB207_185
; %bb.190:                              ;   in Loop: Header=BB207_186 Depth=2
	s_movk_i32 s52, 0x3c00
	v_perm_b32 v20, v20, s52, v36
	ds_write_b32 v15, v20 offset:3072
	s_branch .LBB207_185
.LBB207_191:                            ;   in Loop: Header=BB207_12 Depth=1
                                        ; implicit-def: $vgpr4_vgpr5
	s_branch .LBB207_136
.LBB207_192:                            ;   in Loop: Header=BB207_12 Depth=1
                                        ; implicit-def: $vgpr4_vgpr5
	s_branch .LBB207_152
.LBB207_193:                            ;   in Loop: Header=BB207_12 Depth=1
	s_mov_b64 s[2:3], -1
	s_mov_b64 s[4:5], 0
                                        ; implicit-def: $sgpr6_sgpr7
                                        ; implicit-def: $vgpr6
	s_mov_b64 s[52:53], s[2:3]
	s_cbranch_execnz .LBB207_196
	s_branch .LBB207_209
.LBB207_194:                            ;   in Loop: Header=BB207_12 Depth=1
	s_or_b64 exec, exec, s[4:5]
	v_lshrrev_b32_e32 v6, 16, v20
	s_and_b64 s[4:5], s[12:13], exec
.LBB207_195:                            ;   in Loop: Header=BB207_12 Depth=1
	s_or_b64 exec, exec, s[10:11]
	s_mov_b64 s[6:7], -1
	s_mov_b64 s[2:3], 0
	s_mov_b64 s[52:53], s[2:3]
	s_branch .LBB207_209
.LBB207_196:                            ;   in Loop: Header=BB207_12 Depth=1
	s_mov_b32 s92, s85
	s_cmp_lg_u64 s[92:93], 0
	s_cbranch_scc0 .LBB207_229
; %bb.197:                              ;   in Loop: Header=BB207_12 Depth=1
	v_cvt_f32_u32_e32 v2, s87
	s_sub_u32 s2, 0, s87
	s_subb_u32 s3, 0, 0
	v_mac_f32_e32 v2, 0, v34
	v_rcp_f32_e32 v2, v2
	v_mul_f32_e32 v2, 0x5f7ffffc, v2
	v_mul_f32_e32 v3, 0x2f800000, v2
	v_trunc_f32_e32 v3, v3
	v_mac_f32_e32 v2, 0xcf800000, v3
	v_cvt_u32_f32_e32 v3, v3
	v_cvt_u32_f32_e32 v2, v2
	v_readfirstlane_b32 s4, v3
	v_readfirstlane_b32 s5, v2
	s_mul_i32 s6, s2, s4
	s_mul_hi_u32 s10, s2, s5
	s_mul_i32 s7, s3, s5
	s_add_i32 s6, s10, s6
	s_mul_i32 s11, s2, s5
	s_add_i32 s6, s6, s7
	s_mul_hi_u32 s10, s5, s11
	s_mul_hi_u32 s7, s5, s6
	s_mul_i32 s5, s5, s6
	s_add_u32 s5, s10, s5
	s_addc_u32 s7, 0, s7
	s_mul_hi_u32 s12, s4, s11
	s_mul_i32 s11, s4, s11
	s_add_u32 s5, s5, s11
	s_mul_hi_u32 s10, s4, s6
	s_addc_u32 s5, s7, s12
	s_addc_u32 s7, s10, 0
	s_mul_i32 s6, s4, s6
	s_add_u32 s5, s5, s6
	s_addc_u32 s6, 0, s7
	v_add_co_u32_e32 v2, vcc, s5, v2
	s_cmp_lg_u64 vcc, 0
	s_addc_u32 s4, s4, s6
	v_readfirstlane_b32 s6, v2
	s_mul_i32 s5, s2, s4
	s_mul_hi_u32 s7, s2, s6
	s_add_i32 s5, s7, s5
	s_mul_i32 s3, s3, s6
	s_add_i32 s5, s5, s3
	s_mul_i32 s2, s2, s6
	s_mul_hi_u32 s7, s4, s2
	s_mul_i32 s10, s4, s2
	s_mul_i32 s12, s6, s5
	s_mul_hi_u32 s2, s6, s2
	s_mul_hi_u32 s11, s6, s5
	s_add_u32 s2, s2, s12
	s_addc_u32 s6, 0, s11
	s_add_u32 s2, s2, s10
	s_mul_hi_u32 s3, s4, s5
	s_addc_u32 s2, s6, s7
	s_addc_u32 s3, s3, 0
	s_mul_i32 s5, s4, s5
	s_add_u32 s2, s2, s5
	s_addc_u32 s3, 0, s3
	v_add_co_u32_e32 v2, vcc, s2, v2
	s_cmp_lg_u64 vcc, 0
	s_addc_u32 s2, s4, s3
	v_readlane_b32 s10, v48, 35
	v_readfirstlane_b32 s5, v2
	s_mul_i32 s4, s10, s2
	s_mul_hi_u32 s6, s10, s5
	s_mul_hi_u32 s3, s10, s2
	s_add_u32 s4, s6, s4
	s_addc_u32 s3, 0, s3
	s_mul_hi_u32 s7, s93, s5
	s_mul_i32 s5, s93, s5
	s_add_u32 s4, s4, s5
	s_mul_hi_u32 s6, s93, s2
	s_addc_u32 s3, s3, s7
	s_addc_u32 s4, s6, 0
	s_mul_i32 s2, s93, s2
	s_add_u32 s2, s3, s2
	s_addc_u32 s3, 0, s4
	s_mul_hi_u32 s4, s87, s2
	s_mul_i32 s2, s87, s2
	s_mul_i32 s3, s87, s3
	v_mov_b32_e32 v2, s2
	s_add_i32 s4, s4, s3
	v_sub_co_u32_e32 v2, vcc, s10, v2
	s_cmp_lg_u64 vcc, 0
	s_subb_u32 s2, s93, s4
	v_subrev_co_u32_e32 v3, vcc, s87, v2
	s_cmp_lg_u64 vcc, 0
	s_subb_u32 s3, s2, 0
	v_subrev_co_u32_e32 v6, vcc, s87, v3
	s_cmp_lg_u64 vcc, 0
	s_subb_u32 s4, s3, 0
	v_cmp_le_u32_e32 vcc, s87, v3
	s_cmp_eq_u32 s3, 0
	v_cndmask_b32_e64 v7, 0, -1, vcc
	s_cselect_b64 vcc, -1, 0
	v_cndmask_b32_e32 v7, -1, v7, vcc
	v_mov_b32_e32 v14, s3
	v_mov_b32_e32 v20, s4
	v_cmp_ne_u32_e32 vcc, 0, v7
	v_cndmask_b32_e32 v7, v14, v20, vcc
	v_cndmask_b32_e32 v6, v3, v6, vcc
	v_cmp_le_u32_e32 vcc, s87, v2
	s_cmp_eq_u32 s2, 0
	v_cndmask_b32_e64 v3, 0, -1, vcc
	s_cselect_b64 vcc, -1, 0
	v_cndmask_b32_e32 v3, -1, v3, vcc
	v_mov_b32_e32 v14, s2
	v_cmp_ne_u32_e32 vcc, 0, v3
	v_cndmask_b32_e32 v3, v14, v7, vcc
	v_cndmask_b32_e32 v2, v2, v6, vcc
	s_cbranch_execnz .LBB207_199
.LBB207_198:                            ;   in Loop: Header=BB207_12 Depth=1
	v_cvt_f32_u32_e32 v2, s87
	s_sub_i32 s2, 0, s87
	v_rcp_iflag_f32_e32 v2, v2
	v_mul_f32_e32 v2, 0x4f7ffffe, v2
	v_cvt_u32_f32_e32 v2, v2
	v_mul_lo_u32 v3, s2, v2
	v_mul_hi_u32 v3, v2, v3
	v_add_u32_e32 v2, v2, v3
	v_readlane_b32 s2, v48, 35
	v_mul_hi_u32 v2, s2, v2
	v_mul_lo_u32 v2, v2, s87
	v_sub_u32_e32 v2, s2, v2
	v_subrev_u32_e32 v3, s87, v2
	v_cmp_le_u32_e32 vcc, s87, v2
	v_cndmask_b32_e32 v2, v2, v3, vcc
	v_subrev_u32_e32 v3, s87, v2
	v_cmp_le_u32_e32 vcc, s87, v2
	v_cndmask_b32_e32 v14, v2, v3, vcc
	v_pk_mov_b32 v[2:3], v[14:15], v[14:15] op_sel:[0,1]
.LBB207_199:                            ;   in Loop: Header=BB207_12 Depth=1
	v_readlane_b32 s2, v48, 35
	v_mov_b32_e32 v6, s93
	v_sub_co_u32_e32 v2, vcc, s2, v2
	v_subb_co_u32_e32 v3, vcc, v6, v3, vcc
	v_cmp_gt_u64_e32 vcc, v[2:3], v[0:1]
	s_mov_b64 s[4:5], 0
                                        ; implicit-def: $vgpr6
	s_and_saveexec_b64 s[2:3], vcc
	s_cbranch_execz .LBB207_208
; %bb.200:                              ;   in Loop: Header=BB207_12 Depth=1
	v_pk_mov_b32 v[6:7], v[0:1], v[0:1] op_sel:[0,1]
                                        ; implicit-def: $sgpr10_sgpr11
	s_branch .LBB207_202
.LBB207_201:                            ;   in Loop: Header=BB207_202 Depth=2
	s_or_b64 exec, exec, s[6:7]
	s_waitcnt lgkmcnt(0)
	s_barrier
	s_waitcnt vmcnt(0)
	ds_read_b32 v14, v15 offset:3072
	v_mov_b32_e32 v20, s88
	v_add_co_u32_e64 v6, s[6:7], s87, v6
	v_addc_co_u32_e64 v7, s[6:7], v7, v20, s[6:7]
	s_waitcnt lgkmcnt(0)
	v_cmp_neq_f16_e32 vcc, 0, v14
	v_cmp_ge_u64_e64 s[6:7], v[6:7], v[2:3]
	s_or_b64 s[6:7], s[6:7], vcc
	s_and_b64 s[6:7], exec, s[6:7]
	s_or_b64 s[4:5], s[6:7], s[4:5]
	s_andn2_b64 s[6:7], s[10:11], exec
	s_and_b64 s[10:11], vcc, exec
	s_or_b64 s[10:11], s[6:7], s[10:11]
	s_barrier
	s_andn2_b64 exec, exec, s[4:5]
	s_cbranch_execz .LBB207_207
.LBB207_202:                            ;   Parent Loop BB207_12 Depth=1
                                        ; =>  This Inner Loop Header: Depth=2
	v_cmp_gt_u64_e32 vcc, s[60:61], v[6:7]
	v_mov_b32_e32 v14, 0
	s_and_saveexec_b64 s[12:13], vcc
	s_cbranch_execz .LBB207_204
; %bb.203:                              ;   in Loop: Header=BB207_202 Depth=2
	v_mul_lo_u32 v14, v7, s58
	v_mul_lo_u32 v22, v6, s59
	v_mad_u64_u32 v[20:21], s[6:7], v6, s58, 0
	v_add3_u32 v21, v21, v22, v14
	v_lshlrev_b64 v[20:21], 1, v[20:21]
	v_mov_b32_e32 v14, s86
	v_add_co_u32_e64 v20, s[6:7], s33, v20
	v_addc_co_u32_e64 v21, s[6:7], v14, v21, s[6:7]
	global_load_ushort v14, v[20:21], off
.LBB207_204:                            ;   in Loop: Header=BB207_202 Depth=2
	s_or_b64 exec, exec, s[12:13]
	s_and_saveexec_b64 s[6:7], vcc
	s_cbranch_execz .LBB207_201
; %bb.205:                              ;   in Loop: Header=BB207_202 Depth=2
	s_waitcnt vmcnt(0)
	v_cmp_lt_i16_e32 vcc, -1, v14
	v_cndmask_b32_e32 v20, v32, v33, vcc
	v_xor_b32_sdwa v20, v20, v14 dst_sel:DWORD dst_unused:UNUSED_PAD src0_sel:DWORD src1_sel:WORD_0
	v_cmp_o_f16_e32 vcc, v14, v14
	v_cndmask_b32_e32 v20, v32, v20, vcc
	v_and_b32_e32 v20, v20, v9
	v_cmp_eq_u32_e32 vcc, v20, v8
	s_and_b64 exec, exec, vcc
	s_cbranch_execz .LBB207_201
; %bb.206:                              ;   in Loop: Header=BB207_202 Depth=2
	s_movk_i32 s12, 0x3c00
	v_perm_b32 v14, v14, s12, v36
	ds_write_b32 v15, v14 offset:3072
	s_branch .LBB207_201
.LBB207_207:                            ;   in Loop: Header=BB207_12 Depth=1
	s_or_b64 exec, exec, s[4:5]
	v_lshrrev_b32_e32 v6, 16, v14
	s_and_b64 s[4:5], s[10:11], exec
.LBB207_208:                            ;   in Loop: Header=BB207_12 Depth=1
	s_or_b64 exec, exec, s[2:3]
	s_mov_b64 s[52:53], -1
	s_mov_b64 s[2:3], 0
	s_mov_b64 s[6:7], 0
.LBB207_209:                            ;   in Loop: Header=BB207_12 Depth=1
	s_orn2_b64 s[4:5], s[4:5], exec
	s_mov_b64 vcc, s[6:7]
.LBB207_210:                            ;   in Loop: Header=BB207_12 Depth=1
	s_or_b64 exec, exec, s[54:55]
	s_mov_b64 s[6:7], 0
                                        ; implicit-def: $vgpr7
	s_and_saveexec_b64 s[54:55], s[4:5]
	s_cbranch_execz .LBB207_275
; %bb.211:                              ;   in Loop: Header=BB207_12 Depth=1
	v_mov_b32_e32 v2, 1
	s_xor_b64 s[6:7], s[8:9], -1
	s_mov_b64 s[56:57], 0
	v_mov_b32_e32 v3, 0
	v_mov_b32_e32 v7, 1
	s_and_saveexec_b64 s[4:5], s[6:7]
	s_cbranch_execz .LBB207_221
; %bb.212:                              ;   in Loop: Header=BB207_12 Depth=1
	s_mov_b64 s[90:91], vcc
	v_cmp_ge_u64_e32 vcc, s[22:23], v[4:5]
                                        ; implicit-def: $sgpr10
                                        ; implicit-def: $sgpr6_sgpr7
	s_and_saveexec_b64 s[8:9], vcc
	s_xor_b64 s[8:9], exec, s[8:9]
	s_cbranch_execz .LBB207_218
; %bb.213:                              ;   in Loop: Header=BB207_12 Depth=1
	ds_read_b64 v[2:3], v15 offset:5120
	s_waitcnt lgkmcnt(0)
	v_cmp_ne_u64_e32 vcc, 0, v[2:3]
	s_cbranch_vccnz .LBB207_217
; %bb.214:                              ;   in Loop: Header=BB207_12 Depth=1
	s_mov_b64 s[6:7], exec
	v_readlane_b32 s10, v48, 12
	v_readlane_b32 s11, v48, 13
	s_and_b64 s[10:11], s[6:7], s[10:11]
	s_mov_b64 exec, s[10:11]
	s_cbranch_execz .LBB207_216
; %bb.215:                              ;   in Loop: Header=BB207_12 Depth=1
	v_pk_mov_b32 v[2:3], s[22:23], s[22:23] op_sel:[0,1]
	ds_write_b64 v15, v[2:3] offset:5128
.LBB207_216:                            ;   in Loop: Header=BB207_12 Depth=1
	s_or_b64 exec, exec, s[6:7]
	s_waitcnt lgkmcnt(0)
	s_barrier
.LBB207_217:                            ;   in Loop: Header=BB207_12 Depth=1
	v_and_b32_e32 v2, s48, v8
	v_lshl_or_b32 v8, 2, s49, v2
	v_or_b32_e32 v9, s84, v9
	s_mov_b64 s[6:7], 0
	s_mov_b32 s10, 8
.LBB207_218:                            ;   in Loop: Header=BB207_12 Depth=1
	s_or_saveexec_b64 s[8:9], s[8:9]
	v_mov_b32_e32 v7, s10
	s_xor_b64 exec, exec, s[8:9]
; %bb.219:                              ;   in Loop: Header=BB207_12 Depth=1
	v_mov_b32_e32 v2, s23
	v_subrev_co_u32_e32 v4, vcc, s22, v4
	v_subb_co_u32_e32 v5, vcc, v5, v2, vcc
	v_mov_b32_e32 v7, 0
	s_or_b64 s[6:7], s[6:7], exec
; %bb.220:                              ;   in Loop: Header=BB207_12 Depth=1
	s_or_b64 exec, exec, s[8:9]
	s_and_b64 s[56:57], s[6:7], exec
	v_pk_mov_b32 v[2:3], v[4:5], v[4:5] op_sel:[0,1]
	s_mov_b64 vcc, s[90:91]
.LBB207_221:                            ;   in Loop: Header=BB207_12 Depth=1
	s_or_b64 exec, exec, s[4:5]
	s_mov_b64 s[12:13], -1
                                        ; implicit-def: $sgpr4_sgpr5
                                        ; implicit-def: $sgpr10_sgpr11
                                        ; implicit-def: $sgpr6_sgpr7
	s_and_saveexec_b64 s[8:9], s[56:57]
	s_cbranch_execz .LBB207_274
; %bb.222:                              ;   in Loop: Header=BB207_12 Depth=1
	v_writelane_b32 v48, vcc_lo, 51
	s_cmp_eq_u64 s[24:25], 1
	v_writelane_b32 v48, vcc_hi, 52
	s_cselect_b64 s[4:5], -1, 0
	v_cmp_eq_u64_e32 vcc, 1, v[2:3]
	s_mov_b64 s[56:57], -1
	s_and_b64 s[12:13], s[4:5], vcc
                                        ; implicit-def: $sgpr4_sgpr5
                                        ; implicit-def: $sgpr10_sgpr11
                                        ; implicit-def: $sgpr6_sgpr7
	s_mov_b64 s[90:91], exec
	v_writelane_b32 v48, s12, 53
	v_writelane_b32 v48, s13, 54
	s_and_b64 s[12:13], s[90:91], s[12:13]
	s_mov_b64 exec, s[12:13]
	s_cbranch_execz .LBB207_261
; %bb.223:                              ;   in Loop: Header=BB207_12 Depth=1
	ds_read_b64 v[4:5], v15 offset:5120
	s_waitcnt lgkmcnt(0)
	s_barrier
	v_readfirstlane_b32 s4, v4
	v_readfirstlane_b32 s5, v5
	s_mov_b64 s[6:7], exec
	v_readlane_b32 s10, v48, 30
	v_readlane_b32 s11, v48, 31
	s_and_b64 s[10:11], s[6:7], s[10:11]
	s_mov_b64 exec, s[10:11]
	s_cbranch_execz .LBB207_225
; %bb.224:                              ;   in Loop: Header=BB207_12 Depth=1
	ds_write_b16 v29, v15
.LBB207_225:                            ;   in Loop: Header=BB207_12 Depth=1
	s_or_b64 exec, exec, s[6:7]
	v_or_b32_e32 v8, s84, v8
	v_or_b32_e32 v9, s84, v9
	s_cmp_eq_u64 s[4:5], 0
	v_writelane_b32 v48, s90, 55
	s_waitcnt lgkmcnt(0)
	s_barrier
	v_writelane_b32 v48, s91, 56
	s_cbranch_scc1 .LBB207_230
; %bb.226:                              ;   in Loop: Header=BB207_12 Depth=1
	v_readlane_b32 s6, v48, 34
	s_add_u32 s12, s6, s4
	v_readlane_b32 s6, v48, 36
	s_addc_u32 s7, s6, s5
	s_mov_b32 s6, s85
	s_cmp_lg_u64 s[6:7], 0
	s_cbranch_scc0 .LBB207_231
; %bb.227:                              ;   in Loop: Header=BB207_12 Depth=1
	v_cvt_f32_u32_e32 v4, s87
	s_sub_u32 s6, 0, s87
	s_subb_u32 s10, 0, 0
	v_mac_f32_e32 v4, 0, v34
	v_rcp_f32_e32 v4, v4
	v_mul_f32_e32 v4, 0x5f7ffffc, v4
	v_mul_f32_e32 v5, 0x2f800000, v4
	v_trunc_f32_e32 v5, v5
	v_mac_f32_e32 v4, 0xcf800000, v5
	v_cvt_u32_f32_e32 v5, v5
	v_cvt_u32_f32_e32 v4, v4
	v_readfirstlane_b32 s11, v5
	v_readfirstlane_b32 s13, v4
	s_mul_i32 s56, s6, s11
	s_mul_hi_u32 s90, s6, s13
	s_mul_i32 s57, s10, s13
	s_add_i32 s56, s90, s56
	s_mul_i32 s91, s6, s13
	s_add_i32 s56, s56, s57
	s_mul_hi_u32 s90, s13, s91
	s_mul_hi_u32 s57, s13, s56
	s_mul_i32 s13, s13, s56
	s_add_u32 s13, s90, s13
	s_addc_u32 s57, 0, s57
	s_mul_hi_u32 s92, s11, s91
	s_mul_i32 s91, s11, s91
	s_add_u32 s13, s13, s91
	s_mul_hi_u32 s90, s11, s56
	s_addc_u32 s13, s57, s92
	s_addc_u32 s57, s90, 0
	s_mul_i32 s56, s11, s56
	s_add_u32 s13, s13, s56
	s_addc_u32 s56, 0, s57
	v_add_co_u32_e32 v4, vcc, s13, v4
	s_cmp_lg_u64 vcc, 0
	s_addc_u32 s11, s11, s56
	v_readfirstlane_b32 s56, v4
	s_mul_i32 s13, s6, s11
	s_mul_hi_u32 s57, s6, s56
	s_add_i32 s13, s57, s13
	s_mul_i32 s10, s10, s56
	s_add_i32 s13, s13, s10
	s_mul_i32 s6, s6, s56
	s_mul_hi_u32 s57, s11, s6
	s_mul_i32 s90, s11, s6
	s_mul_i32 s92, s56, s13
	s_mul_hi_u32 s6, s56, s6
	s_mul_hi_u32 s91, s56, s13
	s_add_u32 s6, s6, s92
	s_addc_u32 s56, 0, s91
	s_add_u32 s6, s6, s90
	s_mul_hi_u32 s10, s11, s13
	s_addc_u32 s6, s56, s57
	s_addc_u32 s10, s10, 0
	s_mul_i32 s13, s11, s13
	s_add_u32 s6, s6, s13
	s_addc_u32 s10, 0, s10
	v_add_co_u32_e32 v4, vcc, s6, v4
	s_cmp_lg_u64 vcc, 0
	s_addc_u32 s6, s11, s10
	v_readfirstlane_b32 s13, v4
	s_mul_i32 s11, s12, s6
	s_mul_hi_u32 s56, s12, s13
	s_mul_hi_u32 s10, s12, s6
	s_add_u32 s11, s56, s11
	s_addc_u32 s10, 0, s10
	s_mul_hi_u32 s57, s7, s13
	s_mul_i32 s13, s7, s13
	s_add_u32 s11, s11, s13
	s_mul_hi_u32 s56, s7, s6
	s_addc_u32 s10, s10, s57
	s_addc_u32 s11, s56, 0
	s_mul_i32 s6, s7, s6
	s_add_u32 s6, s10, s6
	s_addc_u32 s10, 0, s11
	s_mul_hi_u32 s11, s87, s6
	s_mul_i32 s6, s87, s6
	s_mul_i32 s10, s87, s10
	v_mov_b32_e32 v4, s6
	s_add_i32 s11, s11, s10
	v_sub_co_u32_e32 v4, vcc, s12, v4
	s_cmp_lg_u64 vcc, 0
	s_subb_u32 s6, s7, s11
	v_subrev_co_u32_e32 v5, vcc, s87, v4
	s_cmp_lg_u64 vcc, 0
	s_subb_u32 s10, s6, 0
	v_subrev_co_u32_e32 v6, vcc, s87, v5
	s_cmp_lg_u64 vcc, 0
	s_subb_u32 s11, s10, 0
	v_cmp_le_u32_e32 vcc, s87, v5
	s_cmp_eq_u32 s10, 0
	v_cndmask_b32_e64 v7, 0, -1, vcc
	s_cselect_b64 vcc, -1, 0
	v_cndmask_b32_e32 v7, -1, v7, vcc
	v_mov_b32_e32 v14, s10
	v_mov_b32_e32 v20, s11
	v_cmp_ne_u32_e32 vcc, 0, v7
	v_cndmask_b32_e32 v7, v14, v20, vcc
	v_cndmask_b32_e32 v6, v5, v6, vcc
	v_cmp_le_u32_e32 vcc, s87, v4
	s_cmp_eq_u32 s6, 0
	v_cndmask_b32_e64 v5, 0, -1, vcc
	s_cselect_b64 vcc, -1, 0
	v_cndmask_b32_e32 v5, -1, v5, vcc
	v_mov_b32_e32 v14, s6
	v_cmp_ne_u32_e32 vcc, 0, v5
	v_cndmask_b32_e32 v5, v14, v7, vcc
	v_cndmask_b32_e32 v4, v4, v6, vcc
	s_mov_b64 s[10:11], 0
	s_branch .LBB207_232
.LBB207_228:                            ;   in Loop: Header=BB207_12 Depth=1
                                        ; implicit-def: $vgpr2_vgpr3
	s_branch .LBB207_182
.LBB207_229:                            ;   in Loop: Header=BB207_12 Depth=1
                                        ; implicit-def: $vgpr2_vgpr3
	s_branch .LBB207_198
.LBB207_230:                            ;   in Loop: Header=BB207_12 Depth=1
	s_mov_b64 s[4:5], -1
	s_mov_b64 s[12:13], 0
                                        ; implicit-def: $sgpr6_sgpr7
                                        ; implicit-def: $vgpr6
	s_branch .LBB207_244
.LBB207_231:                            ;   in Loop: Header=BB207_12 Depth=1
	s_mov_b64 s[10:11], -1
                                        ; implicit-def: $vgpr4_vgpr5
.LBB207_232:                            ;   in Loop: Header=BB207_12 Depth=1
	s_andn2_b64 vcc, exec, s[10:11]
	s_cbranch_vccnz .LBB207_234
; %bb.233:                              ;   in Loop: Header=BB207_12 Depth=1
	v_cvt_f32_u32_e32 v4, s87
	s_sub_i32 s6, 0, s87
	v_rcp_iflag_f32_e32 v4, v4
	v_mul_f32_e32 v4, 0x4f7ffffe, v4
	v_cvt_u32_f32_e32 v4, v4
	v_mul_lo_u32 v5, s6, v4
	v_mul_hi_u32 v5, v4, v5
	v_add_u32_e32 v4, v4, v5
	v_mul_hi_u32 v4, s12, v4
	v_mul_lo_u32 v4, v4, s87
	v_sub_u32_e32 v4, s12, v4
	v_subrev_u32_e32 v5, s87, v4
	v_cmp_le_u32_e32 vcc, s87, v4
	v_cndmask_b32_e32 v4, v4, v5, vcc
	v_subrev_u32_e32 v5, s87, v4
	v_cmp_le_u32_e32 vcc, s87, v4
	v_cndmask_b32_e32 v14, v4, v5, vcc
	v_pk_mov_b32 v[4:5], v[14:15], v[14:15] op_sel:[0,1]
.LBB207_234:                            ;   in Loop: Header=BB207_12 Depth=1
	v_mov_b32_e32 v6, s7
	v_sub_co_u32_e32 v4, vcc, s12, v4
	v_subb_co_u32_e32 v5, vcc, v6, v5, vcc
	v_cmp_gt_u64_e32 vcc, v[4:5], v[0:1]
	s_mov_b64 s[12:13], 0
                                        ; implicit-def: $vgpr6
	s_and_saveexec_b64 s[10:11], vcc
	s_cbranch_execz .LBB207_243
; %bb.235:                              ;   in Loop: Header=BB207_12 Depth=1
	v_mov_b32_e32 v14, v28
	v_pk_mov_b32 v[6:7], v[0:1], v[0:1] op_sel:[0,1]
                                        ; implicit-def: $sgpr56_sgpr57
	s_branch .LBB207_237
.LBB207_236:                            ;   in Loop: Header=BB207_237 Depth=2
	s_or_b64 exec, exec, s[6:7]
	s_waitcnt lgkmcnt(0)
	s_barrier
	ds_read_b32 v20, v15 offset:3072
	v_mov_b32_e32 v21, s88
	v_add_co_u32_e64 v6, s[6:7], s87, v6
	v_addc_co_u32_e64 v7, s[6:7], v7, v21, s[6:7]
	s_waitcnt lgkmcnt(0)
	v_cmp_neq_f16_e32 vcc, 0, v20
	v_cmp_ge_u64_e64 s[6:7], v[6:7], v[4:5]
	s_or_b64 s[6:7], s[6:7], vcc
	s_and_b64 s[6:7], exec, s[6:7]
	s_or_b64 s[12:13], s[6:7], s[12:13]
	s_andn2_b64 s[6:7], s[56:57], exec
	s_and_b64 s[56:57], vcc, exec
	v_add_u32_e32 v14, s95, v14
	s_or_b64 s[56:57], s[6:7], s[56:57]
	s_barrier
	s_andn2_b64 exec, exec, s[12:13]
	s_cbranch_execz .LBB207_242
.LBB207_237:                            ;   Parent Loop BB207_12 Depth=1
                                        ; =>  This Inner Loop Header: Depth=2
	v_cmp_gt_u64_e32 vcc, s[4:5], v[6:7]
	v_mov_b32_e32 v20, 0
	s_and_saveexec_b64 s[6:7], vcc
	s_cbranch_execz .LBB207_239
; %bb.238:                              ;   in Loop: Header=BB207_237 Depth=2
	ds_read_u16 v20, v14
.LBB207_239:                            ;   in Loop: Header=BB207_237 Depth=2
	s_or_b64 exec, exec, s[6:7]
	s_and_saveexec_b64 s[6:7], vcc
	s_cbranch_execz .LBB207_236
; %bb.240:                              ;   in Loop: Header=BB207_237 Depth=2
	s_waitcnt lgkmcnt(0)
	v_cmp_lt_i16_e32 vcc, -1, v20
	v_cndmask_b32_e32 v21, v32, v33, vcc
	v_xor_b32_sdwa v21, v21, v20 dst_sel:DWORD dst_unused:UNUSED_PAD src0_sel:DWORD src1_sel:WORD_0
	v_cmp_o_f16_e32 vcc, v20, v20
	v_cndmask_b32_e32 v21, v32, v21, vcc
	v_and_b32_e32 v21, v21, v9
	v_cmp_eq_u32_e32 vcc, v21, v8
	s_and_b64 exec, exec, vcc
	s_cbranch_execz .LBB207_236
; %bb.241:                              ;   in Loop: Header=BB207_237 Depth=2
	s_movk_i32 s90, 0x3c00
	v_perm_b32 v20, v20, s90, v36
	ds_write_b32 v15, v20 offset:3072
	s_branch .LBB207_236
.LBB207_242:                            ;   in Loop: Header=BB207_12 Depth=1
	s_or_b64 exec, exec, s[12:13]
	v_lshrrev_b32_e32 v6, 16, v20
	s_and_b64 s[12:13], s[56:57], exec
.LBB207_243:                            ;   in Loop: Header=BB207_12 Depth=1
	s_or_b64 exec, exec, s[10:11]
	s_mov_b64 s[6:7], -1
	s_mov_b64 s[4:5], 0
.LBB207_244:                            ;   in Loop: Header=BB207_12 Depth=1
	s_and_b64 vcc, exec, s[4:5]
	s_mov_b64 s[10:11], s[4:5]
	s_cbranch_vccz .LBB207_260
; %bb.245:                              ;   in Loop: Header=BB207_12 Depth=1
	s_mov_b32 s92, s85
	s_cmp_lg_u64 s[92:93], 0
	s_cbranch_scc0 .LBB207_247
; %bb.246:                              ;   in Loop: Header=BB207_12 Depth=1
	v_cvt_f32_u32_e32 v4, s87
	s_sub_u32 s4, 0, s87
	s_subb_u32 s5, 0, 0
	v_mac_f32_e32 v4, 0, v34
	v_rcp_f32_e32 v4, v4
	v_mul_f32_e32 v4, 0x5f7ffffc, v4
	v_mul_f32_e32 v5, 0x2f800000, v4
	v_trunc_f32_e32 v5, v5
	v_mac_f32_e32 v4, 0xcf800000, v5
	v_cvt_u32_f32_e32 v5, v5
	v_cvt_u32_f32_e32 v4, v4
	v_readfirstlane_b32 s6, v5
	v_readfirstlane_b32 s7, v4
	s_mul_i32 s10, s4, s6
	s_mul_hi_u32 s12, s4, s7
	s_mul_i32 s11, s5, s7
	s_add_i32 s10, s12, s10
	s_mul_i32 s13, s4, s7
	s_add_i32 s10, s10, s11
	s_mul_hi_u32 s12, s7, s13
	s_mul_hi_u32 s11, s7, s10
	s_mul_i32 s7, s7, s10
	s_add_u32 s7, s12, s7
	s_addc_u32 s11, 0, s11
	s_mul_hi_u32 s56, s6, s13
	s_mul_i32 s13, s6, s13
	s_add_u32 s7, s7, s13
	s_mul_hi_u32 s12, s6, s10
	s_addc_u32 s7, s11, s56
	s_addc_u32 s11, s12, 0
	s_mul_i32 s10, s6, s10
	s_add_u32 s7, s7, s10
	s_addc_u32 s10, 0, s11
	v_add_co_u32_e32 v4, vcc, s7, v4
	s_cmp_lg_u64 vcc, 0
	s_addc_u32 s6, s6, s10
	v_readfirstlane_b32 s10, v4
	s_mul_i32 s7, s4, s6
	s_mul_hi_u32 s11, s4, s10
	s_add_i32 s7, s11, s7
	s_mul_i32 s5, s5, s10
	s_add_i32 s7, s7, s5
	s_mul_i32 s4, s4, s10
	s_mul_hi_u32 s11, s6, s4
	s_mul_i32 s12, s6, s4
	s_mul_i32 s56, s10, s7
	s_mul_hi_u32 s4, s10, s4
	s_mul_hi_u32 s13, s10, s7
	s_add_u32 s4, s4, s56
	s_addc_u32 s10, 0, s13
	s_add_u32 s4, s4, s12
	s_mul_hi_u32 s5, s6, s7
	s_addc_u32 s4, s10, s11
	s_addc_u32 s5, s5, 0
	s_mul_i32 s7, s6, s7
	s_add_u32 s4, s4, s7
	s_addc_u32 s5, 0, s5
	v_add_co_u32_e32 v4, vcc, s4, v4
	s_cmp_lg_u64 vcc, 0
	s_addc_u32 s4, s6, s5
	v_readlane_b32 s12, v48, 35
	v_readfirstlane_b32 s7, v4
	s_mul_i32 s6, s12, s4
	s_mul_hi_u32 s10, s12, s7
	s_mul_hi_u32 s5, s12, s4
	s_add_u32 s6, s10, s6
	s_addc_u32 s5, 0, s5
	s_mul_hi_u32 s11, s93, s7
	s_mul_i32 s7, s93, s7
	s_add_u32 s6, s6, s7
	s_mul_hi_u32 s10, s93, s4
	s_addc_u32 s5, s5, s11
	s_addc_u32 s6, s10, 0
	s_mul_i32 s4, s93, s4
	s_add_u32 s4, s5, s4
	s_addc_u32 s5, 0, s6
	s_mul_hi_u32 s6, s87, s4
	s_mul_i32 s4, s87, s4
	s_mul_i32 s5, s87, s5
	v_mov_b32_e32 v4, s4
	s_add_i32 s6, s6, s5
	v_sub_co_u32_e32 v4, vcc, s12, v4
	s_cmp_lg_u64 vcc, 0
	s_subb_u32 s4, s93, s6
	v_subrev_co_u32_e32 v5, vcc, s87, v4
	s_cmp_lg_u64 vcc, 0
	s_subb_u32 s5, s4, 0
	v_subrev_co_u32_e32 v6, vcc, s87, v5
	s_cmp_lg_u64 vcc, 0
	s_subb_u32 s6, s5, 0
	v_cmp_le_u32_e32 vcc, s87, v5
	s_cmp_eq_u32 s5, 0
	v_cndmask_b32_e64 v7, 0, -1, vcc
	s_cselect_b64 vcc, -1, 0
	v_cndmask_b32_e32 v7, -1, v7, vcc
	v_mov_b32_e32 v14, s5
	v_mov_b32_e32 v20, s6
	v_cmp_ne_u32_e32 vcc, 0, v7
	v_cndmask_b32_e32 v7, v14, v20, vcc
	v_cndmask_b32_e32 v6, v5, v6, vcc
	v_cmp_le_u32_e32 vcc, s87, v4
	s_cmp_eq_u32 s4, 0
	v_cndmask_b32_e64 v5, 0, -1, vcc
	s_cselect_b64 vcc, -1, 0
	v_cndmask_b32_e32 v5, -1, v5, vcc
	v_mov_b32_e32 v14, s4
	v_cmp_ne_u32_e32 vcc, 0, v5
	v_cndmask_b32_e32 v5, v14, v7, vcc
	v_cndmask_b32_e32 v4, v4, v6, vcc
	s_mov_b64 s[4:5], 0
	s_branch .LBB207_248
.LBB207_247:                            ;   in Loop: Header=BB207_12 Depth=1
	s_mov_b64 s[4:5], -1
                                        ; implicit-def: $vgpr4_vgpr5
.LBB207_248:                            ;   in Loop: Header=BB207_12 Depth=1
	s_andn2_b64 vcc, exec, s[4:5]
	s_cbranch_vccnz .LBB207_250
; %bb.249:                              ;   in Loop: Header=BB207_12 Depth=1
	v_cvt_f32_u32_e32 v4, s87
	s_sub_i32 s4, 0, s87
	v_rcp_iflag_f32_e32 v4, v4
	v_mul_f32_e32 v4, 0x4f7ffffe, v4
	v_cvt_u32_f32_e32 v4, v4
	v_mul_lo_u32 v5, s4, v4
	v_mul_hi_u32 v5, v4, v5
	v_add_u32_e32 v4, v4, v5
	v_readlane_b32 s4, v48, 35
	v_mul_hi_u32 v4, s4, v4
	v_mul_lo_u32 v4, v4, s87
	v_sub_u32_e32 v4, s4, v4
	v_subrev_u32_e32 v5, s87, v4
	v_cmp_le_u32_e32 vcc, s87, v4
	v_cndmask_b32_e32 v4, v4, v5, vcc
	v_subrev_u32_e32 v5, s87, v4
	v_cmp_le_u32_e32 vcc, s87, v4
	v_cndmask_b32_e32 v14, v4, v5, vcc
	v_pk_mov_b32 v[4:5], v[14:15], v[14:15] op_sel:[0,1]
.LBB207_250:                            ;   in Loop: Header=BB207_12 Depth=1
	v_readlane_b32 s4, v48, 35
	v_mov_b32_e32 v6, s93
	v_sub_co_u32_e32 v4, vcc, s4, v4
	v_subb_co_u32_e32 v5, vcc, v6, v5, vcc
	v_cmp_gt_u64_e32 vcc, v[4:5], v[0:1]
	s_mov_b64 s[12:13], 0
                                        ; implicit-def: $vgpr6
	s_and_saveexec_b64 s[4:5], vcc
	s_cbranch_execz .LBB207_259
; %bb.251:                              ;   in Loop: Header=BB207_12 Depth=1
	s_mov_b64 s[10:11], 0
	v_pk_mov_b32 v[6:7], v[0:1], v[0:1] op_sel:[0,1]
                                        ; implicit-def: $sgpr12_sgpr13
	s_branch .LBB207_253
.LBB207_252:                            ;   in Loop: Header=BB207_253 Depth=2
	s_or_b64 exec, exec, s[6:7]
	s_waitcnt lgkmcnt(0)
	s_barrier
	s_waitcnt vmcnt(0)
	ds_read_b32 v14, v15 offset:3072
	v_mov_b32_e32 v20, s88
	v_add_co_u32_e64 v6, s[6:7], s87, v6
	v_addc_co_u32_e64 v7, s[6:7], v7, v20, s[6:7]
	s_waitcnt lgkmcnt(0)
	v_cmp_neq_f16_e32 vcc, 0, v14
	v_cmp_ge_u64_e64 s[6:7], v[6:7], v[4:5]
	s_or_b64 s[6:7], s[6:7], vcc
	s_and_b64 s[6:7], exec, s[6:7]
	s_or_b64 s[10:11], s[6:7], s[10:11]
	s_andn2_b64 s[6:7], s[12:13], exec
	s_and_b64 s[12:13], vcc, exec
	s_or_b64 s[12:13], s[6:7], s[12:13]
	s_barrier
	s_andn2_b64 exec, exec, s[10:11]
	s_cbranch_execz .LBB207_258
.LBB207_253:                            ;   Parent Loop BB207_12 Depth=1
                                        ; =>  This Inner Loop Header: Depth=2
	v_cmp_gt_u64_e32 vcc, s[60:61], v[6:7]
	v_mov_b32_e32 v14, 0
	s_and_saveexec_b64 s[56:57], vcc
	s_cbranch_execz .LBB207_255
; %bb.254:                              ;   in Loop: Header=BB207_253 Depth=2
	v_mul_lo_u32 v14, v7, s58
	v_mul_lo_u32 v22, v6, s59
	v_mad_u64_u32 v[20:21], s[6:7], v6, s58, 0
	v_add3_u32 v21, v21, v22, v14
	v_lshlrev_b64 v[20:21], 1, v[20:21]
	v_mov_b32_e32 v14, s86
	v_add_co_u32_e64 v20, s[6:7], s33, v20
	v_addc_co_u32_e64 v21, s[6:7], v14, v21, s[6:7]
	global_load_ushort v14, v[20:21], off
.LBB207_255:                            ;   in Loop: Header=BB207_253 Depth=2
	s_or_b64 exec, exec, s[56:57]
	s_and_saveexec_b64 s[6:7], vcc
	s_cbranch_execz .LBB207_252
; %bb.256:                              ;   in Loop: Header=BB207_253 Depth=2
	s_waitcnt vmcnt(0)
	v_cmp_lt_i16_e32 vcc, -1, v14
	v_cndmask_b32_e32 v20, v32, v33, vcc
	v_xor_b32_sdwa v20, v20, v14 dst_sel:DWORD dst_unused:UNUSED_PAD src0_sel:DWORD src1_sel:WORD_0
	v_cmp_o_f16_e32 vcc, v14, v14
	v_cndmask_b32_e32 v20, v32, v20, vcc
	v_and_b32_e32 v20, v20, v9
	v_cmp_eq_u32_e32 vcc, v20, v8
	s_and_b64 exec, exec, vcc
	s_cbranch_execz .LBB207_252
; %bb.257:                              ;   in Loop: Header=BB207_253 Depth=2
	s_movk_i32 s56, 0x3c00
	v_perm_b32 v14, v14, s56, v36
	ds_write_b32 v15, v14 offset:3072
	s_branch .LBB207_252
.LBB207_258:                            ;   in Loop: Header=BB207_12 Depth=1
	s_or_b64 exec, exec, s[10:11]
	v_lshrrev_b32_e32 v6, 16, v14
	s_and_b64 s[12:13], s[12:13], exec
.LBB207_259:                            ;   in Loop: Header=BB207_12 Depth=1
	s_or_b64 exec, exec, s[4:5]
	s_mov_b64 s[10:11], -1
	s_mov_b64 s[4:5], 0
	s_mov_b64 s[6:7], 0
.LBB207_260:                            ;   in Loop: Header=BB207_12 Depth=1
	v_readlane_b32 s90, v48, 55
	s_orn2_b64 s[56:57], s[12:13], exec
	v_readlane_b32 s91, v48, 56
.LBB207_261:                            ;   in Loop: Header=BB207_12 Depth=1
	s_or_b64 exec, exec, s[90:91]
	s_mov_b64 s[90:91], 0
                                        ; implicit-def: $vgpr7
                                        ; implicit-def: $vgpr4_vgpr5
	s_and_saveexec_b64 s[12:13], s[56:57]
	v_readlane_b32 vcc_lo, v48, 51
	v_readlane_b32 vcc_hi, v48, 52
	s_cbranch_execz .LBB207_273
; %bb.262:                              ;   in Loop: Header=BB207_12 Depth=1
	v_readlane_b32 s56, v48, 53
	v_readlane_b32 s57, v48, 54
	v_mov_b32_e32 v4, 1
	s_xor_b64 s[90:91], s[56:57], -1
	v_mov_b32_e32 v7, 1
	v_mov_b32_e32 v5, 0
	s_and_saveexec_b64 s[56:57], s[90:91]
	s_cbranch_execz .LBB207_272
; %bb.263:                              ;   in Loop: Header=BB207_12 Depth=1
	v_cmp_ge_u64_e32 vcc, s[24:25], v[2:3]
                                        ; implicit-def: $sgpr92
	s_and_saveexec_b64 s[90:91], vcc
	s_xor_b64 s[90:91], exec, s[90:91]
	s_cbranch_execz .LBB207_269
; %bb.264:                              ;   in Loop: Header=BB207_12 Depth=1
	ds_read_b64 v[4:5], v15 offset:5120
	s_waitcnt lgkmcnt(0)
	v_cmp_ne_u64_e32 vcc, 0, v[4:5]
	s_cbranch_vccnz .LBB207_268
; %bb.265:                              ;   in Loop: Header=BB207_12 Depth=1
	v_writelane_b32 v48, s8, 57
	v_writelane_b32 v48, s9, 58
	s_mov_b64 s[8:9], exec
	v_writelane_b32 v48, s8, 59
	v_writelane_b32 v48, s9, 60
	v_readlane_b32 vcc_lo, v48, 12
	v_readlane_b32 s8, v48, 59
	v_readlane_b32 vcc_hi, v48, 13
	v_readlane_b32 s9, v48, 60
	s_and_b64 vcc, s[8:9], vcc
	s_mov_b64 exec, vcc
	s_cbranch_execz .LBB207_267
; %bb.266:                              ;   in Loop: Header=BB207_12 Depth=1
	v_pk_mov_b32 v[4:5], s[24:25], s[24:25] op_sel:[0,1]
	ds_write_b64 v15, v[4:5] offset:5128
.LBB207_267:                            ;   in Loop: Header=BB207_12 Depth=1
	v_readlane_b32 vcc_lo, v48, 59
	v_readlane_b32 vcc_hi, v48, 60
	s_or_b64 exec, exec, vcc
	v_readlane_b32 s8, v48, 57
	v_readlane_b32 s9, v48, 58
	s_waitcnt lgkmcnt(0)
	s_barrier
.LBB207_268:                            ;   in Loop: Header=BB207_12 Depth=1
	v_or_b32_e32 v8, s84, v8
	v_or_b32_e32 v9, s84, v9
	s_mov_b32 s92, 8
.LBB207_269:                            ;   in Loop: Header=BB207_12 Depth=1
	s_or_saveexec_b64 s[90:91], s[90:91]
	v_mov_b32_e32 v7, s92
	s_xor_b64 exec, exec, s[90:91]
; %bb.270:                              ;   in Loop: Header=BB207_12 Depth=1
	v_mov_b32_e32 v4, s25
	v_subrev_co_u32_e32 v2, vcc, s24, v2
	v_subb_co_u32_e32 v3, vcc, v3, v4, vcc
	v_mov_b32_e32 v7, 8
; %bb.271:                              ;   in Loop: Header=BB207_12 Depth=1
	s_or_b64 exec, exec, s[90:91]
	v_readlane_b32 vcc_lo, v48, 51
	v_pk_mov_b32 v[4:5], v[2:3], v[2:3] op_sel:[0,1]
	v_readlane_b32 vcc_hi, v48, 52
.LBB207_272:                            ;   in Loop: Header=BB207_12 Depth=1
	s_or_b64 exec, exec, s[56:57]
	s_mov_b64 s[90:91], exec
.LBB207_273:                            ;   in Loop: Header=BB207_12 Depth=1
	s_or_b64 exec, exec, s[12:13]
	s_orn2_b64 s[12:13], s[90:91], exec
	v_pk_mov_b32 v[2:3], v[4:5], v[4:5] op_sel:[0,1]
.LBB207_274:                            ;   in Loop: Header=BB207_12 Depth=1
	s_or_b64 exec, exec, s[8:9]
	s_andn2_b64 s[2:3], s[2:3], exec
	s_and_b64 s[4:5], s[4:5], exec
	s_or_b64 s[2:3], s[2:3], s[4:5]
	s_andn2_b64 s[4:5], s[52:53], exec
	s_and_b64 s[8:9], s[10:11], exec
	s_or_b64 s[52:53], s[4:5], s[8:9]
	s_andn2_b64 s[4:5], vcc, exec
	s_and_b64 s[6:7], s[6:7], exec
	s_or_b64 vcc, s[4:5], s[6:7]
	s_and_b64 s[6:7], s[12:13], exec
	v_pk_mov_b32 v[4:5], v[2:3], v[2:3] op_sel:[0,1]
.LBB207_275:                            ;   in Loop: Header=BB207_12 Depth=1
	s_or_b64 exec, exec, s[54:55]
	s_and_b64 s[10:11], s[2:3], exec
	s_and_b64 s[8:9], s[52:53], exec
	s_and_b64 s[4:5], vcc, exec
	s_orn2_b64 s[2:3], s[6:7], exec
.LBB207_276:                            ;   in Loop: Header=BB207_12 Depth=1
	s_or_b64 exec, exec, s[50:51]
	s_andn2_b64 s[6:7], s[28:29], exec
	s_and_b64 s[10:11], s[10:11], exec
	s_or_b64 s[28:29], s[6:7], s[10:11]
	s_andn2_b64 s[6:7], s[44:45], exec
	s_and_b64 s[8:9], s[8:9], exec
	s_or_b64 s[44:45], s[6:7], s[8:9]
	;; [unrolled: 3-line block ×3, first 2 shown]
	s_and_b64 s[6:7], s[2:3], exec
	v_pk_mov_b32 v[2:3], v[4:5], v[4:5] op_sel:[0,1]
.LBB207_277:                            ;   in Loop: Header=BB207_12 Depth=1
	s_or_b64 exec, exec, s[46:47]
	s_and_b64 s[8:9], s[28:29], exec
	s_and_b64 s[4:5], s[44:45], exec
	s_and_b64 s[2:3], s[42:43], exec
	s_orn2_b64 s[12:13], s[6:7], exec
.LBB207_278:                            ;   in Loop: Header=BB207_12 Depth=1
	s_or_b64 exec, exec, s[26:27]
	s_mov_b64 s[6:7], 0
	s_mov_b64 s[10:11], 0
	s_and_saveexec_b64 s[26:27], s[12:13]
	s_xor_b64 s[12:13], exec, s[26:27]
; %bb.279:                              ;   in Loop: Header=BB207_12 Depth=1
	v_cmp_eq_u32_e32 vcc, 8, v7
	v_cmp_ne_u32_e64 s[6:7], 8, v7
	s_andn2_b64 s[8:9], s[8:9], exec
	s_andn2_b64 s[4:5], s[4:5], exec
	;; [unrolled: 1-line block ×3, first 2 shown]
	s_and_b64 s[10:11], s[6:7], exec
	s_and_b64 s[6:7], vcc, exec
; %bb.280:                              ;   in Loop: Header=BB207_12 Depth=1
	s_or_b64 exec, exec, s[12:13]
	s_andn2_b64 s[12:13], s[20:21], exec
	s_and_b64 s[8:9], s[8:9], exec
	s_or_b64 s[20:21], s[12:13], s[8:9]
	s_andn2_b64 s[8:9], s[36:37], exec
	s_and_b64 s[4:5], s[4:5], exec
	s_or_b64 s[36:37], s[8:9], s[4:5]
	;; [unrolled: 3-line block ×3, first 2 shown]
	s_and_b64 s[26:27], s[10:11], exec
	s_and_b64 s[28:29], s[6:7], exec
.LBB207_281:                            ;   in Loop: Header=BB207_12 Depth=1
	s_or_b64 exec, exec, s[40:41]
	s_and_b64 vcc, exec, s[38:39]
	s_cbranch_vccz .LBB207_97
.LBB207_282:                            ;   in Loop: Header=BB207_12 Depth=1
	s_cmp_eq_u64 s[24:25], 1
	s_cselect_b64 s[2:3], -1, 0
	s_and_b64 s[2:3], s[2:3], s[14:15]
	s_mov_b64 s[4:5], -1
                                        ; implicit-def: $sgpr14_sgpr15
                                        ; implicit-def: $sgpr38_sgpr39
                                        ; implicit-def: $sgpr20_sgpr21
	s_and_saveexec_b64 s[8:9], s[2:3]
	s_cbranch_execz .LBB207_314
; %bb.283:                              ;   in Loop: Header=BB207_12 Depth=1
	ds_read_b64 v[2:3], v15 offset:5120
	s_waitcnt lgkmcnt(0)
	s_barrier
	v_readfirstlane_b32 s4, v2
	v_readfirstlane_b32 s5, v3
	s_mov_b64 s[6:7], exec
	v_readlane_b32 s10, v48, 30
	v_readlane_b32 s11, v48, 31
	s_and_b64 s[10:11], s[6:7], s[10:11]
	s_mov_b64 exec, s[10:11]
	s_cbranch_execz .LBB207_285
; %bb.284:                              ;   in Loop: Header=BB207_12 Depth=1
	ds_write_b16 v29, v15
.LBB207_285:                            ;   in Loop: Header=BB207_12 Depth=1
	s_or_b64 exec, exec, s[6:7]
	v_or_b32_e32 v38, s84, v38
	v_or_b32_e32 v37, s84, v37
	s_cmp_eq_u64 s[4:5], 0
	s_waitcnt lgkmcnt(0)
	s_barrier
	s_cbranch_scc1 .LBB207_297
; %bb.286:                              ;   in Loop: Header=BB207_12 Depth=1
	v_readlane_b32 s6, v48, 34
	s_add_u32 s12, s6, s4
	v_readlane_b32 s6, v48, 36
	s_addc_u32 s7, s6, s5
	s_mov_b32 s6, s85
	s_cmp_lg_u64 s[6:7], 0
	s_cbranch_scc0 .LBB207_341
; %bb.287:                              ;   in Loop: Header=BB207_12 Depth=1
	v_cvt_f32_u32_e32 v2, s87
	s_sub_u32 s6, 0, s87
	s_subb_u32 s10, 0, 0
	v_mac_f32_e32 v2, 0, v34
	v_rcp_f32_e32 v2, v2
	v_mul_f32_e32 v2, 0x5f7ffffc, v2
	v_mul_f32_e32 v3, 0x2f800000, v2
	v_trunc_f32_e32 v3, v3
	v_mac_f32_e32 v2, 0xcf800000, v3
	v_cvt_u32_f32_e32 v3, v3
	v_cvt_u32_f32_e32 v2, v2
	v_readfirstlane_b32 s11, v3
	v_readfirstlane_b32 s13, v2
	s_mul_i32 s14, s6, s11
	s_mul_hi_u32 s20, s6, s13
	s_mul_i32 s15, s10, s13
	s_add_i32 s14, s20, s14
	s_mul_i32 s21, s6, s13
	s_add_i32 s14, s14, s15
	s_mul_hi_u32 s20, s13, s21
	s_mul_hi_u32 s15, s13, s14
	s_mul_i32 s13, s13, s14
	s_add_u32 s13, s20, s13
	s_addc_u32 s15, 0, s15
	s_mul_hi_u32 s34, s11, s21
	s_mul_i32 s21, s11, s21
	s_add_u32 s13, s13, s21
	s_mul_hi_u32 s20, s11, s14
	s_addc_u32 s13, s15, s34
	s_addc_u32 s15, s20, 0
	s_mul_i32 s14, s11, s14
	s_add_u32 s13, s13, s14
	s_addc_u32 s14, 0, s15
	v_add_co_u32_e32 v2, vcc, s13, v2
	s_cmp_lg_u64 vcc, 0
	s_addc_u32 s11, s11, s14
	v_readfirstlane_b32 s14, v2
	s_mul_i32 s13, s6, s11
	s_mul_hi_u32 s15, s6, s14
	s_add_i32 s13, s15, s13
	s_mul_i32 s10, s10, s14
	s_add_i32 s13, s13, s10
	s_mul_i32 s6, s6, s14
	s_mul_hi_u32 s15, s11, s6
	s_mul_i32 s20, s11, s6
	s_mul_i32 s34, s14, s13
	s_mul_hi_u32 s6, s14, s6
	s_mul_hi_u32 s21, s14, s13
	s_add_u32 s6, s6, s34
	s_addc_u32 s14, 0, s21
	s_add_u32 s6, s6, s20
	s_mul_hi_u32 s10, s11, s13
	s_addc_u32 s6, s14, s15
	s_addc_u32 s10, s10, 0
	s_mul_i32 s13, s11, s13
	s_add_u32 s6, s6, s13
	s_addc_u32 s10, 0, s10
	v_add_co_u32_e32 v2, vcc, s6, v2
	s_cmp_lg_u64 vcc, 0
	s_addc_u32 s6, s11, s10
	v_readfirstlane_b32 s13, v2
	s_mul_i32 s11, s12, s6
	s_mul_hi_u32 s14, s12, s13
	s_mul_hi_u32 s10, s12, s6
	s_add_u32 s11, s14, s11
	s_addc_u32 s10, 0, s10
	s_mul_hi_u32 s15, s7, s13
	s_mul_i32 s13, s7, s13
	s_add_u32 s11, s11, s13
	s_mul_hi_u32 s14, s7, s6
	s_addc_u32 s10, s10, s15
	s_addc_u32 s11, s14, 0
	s_mul_i32 s6, s7, s6
	s_add_u32 s6, s10, s6
	s_addc_u32 s10, 0, s11
	s_mul_hi_u32 s11, s87, s6
	s_mul_i32 s6, s87, s6
	s_mul_i32 s10, s87, s10
	v_mov_b32_e32 v2, s6
	s_add_i32 s11, s11, s10
	v_sub_co_u32_e32 v2, vcc, s12, v2
	s_cmp_lg_u64 vcc, 0
	s_subb_u32 s6, s7, s11
	v_subrev_co_u32_e32 v3, vcc, s87, v2
	s_cmp_lg_u64 vcc, 0
	s_subb_u32 s10, s6, 0
	v_subrev_co_u32_e32 v4, vcc, s87, v3
	s_cmp_lg_u64 vcc, 0
	s_subb_u32 s11, s10, 0
	v_cmp_le_u32_e32 vcc, s87, v3
	s_cmp_eq_u32 s10, 0
	v_cndmask_b32_e64 v5, 0, -1, vcc
	s_cselect_b64 vcc, -1, 0
	v_cndmask_b32_e32 v5, -1, v5, vcc
	v_mov_b32_e32 v6, s10
	v_mov_b32_e32 v7, s11
	v_cmp_ne_u32_e32 vcc, 0, v5
	v_cndmask_b32_e32 v5, v6, v7, vcc
	v_cndmask_b32_e32 v4, v3, v4, vcc
	v_cmp_le_u32_e32 vcc, s87, v2
	s_cmp_eq_u32 s6, 0
	v_cndmask_b32_e64 v3, 0, -1, vcc
	s_cselect_b64 vcc, -1, 0
	v_cndmask_b32_e32 v3, -1, v3, vcc
	v_mov_b32_e32 v6, s6
	v_cmp_ne_u32_e32 vcc, 0, v3
	v_cndmask_b32_e32 v3, v6, v5, vcc
	v_cndmask_b32_e32 v2, v2, v4, vcc
	s_cbranch_execnz .LBB207_289
.LBB207_288:                            ;   in Loop: Header=BB207_12 Depth=1
	v_cvt_f32_u32_e32 v2, s87
	s_sub_i32 s6, 0, s87
	v_rcp_iflag_f32_e32 v2, v2
	v_mul_f32_e32 v2, 0x4f7ffffe, v2
	v_cvt_u32_f32_e32 v2, v2
	v_mul_lo_u32 v3, s6, v2
	v_mul_hi_u32 v3, v2, v3
	v_add_u32_e32 v2, v2, v3
	v_mul_hi_u32 v2, s12, v2
	v_mul_lo_u32 v2, v2, s87
	v_sub_u32_e32 v2, s12, v2
	v_subrev_u32_e32 v3, s87, v2
	v_cmp_le_u32_e32 vcc, s87, v2
	v_cndmask_b32_e32 v2, v2, v3, vcc
	v_subrev_u32_e32 v3, s87, v2
	v_cmp_le_u32_e32 vcc, s87, v2
	v_cndmask_b32_e32 v14, v2, v3, vcc
	v_pk_mov_b32 v[2:3], v[14:15], v[14:15] op_sel:[0,1]
.LBB207_289:                            ;   in Loop: Header=BB207_12 Depth=1
	v_mov_b32_e32 v4, s7
	v_sub_co_u32_e32 v2, vcc, s12, v2
	v_subb_co_u32_e32 v3, vcc, v4, v3, vcc
	v_cmp_gt_u64_e32 vcc, v[2:3], v[0:1]
	s_mov_b64 s[6:7], 0
                                        ; implicit-def: $vgpr39
	s_and_saveexec_b64 s[10:11], vcc
	s_cbranch_execz .LBB207_299
; %bb.290:                              ;   in Loop: Header=BB207_12 Depth=1
	s_mov_b64 s[12:13], 0
	v_mov_b32_e32 v6, v28
	v_pk_mov_b32 v[4:5], v[0:1], v[0:1] op_sel:[0,1]
                                        ; implicit-def: $sgpr14_sgpr15
	s_branch .LBB207_292
.LBB207_291:                            ;   in Loop: Header=BB207_292 Depth=2
	s_or_b64 exec, exec, s[6:7]
	s_waitcnt lgkmcnt(0)
	s_barrier
	ds_read_b32 v7, v15 offset:3072
	v_mov_b32_e32 v8, s88
	v_add_co_u32_e64 v4, s[6:7], s87, v4
	v_addc_co_u32_e64 v5, s[6:7], v5, v8, s[6:7]
	s_waitcnt lgkmcnt(0)
	v_cmp_neq_f16_e32 vcc, 0, v7
	v_cmp_ge_u64_e64 s[6:7], v[4:5], v[2:3]
	s_or_b64 s[6:7], s[6:7], vcc
	s_and_b64 s[6:7], exec, s[6:7]
	s_or_b64 s[12:13], s[6:7], s[12:13]
	s_andn2_b64 s[6:7], s[14:15], exec
	s_and_b64 s[14:15], vcc, exec
	v_add_u32_e32 v6, s95, v6
	s_or_b64 s[14:15], s[6:7], s[14:15]
	s_barrier
	s_andn2_b64 exec, exec, s[12:13]
	s_cbranch_execz .LBB207_298
.LBB207_292:                            ;   Parent Loop BB207_12 Depth=1
                                        ; =>  This Inner Loop Header: Depth=2
	v_cmp_gt_u64_e32 vcc, s[4:5], v[4:5]
	v_mov_b32_e32 v7, 0
	s_and_saveexec_b64 s[6:7], vcc
	s_cbranch_execz .LBB207_294
; %bb.293:                              ;   in Loop: Header=BB207_292 Depth=2
	ds_read_u16 v7, v6
.LBB207_294:                            ;   in Loop: Header=BB207_292 Depth=2
	s_or_b64 exec, exec, s[6:7]
	s_and_saveexec_b64 s[6:7], vcc
	s_cbranch_execz .LBB207_291
; %bb.295:                              ;   in Loop: Header=BB207_292 Depth=2
	s_waitcnt lgkmcnt(0)
	v_cmp_lt_i16_e32 vcc, -1, v7
	v_cndmask_b32_e32 v8, v32, v33, vcc
	v_xor_b32_sdwa v8, v8, v7 dst_sel:DWORD dst_unused:UNUSED_PAD src0_sel:DWORD src1_sel:WORD_0
	v_cmp_o_f16_e32 vcc, v7, v7
	v_cndmask_b32_e32 v8, v32, v8, vcc
	v_and_b32_e32 v8, v8, v37
	v_cmp_eq_u32_e32 vcc, v8, v38
	s_and_b64 exec, exec, vcc
	s_cbranch_execz .LBB207_291
; %bb.296:                              ;   in Loop: Header=BB207_292 Depth=2
	s_movk_i32 s20, 0x3c00
	v_perm_b32 v7, v7, s20, v36
	ds_write_b32 v15, v7 offset:3072
	s_branch .LBB207_291
.LBB207_297:                            ;   in Loop: Header=BB207_12 Depth=1
	s_mov_b64 s[14:15], -1
	s_mov_b64 s[6:7], 0
                                        ; implicit-def: $sgpr38_sgpr39
                                        ; implicit-def: $vgpr39
	s_mov_b64 s[20:21], s[14:15]
	s_cbranch_execnz .LBB207_300
	s_branch .LBB207_313
.LBB207_298:                            ;   in Loop: Header=BB207_12 Depth=1
	s_or_b64 exec, exec, s[12:13]
	v_lshrrev_b32_e32 v39, 16, v7
	s_and_b64 s[6:7], s[14:15], exec
.LBB207_299:                            ;   in Loop: Header=BB207_12 Depth=1
	s_or_b64 exec, exec, s[10:11]
	s_mov_b64 s[14:15], 0
	s_mov_b64 s[38:39], -1
	s_mov_b64 s[20:21], s[14:15]
	s_branch .LBB207_313
.LBB207_300:                            ;   in Loop: Header=BB207_12 Depth=1
	s_mov_b32 s92, s85
	s_cmp_lg_u64 s[92:93], 0
	s_cbranch_scc0 .LBB207_342
; %bb.301:                              ;   in Loop: Header=BB207_12 Depth=1
	v_cvt_f32_u32_e32 v2, s87
	s_sub_u32 s4, 0, s87
	s_subb_u32 s5, 0, 0
	v_mac_f32_e32 v2, 0, v34
	v_rcp_f32_e32 v2, v2
	v_mul_f32_e32 v2, 0x5f7ffffc, v2
	v_mul_f32_e32 v3, 0x2f800000, v2
	v_trunc_f32_e32 v3, v3
	v_mac_f32_e32 v2, 0xcf800000, v3
	v_cvt_u32_f32_e32 v3, v3
	v_cvt_u32_f32_e32 v2, v2
	v_readfirstlane_b32 s6, v3
	v_readfirstlane_b32 s7, v2
	s_mul_i32 s10, s4, s6
	s_mul_hi_u32 s12, s4, s7
	s_mul_i32 s11, s5, s7
	s_add_i32 s10, s12, s10
	s_mul_i32 s13, s4, s7
	s_add_i32 s10, s10, s11
	s_mul_hi_u32 s12, s7, s13
	s_mul_hi_u32 s11, s7, s10
	s_mul_i32 s7, s7, s10
	s_add_u32 s7, s12, s7
	s_addc_u32 s11, 0, s11
	s_mul_hi_u32 s14, s6, s13
	s_mul_i32 s13, s6, s13
	s_add_u32 s7, s7, s13
	s_mul_hi_u32 s12, s6, s10
	s_addc_u32 s7, s11, s14
	s_addc_u32 s11, s12, 0
	s_mul_i32 s10, s6, s10
	s_add_u32 s7, s7, s10
	s_addc_u32 s10, 0, s11
	v_add_co_u32_e32 v2, vcc, s7, v2
	s_cmp_lg_u64 vcc, 0
	s_addc_u32 s6, s6, s10
	v_readfirstlane_b32 s10, v2
	s_mul_i32 s7, s4, s6
	s_mul_hi_u32 s11, s4, s10
	s_add_i32 s7, s11, s7
	s_mul_i32 s5, s5, s10
	s_add_i32 s7, s7, s5
	s_mul_i32 s4, s4, s10
	s_mul_hi_u32 s11, s6, s4
	s_mul_i32 s12, s6, s4
	s_mul_i32 s14, s10, s7
	s_mul_hi_u32 s4, s10, s4
	s_mul_hi_u32 s13, s10, s7
	s_add_u32 s4, s4, s14
	s_addc_u32 s10, 0, s13
	s_add_u32 s4, s4, s12
	s_mul_hi_u32 s5, s6, s7
	s_addc_u32 s4, s10, s11
	s_addc_u32 s5, s5, 0
	s_mul_i32 s7, s6, s7
	s_add_u32 s4, s4, s7
	s_addc_u32 s5, 0, s5
	v_add_co_u32_e32 v2, vcc, s4, v2
	s_cmp_lg_u64 vcc, 0
	s_addc_u32 s4, s6, s5
	v_readlane_b32 s12, v48, 35
	v_readfirstlane_b32 s7, v2
	s_mul_i32 s6, s12, s4
	s_mul_hi_u32 s10, s12, s7
	s_mul_hi_u32 s5, s12, s4
	s_add_u32 s6, s10, s6
	s_addc_u32 s5, 0, s5
	s_mul_hi_u32 s11, s93, s7
	s_mul_i32 s7, s93, s7
	s_add_u32 s6, s6, s7
	s_mul_hi_u32 s10, s93, s4
	s_addc_u32 s5, s5, s11
	s_addc_u32 s6, s10, 0
	s_mul_i32 s4, s93, s4
	s_add_u32 s4, s5, s4
	s_addc_u32 s5, 0, s6
	s_mul_hi_u32 s6, s87, s4
	s_mul_i32 s4, s87, s4
	s_mul_i32 s5, s87, s5
	v_mov_b32_e32 v2, s4
	s_add_i32 s6, s6, s5
	v_sub_co_u32_e32 v2, vcc, s12, v2
	s_cmp_lg_u64 vcc, 0
	s_subb_u32 s4, s93, s6
	v_subrev_co_u32_e32 v3, vcc, s87, v2
	s_cmp_lg_u64 vcc, 0
	s_subb_u32 s5, s4, 0
	v_subrev_co_u32_e32 v4, vcc, s87, v3
	s_cmp_lg_u64 vcc, 0
	s_subb_u32 s6, s5, 0
	v_cmp_le_u32_e32 vcc, s87, v3
	s_cmp_eq_u32 s5, 0
	v_cndmask_b32_e64 v5, 0, -1, vcc
	s_cselect_b64 vcc, -1, 0
	v_cndmask_b32_e32 v5, -1, v5, vcc
	v_mov_b32_e32 v6, s5
	v_mov_b32_e32 v7, s6
	v_cmp_ne_u32_e32 vcc, 0, v5
	v_cndmask_b32_e32 v5, v6, v7, vcc
	v_cndmask_b32_e32 v4, v3, v4, vcc
	v_cmp_le_u32_e32 vcc, s87, v2
	s_cmp_eq_u32 s4, 0
	v_cndmask_b32_e64 v3, 0, -1, vcc
	s_cselect_b64 vcc, -1, 0
	v_cndmask_b32_e32 v3, -1, v3, vcc
	v_mov_b32_e32 v6, s4
	v_cmp_ne_u32_e32 vcc, 0, v3
	v_cndmask_b32_e32 v3, v6, v5, vcc
	v_cndmask_b32_e32 v2, v2, v4, vcc
	s_cbranch_execnz .LBB207_303
.LBB207_302:                            ;   in Loop: Header=BB207_12 Depth=1
	v_cvt_f32_u32_e32 v2, s87
	s_sub_i32 s4, 0, s87
	v_rcp_iflag_f32_e32 v2, v2
	v_mul_f32_e32 v2, 0x4f7ffffe, v2
	v_cvt_u32_f32_e32 v2, v2
	v_mul_lo_u32 v3, s4, v2
	v_mul_hi_u32 v3, v2, v3
	v_add_u32_e32 v2, v2, v3
	v_readlane_b32 s4, v48, 35
	v_mul_hi_u32 v2, s4, v2
	v_mul_lo_u32 v2, v2, s87
	v_sub_u32_e32 v2, s4, v2
	v_subrev_u32_e32 v3, s87, v2
	v_cmp_le_u32_e32 vcc, s87, v2
	v_cndmask_b32_e32 v2, v2, v3, vcc
	v_subrev_u32_e32 v3, s87, v2
	v_cmp_le_u32_e32 vcc, s87, v2
	v_cndmask_b32_e32 v14, v2, v3, vcc
	v_pk_mov_b32 v[2:3], v[14:15], v[14:15] op_sel:[0,1]
.LBB207_303:                            ;   in Loop: Header=BB207_12 Depth=1
	v_readlane_b32 s4, v48, 35
	v_mov_b32_e32 v4, s93
	v_sub_co_u32_e32 v2, vcc, s4, v2
	v_subb_co_u32_e32 v3, vcc, v4, v3, vcc
	v_cmp_gt_u64_e32 vcc, v[2:3], v[0:1]
	s_mov_b64 s[6:7], 0
                                        ; implicit-def: $vgpr39
	s_and_saveexec_b64 s[4:5], vcc
	s_cbranch_execz .LBB207_312
; %bb.304:                              ;   in Loop: Header=BB207_12 Depth=1
	s_mov_b64 s[10:11], 0
	v_pk_mov_b32 v[4:5], v[0:1], v[0:1] op_sel:[0,1]
                                        ; implicit-def: $sgpr12_sgpr13
	s_branch .LBB207_306
.LBB207_305:                            ;   in Loop: Header=BB207_306 Depth=2
	s_or_b64 exec, exec, s[6:7]
	s_waitcnt lgkmcnt(0)
	s_barrier
	s_waitcnt vmcnt(0)
	ds_read_b32 v6, v15 offset:3072
	v_mov_b32_e32 v7, s88
	v_add_co_u32_e64 v4, s[6:7], s87, v4
	v_addc_co_u32_e64 v5, s[6:7], v5, v7, s[6:7]
	s_waitcnt lgkmcnt(0)
	v_cmp_neq_f16_e32 vcc, 0, v6
	v_cmp_ge_u64_e64 s[6:7], v[4:5], v[2:3]
	s_or_b64 s[6:7], s[6:7], vcc
	s_and_b64 s[6:7], exec, s[6:7]
	s_or_b64 s[10:11], s[6:7], s[10:11]
	s_andn2_b64 s[6:7], s[12:13], exec
	s_and_b64 s[12:13], vcc, exec
	s_or_b64 s[12:13], s[6:7], s[12:13]
	s_barrier
	s_andn2_b64 exec, exec, s[10:11]
	s_cbranch_execz .LBB207_311
.LBB207_306:                            ;   Parent Loop BB207_12 Depth=1
                                        ; =>  This Inner Loop Header: Depth=2
	v_cmp_gt_u64_e32 vcc, s[60:61], v[4:5]
	v_mov_b32_e32 v6, 0
	s_and_saveexec_b64 s[14:15], vcc
	s_cbranch_execz .LBB207_308
; %bb.307:                              ;   in Loop: Header=BB207_306 Depth=2
	v_mul_lo_u32 v8, v5, s58
	v_mul_lo_u32 v9, v4, s59
	v_mad_u64_u32 v[6:7], s[6:7], v4, s58, 0
	v_add3_u32 v7, v7, v9, v8
	v_lshlrev_b64 v[6:7], 1, v[6:7]
	v_mov_b32_e32 v8, s86
	v_add_co_u32_e64 v6, s[6:7], s33, v6
	v_addc_co_u32_e64 v7, s[6:7], v8, v7, s[6:7]
	global_load_ushort v6, v[6:7], off
.LBB207_308:                            ;   in Loop: Header=BB207_306 Depth=2
	s_or_b64 exec, exec, s[14:15]
	s_and_saveexec_b64 s[6:7], vcc
	s_cbranch_execz .LBB207_305
; %bb.309:                              ;   in Loop: Header=BB207_306 Depth=2
	s_waitcnt vmcnt(0)
	v_cmp_lt_i16_e32 vcc, -1, v6
	v_cndmask_b32_e32 v7, v32, v33, vcc
	v_xor_b32_sdwa v7, v7, v6 dst_sel:DWORD dst_unused:UNUSED_PAD src0_sel:DWORD src1_sel:WORD_0
	v_cmp_o_f16_e32 vcc, v6, v6
	v_cndmask_b32_e32 v7, v32, v7, vcc
	v_and_b32_e32 v7, v7, v37
	v_cmp_eq_u32_e32 vcc, v7, v38
	s_and_b64 exec, exec, vcc
	s_cbranch_execz .LBB207_305
; %bb.310:                              ;   in Loop: Header=BB207_306 Depth=2
	s_movk_i32 s14, 0x3c00
	v_perm_b32 v6, v6, s14, v36
	ds_write_b32 v15, v6 offset:3072
	s_branch .LBB207_305
.LBB207_311:                            ;   in Loop: Header=BB207_12 Depth=1
	s_or_b64 exec, exec, s[10:11]
	v_lshrrev_b32_e32 v39, 16, v6
	s_and_b64 s[6:7], s[12:13], exec
.LBB207_312:                            ;   in Loop: Header=BB207_12 Depth=1
	s_or_b64 exec, exec, s[4:5]
	s_mov_b64 s[38:39], 0
	s_mov_b64 s[14:15], -1
	s_mov_b64 s[20:21], 0
.LBB207_313:                            ;   in Loop: Header=BB207_12 Depth=1
	s_orn2_b64 s[4:5], s[6:7], exec
.LBB207_314:                            ;   in Loop: Header=BB207_12 Depth=1
	s_or_b64 exec, exec, s[8:9]
                                        ; implicit-def: $vgpr7
                                        ; implicit-def: $vgpr2_vgpr3
                                        ; implicit-def: $vgpr8
                                        ; implicit-def: $vgpr9
                                        ; implicit-def: $vgpr6
	s_and_saveexec_b64 s[34:35], s[4:5]
	s_cbranch_execz .LBB207_477
; %bb.315:                              ;   in Loop: Header=BB207_12 Depth=1
	v_mov_b32_e32 v2, 1
	s_xor_b64 s[4:5], s[2:3], -1
	s_mov_b64 s[6:7], 0
	v_mov_b32_e32 v3, 0
	v_mov_b32_e32 v7, 1
	s_and_saveexec_b64 s[2:3], s[4:5]
	s_cbranch_execz .LBB207_325
; %bb.316:                              ;   in Loop: Header=BB207_12 Depth=1
	v_cmp_ge_u64_e32 vcc, s[24:25], v[18:19]
                                        ; implicit-def: $sgpr8
                                        ; implicit-def: $sgpr4_sgpr5
	s_and_saveexec_b64 s[6:7], vcc
	s_xor_b64 s[6:7], exec, s[6:7]
	s_cbranch_execz .LBB207_322
; %bb.317:                              ;   in Loop: Header=BB207_12 Depth=1
	ds_read_b64 v[2:3], v15 offset:5120
	s_waitcnt lgkmcnt(0)
	v_cmp_ne_u64_e32 vcc, 0, v[2:3]
	s_cbranch_vccnz .LBB207_321
; %bb.318:                              ;   in Loop: Header=BB207_12 Depth=1
	s_mov_b64 s[4:5], exec
	v_readlane_b32 s8, v48, 12
	v_readlane_b32 s9, v48, 13
	s_and_b64 s[8:9], s[4:5], s[8:9]
	s_mov_b64 exec, s[8:9]
	s_cbranch_execz .LBB207_320
; %bb.319:                              ;   in Loop: Header=BB207_12 Depth=1
	v_pk_mov_b32 v[2:3], s[24:25], s[24:25] op_sel:[0,1]
	ds_write_b64 v15, v[2:3] offset:5128
.LBB207_320:                            ;   in Loop: Header=BB207_12 Depth=1
	s_or_b64 exec, exec, s[4:5]
	s_waitcnt lgkmcnt(0)
	s_barrier
.LBB207_321:                            ;   in Loop: Header=BB207_12 Depth=1
	v_or_b32_e32 v38, s84, v38
	v_or_b32_e32 v37, s84, v37
	s_mov_b64 s[4:5], 0
	s_mov_b32 s8, 5
.LBB207_322:                            ;   in Loop: Header=BB207_12 Depth=1
	s_or_saveexec_b64 s[6:7], s[6:7]
	v_mov_b32_e32 v7, s8
	s_xor_b64 exec, exec, s[6:7]
; %bb.323:                              ;   in Loop: Header=BB207_12 Depth=1
	v_mov_b32_e32 v2, s25
	v_subrev_co_u32_e32 v18, vcc, s24, v18
	v_subb_co_u32_e32 v19, vcc, v19, v2, vcc
	v_mov_b32_e32 v7, 0
	s_or_b64 s[4:5], s[4:5], exec
; %bb.324:                              ;   in Loop: Header=BB207_12 Depth=1
	s_or_b64 exec, exec, s[6:7]
	s_and_b64 s[6:7], s[4:5], exec
	v_pk_mov_b32 v[2:3], v[18:19], v[18:19] op_sel:[0,1]
.LBB207_325:                            ;   in Loop: Header=BB207_12 Depth=1
	s_or_b64 exec, exec, s[2:3]
	s_mov_b64 s[12:13], -1
                                        ; implicit-def: $sgpr2_sgpr3
                                        ; implicit-def: $sgpr4_sgpr5
                                        ; implicit-def: $sgpr8_sgpr9
	s_and_saveexec_b64 s[10:11], s[6:7]
	s_xor_b64 s[24:25], exec, s[10:11]
	s_cbranch_execz .LBB207_474
; %bb.326:                              ;   in Loop: Header=BB207_12 Depth=1
	s_cmp_eq_u64 s[22:23], 1
	s_cselect_b64 s[2:3], -1, 0
	v_cmp_eq_u64_e32 vcc, 1, v[2:3]
	s_and_b64 s[2:3], s[2:3], vcc
	s_mov_b64 s[4:5], -1
                                        ; implicit-def: $sgpr36_sgpr37
                                        ; implicit-def: $sgpr40_sgpr41
                                        ; implicit-def: $sgpr42_sgpr43
	s_and_saveexec_b64 s[8:9], s[2:3]
	s_cbranch_execz .LBB207_360
; %bb.327:                              ;   in Loop: Header=BB207_12 Depth=1
	ds_read_b64 v[4:5], v15 offset:5120
	s_waitcnt lgkmcnt(0)
	s_barrier
	v_readfirstlane_b32 s4, v4
	v_readfirstlane_b32 s5, v5
	s_mov_b64 s[6:7], exec
	v_readlane_b32 s10, v48, 30
	v_readlane_b32 s11, v48, 31
	s_and_b64 s[10:11], s[6:7], s[10:11]
	s_mov_b64 exec, s[10:11]
	s_cbranch_execz .LBB207_329
; %bb.328:                              ;   in Loop: Header=BB207_12 Depth=1
	ds_write_b16 v29, v15
.LBB207_329:                            ;   in Loop: Header=BB207_12 Depth=1
	s_or_b64 exec, exec, s[6:7]
	v_and_b32_e32 v4, s48, v38
	v_lshl_or_b32 v38, 2, s49, v4
	v_or_b32_e32 v37, s84, v37
	s_cmp_eq_u64 s[4:5], 0
	s_waitcnt lgkmcnt(0)
	s_barrier
	s_cbranch_scc1 .LBB207_343
; %bb.330:                              ;   in Loop: Header=BB207_12 Depth=1
	v_readlane_b32 s6, v48, 34
	s_add_u32 s12, s6, s4
	v_readlane_b32 s6, v48, 36
	s_addc_u32 s7, s6, s5
	s_mov_b32 s6, s85
	s_cmp_lg_u64 s[6:7], 0
	s_cbranch_scc0 .LBB207_387
; %bb.331:                              ;   in Loop: Header=BB207_12 Depth=1
	v_cvt_f32_u32_e32 v4, s87
	s_sub_u32 s6, 0, s87
	s_subb_u32 s10, 0, 0
	v_mac_f32_e32 v4, 0, v34
	v_rcp_f32_e32 v4, v4
	v_mul_f32_e32 v4, 0x5f7ffffc, v4
	v_mul_f32_e32 v5, 0x2f800000, v4
	v_trunc_f32_e32 v5, v5
	v_mac_f32_e32 v4, 0xcf800000, v5
	v_cvt_u32_f32_e32 v5, v5
	v_cvt_u32_f32_e32 v4, v4
	v_readfirstlane_b32 s11, v5
	v_readfirstlane_b32 s13, v4
	s_mul_i32 s36, s6, s11
	s_mul_hi_u32 s40, s6, s13
	s_mul_i32 s37, s10, s13
	s_add_i32 s36, s40, s36
	s_mul_i32 s41, s6, s13
	s_add_i32 s36, s36, s37
	s_mul_hi_u32 s40, s13, s41
	s_mul_hi_u32 s37, s13, s36
	s_mul_i32 s13, s13, s36
	s_add_u32 s13, s40, s13
	s_addc_u32 s37, 0, s37
	s_mul_hi_u32 s42, s11, s41
	s_mul_i32 s41, s11, s41
	s_add_u32 s13, s13, s41
	s_mul_hi_u32 s40, s11, s36
	s_addc_u32 s13, s37, s42
	s_addc_u32 s37, s40, 0
	s_mul_i32 s36, s11, s36
	s_add_u32 s13, s13, s36
	s_addc_u32 s36, 0, s37
	v_add_co_u32_e32 v4, vcc, s13, v4
	s_cmp_lg_u64 vcc, 0
	s_addc_u32 s11, s11, s36
	v_readfirstlane_b32 s36, v4
	s_mul_i32 s13, s6, s11
	s_mul_hi_u32 s37, s6, s36
	s_add_i32 s13, s37, s13
	s_mul_i32 s10, s10, s36
	s_add_i32 s13, s13, s10
	s_mul_i32 s6, s6, s36
	s_mul_hi_u32 s37, s11, s6
	s_mul_i32 s40, s11, s6
	s_mul_i32 s42, s36, s13
	s_mul_hi_u32 s6, s36, s6
	s_mul_hi_u32 s41, s36, s13
	s_add_u32 s6, s6, s42
	s_addc_u32 s36, 0, s41
	s_add_u32 s6, s6, s40
	s_mul_hi_u32 s10, s11, s13
	s_addc_u32 s6, s36, s37
	s_addc_u32 s10, s10, 0
	s_mul_i32 s13, s11, s13
	s_add_u32 s6, s6, s13
	s_addc_u32 s10, 0, s10
	v_add_co_u32_e32 v4, vcc, s6, v4
	s_cmp_lg_u64 vcc, 0
	s_addc_u32 s6, s11, s10
	v_readfirstlane_b32 s13, v4
	s_mul_i32 s11, s12, s6
	s_mul_hi_u32 s36, s12, s13
	s_mul_hi_u32 s10, s12, s6
	s_add_u32 s11, s36, s11
	s_addc_u32 s10, 0, s10
	s_mul_hi_u32 s37, s7, s13
	s_mul_i32 s13, s7, s13
	s_add_u32 s11, s11, s13
	s_mul_hi_u32 s36, s7, s6
	s_addc_u32 s10, s10, s37
	s_addc_u32 s11, s36, 0
	s_mul_i32 s6, s7, s6
	s_add_u32 s6, s10, s6
	s_addc_u32 s10, 0, s11
	s_mul_hi_u32 s11, s87, s6
	s_mul_i32 s6, s87, s6
	s_mul_i32 s10, s87, s10
	v_mov_b32_e32 v4, s6
	s_add_i32 s11, s11, s10
	v_sub_co_u32_e32 v4, vcc, s12, v4
	s_cmp_lg_u64 vcc, 0
	s_subb_u32 s6, s7, s11
	v_subrev_co_u32_e32 v5, vcc, s87, v4
	s_cmp_lg_u64 vcc, 0
	s_subb_u32 s10, s6, 0
	v_subrev_co_u32_e32 v6, vcc, s87, v5
	s_cmp_lg_u64 vcc, 0
	s_subb_u32 s11, s10, 0
	v_cmp_le_u32_e32 vcc, s87, v5
	s_cmp_eq_u32 s10, 0
	v_cndmask_b32_e64 v7, 0, -1, vcc
	s_cselect_b64 vcc, -1, 0
	v_cndmask_b32_e32 v7, -1, v7, vcc
	v_mov_b32_e32 v8, s10
	v_mov_b32_e32 v9, s11
	v_cmp_ne_u32_e32 vcc, 0, v7
	v_cndmask_b32_e32 v7, v8, v9, vcc
	v_cndmask_b32_e32 v6, v5, v6, vcc
	v_cmp_le_u32_e32 vcc, s87, v4
	s_cmp_eq_u32 s6, 0
	v_cndmask_b32_e64 v5, 0, -1, vcc
	s_cselect_b64 vcc, -1, 0
	v_cndmask_b32_e32 v5, -1, v5, vcc
	v_mov_b32_e32 v8, s6
	v_cmp_ne_u32_e32 vcc, 0, v5
	v_cndmask_b32_e32 v5, v8, v7, vcc
	v_cndmask_b32_e32 v4, v4, v6, vcc
	s_cbranch_execnz .LBB207_333
.LBB207_332:                            ;   in Loop: Header=BB207_12 Depth=1
	v_cvt_f32_u32_e32 v4, s87
	s_sub_i32 s6, 0, s87
	v_rcp_iflag_f32_e32 v4, v4
	v_mul_f32_e32 v4, 0x4f7ffffe, v4
	v_cvt_u32_f32_e32 v4, v4
	v_mul_lo_u32 v5, s6, v4
	v_mul_hi_u32 v5, v4, v5
	v_add_u32_e32 v4, v4, v5
	v_mul_hi_u32 v4, s12, v4
	v_mul_lo_u32 v4, v4, s87
	v_sub_u32_e32 v4, s12, v4
	v_subrev_u32_e32 v5, s87, v4
	v_cmp_le_u32_e32 vcc, s87, v4
	v_cndmask_b32_e32 v4, v4, v5, vcc
	v_subrev_u32_e32 v5, s87, v4
	v_cmp_le_u32_e32 vcc, s87, v4
	v_cndmask_b32_e32 v14, v4, v5, vcc
	v_pk_mov_b32 v[4:5], v[14:15], v[14:15] op_sel:[0,1]
.LBB207_333:                            ;   in Loop: Header=BB207_12 Depth=1
	v_mov_b32_e32 v6, s7
	v_sub_co_u32_e32 v4, vcc, s12, v4
	v_subb_co_u32_e32 v5, vcc, v6, v5, vcc
	v_cmp_gt_u64_e32 vcc, v[4:5], v[0:1]
	s_mov_b64 s[6:7], 0
                                        ; implicit-def: $vgpr39
	s_and_saveexec_b64 s[10:11], vcc
	s_cbranch_execz .LBB207_345
; %bb.334:                              ;   in Loop: Header=BB207_12 Depth=1
	s_mov_b64 s[12:13], 0
	v_mov_b32_e32 v8, v28
	v_pk_mov_b32 v[6:7], v[0:1], v[0:1] op_sel:[0,1]
                                        ; implicit-def: $sgpr36_sgpr37
	s_branch .LBB207_336
.LBB207_335:                            ;   in Loop: Header=BB207_336 Depth=2
	s_or_b64 exec, exec, s[6:7]
	s_waitcnt lgkmcnt(0)
	s_barrier
	ds_read_b32 v9, v15 offset:3072
	v_mov_b32_e32 v14, s88
	v_add_co_u32_e64 v6, s[6:7], s87, v6
	v_addc_co_u32_e64 v7, s[6:7], v7, v14, s[6:7]
	s_waitcnt lgkmcnt(0)
	v_cmp_neq_f16_e32 vcc, 0, v9
	v_cmp_ge_u64_e64 s[6:7], v[6:7], v[4:5]
	s_or_b64 s[6:7], s[6:7], vcc
	s_and_b64 s[6:7], exec, s[6:7]
	s_or_b64 s[12:13], s[6:7], s[12:13]
	s_andn2_b64 s[6:7], s[36:37], exec
	s_and_b64 s[36:37], vcc, exec
	v_add_u32_e32 v8, s95, v8
	s_or_b64 s[36:37], s[6:7], s[36:37]
	s_barrier
	s_andn2_b64 exec, exec, s[12:13]
	s_cbranch_execz .LBB207_344
.LBB207_336:                            ;   Parent Loop BB207_12 Depth=1
                                        ; =>  This Inner Loop Header: Depth=2
	v_cmp_gt_u64_e32 vcc, s[4:5], v[6:7]
	v_mov_b32_e32 v9, 0
	s_and_saveexec_b64 s[6:7], vcc
	s_cbranch_execz .LBB207_338
; %bb.337:                              ;   in Loop: Header=BB207_336 Depth=2
	ds_read_u16 v9, v8
.LBB207_338:                            ;   in Loop: Header=BB207_336 Depth=2
	s_or_b64 exec, exec, s[6:7]
	s_and_saveexec_b64 s[6:7], vcc
	s_cbranch_execz .LBB207_335
; %bb.339:                              ;   in Loop: Header=BB207_336 Depth=2
	s_waitcnt lgkmcnt(0)
	v_cmp_lt_i16_e32 vcc, -1, v9
	v_cndmask_b32_e32 v14, v32, v33, vcc
	v_xor_b32_sdwa v14, v14, v9 dst_sel:DWORD dst_unused:UNUSED_PAD src0_sel:DWORD src1_sel:WORD_0
	v_cmp_o_f16_e32 vcc, v9, v9
	v_cndmask_b32_e32 v14, v32, v14, vcc
	v_and_b32_e32 v14, v14, v37
	v_cmp_eq_u32_e32 vcc, v14, v38
	s_and_b64 exec, exec, vcc
	s_cbranch_execz .LBB207_335
; %bb.340:                              ;   in Loop: Header=BB207_336 Depth=2
	s_movk_i32 s40, 0x3c00
	v_perm_b32 v9, v9, s40, v36
	ds_write_b32 v15, v9 offset:3072
	s_branch .LBB207_335
.LBB207_341:                            ;   in Loop: Header=BB207_12 Depth=1
                                        ; implicit-def: $vgpr2_vgpr3
	s_branch .LBB207_288
.LBB207_342:                            ;   in Loop: Header=BB207_12 Depth=1
                                        ; implicit-def: $vgpr2_vgpr3
	s_branch .LBB207_302
.LBB207_343:                            ;   in Loop: Header=BB207_12 Depth=1
	s_mov_b64 s[36:37], -1
	s_mov_b64 s[6:7], 0
                                        ; implicit-def: $sgpr40_sgpr41
                                        ; implicit-def: $vgpr39
	s_mov_b64 s[42:43], s[36:37]
	s_cbranch_execnz .LBB207_346
	s_branch .LBB207_359
.LBB207_344:                            ;   in Loop: Header=BB207_12 Depth=1
	s_or_b64 exec, exec, s[12:13]
	v_lshrrev_b32_e32 v39, 16, v9
	s_and_b64 s[6:7], s[36:37], exec
.LBB207_345:                            ;   in Loop: Header=BB207_12 Depth=1
	s_or_b64 exec, exec, s[10:11]
	s_mov_b64 s[36:37], 0
	s_mov_b64 s[40:41], -1
	s_mov_b64 s[42:43], s[36:37]
	s_branch .LBB207_359
.LBB207_346:                            ;   in Loop: Header=BB207_12 Depth=1
	s_mov_b32 s92, s85
	s_cmp_lg_u64 s[92:93], 0
	s_cbranch_scc0 .LBB207_388
; %bb.347:                              ;   in Loop: Header=BB207_12 Depth=1
	v_cvt_f32_u32_e32 v4, s87
	s_sub_u32 s4, 0, s87
	s_subb_u32 s5, 0, 0
	v_mac_f32_e32 v4, 0, v34
	v_rcp_f32_e32 v4, v4
	v_mul_f32_e32 v4, 0x5f7ffffc, v4
	v_mul_f32_e32 v5, 0x2f800000, v4
	v_trunc_f32_e32 v5, v5
	v_mac_f32_e32 v4, 0xcf800000, v5
	v_cvt_u32_f32_e32 v5, v5
	v_cvt_u32_f32_e32 v4, v4
	v_readfirstlane_b32 s6, v5
	v_readfirstlane_b32 s7, v4
	s_mul_i32 s10, s4, s6
	s_mul_hi_u32 s12, s4, s7
	s_mul_i32 s11, s5, s7
	s_add_i32 s10, s12, s10
	s_mul_i32 s13, s4, s7
	s_add_i32 s10, s10, s11
	s_mul_hi_u32 s12, s7, s13
	s_mul_hi_u32 s11, s7, s10
	s_mul_i32 s7, s7, s10
	s_add_u32 s7, s12, s7
	s_addc_u32 s11, 0, s11
	s_mul_hi_u32 s36, s6, s13
	s_mul_i32 s13, s6, s13
	s_add_u32 s7, s7, s13
	s_mul_hi_u32 s12, s6, s10
	s_addc_u32 s7, s11, s36
	s_addc_u32 s11, s12, 0
	s_mul_i32 s10, s6, s10
	s_add_u32 s7, s7, s10
	s_addc_u32 s10, 0, s11
	v_add_co_u32_e32 v4, vcc, s7, v4
	s_cmp_lg_u64 vcc, 0
	s_addc_u32 s6, s6, s10
	v_readfirstlane_b32 s10, v4
	s_mul_i32 s7, s4, s6
	s_mul_hi_u32 s11, s4, s10
	s_add_i32 s7, s11, s7
	s_mul_i32 s5, s5, s10
	s_add_i32 s7, s7, s5
	s_mul_i32 s4, s4, s10
	s_mul_hi_u32 s11, s6, s4
	s_mul_i32 s12, s6, s4
	s_mul_i32 s36, s10, s7
	s_mul_hi_u32 s4, s10, s4
	s_mul_hi_u32 s13, s10, s7
	s_add_u32 s4, s4, s36
	s_addc_u32 s10, 0, s13
	s_add_u32 s4, s4, s12
	s_mul_hi_u32 s5, s6, s7
	s_addc_u32 s4, s10, s11
	s_addc_u32 s5, s5, 0
	s_mul_i32 s7, s6, s7
	s_add_u32 s4, s4, s7
	s_addc_u32 s5, 0, s5
	v_add_co_u32_e32 v4, vcc, s4, v4
	s_cmp_lg_u64 vcc, 0
	s_addc_u32 s4, s6, s5
	v_readlane_b32 s12, v48, 35
	v_readfirstlane_b32 s7, v4
	s_mul_i32 s6, s12, s4
	s_mul_hi_u32 s10, s12, s7
	s_mul_hi_u32 s5, s12, s4
	s_add_u32 s6, s10, s6
	s_addc_u32 s5, 0, s5
	s_mul_hi_u32 s11, s93, s7
	s_mul_i32 s7, s93, s7
	s_add_u32 s6, s6, s7
	s_mul_hi_u32 s10, s93, s4
	s_addc_u32 s5, s5, s11
	s_addc_u32 s6, s10, 0
	s_mul_i32 s4, s93, s4
	s_add_u32 s4, s5, s4
	s_addc_u32 s5, 0, s6
	s_mul_hi_u32 s6, s87, s4
	s_mul_i32 s4, s87, s4
	s_mul_i32 s5, s87, s5
	v_mov_b32_e32 v4, s4
	s_add_i32 s6, s6, s5
	v_sub_co_u32_e32 v4, vcc, s12, v4
	s_cmp_lg_u64 vcc, 0
	s_subb_u32 s4, s93, s6
	v_subrev_co_u32_e32 v5, vcc, s87, v4
	s_cmp_lg_u64 vcc, 0
	s_subb_u32 s5, s4, 0
	v_subrev_co_u32_e32 v6, vcc, s87, v5
	s_cmp_lg_u64 vcc, 0
	s_subb_u32 s6, s5, 0
	v_cmp_le_u32_e32 vcc, s87, v5
	s_cmp_eq_u32 s5, 0
	v_cndmask_b32_e64 v7, 0, -1, vcc
	s_cselect_b64 vcc, -1, 0
	v_cndmask_b32_e32 v7, -1, v7, vcc
	v_mov_b32_e32 v8, s5
	v_mov_b32_e32 v9, s6
	v_cmp_ne_u32_e32 vcc, 0, v7
	v_cndmask_b32_e32 v7, v8, v9, vcc
	v_cndmask_b32_e32 v6, v5, v6, vcc
	v_cmp_le_u32_e32 vcc, s87, v4
	s_cmp_eq_u32 s4, 0
	v_cndmask_b32_e64 v5, 0, -1, vcc
	s_cselect_b64 vcc, -1, 0
	v_cndmask_b32_e32 v5, -1, v5, vcc
	v_mov_b32_e32 v8, s4
	v_cmp_ne_u32_e32 vcc, 0, v5
	v_cndmask_b32_e32 v5, v8, v7, vcc
	v_cndmask_b32_e32 v4, v4, v6, vcc
	s_cbranch_execnz .LBB207_349
.LBB207_348:                            ;   in Loop: Header=BB207_12 Depth=1
	v_cvt_f32_u32_e32 v4, s87
	s_sub_i32 s4, 0, s87
	v_rcp_iflag_f32_e32 v4, v4
	v_mul_f32_e32 v4, 0x4f7ffffe, v4
	v_cvt_u32_f32_e32 v4, v4
	v_mul_lo_u32 v5, s4, v4
	v_mul_hi_u32 v5, v4, v5
	v_add_u32_e32 v4, v4, v5
	v_readlane_b32 s4, v48, 35
	v_mul_hi_u32 v4, s4, v4
	v_mul_lo_u32 v4, v4, s87
	v_sub_u32_e32 v4, s4, v4
	v_subrev_u32_e32 v5, s87, v4
	v_cmp_le_u32_e32 vcc, s87, v4
	v_cndmask_b32_e32 v4, v4, v5, vcc
	v_subrev_u32_e32 v5, s87, v4
	v_cmp_le_u32_e32 vcc, s87, v4
	v_cndmask_b32_e32 v14, v4, v5, vcc
	v_pk_mov_b32 v[4:5], v[14:15], v[14:15] op_sel:[0,1]
.LBB207_349:                            ;   in Loop: Header=BB207_12 Depth=1
	v_readlane_b32 s4, v48, 35
	v_mov_b32_e32 v6, s93
	v_sub_co_u32_e32 v4, vcc, s4, v4
	v_subb_co_u32_e32 v5, vcc, v6, v5, vcc
	v_cmp_gt_u64_e32 vcc, v[4:5], v[0:1]
	s_mov_b64 s[6:7], 0
                                        ; implicit-def: $vgpr39
	s_and_saveexec_b64 s[4:5], vcc
	s_cbranch_execz .LBB207_358
; %bb.350:                              ;   in Loop: Header=BB207_12 Depth=1
	s_mov_b64 s[10:11], 0
	v_pk_mov_b32 v[6:7], v[0:1], v[0:1] op_sel:[0,1]
                                        ; implicit-def: $sgpr12_sgpr13
	s_branch .LBB207_352
.LBB207_351:                            ;   in Loop: Header=BB207_352 Depth=2
	s_or_b64 exec, exec, s[6:7]
	s_waitcnt lgkmcnt(0)
	s_barrier
	s_waitcnt vmcnt(0)
	ds_read_b32 v8, v15 offset:3072
	v_mov_b32_e32 v9, s88
	v_add_co_u32_e64 v6, s[6:7], s87, v6
	v_addc_co_u32_e64 v7, s[6:7], v7, v9, s[6:7]
	s_waitcnt lgkmcnt(0)
	v_cmp_neq_f16_e32 vcc, 0, v8
	v_cmp_ge_u64_e64 s[6:7], v[6:7], v[4:5]
	s_or_b64 s[6:7], s[6:7], vcc
	s_and_b64 s[6:7], exec, s[6:7]
	s_or_b64 s[10:11], s[6:7], s[10:11]
	s_andn2_b64 s[6:7], s[12:13], exec
	s_and_b64 s[12:13], vcc, exec
	s_or_b64 s[12:13], s[6:7], s[12:13]
	s_barrier
	s_andn2_b64 exec, exec, s[10:11]
	s_cbranch_execz .LBB207_357
.LBB207_352:                            ;   Parent Loop BB207_12 Depth=1
                                        ; =>  This Inner Loop Header: Depth=2
	v_cmp_gt_u64_e32 vcc, s[60:61], v[6:7]
	v_mov_b32_e32 v8, 0
	s_and_saveexec_b64 s[36:37], vcc
	s_cbranch_execz .LBB207_354
; %bb.353:                              ;   in Loop: Header=BB207_352 Depth=2
	v_mul_lo_u32 v14, v7, s58
	v_mul_lo_u32 v18, v6, s59
	v_mad_u64_u32 v[8:9], s[6:7], v6, s58, 0
	v_add3_u32 v9, v9, v18, v14
	v_lshlrev_b64 v[8:9], 1, v[8:9]
	v_mov_b32_e32 v14, s86
	v_add_co_u32_e64 v8, s[6:7], s33, v8
	v_addc_co_u32_e64 v9, s[6:7], v14, v9, s[6:7]
	global_load_ushort v8, v[8:9], off
.LBB207_354:                            ;   in Loop: Header=BB207_352 Depth=2
	s_or_b64 exec, exec, s[36:37]
	s_and_saveexec_b64 s[6:7], vcc
	s_cbranch_execz .LBB207_351
; %bb.355:                              ;   in Loop: Header=BB207_352 Depth=2
	s_waitcnt vmcnt(0)
	v_cmp_lt_i16_e32 vcc, -1, v8
	v_cndmask_b32_e32 v9, v32, v33, vcc
	v_xor_b32_sdwa v9, v9, v8 dst_sel:DWORD dst_unused:UNUSED_PAD src0_sel:DWORD src1_sel:WORD_0
	v_cmp_o_f16_e32 vcc, v8, v8
	v_cndmask_b32_e32 v9, v32, v9, vcc
	v_and_b32_e32 v9, v9, v37
	v_cmp_eq_u32_e32 vcc, v9, v38
	s_and_b64 exec, exec, vcc
	s_cbranch_execz .LBB207_351
; %bb.356:                              ;   in Loop: Header=BB207_352 Depth=2
	s_movk_i32 s36, 0x3c00
	v_perm_b32 v8, v8, s36, v36
	ds_write_b32 v15, v8 offset:3072
	s_branch .LBB207_351
.LBB207_357:                            ;   in Loop: Header=BB207_12 Depth=1
	s_or_b64 exec, exec, s[10:11]
	v_lshrrev_b32_e32 v39, 16, v8
	s_and_b64 s[6:7], s[12:13], exec
.LBB207_358:                            ;   in Loop: Header=BB207_12 Depth=1
	s_or_b64 exec, exec, s[4:5]
	s_mov_b64 s[40:41], 0
	s_mov_b64 s[36:37], -1
	s_mov_b64 s[42:43], 0
.LBB207_359:                            ;   in Loop: Header=BB207_12 Depth=1
	s_orn2_b64 s[4:5], s[6:7], exec
.LBB207_360:                            ;   in Loop: Header=BB207_12 Depth=1
	s_or_b64 exec, exec, s[8:9]
	s_mov_b64 s[6:7], 0
                                        ; implicit-def: $vgpr7
	s_and_saveexec_b64 s[44:45], s[4:5]
	s_cbranch_execz .LBB207_473
; %bb.361:                              ;   in Loop: Header=BB207_12 Depth=1
	v_mov_b32_e32 v4, 1
	s_xor_b64 s[4:5], s[2:3], -1
	v_mov_b32_e32 v5, 0
	v_mov_b32_e32 v7, 1
	s_and_saveexec_b64 s[2:3], s[4:5]
	s_cbranch_execz .LBB207_371
; %bb.362:                              ;   in Loop: Header=BB207_12 Depth=1
	v_cmp_ge_u64_e32 vcc, s[22:23], v[2:3]
                                        ; implicit-def: $sgpr8
                                        ; implicit-def: $sgpr4_sgpr5
	s_and_saveexec_b64 s[6:7], vcc
	s_xor_b64 s[6:7], exec, s[6:7]
	s_cbranch_execz .LBB207_368
; %bb.363:                              ;   in Loop: Header=BB207_12 Depth=1
	ds_read_b64 v[4:5], v15 offset:5120
	s_waitcnt lgkmcnt(0)
	v_cmp_ne_u64_e32 vcc, 0, v[4:5]
	s_cbranch_vccnz .LBB207_367
; %bb.364:                              ;   in Loop: Header=BB207_12 Depth=1
	s_mov_b64 s[4:5], exec
	v_readlane_b32 s8, v48, 12
	v_readlane_b32 s9, v48, 13
	s_and_b64 s[8:9], s[4:5], s[8:9]
	s_mov_b64 exec, s[8:9]
	s_cbranch_execz .LBB207_366
; %bb.365:                              ;   in Loop: Header=BB207_12 Depth=1
	v_pk_mov_b32 v[4:5], s[22:23], s[22:23] op_sel:[0,1]
	ds_write_b64 v15, v[4:5] offset:5128
.LBB207_366:                            ;   in Loop: Header=BB207_12 Depth=1
	s_or_b64 exec, exec, s[4:5]
	s_waitcnt lgkmcnt(0)
	s_barrier
.LBB207_367:                            ;   in Loop: Header=BB207_12 Depth=1
	v_and_b32_e32 v4, s48, v38
	v_lshl_or_b32 v38, 2, s49, v4
	v_or_b32_e32 v37, s84, v37
	s_mov_b64 s[4:5], 0
	s_mov_b32 s8, 5
.LBB207_368:                            ;   in Loop: Header=BB207_12 Depth=1
	s_or_saveexec_b64 s[6:7], s[6:7]
	v_mov_b32_e32 v7, s8
	s_xor_b64 exec, exec, s[6:7]
; %bb.369:                              ;   in Loop: Header=BB207_12 Depth=1
	v_mov_b32_e32 v4, s23
	v_subrev_co_u32_e32 v2, vcc, s22, v2
	v_subb_co_u32_e32 v3, vcc, v3, v4, vcc
	v_mov_b32_e32 v7, 0
	s_or_b64 s[4:5], s[4:5], exec
; %bb.370:                              ;   in Loop: Header=BB207_12 Depth=1
	s_or_b64 exec, exec, s[6:7]
	s_and_b64 s[6:7], s[4:5], exec
	v_pk_mov_b32 v[4:5], v[2:3], v[2:3] op_sel:[0,1]
.LBB207_371:                            ;   in Loop: Header=BB207_12 Depth=1
	s_or_b64 exec, exec, s[2:3]
	s_mov_b64 s[2:3], -1
                                        ; implicit-def: $sgpr4_sgpr5
                                        ; implicit-def: $sgpr8_sgpr9
                                        ; implicit-def: $sgpr10_sgpr11
	s_and_saveexec_b64 s[22:23], s[6:7]
	s_cbranch_execz .LBB207_472
; %bb.372:                              ;   in Loop: Header=BB207_12 Depth=1
	s_cmp_eq_u64 s[18:19], 1
	s_cselect_b64 s[2:3], -1, 0
	v_cmp_eq_u64_e32 vcc, 1, v[4:5]
	s_and_b64 s[8:9], s[2:3], vcc
	s_mov_b64 s[4:5], -1
                                        ; implicit-def: $sgpr2_sgpr3
                                        ; implicit-def: $sgpr46_sgpr47
                                        ; implicit-def: $sgpr56_sgpr57
	s_and_saveexec_b64 s[50:51], s[8:9]
	s_cbranch_execz .LBB207_406
; %bb.373:                              ;   in Loop: Header=BB207_12 Depth=1
	ds_read_b64 v[2:3], v15 offset:5120
	s_waitcnt lgkmcnt(0)
	s_barrier
	v_readfirstlane_b32 s2, v2
	v_readfirstlane_b32 s3, v3
	s_mov_b64 s[4:5], exec
	v_readlane_b32 s6, v48, 30
	v_readlane_b32 s7, v48, 31
	s_and_b64 s[6:7], s[4:5], s[6:7]
	s_mov_b64 exec, s[6:7]
	s_cbranch_execz .LBB207_375
; %bb.374:                              ;   in Loop: Header=BB207_12 Depth=1
	ds_write_b16 v29, v15
.LBB207_375:                            ;   in Loop: Header=BB207_12 Depth=1
	s_or_b64 exec, exec, s[4:5]
	v_and_b32_e32 v2, s48, v38
	v_lshl_or_b32 v38, 1, s49, v2
	v_or_b32_e32 v37, s84, v37
	s_cmp_eq_u64 s[2:3], 0
	s_waitcnt lgkmcnt(0)
	s_barrier
	s_cbranch_scc1 .LBB207_389
; %bb.376:                              ;   in Loop: Header=BB207_12 Depth=1
	v_readlane_b32 s4, v48, 34
	s_add_u32 s10, s4, s2
	v_readlane_b32 s4, v48, 36
	s_addc_u32 s5, s4, s3
	s_mov_b32 s4, s85
	s_cmp_lg_u64 s[4:5], 0
	s_cbranch_scc0 .LBB207_424
; %bb.377:                              ;   in Loop: Header=BB207_12 Depth=1
	v_cvt_f32_u32_e32 v2, s87
	s_sub_u32 s4, 0, s87
	s_subb_u32 s6, 0, 0
	v_mac_f32_e32 v2, 0, v34
	v_rcp_f32_e32 v2, v2
	v_mul_f32_e32 v2, 0x5f7ffffc, v2
	v_mul_f32_e32 v3, 0x2f800000, v2
	v_trunc_f32_e32 v3, v3
	v_mac_f32_e32 v2, 0xcf800000, v3
	v_cvt_u32_f32_e32 v3, v3
	v_cvt_u32_f32_e32 v2, v2
	v_readfirstlane_b32 s7, v3
	v_readfirstlane_b32 s11, v2
	s_mul_i32 s12, s4, s7
	s_mul_hi_u32 s46, s4, s11
	s_mul_i32 s13, s6, s11
	s_add_i32 s12, s46, s12
	s_mul_i32 s47, s4, s11
	s_add_i32 s12, s12, s13
	s_mul_hi_u32 s46, s11, s47
	s_mul_hi_u32 s13, s11, s12
	s_mul_i32 s11, s11, s12
	s_add_u32 s11, s46, s11
	s_addc_u32 s13, 0, s13
	s_mul_hi_u32 s52, s7, s47
	s_mul_i32 s47, s7, s47
	s_add_u32 s11, s11, s47
	s_mul_hi_u32 s46, s7, s12
	s_addc_u32 s11, s13, s52
	s_addc_u32 s13, s46, 0
	s_mul_i32 s12, s7, s12
	s_add_u32 s11, s11, s12
	s_addc_u32 s12, 0, s13
	v_add_co_u32_e32 v2, vcc, s11, v2
	s_cmp_lg_u64 vcc, 0
	s_addc_u32 s7, s7, s12
	v_readfirstlane_b32 s12, v2
	s_mul_i32 s11, s4, s7
	s_mul_hi_u32 s13, s4, s12
	s_add_i32 s11, s13, s11
	s_mul_i32 s6, s6, s12
	s_add_i32 s11, s11, s6
	s_mul_i32 s4, s4, s12
	s_mul_hi_u32 s13, s7, s4
	s_mul_i32 s46, s7, s4
	s_mul_i32 s52, s12, s11
	s_mul_hi_u32 s4, s12, s4
	s_mul_hi_u32 s47, s12, s11
	s_add_u32 s4, s4, s52
	s_addc_u32 s12, 0, s47
	s_add_u32 s4, s4, s46
	s_mul_hi_u32 s6, s7, s11
	s_addc_u32 s4, s12, s13
	s_addc_u32 s6, s6, 0
	s_mul_i32 s11, s7, s11
	s_add_u32 s4, s4, s11
	s_addc_u32 s6, 0, s6
	v_add_co_u32_e32 v2, vcc, s4, v2
	s_cmp_lg_u64 vcc, 0
	s_addc_u32 s4, s7, s6
	v_readfirstlane_b32 s11, v2
	s_mul_i32 s7, s10, s4
	s_mul_hi_u32 s12, s10, s11
	s_mul_hi_u32 s6, s10, s4
	s_add_u32 s7, s12, s7
	s_addc_u32 s6, 0, s6
	s_mul_hi_u32 s13, s5, s11
	s_mul_i32 s11, s5, s11
	s_add_u32 s7, s7, s11
	s_mul_hi_u32 s12, s5, s4
	s_addc_u32 s6, s6, s13
	s_addc_u32 s7, s12, 0
	s_mul_i32 s4, s5, s4
	s_add_u32 s4, s6, s4
	s_addc_u32 s6, 0, s7
	s_mul_hi_u32 s7, s87, s4
	s_mul_i32 s4, s87, s4
	s_mul_i32 s6, s87, s6
	v_mov_b32_e32 v2, s4
	s_add_i32 s7, s7, s6
	v_sub_co_u32_e32 v2, vcc, s10, v2
	s_cmp_lg_u64 vcc, 0
	s_subb_u32 s4, s5, s7
	v_subrev_co_u32_e32 v3, vcc, s87, v2
	s_cmp_lg_u64 vcc, 0
	s_subb_u32 s6, s4, 0
	v_subrev_co_u32_e32 v6, vcc, s87, v3
	s_cmp_lg_u64 vcc, 0
	s_subb_u32 s7, s6, 0
	v_cmp_le_u32_e32 vcc, s87, v3
	s_cmp_eq_u32 s6, 0
	v_cndmask_b32_e64 v7, 0, -1, vcc
	s_cselect_b64 vcc, -1, 0
	v_cndmask_b32_e32 v7, -1, v7, vcc
	v_mov_b32_e32 v8, s6
	v_mov_b32_e32 v9, s7
	v_cmp_ne_u32_e32 vcc, 0, v7
	v_cndmask_b32_e32 v7, v8, v9, vcc
	v_cndmask_b32_e32 v6, v3, v6, vcc
	v_cmp_le_u32_e32 vcc, s87, v2
	s_cmp_eq_u32 s4, 0
	v_cndmask_b32_e64 v3, 0, -1, vcc
	s_cselect_b64 vcc, -1, 0
	v_cndmask_b32_e32 v3, -1, v3, vcc
	v_mov_b32_e32 v8, s4
	v_cmp_ne_u32_e32 vcc, 0, v3
	v_cndmask_b32_e32 v3, v8, v7, vcc
	v_cndmask_b32_e32 v2, v2, v6, vcc
	s_cbranch_execnz .LBB207_379
.LBB207_378:                            ;   in Loop: Header=BB207_12 Depth=1
	v_cvt_f32_u32_e32 v2, s87
	s_sub_i32 s4, 0, s87
	v_rcp_iflag_f32_e32 v2, v2
	v_mul_f32_e32 v2, 0x4f7ffffe, v2
	v_cvt_u32_f32_e32 v2, v2
	v_mul_lo_u32 v3, s4, v2
	v_mul_hi_u32 v3, v2, v3
	v_add_u32_e32 v2, v2, v3
	v_mul_hi_u32 v2, s10, v2
	v_mul_lo_u32 v2, v2, s87
	v_sub_u32_e32 v2, s10, v2
	v_subrev_u32_e32 v3, s87, v2
	v_cmp_le_u32_e32 vcc, s87, v2
	v_cndmask_b32_e32 v2, v2, v3, vcc
	v_subrev_u32_e32 v3, s87, v2
	v_cmp_le_u32_e32 vcc, s87, v2
	v_cndmask_b32_e32 v14, v2, v3, vcc
	v_pk_mov_b32 v[2:3], v[14:15], v[14:15] op_sel:[0,1]
.LBB207_379:                            ;   in Loop: Header=BB207_12 Depth=1
	v_mov_b32_e32 v6, s5
	v_sub_co_u32_e32 v2, vcc, s10, v2
	v_subb_co_u32_e32 v3, vcc, v6, v3, vcc
	v_cmp_gt_u64_e32 vcc, v[2:3], v[0:1]
	s_mov_b64 s[4:5], 0
                                        ; implicit-def: $vgpr39
	s_and_saveexec_b64 s[10:11], vcc
	s_cbranch_execz .LBB207_391
; %bb.380:                              ;   in Loop: Header=BB207_12 Depth=1
	v_mov_b32_e32 v8, v28
	v_pk_mov_b32 v[6:7], v[0:1], v[0:1] op_sel:[0,1]
                                        ; implicit-def: $sgpr12_sgpr13
	s_branch .LBB207_382
.LBB207_381:                            ;   in Loop: Header=BB207_382 Depth=2
	s_or_b64 exec, exec, s[6:7]
	s_waitcnt lgkmcnt(0)
	s_barrier
	ds_read_b32 v9, v15 offset:3072
	v_mov_b32_e32 v14, s88
	v_add_co_u32_e64 v6, s[6:7], s87, v6
	v_addc_co_u32_e64 v7, s[6:7], v7, v14, s[6:7]
	s_waitcnt lgkmcnt(0)
	v_cmp_neq_f16_e32 vcc, 0, v9
	v_cmp_ge_u64_e64 s[6:7], v[6:7], v[2:3]
	s_or_b64 s[6:7], s[6:7], vcc
	s_and_b64 s[6:7], exec, s[6:7]
	s_or_b64 s[4:5], s[6:7], s[4:5]
	s_andn2_b64 s[6:7], s[12:13], exec
	s_and_b64 s[12:13], vcc, exec
	v_add_u32_e32 v8, s95, v8
	s_or_b64 s[12:13], s[6:7], s[12:13]
	s_barrier
	s_andn2_b64 exec, exec, s[4:5]
	s_cbranch_execz .LBB207_390
.LBB207_382:                            ;   Parent Loop BB207_12 Depth=1
                                        ; =>  This Inner Loop Header: Depth=2
	v_cmp_gt_u64_e32 vcc, s[2:3], v[6:7]
	v_mov_b32_e32 v9, 0
	s_and_saveexec_b64 s[6:7], vcc
	s_cbranch_execz .LBB207_384
; %bb.383:                              ;   in Loop: Header=BB207_382 Depth=2
	ds_read_u16 v9, v8
.LBB207_384:                            ;   in Loop: Header=BB207_382 Depth=2
	s_or_b64 exec, exec, s[6:7]
	s_and_saveexec_b64 s[6:7], vcc
	s_cbranch_execz .LBB207_381
; %bb.385:                              ;   in Loop: Header=BB207_382 Depth=2
	s_waitcnt lgkmcnt(0)
	v_cmp_lt_i16_e32 vcc, -1, v9
	v_cndmask_b32_e32 v14, v32, v33, vcc
	v_xor_b32_sdwa v14, v14, v9 dst_sel:DWORD dst_unused:UNUSED_PAD src0_sel:DWORD src1_sel:WORD_0
	v_cmp_o_f16_e32 vcc, v9, v9
	v_cndmask_b32_e32 v14, v32, v14, vcc
	v_and_b32_e32 v14, v14, v37
	v_cmp_eq_u32_e32 vcc, v14, v38
	s_and_b64 exec, exec, vcc
	s_cbranch_execz .LBB207_381
; %bb.386:                              ;   in Loop: Header=BB207_382 Depth=2
	s_movk_i32 s46, 0x3c00
	v_perm_b32 v9, v9, s46, v36
	ds_write_b32 v15, v9 offset:3072
	s_branch .LBB207_381
.LBB207_387:                            ;   in Loop: Header=BB207_12 Depth=1
                                        ; implicit-def: $vgpr4_vgpr5
	s_branch .LBB207_332
.LBB207_388:                            ;   in Loop: Header=BB207_12 Depth=1
                                        ; implicit-def: $vgpr4_vgpr5
	s_branch .LBB207_348
.LBB207_389:                            ;   in Loop: Header=BB207_12 Depth=1
	s_mov_b64 s[2:3], -1
	s_mov_b64 s[4:5], 0
                                        ; implicit-def: $sgpr46_sgpr47
                                        ; implicit-def: $vgpr39
	s_mov_b64 s[56:57], s[2:3]
	s_cbranch_execnz .LBB207_392
	s_branch .LBB207_405
.LBB207_390:                            ;   in Loop: Header=BB207_12 Depth=1
	s_or_b64 exec, exec, s[4:5]
	v_lshrrev_b32_e32 v39, 16, v9
	s_and_b64 s[4:5], s[12:13], exec
.LBB207_391:                            ;   in Loop: Header=BB207_12 Depth=1
	s_or_b64 exec, exec, s[10:11]
	s_mov_b64 s[2:3], 0
	s_mov_b64 s[46:47], -1
	s_mov_b64 s[56:57], s[2:3]
	s_branch .LBB207_405
.LBB207_392:                            ;   in Loop: Header=BB207_12 Depth=1
	s_mov_b32 s92, s85
	s_cmp_lg_u64 s[92:93], 0
	s_cbranch_scc0 .LBB207_425
; %bb.393:                              ;   in Loop: Header=BB207_12 Depth=1
	v_cvt_f32_u32_e32 v2, s87
	s_sub_u32 s2, 0, s87
	s_subb_u32 s3, 0, 0
	v_mac_f32_e32 v2, 0, v34
	v_rcp_f32_e32 v2, v2
	v_mul_f32_e32 v2, 0x5f7ffffc, v2
	v_mul_f32_e32 v3, 0x2f800000, v2
	v_trunc_f32_e32 v3, v3
	v_mac_f32_e32 v2, 0xcf800000, v3
	v_cvt_u32_f32_e32 v3, v3
	v_cvt_u32_f32_e32 v2, v2
	v_readfirstlane_b32 s4, v3
	v_readfirstlane_b32 s5, v2
	s_mul_i32 s6, s2, s4
	s_mul_hi_u32 s10, s2, s5
	s_mul_i32 s7, s3, s5
	s_add_i32 s6, s10, s6
	s_mul_i32 s11, s2, s5
	s_add_i32 s6, s6, s7
	s_mul_hi_u32 s10, s5, s11
	s_mul_hi_u32 s7, s5, s6
	s_mul_i32 s5, s5, s6
	s_add_u32 s5, s10, s5
	s_addc_u32 s7, 0, s7
	s_mul_hi_u32 s12, s4, s11
	s_mul_i32 s11, s4, s11
	s_add_u32 s5, s5, s11
	s_mul_hi_u32 s10, s4, s6
	s_addc_u32 s5, s7, s12
	s_addc_u32 s7, s10, 0
	s_mul_i32 s6, s4, s6
	s_add_u32 s5, s5, s6
	s_addc_u32 s6, 0, s7
	v_add_co_u32_e32 v2, vcc, s5, v2
	s_cmp_lg_u64 vcc, 0
	s_addc_u32 s4, s4, s6
	v_readfirstlane_b32 s6, v2
	s_mul_i32 s5, s2, s4
	s_mul_hi_u32 s7, s2, s6
	s_add_i32 s5, s7, s5
	s_mul_i32 s3, s3, s6
	s_add_i32 s5, s5, s3
	s_mul_i32 s2, s2, s6
	s_mul_hi_u32 s7, s4, s2
	s_mul_i32 s10, s4, s2
	s_mul_i32 s12, s6, s5
	s_mul_hi_u32 s2, s6, s2
	s_mul_hi_u32 s11, s6, s5
	s_add_u32 s2, s2, s12
	s_addc_u32 s6, 0, s11
	s_add_u32 s2, s2, s10
	s_mul_hi_u32 s3, s4, s5
	s_addc_u32 s2, s6, s7
	s_addc_u32 s3, s3, 0
	s_mul_i32 s5, s4, s5
	s_add_u32 s2, s2, s5
	s_addc_u32 s3, 0, s3
	v_add_co_u32_e32 v2, vcc, s2, v2
	s_cmp_lg_u64 vcc, 0
	s_addc_u32 s2, s4, s3
	v_readlane_b32 s10, v48, 35
	v_readfirstlane_b32 s5, v2
	s_mul_i32 s4, s10, s2
	s_mul_hi_u32 s6, s10, s5
	s_mul_hi_u32 s3, s10, s2
	s_add_u32 s4, s6, s4
	s_addc_u32 s3, 0, s3
	s_mul_hi_u32 s7, s93, s5
	s_mul_i32 s5, s93, s5
	s_add_u32 s4, s4, s5
	s_mul_hi_u32 s6, s93, s2
	s_addc_u32 s3, s3, s7
	s_addc_u32 s4, s6, 0
	s_mul_i32 s2, s93, s2
	s_add_u32 s2, s3, s2
	s_addc_u32 s3, 0, s4
	s_mul_hi_u32 s4, s87, s2
	s_mul_i32 s2, s87, s2
	s_mul_i32 s3, s87, s3
	v_mov_b32_e32 v2, s2
	s_add_i32 s4, s4, s3
	v_sub_co_u32_e32 v2, vcc, s10, v2
	s_cmp_lg_u64 vcc, 0
	s_subb_u32 s2, s93, s4
	v_subrev_co_u32_e32 v3, vcc, s87, v2
	s_cmp_lg_u64 vcc, 0
	s_subb_u32 s3, s2, 0
	v_subrev_co_u32_e32 v6, vcc, s87, v3
	s_cmp_lg_u64 vcc, 0
	s_subb_u32 s4, s3, 0
	v_cmp_le_u32_e32 vcc, s87, v3
	s_cmp_eq_u32 s3, 0
	v_cndmask_b32_e64 v7, 0, -1, vcc
	s_cselect_b64 vcc, -1, 0
	v_cndmask_b32_e32 v7, -1, v7, vcc
	v_mov_b32_e32 v8, s3
	v_mov_b32_e32 v9, s4
	v_cmp_ne_u32_e32 vcc, 0, v7
	v_cndmask_b32_e32 v7, v8, v9, vcc
	v_cndmask_b32_e32 v6, v3, v6, vcc
	v_cmp_le_u32_e32 vcc, s87, v2
	s_cmp_eq_u32 s2, 0
	v_cndmask_b32_e64 v3, 0, -1, vcc
	s_cselect_b64 vcc, -1, 0
	v_cndmask_b32_e32 v3, -1, v3, vcc
	v_mov_b32_e32 v8, s2
	v_cmp_ne_u32_e32 vcc, 0, v3
	v_cndmask_b32_e32 v3, v8, v7, vcc
	v_cndmask_b32_e32 v2, v2, v6, vcc
	s_cbranch_execnz .LBB207_395
.LBB207_394:                            ;   in Loop: Header=BB207_12 Depth=1
	v_cvt_f32_u32_e32 v2, s87
	s_sub_i32 s2, 0, s87
	v_rcp_iflag_f32_e32 v2, v2
	v_mul_f32_e32 v2, 0x4f7ffffe, v2
	v_cvt_u32_f32_e32 v2, v2
	v_mul_lo_u32 v3, s2, v2
	v_mul_hi_u32 v3, v2, v3
	v_add_u32_e32 v2, v2, v3
	v_readlane_b32 s2, v48, 35
	v_mul_hi_u32 v2, s2, v2
	v_mul_lo_u32 v2, v2, s87
	v_sub_u32_e32 v2, s2, v2
	v_subrev_u32_e32 v3, s87, v2
	v_cmp_le_u32_e32 vcc, s87, v2
	v_cndmask_b32_e32 v2, v2, v3, vcc
	v_subrev_u32_e32 v3, s87, v2
	v_cmp_le_u32_e32 vcc, s87, v2
	v_cndmask_b32_e32 v14, v2, v3, vcc
	v_pk_mov_b32 v[2:3], v[14:15], v[14:15] op_sel:[0,1]
.LBB207_395:                            ;   in Loop: Header=BB207_12 Depth=1
	v_readlane_b32 s2, v48, 35
	v_mov_b32_e32 v6, s93
	v_sub_co_u32_e32 v2, vcc, s2, v2
	v_subb_co_u32_e32 v3, vcc, v6, v3, vcc
	v_cmp_gt_u64_e32 vcc, v[2:3], v[0:1]
	s_mov_b64 s[4:5], 0
                                        ; implicit-def: $vgpr39
	s_and_saveexec_b64 s[2:3], vcc
	s_cbranch_execz .LBB207_404
; %bb.396:                              ;   in Loop: Header=BB207_12 Depth=1
	v_pk_mov_b32 v[6:7], v[0:1], v[0:1] op_sel:[0,1]
                                        ; implicit-def: $sgpr10_sgpr11
	s_branch .LBB207_398
.LBB207_397:                            ;   in Loop: Header=BB207_398 Depth=2
	s_or_b64 exec, exec, s[6:7]
	s_waitcnt lgkmcnt(0)
	s_barrier
	s_waitcnt vmcnt(0)
	ds_read_b32 v8, v15 offset:3072
	v_mov_b32_e32 v9, s88
	v_add_co_u32_e64 v6, s[6:7], s87, v6
	v_addc_co_u32_e64 v7, s[6:7], v7, v9, s[6:7]
	s_waitcnt lgkmcnt(0)
	v_cmp_neq_f16_e32 vcc, 0, v8
	v_cmp_ge_u64_e64 s[6:7], v[6:7], v[2:3]
	s_or_b64 s[6:7], s[6:7], vcc
	s_and_b64 s[6:7], exec, s[6:7]
	s_or_b64 s[4:5], s[6:7], s[4:5]
	s_andn2_b64 s[6:7], s[10:11], exec
	s_and_b64 s[10:11], vcc, exec
	s_or_b64 s[10:11], s[6:7], s[10:11]
	s_barrier
	s_andn2_b64 exec, exec, s[4:5]
	s_cbranch_execz .LBB207_403
.LBB207_398:                            ;   Parent Loop BB207_12 Depth=1
                                        ; =>  This Inner Loop Header: Depth=2
	v_cmp_gt_u64_e32 vcc, s[60:61], v[6:7]
	v_mov_b32_e32 v8, 0
	s_and_saveexec_b64 s[12:13], vcc
	s_cbranch_execz .LBB207_400
; %bb.399:                              ;   in Loop: Header=BB207_398 Depth=2
	v_mul_lo_u32 v14, v7, s58
	v_mul_lo_u32 v18, v6, s59
	v_mad_u64_u32 v[8:9], s[6:7], v6, s58, 0
	v_add3_u32 v9, v9, v18, v14
	v_lshlrev_b64 v[8:9], 1, v[8:9]
	v_mov_b32_e32 v14, s86
	v_add_co_u32_e64 v8, s[6:7], s33, v8
	v_addc_co_u32_e64 v9, s[6:7], v14, v9, s[6:7]
	global_load_ushort v8, v[8:9], off
.LBB207_400:                            ;   in Loop: Header=BB207_398 Depth=2
	s_or_b64 exec, exec, s[12:13]
	s_and_saveexec_b64 s[6:7], vcc
	s_cbranch_execz .LBB207_397
; %bb.401:                              ;   in Loop: Header=BB207_398 Depth=2
	s_waitcnt vmcnt(0)
	v_cmp_lt_i16_e32 vcc, -1, v8
	v_cndmask_b32_e32 v9, v32, v33, vcc
	v_xor_b32_sdwa v9, v9, v8 dst_sel:DWORD dst_unused:UNUSED_PAD src0_sel:DWORD src1_sel:WORD_0
	v_cmp_o_f16_e32 vcc, v8, v8
	v_cndmask_b32_e32 v9, v32, v9, vcc
	v_and_b32_e32 v9, v9, v37
	v_cmp_eq_u32_e32 vcc, v9, v38
	s_and_b64 exec, exec, vcc
	s_cbranch_execz .LBB207_397
; %bb.402:                              ;   in Loop: Header=BB207_398 Depth=2
	s_movk_i32 s12, 0x3c00
	v_perm_b32 v8, v8, s12, v36
	ds_write_b32 v15, v8 offset:3072
	s_branch .LBB207_397
.LBB207_403:                            ;   in Loop: Header=BB207_12 Depth=1
	s_or_b64 exec, exec, s[4:5]
	v_lshrrev_b32_e32 v39, 16, v8
	s_and_b64 s[4:5], s[10:11], exec
.LBB207_404:                            ;   in Loop: Header=BB207_12 Depth=1
	s_or_b64 exec, exec, s[2:3]
	s_mov_b64 s[46:47], 0
	s_mov_b64 s[2:3], -1
	s_mov_b64 s[56:57], 0
.LBB207_405:                            ;   in Loop: Header=BB207_12 Depth=1
	s_orn2_b64 s[4:5], s[4:5], exec
.LBB207_406:                            ;   in Loop: Header=BB207_12 Depth=1
	s_or_b64 exec, exec, s[50:51]
	s_mov_b64 s[6:7], 0
                                        ; implicit-def: $vgpr7
	s_and_saveexec_b64 s[50:51], s[4:5]
	s_cbranch_execz .LBB207_471
; %bb.407:                              ;   in Loop: Header=BB207_12 Depth=1
	v_mov_b32_e32 v2, 1
	s_xor_b64 s[6:7], s[8:9], -1
	s_mov_b64 s[12:13], 0
	v_mov_b32_e32 v3, 0
	v_mov_b32_e32 v7, 1
	s_and_saveexec_b64 s[4:5], s[6:7]
	s_cbranch_execz .LBB207_417
; %bb.408:                              ;   in Loop: Header=BB207_12 Depth=1
	v_cmp_ge_u64_e32 vcc, s[18:19], v[4:5]
                                        ; implicit-def: $sgpr10
                                        ; implicit-def: $sgpr6_sgpr7
	s_and_saveexec_b64 s[8:9], vcc
	s_xor_b64 s[8:9], exec, s[8:9]
	s_cbranch_execz .LBB207_414
; %bb.409:                              ;   in Loop: Header=BB207_12 Depth=1
	ds_read_b64 v[2:3], v15 offset:5120
	s_waitcnt lgkmcnt(0)
	v_cmp_ne_u64_e32 vcc, 0, v[2:3]
	s_cbranch_vccnz .LBB207_413
; %bb.410:                              ;   in Loop: Header=BB207_12 Depth=1
	s_mov_b64 s[6:7], exec
	v_readlane_b32 s10, v48, 12
	v_readlane_b32 s11, v48, 13
	s_and_b64 s[10:11], s[6:7], s[10:11]
	s_mov_b64 exec, s[10:11]
	s_cbranch_execz .LBB207_412
; %bb.411:                              ;   in Loop: Header=BB207_12 Depth=1
	v_pk_mov_b32 v[2:3], s[18:19], s[18:19] op_sel:[0,1]
	ds_write_b64 v15, v[2:3] offset:5128
.LBB207_412:                            ;   in Loop: Header=BB207_12 Depth=1
	s_or_b64 exec, exec, s[6:7]
	s_waitcnt lgkmcnt(0)
	s_barrier
.LBB207_413:                            ;   in Loop: Header=BB207_12 Depth=1
	v_and_b32_e32 v2, s48, v38
	v_lshl_or_b32 v38, 1, s49, v2
	v_or_b32_e32 v37, s84, v37
	s_mov_b64 s[6:7], 0
	s_mov_b32 s10, 5
.LBB207_414:                            ;   in Loop: Header=BB207_12 Depth=1
	s_or_saveexec_b64 s[8:9], s[8:9]
	v_mov_b32_e32 v7, s10
	s_xor_b64 exec, exec, s[8:9]
; %bb.415:                              ;   in Loop: Header=BB207_12 Depth=1
	v_mov_b32_e32 v2, s19
	v_subrev_co_u32_e32 v4, vcc, s18, v4
	v_subb_co_u32_e32 v5, vcc, v5, v2, vcc
	v_mov_b32_e32 v7, 0
	s_or_b64 s[6:7], s[6:7], exec
; %bb.416:                              ;   in Loop: Header=BB207_12 Depth=1
	s_or_b64 exec, exec, s[8:9]
	s_and_b64 s[12:13], s[6:7], exec
	v_pk_mov_b32 v[2:3], v[4:5], v[4:5] op_sel:[0,1]
.LBB207_417:                            ;   in Loop: Header=BB207_12 Depth=1
	s_or_b64 exec, exec, s[4:5]
	s_mov_b64 s[8:9], -1
                                        ; implicit-def: $sgpr4_sgpr5
                                        ; implicit-def: $sgpr6_sgpr7
                                        ; implicit-def: $sgpr10_sgpr11
	s_and_saveexec_b64 s[18:19], s[12:13]
	s_cbranch_execz .LBB207_470
; %bb.418:                              ;   in Loop: Header=BB207_12 Depth=1
	s_cmp_eq_u64 s[16:17], 1
	s_cselect_b64 s[4:5], -1, 0
	v_cmp_eq_u64_e32 vcc, 1, v[2:3]
	s_and_b64 s[8:9], s[4:5], vcc
	s_mov_b64 s[54:55], -1
                                        ; implicit-def: $sgpr4_sgpr5
                                        ; implicit-def: $sgpr6_sgpr7
                                        ; implicit-def: $sgpr10_sgpr11
	s_and_saveexec_b64 s[52:53], s[8:9]
	s_cbranch_execz .LBB207_457
; %bb.419:                              ;   in Loop: Header=BB207_12 Depth=1
	ds_read_b64 v[4:5], v15 offset:5120
	s_waitcnt lgkmcnt(0)
	s_barrier
	v_readfirstlane_b32 s4, v4
	v_readfirstlane_b32 s5, v5
	s_mov_b64 s[6:7], exec
	v_readlane_b32 s10, v48, 30
	v_readlane_b32 s11, v48, 31
	s_and_b64 s[10:11], s[6:7], s[10:11]
	s_mov_b64 exec, s[10:11]
	s_cbranch_execz .LBB207_421
; %bb.420:                              ;   in Loop: Header=BB207_12 Depth=1
	ds_write_b16 v29, v15
.LBB207_421:                            ;   in Loop: Header=BB207_12 Depth=1
	s_or_b64 exec, exec, s[6:7]
	v_and_b32_e32 v38, s48, v38
	v_or_b32_e32 v37, s84, v37
	s_cmp_eq_u64 s[4:5], 0
	s_waitcnt lgkmcnt(0)
	s_barrier
	s_cbranch_scc1 .LBB207_426
; %bb.422:                              ;   in Loop: Header=BB207_12 Depth=1
	v_readlane_b32 s6, v48, 34
	s_add_u32 s12, s6, s4
	v_readlane_b32 s6, v48, 36
	s_addc_u32 s7, s6, s5
	s_mov_b32 s6, s85
	s_cmp_lg_u64 s[6:7], 0
	s_cbranch_scc0 .LBB207_427
; %bb.423:                              ;   in Loop: Header=BB207_12 Depth=1
	v_cvt_f32_u32_e32 v4, s87
	s_sub_u32 s6, 0, s87
	s_subb_u32 s10, 0, 0
	v_mac_f32_e32 v4, 0, v34
	v_rcp_f32_e32 v4, v4
	v_mul_f32_e32 v4, 0x5f7ffffc, v4
	v_mul_f32_e32 v5, 0x2f800000, v4
	v_trunc_f32_e32 v5, v5
	v_mac_f32_e32 v4, 0xcf800000, v5
	v_cvt_u32_f32_e32 v5, v5
	v_cvt_u32_f32_e32 v4, v4
	v_readfirstlane_b32 s11, v5
	v_readfirstlane_b32 s13, v4
	s_mul_i32 s49, s6, s11
	s_mul_hi_u32 s55, s6, s13
	s_mul_i32 s54, s10, s13
	s_add_i32 s49, s55, s49
	s_mul_i32 s90, s6, s13
	s_add_i32 s49, s49, s54
	s_mul_hi_u32 s55, s13, s90
	s_mul_hi_u32 s54, s13, s49
	s_mul_i32 s13, s13, s49
	s_add_u32 s13, s55, s13
	s_addc_u32 s54, 0, s54
	s_mul_hi_u32 s91, s11, s90
	s_mul_i32 s90, s11, s90
	s_add_u32 s13, s13, s90
	s_mul_hi_u32 s55, s11, s49
	s_addc_u32 s13, s54, s91
	s_addc_u32 s54, s55, 0
	s_mul_i32 s49, s11, s49
	s_add_u32 s13, s13, s49
	s_addc_u32 s49, 0, s54
	v_add_co_u32_e32 v4, vcc, s13, v4
	s_cmp_lg_u64 vcc, 0
	s_addc_u32 s11, s11, s49
	v_readfirstlane_b32 s49, v4
	s_mul_i32 s13, s6, s11
	s_mul_hi_u32 s54, s6, s49
	s_add_i32 s13, s54, s13
	s_mul_i32 s10, s10, s49
	s_add_i32 s13, s13, s10
	s_mul_i32 s6, s6, s49
	s_mul_hi_u32 s54, s11, s6
	s_mul_i32 s55, s11, s6
	s_mul_i32 s91, s49, s13
	s_mul_hi_u32 s6, s49, s6
	s_mul_hi_u32 s90, s49, s13
	s_add_u32 s6, s6, s91
	s_addc_u32 s49, 0, s90
	s_add_u32 s6, s6, s55
	s_mul_hi_u32 s10, s11, s13
	s_addc_u32 s6, s49, s54
	s_addc_u32 s10, s10, 0
	s_mul_i32 s13, s11, s13
	s_add_u32 s6, s6, s13
	s_addc_u32 s10, 0, s10
	v_add_co_u32_e32 v4, vcc, s6, v4
	s_cmp_lg_u64 vcc, 0
	s_addc_u32 s6, s11, s10
	v_readfirstlane_b32 s13, v4
	s_mul_i32 s11, s12, s6
	s_mul_hi_u32 s49, s12, s13
	s_mul_hi_u32 s10, s12, s6
	s_add_u32 s11, s49, s11
	s_addc_u32 s10, 0, s10
	s_mul_hi_u32 s54, s7, s13
	s_mul_i32 s13, s7, s13
	s_add_u32 s11, s11, s13
	s_mul_hi_u32 s49, s7, s6
	s_addc_u32 s10, s10, s54
	s_addc_u32 s11, s49, 0
	s_mul_i32 s6, s7, s6
	s_add_u32 s6, s10, s6
	s_addc_u32 s10, 0, s11
	s_mul_hi_u32 s11, s87, s6
	s_mul_i32 s6, s87, s6
	s_mul_i32 s10, s87, s10
	v_mov_b32_e32 v4, s6
	s_add_i32 s11, s11, s10
	v_sub_co_u32_e32 v4, vcc, s12, v4
	s_cmp_lg_u64 vcc, 0
	s_subb_u32 s6, s7, s11
	v_subrev_co_u32_e32 v5, vcc, s87, v4
	s_cmp_lg_u64 vcc, 0
	s_subb_u32 s10, s6, 0
	v_subrev_co_u32_e32 v6, vcc, s87, v5
	s_cmp_lg_u64 vcc, 0
	s_subb_u32 s11, s10, 0
	v_cmp_le_u32_e32 vcc, s87, v5
	s_cmp_eq_u32 s10, 0
	v_cndmask_b32_e64 v7, 0, -1, vcc
	s_cselect_b64 vcc, -1, 0
	v_cndmask_b32_e32 v7, -1, v7, vcc
	v_mov_b32_e32 v8, s10
	v_mov_b32_e32 v9, s11
	v_cmp_ne_u32_e32 vcc, 0, v7
	v_cndmask_b32_e32 v7, v8, v9, vcc
	v_cndmask_b32_e32 v6, v5, v6, vcc
	v_cmp_le_u32_e32 vcc, s87, v4
	s_cmp_eq_u32 s6, 0
	v_cndmask_b32_e64 v5, 0, -1, vcc
	s_cselect_b64 vcc, -1, 0
	v_cndmask_b32_e32 v5, -1, v5, vcc
	v_mov_b32_e32 v8, s6
	v_cmp_ne_u32_e32 vcc, 0, v5
	v_cndmask_b32_e32 v5, v8, v7, vcc
	v_cndmask_b32_e32 v4, v4, v6, vcc
	s_mov_b64 s[10:11], 0
	s_branch .LBB207_428
.LBB207_424:                            ;   in Loop: Header=BB207_12 Depth=1
                                        ; implicit-def: $vgpr2_vgpr3
	s_branch .LBB207_378
.LBB207_425:                            ;   in Loop: Header=BB207_12 Depth=1
                                        ; implicit-def: $vgpr2_vgpr3
	s_branch .LBB207_394
.LBB207_426:                            ;   in Loop: Header=BB207_12 Depth=1
	s_mov_b64 s[4:5], -1
	s_mov_b64 s[12:13], 0
                                        ; implicit-def: $sgpr6_sgpr7
                                        ; implicit-def: $vgpr39
	s_branch .LBB207_440
.LBB207_427:                            ;   in Loop: Header=BB207_12 Depth=1
	s_mov_b64 s[10:11], -1
                                        ; implicit-def: $vgpr4_vgpr5
.LBB207_428:                            ;   in Loop: Header=BB207_12 Depth=1
	s_andn2_b64 vcc, exec, s[10:11]
	s_cbranch_vccnz .LBB207_430
; %bb.429:                              ;   in Loop: Header=BB207_12 Depth=1
	v_cvt_f32_u32_e32 v4, s87
	s_sub_i32 s6, 0, s87
	v_rcp_iflag_f32_e32 v4, v4
	v_mul_f32_e32 v4, 0x4f7ffffe, v4
	v_cvt_u32_f32_e32 v4, v4
	v_mul_lo_u32 v5, s6, v4
	v_mul_hi_u32 v5, v4, v5
	v_add_u32_e32 v4, v4, v5
	v_mul_hi_u32 v4, s12, v4
	v_mul_lo_u32 v4, v4, s87
	v_sub_u32_e32 v4, s12, v4
	v_subrev_u32_e32 v5, s87, v4
	v_cmp_le_u32_e32 vcc, s87, v4
	v_cndmask_b32_e32 v4, v4, v5, vcc
	v_subrev_u32_e32 v5, s87, v4
	v_cmp_le_u32_e32 vcc, s87, v4
	v_cndmask_b32_e32 v14, v4, v5, vcc
	v_pk_mov_b32 v[4:5], v[14:15], v[14:15] op_sel:[0,1]
.LBB207_430:                            ;   in Loop: Header=BB207_12 Depth=1
	v_mov_b32_e32 v6, s7
	v_sub_co_u32_e32 v4, vcc, s12, v4
	v_subb_co_u32_e32 v5, vcc, v6, v5, vcc
	v_cmp_gt_u64_e32 vcc, v[4:5], v[0:1]
	s_mov_b64 s[12:13], 0
                                        ; implicit-def: $vgpr39
	s_and_saveexec_b64 s[10:11], vcc
	s_cbranch_execz .LBB207_439
; %bb.431:                              ;   in Loop: Header=BB207_12 Depth=1
	v_mov_b32_e32 v8, v28
	v_pk_mov_b32 v[6:7], v[0:1], v[0:1] op_sel:[0,1]
                                        ; implicit-def: $sgpr54_sgpr55
	s_branch .LBB207_433
.LBB207_432:                            ;   in Loop: Header=BB207_433 Depth=2
	s_or_b64 exec, exec, s[6:7]
	s_waitcnt lgkmcnt(0)
	s_barrier
	ds_read_b32 v9, v15 offset:3072
	v_mov_b32_e32 v14, s88
	v_add_co_u32_e64 v6, s[6:7], s87, v6
	v_addc_co_u32_e64 v7, s[6:7], v7, v14, s[6:7]
	s_waitcnt lgkmcnt(0)
	v_cmp_neq_f16_e32 vcc, 0, v9
	v_cmp_ge_u64_e64 s[6:7], v[6:7], v[4:5]
	s_or_b64 s[6:7], s[6:7], vcc
	s_and_b64 s[6:7], exec, s[6:7]
	s_or_b64 s[12:13], s[6:7], s[12:13]
	s_andn2_b64 s[6:7], s[54:55], exec
	s_and_b64 s[54:55], vcc, exec
	v_add_u32_e32 v8, s95, v8
	s_or_b64 s[54:55], s[6:7], s[54:55]
	s_barrier
	s_andn2_b64 exec, exec, s[12:13]
	s_cbranch_execz .LBB207_438
.LBB207_433:                            ;   Parent Loop BB207_12 Depth=1
                                        ; =>  This Inner Loop Header: Depth=2
	v_cmp_gt_u64_e32 vcc, s[4:5], v[6:7]
	v_mov_b32_e32 v9, 0
	s_and_saveexec_b64 s[6:7], vcc
	s_cbranch_execz .LBB207_435
; %bb.434:                              ;   in Loop: Header=BB207_433 Depth=2
	ds_read_u16 v9, v8
.LBB207_435:                            ;   in Loop: Header=BB207_433 Depth=2
	s_or_b64 exec, exec, s[6:7]
	s_and_saveexec_b64 s[6:7], vcc
	s_cbranch_execz .LBB207_432
; %bb.436:                              ;   in Loop: Header=BB207_433 Depth=2
	s_waitcnt lgkmcnt(0)
	v_cmp_lt_i16_e32 vcc, -1, v9
	v_cndmask_b32_e32 v14, v32, v33, vcc
	v_xor_b32_sdwa v14, v14, v9 dst_sel:DWORD dst_unused:UNUSED_PAD src0_sel:DWORD src1_sel:WORD_0
	v_cmp_o_f16_e32 vcc, v9, v9
	v_cndmask_b32_e32 v14, v32, v14, vcc
	v_and_b32_e32 v14, v14, v37
	v_cmp_eq_u32_e32 vcc, v14, v38
	s_and_b64 exec, exec, vcc
	s_cbranch_execz .LBB207_432
; %bb.437:                              ;   in Loop: Header=BB207_433 Depth=2
	s_movk_i32 s49, 0x3c00
	v_perm_b32 v9, v9, s49, v36
	ds_write_b32 v15, v9 offset:3072
	s_branch .LBB207_432
.LBB207_438:                            ;   in Loop: Header=BB207_12 Depth=1
	s_or_b64 exec, exec, s[12:13]
	v_lshrrev_b32_e32 v39, 16, v9
	s_and_b64 s[12:13], s[54:55], exec
.LBB207_439:                            ;   in Loop: Header=BB207_12 Depth=1
	s_or_b64 exec, exec, s[10:11]
	s_mov_b64 s[4:5], 0
	s_mov_b64 s[6:7], -1
.LBB207_440:                            ;   in Loop: Header=BB207_12 Depth=1
	s_and_b64 vcc, exec, s[4:5]
	s_mov_b64 s[10:11], s[4:5]
	s_cbranch_vccz .LBB207_456
; %bb.441:                              ;   in Loop: Header=BB207_12 Depth=1
	s_mov_b32 s92, s85
	s_cmp_lg_u64 s[92:93], 0
	s_cbranch_scc0 .LBB207_443
; %bb.442:                              ;   in Loop: Header=BB207_12 Depth=1
	v_cvt_f32_u32_e32 v4, s87
	s_sub_u32 s4, 0, s87
	s_subb_u32 s5, 0, 0
	v_mac_f32_e32 v4, 0, v34
	v_rcp_f32_e32 v4, v4
	v_mul_f32_e32 v4, 0x5f7ffffc, v4
	v_mul_f32_e32 v5, 0x2f800000, v4
	v_trunc_f32_e32 v5, v5
	v_mac_f32_e32 v4, 0xcf800000, v5
	v_cvt_u32_f32_e32 v5, v5
	v_cvt_u32_f32_e32 v4, v4
	v_readfirstlane_b32 s6, v5
	v_readfirstlane_b32 s7, v4
	s_mul_i32 s10, s4, s6
	s_mul_hi_u32 s12, s4, s7
	s_mul_i32 s11, s5, s7
	s_add_i32 s10, s12, s10
	s_mul_i32 s13, s4, s7
	s_add_i32 s10, s10, s11
	s_mul_hi_u32 s12, s7, s13
	s_mul_hi_u32 s11, s7, s10
	s_mul_i32 s7, s7, s10
	s_add_u32 s7, s12, s7
	s_addc_u32 s11, 0, s11
	s_mul_hi_u32 s49, s6, s13
	s_mul_i32 s13, s6, s13
	s_add_u32 s7, s7, s13
	s_mul_hi_u32 s12, s6, s10
	s_addc_u32 s7, s11, s49
	s_addc_u32 s11, s12, 0
	s_mul_i32 s10, s6, s10
	s_add_u32 s7, s7, s10
	s_addc_u32 s10, 0, s11
	v_add_co_u32_e32 v4, vcc, s7, v4
	s_cmp_lg_u64 vcc, 0
	s_addc_u32 s6, s6, s10
	v_readfirstlane_b32 s10, v4
	s_mul_i32 s7, s4, s6
	s_mul_hi_u32 s11, s4, s10
	s_add_i32 s7, s11, s7
	s_mul_i32 s5, s5, s10
	s_add_i32 s7, s7, s5
	s_mul_i32 s4, s4, s10
	s_mul_hi_u32 s11, s6, s4
	s_mul_i32 s12, s6, s4
	s_mul_i32 s49, s10, s7
	s_mul_hi_u32 s4, s10, s4
	s_mul_hi_u32 s13, s10, s7
	s_add_u32 s4, s4, s49
	s_addc_u32 s10, 0, s13
	s_add_u32 s4, s4, s12
	s_mul_hi_u32 s5, s6, s7
	s_addc_u32 s4, s10, s11
	s_addc_u32 s5, s5, 0
	s_mul_i32 s7, s6, s7
	s_add_u32 s4, s4, s7
	s_addc_u32 s5, 0, s5
	v_add_co_u32_e32 v4, vcc, s4, v4
	s_cmp_lg_u64 vcc, 0
	s_addc_u32 s4, s6, s5
	v_readlane_b32 s12, v48, 35
	v_readfirstlane_b32 s7, v4
	s_mul_i32 s6, s12, s4
	s_mul_hi_u32 s10, s12, s7
	s_mul_hi_u32 s5, s12, s4
	s_add_u32 s6, s10, s6
	s_addc_u32 s5, 0, s5
	s_mul_hi_u32 s11, s93, s7
	s_mul_i32 s7, s93, s7
	s_add_u32 s6, s6, s7
	s_mul_hi_u32 s10, s93, s4
	s_addc_u32 s5, s5, s11
	s_addc_u32 s6, s10, 0
	s_mul_i32 s4, s93, s4
	s_add_u32 s4, s5, s4
	s_addc_u32 s5, 0, s6
	s_mul_hi_u32 s6, s87, s4
	s_mul_i32 s4, s87, s4
	s_mul_i32 s5, s87, s5
	v_mov_b32_e32 v4, s4
	s_add_i32 s6, s6, s5
	v_sub_co_u32_e32 v4, vcc, s12, v4
	s_cmp_lg_u64 vcc, 0
	s_subb_u32 s4, s93, s6
	v_subrev_co_u32_e32 v5, vcc, s87, v4
	s_cmp_lg_u64 vcc, 0
	s_subb_u32 s5, s4, 0
	v_subrev_co_u32_e32 v6, vcc, s87, v5
	s_cmp_lg_u64 vcc, 0
	s_subb_u32 s6, s5, 0
	v_cmp_le_u32_e32 vcc, s87, v5
	s_cmp_eq_u32 s5, 0
	v_cndmask_b32_e64 v7, 0, -1, vcc
	s_cselect_b64 vcc, -1, 0
	v_cndmask_b32_e32 v7, -1, v7, vcc
	v_mov_b32_e32 v8, s5
	v_mov_b32_e32 v9, s6
	v_cmp_ne_u32_e32 vcc, 0, v7
	v_cndmask_b32_e32 v7, v8, v9, vcc
	v_cndmask_b32_e32 v6, v5, v6, vcc
	v_cmp_le_u32_e32 vcc, s87, v4
	s_cmp_eq_u32 s4, 0
	v_cndmask_b32_e64 v5, 0, -1, vcc
	s_cselect_b64 vcc, -1, 0
	v_cndmask_b32_e32 v5, -1, v5, vcc
	v_mov_b32_e32 v8, s4
	v_cmp_ne_u32_e32 vcc, 0, v5
	v_cndmask_b32_e32 v5, v8, v7, vcc
	v_cndmask_b32_e32 v4, v4, v6, vcc
	s_mov_b64 s[4:5], 0
	s_branch .LBB207_444
.LBB207_443:                            ;   in Loop: Header=BB207_12 Depth=1
	s_mov_b64 s[4:5], -1
                                        ; implicit-def: $vgpr4_vgpr5
.LBB207_444:                            ;   in Loop: Header=BB207_12 Depth=1
	s_andn2_b64 vcc, exec, s[4:5]
	s_cbranch_vccnz .LBB207_446
; %bb.445:                              ;   in Loop: Header=BB207_12 Depth=1
	v_cvt_f32_u32_e32 v4, s87
	s_sub_i32 s4, 0, s87
	v_rcp_iflag_f32_e32 v4, v4
	v_mul_f32_e32 v4, 0x4f7ffffe, v4
	v_cvt_u32_f32_e32 v4, v4
	v_mul_lo_u32 v5, s4, v4
	v_mul_hi_u32 v5, v4, v5
	v_add_u32_e32 v4, v4, v5
	v_readlane_b32 s4, v48, 35
	v_mul_hi_u32 v4, s4, v4
	v_mul_lo_u32 v4, v4, s87
	v_sub_u32_e32 v4, s4, v4
	v_subrev_u32_e32 v5, s87, v4
	v_cmp_le_u32_e32 vcc, s87, v4
	v_cndmask_b32_e32 v4, v4, v5, vcc
	v_subrev_u32_e32 v5, s87, v4
	v_cmp_le_u32_e32 vcc, s87, v4
	v_cndmask_b32_e32 v14, v4, v5, vcc
	v_pk_mov_b32 v[4:5], v[14:15], v[14:15] op_sel:[0,1]
.LBB207_446:                            ;   in Loop: Header=BB207_12 Depth=1
	v_readlane_b32 s4, v48, 35
	v_mov_b32_e32 v6, s93
	v_sub_co_u32_e32 v4, vcc, s4, v4
	v_subb_co_u32_e32 v5, vcc, v6, v5, vcc
	v_cmp_gt_u64_e32 vcc, v[4:5], v[0:1]
	s_mov_b64 s[12:13], 0
                                        ; implicit-def: $vgpr39
	s_and_saveexec_b64 s[4:5], vcc
	s_cbranch_execz .LBB207_455
; %bb.447:                              ;   in Loop: Header=BB207_12 Depth=1
	s_mov_b64 s[10:11], 0
	v_pk_mov_b32 v[6:7], v[0:1], v[0:1] op_sel:[0,1]
                                        ; implicit-def: $sgpr12_sgpr13
	s_branch .LBB207_449
.LBB207_448:                            ;   in Loop: Header=BB207_449 Depth=2
	s_or_b64 exec, exec, s[6:7]
	s_waitcnt lgkmcnt(0)
	s_barrier
	s_waitcnt vmcnt(0)
	ds_read_b32 v8, v15 offset:3072
	v_mov_b32_e32 v9, s88
	v_add_co_u32_e64 v6, s[6:7], s87, v6
	v_addc_co_u32_e64 v7, s[6:7], v7, v9, s[6:7]
	s_waitcnt lgkmcnt(0)
	v_cmp_neq_f16_e32 vcc, 0, v8
	v_cmp_ge_u64_e64 s[6:7], v[6:7], v[4:5]
	s_or_b64 s[6:7], s[6:7], vcc
	s_and_b64 s[6:7], exec, s[6:7]
	s_or_b64 s[10:11], s[6:7], s[10:11]
	s_andn2_b64 s[6:7], s[12:13], exec
	s_and_b64 s[12:13], vcc, exec
	s_or_b64 s[12:13], s[6:7], s[12:13]
	s_barrier
	s_andn2_b64 exec, exec, s[10:11]
	s_cbranch_execz .LBB207_454
.LBB207_449:                            ;   Parent Loop BB207_12 Depth=1
                                        ; =>  This Inner Loop Header: Depth=2
	v_cmp_gt_u64_e32 vcc, s[60:61], v[6:7]
	v_mov_b32_e32 v8, 0
	s_and_saveexec_b64 s[54:55], vcc
	s_cbranch_execz .LBB207_451
; %bb.450:                              ;   in Loop: Header=BB207_449 Depth=2
	v_mul_lo_u32 v14, v7, s58
	v_mul_lo_u32 v18, v6, s59
	v_mad_u64_u32 v[8:9], s[6:7], v6, s58, 0
	v_add3_u32 v9, v9, v18, v14
	v_lshlrev_b64 v[8:9], 1, v[8:9]
	v_mov_b32_e32 v14, s86
	v_add_co_u32_e64 v8, s[6:7], s33, v8
	v_addc_co_u32_e64 v9, s[6:7], v14, v9, s[6:7]
	global_load_ushort v8, v[8:9], off
.LBB207_451:                            ;   in Loop: Header=BB207_449 Depth=2
	s_or_b64 exec, exec, s[54:55]
	s_and_saveexec_b64 s[6:7], vcc
	s_cbranch_execz .LBB207_448
; %bb.452:                              ;   in Loop: Header=BB207_449 Depth=2
	s_waitcnt vmcnt(0)
	v_cmp_lt_i16_e32 vcc, -1, v8
	v_cndmask_b32_e32 v9, v32, v33, vcc
	v_xor_b32_sdwa v9, v9, v8 dst_sel:DWORD dst_unused:UNUSED_PAD src0_sel:DWORD src1_sel:WORD_0
	v_cmp_o_f16_e32 vcc, v8, v8
	v_cndmask_b32_e32 v9, v32, v9, vcc
	v_and_b32_e32 v9, v9, v37
	v_cmp_eq_u32_e32 vcc, v9, v38
	s_and_b64 exec, exec, vcc
	s_cbranch_execz .LBB207_448
; %bb.453:                              ;   in Loop: Header=BB207_449 Depth=2
	s_movk_i32 s49, 0x3c00
	v_perm_b32 v8, v8, s49, v36
	ds_write_b32 v15, v8 offset:3072
	s_branch .LBB207_448
.LBB207_454:                            ;   in Loop: Header=BB207_12 Depth=1
	s_or_b64 exec, exec, s[10:11]
	v_lshrrev_b32_e32 v39, 16, v8
	s_and_b64 s[12:13], s[12:13], exec
.LBB207_455:                            ;   in Loop: Header=BB207_12 Depth=1
	s_or_b64 exec, exec, s[4:5]
	s_mov_b64 s[6:7], 0
	s_mov_b64 s[4:5], -1
	s_mov_b64 s[10:11], 0
.LBB207_456:                            ;   in Loop: Header=BB207_12 Depth=1
	s_orn2_b64 s[54:55], s[12:13], exec
.LBB207_457:                            ;   in Loop: Header=BB207_12 Depth=1
	s_or_b64 exec, exec, s[52:53]
	s_mov_b64 s[52:53], 0
                                        ; implicit-def: $vgpr7
                                        ; implicit-def: $vgpr4_vgpr5
	s_and_saveexec_b64 s[12:13], s[54:55]
	s_cbranch_execz .LBB207_469
; %bb.458:                              ;   in Loop: Header=BB207_12 Depth=1
	v_mov_b32_e32 v4, 1
	s_xor_b64 s[52:53], s[8:9], -1
	v_mov_b32_e32 v7, 1
	v_mov_b32_e32 v5, 0
	s_and_saveexec_b64 s[8:9], s[52:53]
	s_cbranch_execz .LBB207_468
; %bb.459:                              ;   in Loop: Header=BB207_12 Depth=1
	v_cmp_ge_u64_e32 vcc, s[16:17], v[2:3]
                                        ; implicit-def: $sgpr49
	s_and_saveexec_b64 s[52:53], vcc
	s_xor_b64 s[52:53], exec, s[52:53]
	s_cbranch_execz .LBB207_465
; %bb.460:                              ;   in Loop: Header=BB207_12 Depth=1
	ds_read_b64 v[4:5], v15 offset:5120
	s_waitcnt lgkmcnt(0)
	v_cmp_ne_u64_e32 vcc, 0, v[4:5]
	s_cbranch_vccnz .LBB207_464
; %bb.461:                              ;   in Loop: Header=BB207_12 Depth=1
	s_mov_b64 s[54:55], exec
	v_readlane_b32 s90, v48, 12
	v_readlane_b32 s91, v48, 13
	s_and_b64 s[90:91], s[54:55], s[90:91]
	s_mov_b64 exec, s[90:91]
	s_cbranch_execz .LBB207_463
; %bb.462:                              ;   in Loop: Header=BB207_12 Depth=1
	v_pk_mov_b32 v[4:5], s[16:17], s[16:17] op_sel:[0,1]
	ds_write_b64 v15, v[4:5] offset:5128
.LBB207_463:                            ;   in Loop: Header=BB207_12 Depth=1
	s_or_b64 exec, exec, s[54:55]
	s_waitcnt lgkmcnt(0)
	s_barrier
.LBB207_464:                            ;   in Loop: Header=BB207_12 Depth=1
	v_and_b32_e32 v38, s48, v38
	v_or_b32_e32 v37, s84, v37
	s_mov_b32 s49, 5
.LBB207_465:                            ;   in Loop: Header=BB207_12 Depth=1
	s_or_saveexec_b64 s[52:53], s[52:53]
	v_mov_b32_e32 v7, s49
	s_xor_b64 exec, exec, s[52:53]
; %bb.466:                              ;   in Loop: Header=BB207_12 Depth=1
	v_mov_b32_e32 v4, s17
	v_subrev_co_u32_e32 v2, vcc, s16, v2
	v_subb_co_u32_e32 v3, vcc, v3, v4, vcc
	v_mov_b32_e32 v7, 5
; %bb.467:                              ;   in Loop: Header=BB207_12 Depth=1
	s_or_b64 exec, exec, s[52:53]
	v_pk_mov_b32 v[4:5], v[2:3], v[2:3] op_sel:[0,1]
.LBB207_468:                            ;   in Loop: Header=BB207_12 Depth=1
	s_or_b64 exec, exec, s[8:9]
	s_mov_b64 s[52:53], exec
.LBB207_469:                            ;   in Loop: Header=BB207_12 Depth=1
	s_or_b64 exec, exec, s[12:13]
	s_orn2_b64 s[8:9], s[52:53], exec
	v_pk_mov_b32 v[2:3], v[4:5], v[4:5] op_sel:[0,1]
.LBB207_470:                            ;   in Loop: Header=BB207_12 Depth=1
	s_or_b64 exec, exec, s[18:19]
	s_andn2_b64 s[2:3], s[2:3], exec
	s_and_b64 s[4:5], s[4:5], exec
	s_or_b64 s[2:3], s[2:3], s[4:5]
	s_andn2_b64 s[4:5], s[46:47], exec
	s_and_b64 s[6:7], s[6:7], exec
	s_or_b64 s[46:47], s[4:5], s[6:7]
	s_andn2_b64 s[4:5], s[56:57], exec
	s_and_b64 s[6:7], s[10:11], exec
	s_or_b64 s[56:57], s[4:5], s[6:7]
	s_and_b64 s[6:7], s[8:9], exec
	v_pk_mov_b32 v[4:5], v[2:3], v[2:3] op_sel:[0,1]
.LBB207_471:                            ;   in Loop: Header=BB207_12 Depth=1
	s_or_b64 exec, exec, s[50:51]
	s_and_b64 s[10:11], s[2:3], exec
	s_and_b64 s[8:9], s[46:47], exec
	;; [unrolled: 1-line block ×3, first 2 shown]
	s_orn2_b64 s[2:3], s[6:7], exec
.LBB207_472:                            ;   in Loop: Header=BB207_12 Depth=1
	s_or_b64 exec, exec, s[22:23]
	s_andn2_b64 s[6:7], s[36:37], exec
	s_and_b64 s[10:11], s[10:11], exec
	s_or_b64 s[36:37], s[6:7], s[10:11]
	s_andn2_b64 s[6:7], s[40:41], exec
	s_and_b64 s[8:9], s[8:9], exec
	s_or_b64 s[40:41], s[6:7], s[8:9]
	;; [unrolled: 3-line block ×3, first 2 shown]
	s_and_b64 s[6:7], s[2:3], exec
	v_pk_mov_b32 v[2:3], v[4:5], v[4:5] op_sel:[0,1]
.LBB207_473:                            ;   in Loop: Header=BB207_12 Depth=1
	s_or_b64 exec, exec, s[44:45]
	s_and_b64 s[8:9], s[36:37], exec
	s_and_b64 s[4:5], s[40:41], exec
	;; [unrolled: 1-line block ×3, first 2 shown]
	s_orn2_b64 s[12:13], s[6:7], exec
.LBB207_474:                            ;   in Loop: Header=BB207_12 Depth=1
	s_or_b64 exec, exec, s[24:25]
	s_mov_b64 s[6:7], s[28:29]
	s_mov_b64 s[10:11], s[26:27]
	s_and_saveexec_b64 s[16:17], s[12:13]
; %bb.475:                              ;   in Loop: Header=BB207_12 Depth=1
	v_cmp_ne_u32_e64 s[6:7], 5, v7
	v_cmp_eq_u32_e32 vcc, 5, v7
	s_andn2_b64 s[10:11], s[26:27], exec
	s_and_b64 s[6:7], s[6:7], exec
	s_or_b64 s[10:11], s[10:11], s[6:7]
	s_andn2_b64 s[6:7], s[28:29], exec
	s_and_b64 s[12:13], vcc, exec
	s_andn2_b64 s[8:9], s[8:9], exec
	s_andn2_b64 s[4:5], s[4:5], exec
	;; [unrolled: 1-line block ×3, first 2 shown]
	s_or_b64 s[6:7], s[6:7], s[12:13]
; %bb.476:                              ;   in Loop: Header=BB207_12 Depth=1
	s_or_b64 exec, exec, s[16:17]
	s_andn2_b64 s[12:13], s[14:15], exec
	s_and_b64 s[8:9], s[8:9], exec
	s_or_b64 s[14:15], s[12:13], s[8:9]
	s_andn2_b64 s[8:9], s[38:39], exec
	s_and_b64 s[4:5], s[4:5], exec
	s_or_b64 s[38:39], s[8:9], s[4:5]
	;; [unrolled: 3-line block ×5, first 2 shown]
	v_mov_b32_e32 v8, v38
	v_mov_b32_e32 v9, v37
	v_mov_b32_e32 v6, v39
.LBB207_477:                            ;   in Loop: Header=BB207_12 Depth=1
	s_or_b64 exec, exec, s[34:35]
	s_mov_b64 s[36:37], s[20:21]
	s_mov_b64 s[34:35], s[20:21]
	s_and_saveexec_b64 s[2:3], s[28:29]
.LBB207_478:                            ;   in Loop: Header=BB207_12 Depth=1
	v_mov_b32_e32 v7, 0
	s_andn2_b64 s[20:21], s[20:21], exec
	s_andn2_b64 s[14:15], s[14:15], exec
	s_andn2_b64 s[38:39], s[38:39], exec
	s_andn2_b64 s[36:37], s[36:37], exec
	s_andn2_b64 s[34:35], s[34:35], exec
	s_or_b64 s[26:27], s[26:27], exec
.LBB207_479:                            ;   in Loop: Header=BB207_12 Depth=1
	s_or_b64 exec, exec, s[2:3]
	s_andn2_b64 s[2:3], s[82:83], exec
	s_and_b64 s[6:7], s[20:21], exec
	s_or_b64 s[82:83], s[2:3], s[6:7]
	s_andn2_b64 s[2:3], s[80:81], exec
	s_and_b64 s[6:7], s[14:15], exec
	s_or_b64 s[80:81], s[2:3], s[6:7]
	;; [unrolled: 3-line block ×4, first 2 shown]
	s_andn2_b64 s[2:3], s[72:73], exec
	s_and_b64 s[6:7], s[34:35], exec
	s_mov_b64 s[4:5], -1
	s_or_b64 s[72:73], s[2:3], s[6:7]
                                        ; implicit-def: $vgpr37
                                        ; implicit-def: $vgpr38
                                        ; implicit-def: $vgpr18_vgpr19
                                        ; implicit-def: $vgpr39
	s_and_saveexec_b64 s[2:3], s[26:27]
	s_xor_b64 s[2:3], exec, s[2:3]
	s_cbranch_execz .LBB207_11
; %bb.480:                              ;   in Loop: Header=BB207_12 Depth=1
	v_cmp_eq_u32_e32 vcc, 0, v7
	s_mov_b64 s[6:7], -1
	s_and_saveexec_b64 s[8:9], vcc
	s_cbranch_execz .LBB207_10
; %bb.481:                              ;   in Loop: Header=BB207_12 Depth=1
	v_readlane_b32 s4, v48, 50
	s_xor_b32 s4, s4, 1
	s_add_i32 s10, s89, -2
	s_cmp_eq_u32 s89, 0
	v_writelane_b32 v48, s4, 50
	s_cselect_b64 s[4:5], -1, 0
	s_xor_b64 s[6:7], exec, -1
	s_orn2_b64 s[4:5], s[4:5], exec
	s_mov_b32 s89, s10
	s_branch .LBB207_10
.LBB207_482:
	s_or_b64 exec, exec, s[64:65]
	s_xor_b64 s[4:5], s[30:31], -1
	s_xor_b64 s[12:13], s[78:79], -1
	;; [unrolled: 1-line block ×5, first 2 shown]
	s_mov_b64 s[6:7], 0
	s_and_saveexec_b64 s[14:15], s[8:9]
	s_xor_b64 s[8:9], exec, s[14:15]
	s_cbranch_execnz .LBB207_487
; %bb.483:
	s_andn2_saveexec_b64 s[0:1], s[8:9]
	s_cbranch_execnz .LBB207_506
.LBB207_484:
	s_or_b64 exec, exec, s[0:1]
	s_and_saveexec_b64 s[0:1], s[6:7]
.LBB207_485:
	; divergent unreachable
.LBB207_486:
	s_endpgm
.LBB207_487:
	s_and_saveexec_b64 s[14:15], s[10:11]
	s_xor_b64 s[10:11], exec, s[14:15]
	s_cbranch_execz .LBB207_504
; %bb.488:
	s_and_saveexec_b64 s[14:15], s[12:13]
	s_xor_b64 s[12:13], exec, s[14:15]
	s_cbranch_execz .LBB207_502
; %bb.489:
	;; [unrolled: 4-line block ×3, first 2 shown]
	s_and_saveexec_b64 s[4:5], s[2:3]
	s_xor_b64 s[2:3], exec, s[4:5]
; %bb.491:
	v_and_b32_e32 v2, 0x8000, v8
	v_mov_b32_e32 v3, 0x8000
	v_mov_b32_e32 v4, 0xffff
	v_cmp_eq_u32_e32 vcc, 0, v2
	v_cndmask_b32_e32 v2, v3, v4, vcc
	v_xor_b32_e32 v6, v2, v8
; %bb.492:
	s_or_b64 exec, exec, s[2:3]
	s_mov_b64 s[2:3], exec
	v_readlane_b32 s4, v48, 12
	v_readlane_b32 s5, v48, 13
	;; [unrolled: 1-line block ×4, first 2 shown]
	s_and_b64 s[4:5], s[2:3], s[4:5]
	v_readlane_b32 s23, v48, 45
	v_readlane_b32 s18, v48, 14
	;; [unrolled: 1-line block ×4, first 2 shown]
	s_mov_b64 exec, s[4:5]
	s_cbranch_execz .LBB207_494
; %bb.493:
	v_mov_b32_e32 v2, 0
	v_mov_b32_e32 v3, v2
	ds_write_b64 v2, v[2:3] offset:5136
.LBB207_494:
	s_or_b64 exec, exec, s[2:3]
	v_mov_b32_e32 v19, 0
	s_waitcnt lgkmcnt(0)
	s_barrier
	s_mov_b64 s[2:3], exec
	v_readlane_b32 s4, v48, 28
	v_readlane_b32 s5, v48, 29
	s_and_b64 s[4:5], s[2:3], s[4:5]
	s_mov_b64 exec, s[4:5]
	s_cbranch_execz .LBB207_496
; %bb.495:
	global_load_ushort v19, v[12:13], off
.LBB207_496:
	s_or_b64 exec, exec, s[2:3]
	s_add_u32 s2, s60, 63
	s_addc_u32 s17, s61, 0
	s_and_b32 s16, s2, 0xffffffc0
	v_readlane_b32 s4, v48, 2
	v_readlane_b32 s2, v48, 0
	;; [unrolled: 1-line block ×4, first 2 shown]
	s_mov_b32 s6, s2
	s_mul_i32 s2, s2, s5
	s_mul_hi_u32 s3, s6, s4
	s_add_i32 s3, s3, s2
	s_mul_i32 s2, s6, s4
	v_readlane_b32 s24, v48, 16
	s_sub_u32 s2, s18, s2
	v_readlane_b32 s26, v48, 18
	v_readlane_b32 s27, v48, 19
	s_subb_u32 s3, 0, s3
	s_mul_i32 s4, s2, s27
	s_mul_hi_u32 s5, s2, s26
	v_readlane_b32 s25, v48, 17
	s_add_i32 s4, s5, s4
	s_mul_i32 s3, s3, s26
	s_add_i32 s3, s4, s3
	s_mul_i32 s4, s6, s25
	s_mul_hi_u32 s5, s6, s24
	s_add_i32 s5, s5, s4
	s_mul_i32 s4, s6, s24
	v_readlane_b32 s20, v48, 6
	v_readlane_b32 s6, v48, 4
	;; [unrolled: 1-line block ×4, first 2 shown]
	s_mov_b32 s24, s6
	s_mul_i32 s6, s6, s21
	s_mul_hi_u32 s7, s24, s20
	s_add_i32 s7, s7, s6
	s_mul_i32 s6, s24, s20
	v_readlane_b32 s28, v48, 46
	s_sub_u32 s6, s18, s6
	v_readlane_b32 s30, v48, 48
	v_readlane_b32 s31, v48, 49
	s_subb_u32 s7, 0, s7
	s_mul_i32 s18, s6, s31
	s_mul_hi_u32 s19, s6, s30
	v_readlane_b32 s29, v48, 47
	s_add_i32 s18, s19, s18
	s_mul_i32 s7, s7, s30
	s_add_i32 s7, s18, s7
	s_mul_i32 s18, s24, s29
	s_mul_hi_u32 s19, s24, s28
	s_add_i32 s19, s19, s18
	s_lshl_b64 s[4:5], s[4:5], 1
	v_readlane_b32 s20, v48, 10
	s_mul_i32 s2, s2, s26
	v_readlane_b32 s21, v48, 11
	s_add_u32 s4, s20, s4
	s_addc_u32 s5, s21, s5
	s_lshl_b64 s[2:3], s[2:3], 1
	s_mul_i32 s18, s24, s28
	s_add_u32 s38, s4, s2
	s_addc_u32 s39, s5, s3
	s_lshl_b64 s[2:3], s[18:19], 3
	v_readlane_b32 s4, v48, 8
	s_load_dwordx2 s[18:19], s[22:23], 0x368
	s_load_dwordx2 s[20:21], s[22:23], 0x510
	v_mov_b32_e32 v17, 0xffff
	v_mov_b32_e32 v18, 0x8000
	v_cmp_lt_i16_e32 vcc, -1, v6
	s_mul_i32 s6, s6, s30
	v_readlane_b32 s5, v48, 9
	s_add_u32 s4, s4, s2
	v_cndmask_b32_e32 v2, v17, v18, vcc
	s_addc_u32 s5, s5, s3
	s_lshl_b64 s[2:3], s[6:7], 3
	v_xor_b32_sdwa v2, v2, v6 dst_sel:DWORD dst_unused:UNUSED_PAD src0_sel:DWORD src1_sel:WORD_0
	v_cmp_o_f16_e32 vcc, v6, v6
	s_add_u32 s40, s4, s2
	v_cndmask_b32_e32 v16, v17, v2, vcc
	s_addc_u32 s41, s5, s3
	v_cmp_gt_u64_e32 vcc, s[16:17], v[0:1]
	s_mov_b64 s[24:25], -1
	s_mov_b64 s[2:3], 0
	s_mov_b64 s[4:5], 0
	s_and_saveexec_b64 s[22:23], vcc
	s_cbranch_execnz .LBB207_507
; %bb.497:
	s_or_b64 exec, exec, s[22:23]
	s_and_saveexec_b64 s[6:7], s[24:25]
	s_cbranch_execnz .LBB207_524
.LBB207_498:
	s_or_b64 exec, exec, s[6:7]
	s_and_saveexec_b64 s[0:1], s[4:5]
	s_xor_b64 s[0:1], exec, s[0:1]
	s_cbranch_execnz .LBB207_547
.LBB207_499:
	s_or_b64 exec, exec, s[0:1]
	s_and_b64 s[6:7], s[2:3], exec
.LBB207_500:
	s_andn2_saveexec_b64 s[0:1], s[14:15]
	s_cbranch_execnz .LBB207_549
.LBB207_501:
	s_or_b64 exec, exec, s[0:1]
	s_and_b64 s[6:7], s[6:7], exec
.LBB207_502:
	s_andn2_saveexec_b64 s[0:1], s[12:13]
	s_cbranch_execnz .LBB207_548
.LBB207_503:
	s_or_b64 exec, exec, s[0:1]
	s_and_b64 s[6:7], s[6:7], exec
.LBB207_504:
	s_andn2_saveexec_b64 s[0:1], s[10:11]
	s_cbranch_execnz .LBB207_543
.LBB207_505:
	s_or_b64 exec, exec, s[0:1]
	s_and_b64 s[6:7], s[6:7], exec
	s_andn2_saveexec_b64 s[0:1], s[8:9]
	s_cbranch_execz .LBB207_484
.LBB207_506:
	s_or_b64 s[6:7], s[6:7], exec
	s_trap 2
	s_or_b64 exec, exec, s[0:1]
	s_and_saveexec_b64 s[0:1], s[6:7]
	s_cbranch_execnz .LBB207_485
	s_branch .LBB207_486
.LBB207_507:
	s_mov_b64 s[24:25], 0
	v_mov_b32_e32 v20, s88
	v_mov_b32_e32 v3, 0
	v_pk_mov_b32 v[8:9], v[0:1], v[0:1] op_sel:[0,1]
                                        ; implicit-def: $sgpr26_sgpr27
                                        ; implicit-def: $vgpr6_vgpr7
	s_branch .LBB207_509
.LBB207_508:                            ;   in Loop: Header=BB207_509 Depth=1
	s_or_b64 exec, exec, s[28:29]
	s_xor_b64 s[4:5], s[34:35], -1
	s_and_b64 s[6:7], exec, s[6:7]
	s_or_b64 s[24:25], s[6:7], s[24:25]
	s_andn2_b64 s[6:7], s[26:27], exec
	s_and_b64 s[4:5], s[4:5], exec
	s_or_b64 s[26:27], s[6:7], s[4:5]
	v_pk_mov_b32 v[8:9], v[4:5], v[4:5] op_sel:[0,1]
	s_waitcnt vmcnt(0)
	v_mov_b32_e32 v19, v21
	s_andn2_b64 exec, exec, s[24:25]
	s_cbranch_execz .LBB207_523
.LBB207_509:                            ; =>This Inner Loop Header: Depth=1
	v_add_co_u32_e64 v4, s[4:5], s87, v8
	v_addc_co_u32_e64 v5, s[4:5], v9, v20, s[4:5]
	v_cmp_gt_u64_e64 s[4:5], s[60:61], v[4:5]
	v_mov_b32_e32 v21, 0
	s_and_saveexec_b64 s[6:7], s[4:5]
	s_cbranch_execz .LBB207_511
; %bb.510:                              ;   in Loop: Header=BB207_509 Depth=1
	v_mul_lo_u32 v2, v5, s58
	v_mul_lo_u32 v21, v4, s59
	v_mad_u64_u32 v[14:15], s[4:5], v4, s58, 0
	v_add3_u32 v15, v15, v21, v2
	v_lshlrev_b64 v[14:15], 1, v[14:15]
	v_mov_b32_e32 v2, s86
	v_add_co_u32_e64 v14, s[4:5], s33, v14
	v_addc_co_u32_e64 v15, s[4:5], v2, v15, s[4:5]
	global_load_ushort v21, v[14:15], off
.LBB207_511:                            ;   in Loop: Header=BB207_509 Depth=1
	s_or_b64 exec, exec, s[6:7]
	v_cmp_gt_u64_e64 s[4:5], s[60:61], v[8:9]
	s_mov_b64 s[28:29], 0
	s_and_saveexec_b64 s[6:7], s[4:5]
	s_cbranch_execz .LBB207_513
; %bb.512:                              ;   in Loop: Header=BB207_509 Depth=1
	s_waitcnt vmcnt(0)
	v_cmp_lt_i16_e64 s[4:5], -1, v19
	v_cndmask_b32_e64 v2, v17, v18, s[4:5]
	v_xor_b32_sdwa v2, v2, v19 dst_sel:DWORD dst_unused:UNUSED_PAD src0_sel:DWORD src1_sel:WORD_0
	v_cmp_o_f16_e64 s[4:5], v19, v19
	v_cndmask_b32_e64 v2, v17, v2, s[4:5]
	v_cmp_gt_u32_e64 s[4:5], v2, v16
	v_cndmask_b32_e64 v14, 0, 1, s[4:5]
	v_cmp_lt_u32_e64 s[4:5], v2, v16
	v_cndmask_b32_e64 v2, 0, 1, s[4:5]
	v_cndmask_b32_e64 v2, v2, v14, s[44:45]
	v_and_b32_e32 v2, 1, v2
	v_cmp_eq_u32_e64 s[4:5], 1, v2
	s_and_b64 s[28:29], s[4:5], exec
.LBB207_513:                            ;   in Loop: Header=BB207_509 Depth=1
	s_or_b64 exec, exec, s[6:7]
	v_cndmask_b32_e64 v2, 0, 1, s[28:29]
	v_cmp_ne_u32_e64 s[4:5], 0, v2
	s_cmp_lg_u64 s[4:5], 0
	s_cselect_b64 s[6:7], -1, 0
	s_and_b64 s[6:7], s[0:1], s[6:7]
	s_and_saveexec_b64 s[30:31], s[6:7]
	s_cbranch_execz .LBB207_517
; %bb.514:                              ;   in Loop: Header=BB207_509 Depth=1
	s_mov_b64 s[36:37], exec
	v_mbcnt_lo_u32_b32 v2, s36, 0
	v_mbcnt_hi_u32_b32 v14, s37, v2
	s_bcnt1_i32_b64 s42, s[4:5]
	v_cmp_eq_u32_e64 s[6:7], 0, v14
                                        ; implicit-def: $vgpr6_vgpr7
	s_and_saveexec_b64 s[34:35], s[6:7]
	s_cbranch_execz .LBB207_516
; %bb.515:                              ;   in Loop: Header=BB207_509 Depth=1
	s_bcnt1_i32_b64 s6, s[36:37]
	s_mul_i32 s6, s42, s6
	v_mov_b32_e32 v2, s6
	s_waitcnt lgkmcnt(0)
	ds_add_rtn_u64 v[6:7], v3, v[2:3] offset:5136
.LBB207_516:                            ;   in Loop: Header=BB207_509 Depth=1
	s_or_b64 exec, exec, s[34:35]
	s_waitcnt lgkmcnt(0)
	v_readfirstlane_b32 s6, v7
	v_readfirstlane_b32 s7, v6
	v_mov_b32_e32 v6, s7
	v_mov_b32_e32 v7, s6
	v_mad_u64_u32 v[6:7], s[6:7], s42, v14, v[6:7]
.LBB207_517:                            ;   in Loop: Header=BB207_509 Depth=1
	s_or_b64 exec, exec, s[30:31]
	s_waitcnt lgkmcnt(0)
	ds_bpermute_b32 v6, v24, v6
	ds_bpermute_b32 v7, v24, v7
	s_mov_b64 s[6:7], -1
	s_mov_b64 s[36:37], -1
                                        ; implicit-def: $sgpr34_sgpr35
	s_and_saveexec_b64 s[30:31], s[28:29]
	s_cbranch_execz .LBB207_521
; %bb.518:                              ;   in Loop: Header=BB207_509 Depth=1
	v_and_b32_e32 v14, s4, v10
	v_and_b32_e32 v2, s5, v11
	v_bcnt_u32_b32 v14, v14, 0
	v_bcnt_u32_b32 v2, v2, v14
	s_waitcnt lgkmcnt(0)
	v_add_co_u32_e64 v14, s[4:5], v6, v2
	v_addc_co_u32_e64 v15, s[4:5], 0, v7, s[4:5]
	v_cmp_gt_u64_e64 s[4:5], s[62:63], v[14:15]
	s_mov_b64 s[28:29], 0
	s_and_saveexec_b64 s[34:35], s[4:5]
	s_cbranch_execz .LBB207_520
; %bb.519:                              ;   in Loop: Header=BB207_509 Depth=1
	v_mul_lo_u32 v2, v15, s18
	v_mul_lo_u32 v25, v14, s19
	v_mad_u64_u32 v[22:23], s[4:5], v14, s18, 0
	v_add3_u32 v23, v23, v25, v2
	v_mul_lo_u32 v2, v15, s20
	v_mul_lo_u32 v25, v14, s21
	v_mad_u64_u32 v[14:15], s[4:5], v14, s20, 0
	v_lshlrev_b64 v[22:23], 1, v[22:23]
	v_add3_u32 v15, v15, v25, v2
	v_mov_b32_e32 v2, s39
	v_add_co_u32_e64 v22, s[4:5], s38, v22
	v_addc_co_u32_e64 v23, s[4:5], v2, v23, s[4:5]
	v_lshlrev_b64 v[14:15], 3, v[14:15]
	v_mov_b32_e32 v2, s41
	v_add_co_u32_e64 v14, s[4:5], s40, v14
	s_mov_b64 s[28:29], exec
	v_addc_co_u32_e64 v15, s[4:5], v2, v15, s[4:5]
	s_waitcnt vmcnt(0)
	global_store_short v[22:23], v19, off
	global_store_dwordx2 v[14:15], v[8:9], off
.LBB207_520:                            ;   in Loop: Header=BB207_509 Depth=1
	s_or_b64 exec, exec, s[34:35]
	s_mov_b64 s[34:35], -1
	s_orn2_b64 s[36:37], s[28:29], exec
.LBB207_521:                            ;   in Loop: Header=BB207_509 Depth=1
	s_or_b64 exec, exec, s[30:31]
	s_and_saveexec_b64 s[28:29], s[36:37]
	s_cbranch_execz .LBB207_508
; %bb.522:                              ;   in Loop: Header=BB207_509 Depth=1
	v_cmp_le_u64_e64 s[4:5], s[16:17], v[4:5]
	s_andn2_b64 s[34:35], s[34:35], exec
	s_orn2_b64 s[6:7], s[4:5], exec
	s_branch .LBB207_508
.LBB207_523:
	s_or_b64 exec, exec, s[24:25]
	s_mov_b64 s[4:5], exec
	s_orn2_b64 s[24:25], s[26:27], exec
	s_or_b64 exec, exec, s[22:23]
	s_and_saveexec_b64 s[6:7], s[24:25]
	s_cbranch_execz .LBB207_498
.LBB207_524:
	v_mov_b32_e32 v15, 0
	s_waitcnt lgkmcnt(0)
	s_barrier
	s_mov_b64 s[2:3], exec
	v_readlane_b32 s22, v48, 28
	v_readlane_b32 s23, v48, 29
	s_and_b64 s[22:23], s[2:3], s[22:23]
	s_mov_b64 exec, s[22:23]
	s_cbranch_execz .LBB207_526
; %bb.525:
	global_load_ushort v15, v[12:13], off
.LBB207_526:
	s_or_b64 exec, exec, s[2:3]
	s_mov_b64 s[2:3], 0
	s_and_saveexec_b64 s[22:23], vcc
	s_cbranch_execz .LBB207_546
; %bb.527:
	s_mov_b64 s[24:25], 0
	v_mov_b32_e32 v12, s88
	v_mov_b32_e32 v13, 0xffff
	;; [unrolled: 1-line block ×4, first 2 shown]
                                        ; implicit-def: $sgpr26_sgpr27
                                        ; implicit-def: $vgpr4_vgpr5
	s_branch .LBB207_530
.LBB207_528:                            ;   in Loop: Header=BB207_530 Depth=1
	s_or_b64 exec, exec, s[30:31]
	s_orn2_b64 s[34:35], s[34:35], exec
	s_orn2_b64 s[30:31], s[28:29], exec
	v_mov_b32_e32 v15, v17
	v_pk_mov_b32 v[0:1], v[6:7], v[6:7] op_sel:[0,1]
.LBB207_529:                            ;   in Loop: Header=BB207_530 Depth=1
	s_or_b64 exec, exec, s[2:3]
	s_xor_b64 s[2:3], s[34:35], -1
	s_and_b64 s[28:29], exec, s[30:31]
	s_or_b64 s[24:25], s[28:29], s[24:25]
	s_andn2_b64 s[26:27], s[26:27], exec
	s_and_b64 s[2:3], s[2:3], exec
	s_or_b64 s[26:27], s[26:27], s[2:3]
	s_andn2_b64 exec, exec, s[24:25]
	s_cbranch_execz .LBB207_544
.LBB207_530:                            ; =>This Inner Loop Header: Depth=1
	v_add_co_u32_e32 v6, vcc, s87, v0
	v_addc_co_u32_e32 v7, vcc, v1, v12, vcc
	v_cmp_gt_u64_e32 vcc, s[60:61], v[6:7]
	v_mov_b32_e32 v17, 0
	s_and_saveexec_b64 s[2:3], vcc
	s_cbranch_execz .LBB207_532
; %bb.531:                              ;   in Loop: Header=BB207_530 Depth=1
	v_mul_lo_u32 v2, v7, s58
	v_mul_lo_u32 v17, v6, s59
	v_mad_u64_u32 v[8:9], s[28:29], v6, s58, 0
	v_add3_u32 v9, v9, v17, v2
	v_lshlrev_b64 v[8:9], 1, v[8:9]
	v_mov_b32_e32 v2, s86
	v_add_co_u32_e32 v8, vcc, s33, v8
	v_addc_co_u32_e32 v9, vcc, v2, v9, vcc
	global_load_ushort v17, v[8:9], off
.LBB207_532:                            ;   in Loop: Header=BB207_530 Depth=1
	s_or_b64 exec, exec, s[2:3]
	s_waitcnt vmcnt(0)
	v_cmp_lt_i16_e64 s[2:3], -1, v15
	v_cndmask_b32_e64 v2, v13, v14, s[2:3]
	v_xor_b32_sdwa v2, v2, v15 dst_sel:DWORD dst_unused:UNUSED_PAD src0_sel:DWORD src1_sel:WORD_0
	v_cmp_o_f16_e64 s[2:3], v15, v15
	v_cndmask_b32_e64 v2, v13, v2, s[2:3]
	v_cmp_gt_u64_e32 vcc, s[60:61], v[0:1]
	v_cmp_eq_u32_e64 s[2:3], v2, v16
	s_and_b64 s[28:29], vcc, s[2:3]
	v_cndmask_b32_e64 v2, 0, 1, s[28:29]
	v_cmp_ne_u32_e32 vcc, 0, v2
	s_cmp_lg_u64 vcc, 0
	s_cselect_b64 s[2:3], -1, 0
	s_and_b64 s[2:3], s[0:1], s[2:3]
	s_and_saveexec_b64 s[30:31], s[2:3]
	s_cbranch_execz .LBB207_536
; %bb.533:                              ;   in Loop: Header=BB207_530 Depth=1
	s_mov_b64 s[36:37], exec
	v_mbcnt_lo_u32_b32 v2, s36, 0
	v_mbcnt_hi_u32_b32 v8, s37, v2
	s_bcnt1_i32_b64 s42, vcc
	v_cmp_eq_u32_e64 s[2:3], 0, v8
                                        ; implicit-def: $vgpr4_vgpr5
	s_and_saveexec_b64 s[34:35], s[2:3]
	s_cbranch_execz .LBB207_535
; %bb.534:                              ;   in Loop: Header=BB207_530 Depth=1
	s_bcnt1_i32_b64 s2, s[36:37]
	s_mul_i32 s2, s42, s2
	v_mov_b32_e32 v2, s2
	ds_add_rtn_u64 v[4:5], v3, v[2:3] offset:5136
.LBB207_535:                            ;   in Loop: Header=BB207_530 Depth=1
	s_or_b64 exec, exec, s[34:35]
	s_waitcnt lgkmcnt(0)
	v_readfirstlane_b32 s2, v5
	v_readfirstlane_b32 s3, v4
	v_mov_b32_e32 v4, s3
	v_mov_b32_e32 v5, s2
	v_mad_u64_u32 v[4:5], s[2:3], s42, v8, v[4:5]
.LBB207_536:                            ;   in Loop: Header=BB207_530 Depth=1
	s_or_b64 exec, exec, s[30:31]
	ds_bpermute_b32 v4, v24, v4
	ds_bpermute_b32 v5, v24, v5
	s_cmp_eq_u64 vcc, 0
	s_cselect_b64 s[34:35], -1, 0
	s_mov_b64 s[30:31], -1
	s_waitcnt lgkmcnt(0)
	v_cmp_gt_u64_e64 s[2:3], s[62:63], v[4:5]
	s_or_b64 s[36:37], s[34:35], s[2:3]
	s_mov_b64 s[34:35], -1
	s_and_saveexec_b64 s[2:3], s[36:37]
	s_cbranch_execz .LBB207_529
; %bb.537:                              ;   in Loop: Header=BB207_530 Depth=1
	v_and_b32_e32 v8, vcc_lo, v10
	v_and_b32_e32 v2, vcc_hi, v11
	v_bcnt_u32_b32 v8, v8, 0
	v_bcnt_u32_b32 v2, v2, v8
	v_mov_b32_e32 v9, s63
	v_sub_co_u32_e32 v8, vcc, s62, v4
	v_subb_co_u32_e32 v9, vcc, v9, v5, vcc
	v_cmp_gt_u64_e32 vcc, v[8:9], v[2:3]
	s_and_b64 s[42:43], s[28:29], vcc
	s_mov_b64 s[28:29], -1
	s_mov_b64 s[36:37], -1
	s_and_saveexec_b64 s[30:31], s[42:43]
	s_cbranch_execz .LBB207_541
; %bb.538:                              ;   in Loop: Header=BB207_530 Depth=1
	v_add_co_u32_e32 v8, vcc, v4, v2
	v_addc_co_u32_e32 v9, vcc, 0, v5, vcc
	v_cmp_gt_u64_e32 vcc, s[62:63], v[8:9]
	s_mov_b64 s[36:37], 0
	s_and_saveexec_b64 s[34:35], vcc
	s_cbranch_execz .LBB207_540
; %bb.539:                              ;   in Loop: Header=BB207_530 Depth=1
	v_mul_lo_u32 v2, v9, s18
	v_mul_lo_u32 v20, v8, s19
	v_mad_u64_u32 v[18:19], s[42:43], v8, s18, 0
	v_add3_u32 v19, v19, v20, v2
	v_mul_lo_u32 v2, v9, s20
	v_mul_lo_u32 v20, v8, s21
	v_mad_u64_u32 v[8:9], s[42:43], v8, s20, 0
	v_lshlrev_b64 v[18:19], 1, v[18:19]
	v_add3_u32 v9, v9, v20, v2
	v_mov_b32_e32 v2, s39
	v_add_co_u32_e32 v18, vcc, s38, v18
	v_addc_co_u32_e32 v19, vcc, v2, v19, vcc
	v_lshlrev_b64 v[8:9], 3, v[8:9]
	v_mov_b32_e32 v2, s41
	v_add_co_u32_e32 v8, vcc, s40, v8
	s_mov_b64 s[36:37], exec
	v_addc_co_u32_e32 v9, vcc, v2, v9, vcc
	global_store_short v[18:19], v15, off
	global_store_dwordx2 v[8:9], v[0:1], off
.LBB207_540:                            ;   in Loop: Header=BB207_530 Depth=1
	s_or_b64 exec, exec, s[34:35]
	s_xor_b64 s[34:35], exec, -1
	s_orn2_b64 s[36:37], s[36:37], exec
.LBB207_541:                            ;   in Loop: Header=BB207_530 Depth=1
	s_or_b64 exec, exec, s[30:31]
	s_and_saveexec_b64 s[30:31], s[36:37]
	s_cbranch_execz .LBB207_528
; %bb.542:                              ;   in Loop: Header=BB207_530 Depth=1
	v_cmp_le_u64_e32 vcc, s[16:17], v[6:7]
	s_or_b64 s[34:35], s[34:35], exec
	s_orn2_b64 s[28:29], vcc, exec
	s_branch .LBB207_528
.LBB207_543:
	s_or_b64 s[6:7], s[6:7], exec
	s_trap 2
	s_branch .LBB207_505
.LBB207_544:
	s_or_b64 exec, exec, s[24:25]
	s_mov_b64 s[0:1], 0
	s_and_saveexec_b64 s[2:3], s[26:27]
	s_xor_b64 s[2:3], exec, s[2:3]
	s_cbranch_execnz .LBB207_550
.LBB207_545:
	s_or_b64 exec, exec, s[2:3]
	s_and_b64 s[2:3], s[0:1], exec
.LBB207_546:
	s_or_b64 exec, exec, s[22:23]
	s_and_b64 s[2:3], s[2:3], exec
	s_andn2_b64 s[4:5], s[4:5], exec
	s_or_b64 exec, exec, s[6:7]
	s_and_saveexec_b64 s[0:1], s[4:5]
	s_xor_b64 s[0:1], exec, s[0:1]
	s_cbranch_execz .LBB207_499
.LBB207_547:
	s_trap 2
	s_or_b64 s[2:3], s[2:3], exec
	s_branch .LBB207_499
.LBB207_548:
	s_or_b64 s[6:7], s[6:7], exec
	s_trap 2
	s_branch .LBB207_503
.LBB207_549:
	s_trap 2
	s_or_b64 s[6:7], s[6:7], exec
	s_branch .LBB207_501
.LBB207_550:
	s_mov_b64 s[0:1], exec
	s_trap 2
	s_branch .LBB207_545
	.section	.rodata,"a",@progbits
	.p2align	6, 0x0
	.amdhsa_kernel _ZN2at6native6sbtopk10gatherTopKIN3c104HalfEmLi2ELb0EEEvNS_4cuda6detail10TensorInfoIKT_T0_EESA_SA_bSA_SA_NS7_IS8_SA_EESA_NS7_IlSA_EESA_PS8_
		.amdhsa_group_segment_fixed_size 5152
		.amdhsa_private_segment_fixed_size 0
		.amdhsa_kernarg_size 1568
		.amdhsa_user_sgpr_count 6
		.amdhsa_user_sgpr_private_segment_buffer 1
		.amdhsa_user_sgpr_dispatch_ptr 0
		.amdhsa_user_sgpr_queue_ptr 0
		.amdhsa_user_sgpr_kernarg_segment_ptr 1
		.amdhsa_user_sgpr_dispatch_id 0
		.amdhsa_user_sgpr_flat_scratch_init 0
		.amdhsa_user_sgpr_kernarg_preload_length 0
		.amdhsa_user_sgpr_kernarg_preload_offset 0
		.amdhsa_user_sgpr_private_segment_size 0
		.amdhsa_uses_dynamic_stack 0
		.amdhsa_system_sgpr_private_segment_wavefront_offset 0
		.amdhsa_system_sgpr_workgroup_id_x 1
		.amdhsa_system_sgpr_workgroup_id_y 1
		.amdhsa_system_sgpr_workgroup_id_z 1
		.amdhsa_system_sgpr_workgroup_info 0
		.amdhsa_system_vgpr_workitem_id 0
		.amdhsa_next_free_vgpr 49
		.amdhsa_next_free_sgpr 96
		.amdhsa_accum_offset 52
		.amdhsa_reserve_vcc 1
		.amdhsa_reserve_flat_scratch 0
		.amdhsa_float_round_mode_32 0
		.amdhsa_float_round_mode_16_64 0
		.amdhsa_float_denorm_mode_32 3
		.amdhsa_float_denorm_mode_16_64 3
		.amdhsa_dx10_clamp 1
		.amdhsa_ieee_mode 1
		.amdhsa_fp16_overflow 0
		.amdhsa_tg_split 0
		.amdhsa_exception_fp_ieee_invalid_op 0
		.amdhsa_exception_fp_denorm_src 0
		.amdhsa_exception_fp_ieee_div_zero 0
		.amdhsa_exception_fp_ieee_overflow 0
		.amdhsa_exception_fp_ieee_underflow 0
		.amdhsa_exception_fp_ieee_inexact 0
		.amdhsa_exception_int_div_zero 0
	.end_amdhsa_kernel
	.section	.text._ZN2at6native6sbtopk10gatherTopKIN3c104HalfEmLi2ELb0EEEvNS_4cuda6detail10TensorInfoIKT_T0_EESA_SA_bSA_SA_NS7_IS8_SA_EESA_NS7_IlSA_EESA_PS8_,"axG",@progbits,_ZN2at6native6sbtopk10gatherTopKIN3c104HalfEmLi2ELb0EEEvNS_4cuda6detail10TensorInfoIKT_T0_EESA_SA_bSA_SA_NS7_IS8_SA_EESA_NS7_IlSA_EESA_PS8_,comdat
.Lfunc_end207:
	.size	_ZN2at6native6sbtopk10gatherTopKIN3c104HalfEmLi2ELb0EEEvNS_4cuda6detail10TensorInfoIKT_T0_EESA_SA_bSA_SA_NS7_IS8_SA_EESA_NS7_IlSA_EESA_PS8_, .Lfunc_end207-_ZN2at6native6sbtopk10gatherTopKIN3c104HalfEmLi2ELb0EEEvNS_4cuda6detail10TensorInfoIKT_T0_EESA_SA_bSA_SA_NS7_IS8_SA_EESA_NS7_IlSA_EESA_PS8_
                                        ; -- End function
	.section	.AMDGPU.csdata,"",@progbits
; Kernel info:
; codeLenInByte = 27828
; NumSgprs: 100
; NumVgprs: 49
; NumAgprs: 0
; TotalNumVgprs: 49
; ScratchSize: 0
; MemoryBound: 0
; FloatMode: 240
; IeeeMode: 1
; LDSByteSize: 5152 bytes/workgroup (compile time only)
; SGPRBlocks: 12
; VGPRBlocks: 6
; NumSGPRsForWavesPerEU: 100
; NumVGPRsForWavesPerEU: 49
; AccumOffset: 52
; Occupancy: 8
; WaveLimiterHint : 1
; COMPUTE_PGM_RSRC2:SCRATCH_EN: 0
; COMPUTE_PGM_RSRC2:USER_SGPR: 6
; COMPUTE_PGM_RSRC2:TRAP_HANDLER: 0
; COMPUTE_PGM_RSRC2:TGID_X_EN: 1
; COMPUTE_PGM_RSRC2:TGID_Y_EN: 1
; COMPUTE_PGM_RSRC2:TGID_Z_EN: 1
; COMPUTE_PGM_RSRC2:TIDIG_COMP_CNT: 0
; COMPUTE_PGM_RSRC3_GFX90A:ACCUM_OFFSET: 12
; COMPUTE_PGM_RSRC3_GFX90A:TG_SPLIT: 0
	.section	.text._ZN2at6native6mbtopk23computeBlockDigitCountsIN3c104HalfEmjLi3EEEvNS_4cuda6detail10TensorInfoIKT_T0_EEjPjjSA_iijT1_PSD_Ps,"axG",@progbits,_ZN2at6native6mbtopk23computeBlockDigitCountsIN3c104HalfEmjLi3EEEvNS_4cuda6detail10TensorInfoIKT_T0_EEjPjjSA_iijT1_PSD_Ps,comdat
	.protected	_ZN2at6native6mbtopk23computeBlockDigitCountsIN3c104HalfEmjLi3EEEvNS_4cuda6detail10TensorInfoIKT_T0_EEjPjjSA_iijT1_PSD_Ps ; -- Begin function _ZN2at6native6mbtopk23computeBlockDigitCountsIN3c104HalfEmjLi3EEEvNS_4cuda6detail10TensorInfoIKT_T0_EEjPjjSA_iijT1_PSD_Ps
	.globl	_ZN2at6native6mbtopk23computeBlockDigitCountsIN3c104HalfEmjLi3EEEvNS_4cuda6detail10TensorInfoIKT_T0_EEjPjjSA_iijT1_PSD_Ps
	.p2align	8
	.type	_ZN2at6native6mbtopk23computeBlockDigitCountsIN3c104HalfEmjLi3EEEvNS_4cuda6detail10TensorInfoIKT_T0_EEjPjjSA_iijT1_PSD_Ps,@function
_ZN2at6native6mbtopk23computeBlockDigitCountsIN3c104HalfEmjLi3EEEvNS_4cuda6detail10TensorInfoIKT_T0_EEjPjjSA_iijT1_PSD_Ps: ; @_ZN2at6native6mbtopk23computeBlockDigitCountsIN3c104HalfEmjLi3EEEvNS_4cuda6detail10TensorInfoIKT_T0_EEjPjjSA_iijT1_PSD_Ps
; %bb.0:
	s_load_dwordx4 s[12:15], s[4:5], 0x1c0
	s_load_dword s2, s[4:5], 0x1b0
	s_load_dwordx2 s[0:1], s[4:5], 0x1e0
	s_mov_b32 s21, 0
	s_waitcnt lgkmcnt(0)
	v_cvt_f32_u32_e32 v1, s14
	s_sub_i32 s3, 0, s14
	s_mul_i32 s1, s1, s8
	s_add_i32 s1, s1, s7
	v_rcp_iflag_f32_e32 v1, v1
	s_mul_i32 s24, s1, s0
	s_add_i32 s24, s24, s6
	v_mul_f32_e32 v1, 0x4f7ffffe, v1
	v_cvt_u32_f32_e32 v1, v1
	v_readfirstlane_b32 s0, v1
	s_mul_i32 s3, s3, s0
	s_mul_hi_u32 s1, s0, s3
	s_add_i32 s0, s0, s1
	s_mul_hi_u32 s0, s24, s0
	s_mul_i32 s1, s0, s14
	s_sub_i32 s1, s24, s1
	s_add_i32 s3, s0, 1
	s_sub_i32 s6, s1, s14
	s_cmp_ge_u32 s1, s14
	s_cselect_b32 s0, s3, s0
	s_cselect_b32 s1, s6, s1
	s_add_i32 s3, s0, 1
	s_cmp_ge_u32 s1, s14
	s_cselect_b32 s20, s3, s0
	s_cmp_ge_u32 s20, s2
	s_cbranch_scc1 .LBB208_27
; %bb.1:
	s_load_dwordx4 s[0:3], s[4:5], 0x1d0
	s_load_dwordx4 s[8:11], s[4:5], 0x10
	s_lshl_b64 s[6:7], s[20:21], 2
	s_waitcnt lgkmcnt(0)
	s_add_u32 s22, s0, s6
	v_pk_mov_b32 v[2:3], s[10:11], s[10:11] op_sel:[0,1]
	v_cmp_lt_u64_e32 vcc, s[20:21], v[2:3]
	s_addc_u32 s23, s1, s7
	s_mov_b64 s[6:7], 0
	s_mov_b64 s[0:1], 0
	s_cbranch_vccnz .LBB208_3
; %bb.2:
	v_cvt_f32_u32_e32 v1, s10
	s_sub_i32 s0, 0, s10
	s_mov_b32 s1, 0
	v_rcp_iflag_f32_e32 v1, v1
	v_mul_f32_e32 v1, 0x4f7ffffe, v1
	v_cvt_u32_f32_e32 v1, v1
	v_readfirstlane_b32 s7, v1
	s_mul_i32 s0, s0, s7
	s_mul_hi_u32 s0, s7, s0
	s_add_i32 s7, s7, s0
	s_mul_hi_u32 s0, s20, s7
	s_mul_i32 s16, s0, s10
	s_sub_i32 s16, s20, s16
	s_add_i32 s7, s0, 1
	s_sub_i32 s17, s16, s10
	s_cmp_ge_u32 s16, s10
	s_cselect_b32 s0, s7, s0
	s_cselect_b32 s16, s17, s16
	s_add_i32 s7, s0, 1
	s_cmp_ge_u32 s16, s10
	s_cselect_b32 s0, s7, s0
.LBB208_3:
	v_pk_mov_b32 v[2:3], s[8:9], s[8:9] op_sel:[0,1]
	v_cmp_lt_u64_e32 vcc, s[0:1], v[2:3]
	s_cbranch_vccnz .LBB208_5
; %bb.4:
	v_cvt_f32_u32_e32 v1, s8
	s_sub_i32 s6, 0, s8
	v_rcp_iflag_f32_e32 v1, v1
	v_mul_f32_e32 v1, 0x4f7ffffe, v1
	v_cvt_u32_f32_e32 v1, v1
	v_readfirstlane_b32 s7, v1
	s_mul_i32 s6, s6, s7
	s_mul_hi_u32 s6, s7, s6
	s_add_i32 s7, s7, s6
	s_mul_hi_u32 s6, s0, s7
	s_mul_i32 s16, s6, s8
	s_sub_i32 s16, s0, s16
	s_add_i32 s7, s6, 1
	s_sub_i32 s17, s16, s8
	s_cmp_ge_u32 s16, s8
	s_cselect_b32 s6, s7, s6
	s_cselect_b32 s16, s17, s16
	s_add_i32 s7, s6, 1
	s_cmp_ge_u32 s16, s8
	s_cselect_b32 s6, s7, s6
.LBB208_5:
	s_movk_i32 s7, 0x100
	v_cmp_gt_u32_e32 vcc, s7, v0
	v_lshlrev_b32_e32 v1, 2, v0
	s_and_saveexec_b64 s[16:17], vcc
	s_cbranch_execz .LBB208_7
; %bb.6:
	v_mov_b32_e32 v2, 0
	ds_write_b32 v1, v2
.LBB208_7:
	s_or_b64 exec, exec, s[16:17]
	s_load_dword s21, s[4:5], 0x1a0
	s_mul_i32 s7, s20, s14
	s_sub_i32 s7, s24, s7
	s_add_i32 s16, s7, 1
	s_mul_i32 s7, s13, s7
	s_lshl_b32 s25, s7, 8
	s_waitcnt lgkmcnt(0)
	s_sub_i32 s7, s21, s25
	s_add_u32 s7, s7, 0xff
	s_addc_u32 s17, 0, 0
	v_mov_b32_e32 v2, s7
	v_alignbit_b32 v2, s17, v2, 8
	s_cmp_lt_u32 s16, s14
	v_readfirstlane_b32 s7, v2
	s_cselect_b32 s14, s13, s7
	s_cmp_lt_i32 s14, 1
	s_mov_b32 s7, 0
	s_barrier
	s_cbranch_scc1 .LBB208_23
; %bb.8:
	s_load_dwordx4 s[16:19], s[4:5], 0xd0
	s_load_dwordx2 s[26:27], s[4:5], 0x0
	s_load_dword s13, s[22:23], 0x0
	s_mul_i32 s11, s0, s11
	s_mul_hi_u32 s22, s0, s10
	s_add_i32 s11, s22, s11
	s_load_dwordx2 s[22:23], s[4:5], 0xe0
	s_mul_i32 s10, s0, s10
	s_sub_u32 s10, s20, s10
	s_subb_u32 s11, 0, s11
	s_mul_i32 s9, s6, s9
	s_waitcnt lgkmcnt(0)
	s_mul_i32 s20, s10, s23
	s_mul_hi_u32 s23, s10, s22
	s_add_i32 s20, s23, s20
	s_mul_i32 s11, s11, s22
	s_add_i32 s11, s20, s11
	s_mul_hi_u32 s20, s6, s8
	s_add_i32 s20, s20, s9
	s_mul_i32 s8, s6, s8
	s_sub_u32 s0, s0, s8
	s_subb_u32 s1, s1, s20
	s_mul_i32 s8, s0, s19
	s_mul_hi_u32 s9, s0, s18
	s_add_i32 s8, s9, s8
	s_mul_i32 s1, s1, s18
	s_add_i32 s1, s8, s1
	s_mul_i32 s8, s6, s17
	s_mul_hi_u32 s9, s6, s16
	s_add_i32 s9, s9, s8
	s_mul_i32 s8, s6, s16
	s_lshl_b64 s[8:9], s[8:9], 1
	s_mul_i32 s0, s0, s18
	s_add_u32 s6, s26, s8
	s_addc_u32 s8, s27, s9
	s_lshl_b64 s[0:1], s[0:1], 1
	s_load_dwordx2 s[4:5], s[4:5], 0x1b8
	s_mul_i32 s10, s10, s22
	s_add_u32 s6, s6, s0
	s_addc_u32 s8, s8, s1
	s_lshl_b64 s[0:1], s[10:11], 1
	s_add_u32 s9, s6, s0
	s_addc_u32 s10, s8, s1
	s_and_b32 s8, s12, 0xff
	s_cmp_eq_u32 s14, 1
	v_add_u32_e32 v2, s25, v0
	s_cbranch_scc1 .LBB208_18
; %bb.9:
	s_and_b32 s11, s14, 0x7ffffffe
	s_mov_b32 s12, 0
	v_mov_b32_e32 v3, 1
	v_mov_b32_e32 v4, 0xffff
	;; [unrolled: 1-line block ×4, first 2 shown]
	s_branch .LBB208_11
.LBB208_10:                             ;   in Loop: Header=BB208_11 Depth=1
	s_or_b64 exec, exec, s[6:7]
	s_add_i32 s12, s12, 2
	s_cmp_eq_u32 s11, s12
	v_add_u32_e32 v6, 0x200, v6
	s_cbranch_scc1 .LBB208_17
.LBB208_11:                             ; =>This Inner Loop Header: Depth=1
	v_cmp_gt_u32_e64 s[0:1], s21, v6
	s_and_saveexec_b64 s[6:7], s[0:1]
	s_cbranch_execz .LBB208_14
; %bb.12:                               ;   in Loop: Header=BB208_11 Depth=1
	s_waitcnt lgkmcnt(0)
	v_mad_u64_u32 v[8:9], s[0:1], v6, s4, 0
	v_mov_b32_e32 v10, v9
	v_mad_u64_u32 v[10:11], s[0:1], v6, s5, v[10:11]
	v_mov_b32_e32 v9, v10
	v_lshlrev_b64 v[8:9], 1, v[8:9]
	v_mov_b32_e32 v7, s10
	v_add_co_u32_e64 v8, s[0:1], s9, v8
	v_addc_co_u32_e64 v9, s[0:1], v7, v9, s[0:1]
	global_load_ushort v7, v[8:9], off
	s_waitcnt vmcnt(0)
	v_cmp_lt_i16_e64 s[0:1], -1, v7
	v_cndmask_b32_e64 v8, v4, v5, s[0:1]
	v_xor_b32_sdwa v8, v8, v7 dst_sel:DWORD dst_unused:UNUSED_PAD src0_sel:DWORD src1_sel:WORD_0
	v_cmp_o_f16_e64 s[0:1], v7, v7
	v_cndmask_b32_e64 v7, v4, v8, s[0:1]
	v_xor_b32_e32 v8, s13, v7
	v_and_b32_e32 v8, s15, v8
	v_cmp_eq_u32_e64 s[0:1], 0, v8
	s_and_b64 exec, exec, s[0:1]
	s_cbranch_execz .LBB208_14
; %bb.13:                               ;   in Loop: Header=BB208_11 Depth=1
	v_bfe_u32 v7, v7, s8, 8
	v_lshlrev_b32_e32 v7, 2, v7
	ds_add_u32 v7, v3
.LBB208_14:                             ;   in Loop: Header=BB208_11 Depth=1
	s_or_b64 exec, exec, s[6:7]
	v_add_u32_e32 v7, 0x100, v6
	v_cmp_gt_u32_e64 s[0:1], s21, v7
	s_and_saveexec_b64 s[6:7], s[0:1]
	s_cbranch_execz .LBB208_10
; %bb.15:                               ;   in Loop: Header=BB208_11 Depth=1
	s_waitcnt lgkmcnt(0)
	v_mad_u64_u32 v[8:9], s[0:1], v7, s4, 0
	v_mov_b32_e32 v10, v9
	v_mad_u64_u32 v[10:11], s[0:1], v7, s5, v[10:11]
	v_mov_b32_e32 v9, v10
	v_lshlrev_b64 v[8:9], 1, v[8:9]
	v_mov_b32_e32 v7, s10
	v_add_co_u32_e64 v8, s[0:1], s9, v8
	v_addc_co_u32_e64 v9, s[0:1], v7, v9, s[0:1]
	global_load_ushort v7, v[8:9], off
	s_waitcnt vmcnt(0)
	v_cmp_lt_i16_e64 s[0:1], -1, v7
	v_cndmask_b32_e64 v8, v4, v5, s[0:1]
	v_xor_b32_sdwa v8, v8, v7 dst_sel:DWORD dst_unused:UNUSED_PAD src0_sel:DWORD src1_sel:WORD_0
	v_cmp_o_f16_e64 s[0:1], v7, v7
	v_cndmask_b32_e64 v7, v4, v8, s[0:1]
	v_xor_b32_e32 v8, s13, v7
	v_and_b32_e32 v8, s15, v8
	v_cmp_eq_u32_e64 s[0:1], 0, v8
	s_and_b64 exec, exec, s[0:1]
	s_cbranch_execz .LBB208_10
; %bb.16:                               ;   in Loop: Header=BB208_11 Depth=1
	v_bfe_u32 v7, v7, s8, 8
	v_lshlrev_b32_e32 v7, 2, v7
	ds_add_u32 v7, v3
	s_branch .LBB208_10
.LBB208_17:
	s_lshl_b32 s7, s11, 8
.LBB208_18:
	s_bitcmp0_b32 s14, 0
	s_cbranch_scc1 .LBB208_23
; %bb.19:
	v_add_u32_e32 v2, s7, v2
	v_cmp_gt_u32_e64 s[0:1], s21, v2
	s_and_saveexec_b64 s[6:7], s[0:1]
	s_cbranch_execz .LBB208_22
; %bb.20:
	s_waitcnt lgkmcnt(0)
	v_mad_u64_u32 v[4:5], s[0:1], v2, s4, 0
	v_mov_b32_e32 v6, v5
	v_mad_u64_u32 v[2:3], s[0:1], v2, s5, v[6:7]
	v_mov_b32_e32 v5, v2
	v_lshlrev_b64 v[2:3], 1, v[4:5]
	v_mov_b32_e32 v4, s10
	v_add_co_u32_e64 v2, s[0:1], s9, v2
	v_addc_co_u32_e64 v3, s[0:1], v4, v3, s[0:1]
	global_load_ushort v2, v[2:3], off
	v_mov_b32_e32 v3, 0xffff
	v_mov_b32_e32 v4, 0x8000
	s_waitcnt vmcnt(0)
	v_cmp_lt_i16_e64 s[0:1], -1, v2
	v_cndmask_b32_e64 v4, v3, v4, s[0:1]
	v_xor_b32_sdwa v4, v4, v2 dst_sel:DWORD dst_unused:UNUSED_PAD src0_sel:DWORD src1_sel:WORD_0
	v_cmp_o_f16_e64 s[0:1], v2, v2
	v_cndmask_b32_e64 v2, v3, v4, s[0:1]
	v_xor_b32_e32 v3, s13, v2
	v_and_b32_e32 v3, s15, v3
	v_cmp_eq_u32_e64 s[0:1], 0, v3
	s_and_b64 exec, exec, s[0:1]
	s_cbranch_execz .LBB208_22
; %bb.21:
	v_bfe_u32 v2, v2, s8, 8
	v_lshlrev_b32_e32 v2, 2, v2
	v_mov_b32_e32 v3, 1
	ds_add_u32 v2, v3
.LBB208_22:
	s_or_b64 exec, exec, s[6:7]
.LBB208_23:
	v_mov_b32_e32 v2, 0
	s_waitcnt lgkmcnt(0)
	s_barrier
	s_and_saveexec_b64 s[0:1], vcc
	s_cbranch_execz .LBB208_25
; %bb.24:
	ds_read_b32 v2, v1
.LBB208_25:
	s_or_b64 exec, exec, s[0:1]
	s_and_saveexec_b64 s[0:1], vcc
	s_cbranch_execz .LBB208_27
; %bb.26:
	v_lshl_or_b32 v0, s24, 8, v0
	v_mov_b32_e32 v1, 0
	v_lshlrev_b64 v[0:1], 1, v[0:1]
	v_mov_b32_e32 v3, s3
	v_add_co_u32_e32 v0, vcc, s2, v0
	v_addc_co_u32_e32 v1, vcc, v3, v1, vcc
	s_waitcnt lgkmcnt(0)
	global_store_short v[0:1], v2, off
.LBB208_27:
	s_endpgm
	.section	.rodata,"a",@progbits
	.p2align	6, 0x0
	.amdhsa_kernel _ZN2at6native6mbtopk23computeBlockDigitCountsIN3c104HalfEmjLi3EEEvNS_4cuda6detail10TensorInfoIKT_T0_EEjPjjSA_iijT1_PSD_Ps
		.amdhsa_group_segment_fixed_size 1024
		.amdhsa_private_segment_fixed_size 0
		.amdhsa_kernarg_size 736
		.amdhsa_user_sgpr_count 6
		.amdhsa_user_sgpr_private_segment_buffer 1
		.amdhsa_user_sgpr_dispatch_ptr 0
		.amdhsa_user_sgpr_queue_ptr 0
		.amdhsa_user_sgpr_kernarg_segment_ptr 1
		.amdhsa_user_sgpr_dispatch_id 0
		.amdhsa_user_sgpr_flat_scratch_init 0
		.amdhsa_user_sgpr_kernarg_preload_length 0
		.amdhsa_user_sgpr_kernarg_preload_offset 0
		.amdhsa_user_sgpr_private_segment_size 0
		.amdhsa_uses_dynamic_stack 0
		.amdhsa_system_sgpr_private_segment_wavefront_offset 0
		.amdhsa_system_sgpr_workgroup_id_x 1
		.amdhsa_system_sgpr_workgroup_id_y 1
		.amdhsa_system_sgpr_workgroup_id_z 1
		.amdhsa_system_sgpr_workgroup_info 0
		.amdhsa_system_vgpr_workitem_id 0
		.amdhsa_next_free_vgpr 12
		.amdhsa_next_free_sgpr 28
		.amdhsa_accum_offset 12
		.amdhsa_reserve_vcc 1
		.amdhsa_reserve_flat_scratch 0
		.amdhsa_float_round_mode_32 0
		.amdhsa_float_round_mode_16_64 0
		.amdhsa_float_denorm_mode_32 3
		.amdhsa_float_denorm_mode_16_64 3
		.amdhsa_dx10_clamp 1
		.amdhsa_ieee_mode 1
		.amdhsa_fp16_overflow 0
		.amdhsa_tg_split 0
		.amdhsa_exception_fp_ieee_invalid_op 0
		.amdhsa_exception_fp_denorm_src 0
		.amdhsa_exception_fp_ieee_div_zero 0
		.amdhsa_exception_fp_ieee_overflow 0
		.amdhsa_exception_fp_ieee_underflow 0
		.amdhsa_exception_fp_ieee_inexact 0
		.amdhsa_exception_int_div_zero 0
	.end_amdhsa_kernel
	.section	.text._ZN2at6native6mbtopk23computeBlockDigitCountsIN3c104HalfEmjLi3EEEvNS_4cuda6detail10TensorInfoIKT_T0_EEjPjjSA_iijT1_PSD_Ps,"axG",@progbits,_ZN2at6native6mbtopk23computeBlockDigitCountsIN3c104HalfEmjLi3EEEvNS_4cuda6detail10TensorInfoIKT_T0_EEjPjjSA_iijT1_PSD_Ps,comdat
.Lfunc_end208:
	.size	_ZN2at6native6mbtopk23computeBlockDigitCountsIN3c104HalfEmjLi3EEEvNS_4cuda6detail10TensorInfoIKT_T0_EEjPjjSA_iijT1_PSD_Ps, .Lfunc_end208-_ZN2at6native6mbtopk23computeBlockDigitCountsIN3c104HalfEmjLi3EEEvNS_4cuda6detail10TensorInfoIKT_T0_EEjPjjSA_iijT1_PSD_Ps
                                        ; -- End function
	.section	.AMDGPU.csdata,"",@progbits
; Kernel info:
; codeLenInByte = 1432
; NumSgprs: 32
; NumVgprs: 12
; NumAgprs: 0
; TotalNumVgprs: 12
; ScratchSize: 0
; MemoryBound: 0
; FloatMode: 240
; IeeeMode: 1
; LDSByteSize: 1024 bytes/workgroup (compile time only)
; SGPRBlocks: 3
; VGPRBlocks: 1
; NumSGPRsForWavesPerEU: 32
; NumVGPRsForWavesPerEU: 12
; AccumOffset: 12
; Occupancy: 8
; WaveLimiterHint : 1
; COMPUTE_PGM_RSRC2:SCRATCH_EN: 0
; COMPUTE_PGM_RSRC2:USER_SGPR: 6
; COMPUTE_PGM_RSRC2:TRAP_HANDLER: 0
; COMPUTE_PGM_RSRC2:TGID_X_EN: 1
; COMPUTE_PGM_RSRC2:TGID_Y_EN: 1
; COMPUTE_PGM_RSRC2:TGID_Z_EN: 1
; COMPUTE_PGM_RSRC2:TIDIG_COMP_CNT: 0
; COMPUTE_PGM_RSRC3_GFX90A:ACCUM_OFFSET: 2
; COMPUTE_PGM_RSRC3_GFX90A:TG_SPLIT: 0
	.section	.text._ZN2at6native6mbtopk10gatherTopKIN3c104HalfEmLi3EEEvNS_4cuda6detail10TensorInfoIKT_T0_EESA_SA_bjSA_NS7_IS8_SA_EESA_NS7_IlSA_EESA_jjPS8_PjSF_j,"axG",@progbits,_ZN2at6native6mbtopk10gatherTopKIN3c104HalfEmLi3EEEvNS_4cuda6detail10TensorInfoIKT_T0_EESA_SA_bjSA_NS7_IS8_SA_EESA_NS7_IlSA_EESA_jjPS8_PjSF_j,comdat
	.protected	_ZN2at6native6mbtopk10gatherTopKIN3c104HalfEmLi3EEEvNS_4cuda6detail10TensorInfoIKT_T0_EESA_SA_bjSA_NS7_IS8_SA_EESA_NS7_IlSA_EESA_jjPS8_PjSF_j ; -- Begin function _ZN2at6native6mbtopk10gatherTopKIN3c104HalfEmLi3EEEvNS_4cuda6detail10TensorInfoIKT_T0_EESA_SA_bjSA_NS7_IS8_SA_EESA_NS7_IlSA_EESA_jjPS8_PjSF_j
	.globl	_ZN2at6native6mbtopk10gatherTopKIN3c104HalfEmLi3EEEvNS_4cuda6detail10TensorInfoIKT_T0_EESA_SA_bjSA_NS7_IS8_SA_EESA_NS7_IlSA_EESA_jjPS8_PjSF_j
	.p2align	8
	.type	_ZN2at6native6mbtopk10gatherTopKIN3c104HalfEmLi3EEEvNS_4cuda6detail10TensorInfoIKT_T0_EESA_SA_bjSA_NS7_IS8_SA_EESA_NS7_IlSA_EESA_jjPS8_PjSF_j,@function
_ZN2at6native6mbtopk10gatherTopKIN3c104HalfEmLi3EEEvNS_4cuda6detail10TensorInfoIKT_T0_EESA_SA_bjSA_NS7_IS8_SA_EESA_NS7_IlSA_EESA_jjPS8_PjSF_j: ; @_ZN2at6native6mbtopk10gatherTopKIN3c104HalfEmLi3EEEvNS_4cuda6detail10TensorInfoIKT_T0_EESA_SA_bjSA_NS7_IS8_SA_EESA_NS7_IlSA_EESA_jjPS8_PjSF_j
; %bb.0:
	s_load_dwordx2 s[0:1], s[4:5], 0x538
	s_load_dword s2, s[4:5], 0x530
	s_waitcnt lgkmcnt(0)
	s_mul_i32 s1, s1, s8
	s_add_i32 s1, s1, s7
	s_mul_i32 s0, s1, s0
	s_add_i32 s0, s0, s6
	s_cmp_ge_u32 s0, s2
	s_cbranch_scc1 .LBB209_54
; %bb.1:
	s_load_dwordx2 s[34:35], s[4:5], 0x510
	s_load_dwordx4 s[8:11], s[4:5], 0x1a0
	s_load_dwordx4 s[12:15], s[4:5], 0x10
	s_mov_b32 s7, 0
	s_waitcnt lgkmcnt(0)
	v_cvt_f32_u32_e32 v1, s35
	s_sub_i32 s2, 0, s35
	s_lshl_b32 s1, s34, 8
	v_rcp_iflag_f32_e32 v1, v1
	v_mul_f32_e32 v1, 0x4f7ffffe, v1
	v_cvt_u32_f32_e32 v1, v1
	v_readfirstlane_b32 s3, v1
	s_mul_i32 s2, s2, s3
	s_mul_hi_u32 s2, s3, s2
	s_add_i32 s3, s3, s2
	s_mul_hi_u32 s2, s0, s3
	s_mul_i32 s3, s2, s35
	s_sub_i32 s3, s0, s3
	s_add_i32 s6, s2, 1
	s_sub_i32 s16, s3, s35
	s_cmp_ge_u32 s3, s35
	s_cselect_b32 s2, s6, s2
	s_cselect_b32 s3, s16, s3
	s_add_i32 s6, s2, 1
	s_cmp_ge_u32 s3, s35
	s_cselect_b32 s6, s6, s2
	s_mul_i32 s52, s6, s35
	s_sub_i32 s76, s0, s52
	s_add_i32 s0, s76, 1
	s_cmp_lt_u32 s0, s35
	s_mul_i32 s33, s76, s1
	s_cbranch_scc1 .LBB209_3
; %bb.2:
	s_sub_u32 s0, s8, s33
	s_subb_u32 s1, s9, 0
	s_add_u32 s0, s0, 0xff
	s_addc_u32 s1, s1, 0
	s_ashr_i32 s2, s1, 31
	s_lshr_b32 s2, s2, 24
	s_add_u32 s0, s0, s2
	s_addc_u32 s1, s1, 0
	v_mov_b32_e32 v1, s0
	v_alignbit_b32 v1, s1, v1, 8
	v_readfirstlane_b32 s34, v1
.LBB209_3:
	v_pk_mov_b32 v[2:3], s[14:15], s[14:15] op_sel:[0,1]
	v_cmp_lt_u64_e32 vcc, s[6:7], v[2:3]
	s_mov_b64 s[50:51], 0
	s_mov_b64 s[48:49], 0
	s_cbranch_vccnz .LBB209_5
; %bb.4:
	v_cvt_f32_u32_e32 v1, s14
	s_sub_i32 s0, 0, s14
	s_mov_b32 s49, 0
	v_rcp_iflag_f32_e32 v1, v1
	v_mul_f32_e32 v1, 0x4f7ffffe, v1
	v_cvt_u32_f32_e32 v1, v1
	v_readfirstlane_b32 s1, v1
	s_mul_i32 s0, s0, s1
	s_mul_hi_u32 s0, s1, s0
	s_add_i32 s1, s1, s0
	s_mul_hi_u32 s0, s6, s1
	s_mul_i32 s2, s0, s14
	s_sub_i32 s2, s6, s2
	s_add_i32 s1, s0, 1
	s_sub_i32 s3, s2, s14
	s_cmp_ge_u32 s2, s14
	s_cselect_b32 s0, s1, s0
	s_cselect_b32 s2, s3, s2
	s_add_i32 s1, s0, 1
	s_cmp_ge_u32 s2, s14
	s_cselect_b32 s48, s1, s0
.LBB209_5:
	s_load_dwordx4 s[16:19], s[4:5], 0x1d0
	v_pk_mov_b32 v[2:3], s[12:13], s[12:13] op_sel:[0,1]
	v_cmp_lt_u64_e32 vcc, s[48:49], v[2:3]
	s_cbranch_vccnz .LBB209_7
; %bb.6:
	v_cvt_f32_u32_e32 v1, s12
	s_sub_i32 s0, 0, s12
	v_rcp_iflag_f32_e32 v1, v1
	v_mul_f32_e32 v1, 0x4f7ffffe, v1
	v_cvt_u32_f32_e32 v1, v1
	v_readfirstlane_b32 s1, v1
	s_mul_i32 s0, s0, s1
	s_mul_hi_u32 s0, s1, s0
	s_add_i32 s1, s1, s0
	s_mul_hi_u32 s0, s48, s1
	s_mul_i32 s2, s0, s12
	s_sub_i32 s2, s48, s2
	s_add_i32 s1, s0, 1
	s_sub_i32 s3, s2, s12
	s_cmp_ge_u32 s2, s12
	s_cselect_b32 s0, s1, s0
	s_cselect_b32 s2, s3, s2
	s_add_i32 s1, s0, 1
	s_cmp_ge_u32 s2, s12
	s_cselect_b32 s50, s1, s0
.LBB209_7:
	s_waitcnt lgkmcnt(0)
	v_pk_mov_b32 v[2:3], s[18:19], s[18:19] op_sel:[0,1]
	v_cmp_lt_u64_e32 vcc, s[6:7], v[2:3]
	s_mov_b64 s[56:57], 0
	s_mov_b64 s[54:55], 0
	s_cbranch_vccnz .LBB209_9
; %bb.8:
	v_cvt_f32_u32_e32 v1, s18
	s_sub_i32 s0, 0, s18
	s_mov_b32 s55, 0
	v_rcp_iflag_f32_e32 v1, v1
	v_mul_f32_e32 v1, 0x4f7ffffe, v1
	v_cvt_u32_f32_e32 v1, v1
	v_readfirstlane_b32 s1, v1
	s_mul_i32 s0, s0, s1
	s_mul_hi_u32 s0, s1, s0
	s_add_i32 s1, s1, s0
	s_mul_hi_u32 s0, s6, s1
	s_mul_i32 s2, s0, s18
	s_sub_i32 s2, s6, s2
	s_add_i32 s1, s0, 1
	s_sub_i32 s3, s2, s18
	s_cmp_ge_u32 s2, s18
	s_cselect_b32 s0, s1, s0
	s_cselect_b32 s2, s3, s2
	s_add_i32 s1, s0, 1
	s_cmp_ge_u32 s2, s18
	s_cselect_b32 s54, s1, s0
.LBB209_9:
	s_load_dwordx4 s[28:31], s[4:5], 0x378
	v_pk_mov_b32 v[2:3], s[16:17], s[16:17] op_sel:[0,1]
	v_cmp_lt_u64_e32 vcc, s[54:55], v[2:3]
	s_cbranch_vccnz .LBB209_11
; %bb.10:
	v_cvt_f32_u32_e32 v1, s16
	s_sub_i32 s0, 0, s16
	v_rcp_iflag_f32_e32 v1, v1
	v_mul_f32_e32 v1, 0x4f7ffffe, v1
	v_cvt_u32_f32_e32 v1, v1
	v_readfirstlane_b32 s1, v1
	s_mul_i32 s0, s0, s1
	s_mul_hi_u32 s0, s1, s0
	s_add_i32 s1, s1, s0
	s_mul_hi_u32 s0, s54, s1
	s_mul_i32 s2, s0, s16
	s_sub_i32 s2, s54, s2
	s_add_i32 s1, s0, 1
	s_sub_i32 s3, s2, s16
	s_cmp_ge_u32 s2, s16
	s_cselect_b32 s0, s1, s0
	s_cselect_b32 s2, s3, s2
	s_add_i32 s1, s0, 1
	s_cmp_ge_u32 s2, s16
	s_cselect_b32 s56, s1, s0
.LBB209_11:
	s_waitcnt lgkmcnt(0)
	v_pk_mov_b32 v[2:3], s[30:31], s[30:31] op_sel:[0,1]
	v_cmp_lt_u64_e32 vcc, s[6:7], v[2:3]
	s_mov_b64 s[58:59], 0
	s_mov_b64 s[60:61], 0
	s_cbranch_vccnz .LBB209_13
; %bb.12:
	v_cvt_f32_u32_e32 v1, s30
	s_sub_i32 s0, 0, s30
	s_mov_b32 s61, 0
	v_rcp_iflag_f32_e32 v1, v1
	v_mul_f32_e32 v1, 0x4f7ffffe, v1
	v_cvt_u32_f32_e32 v1, v1
	v_readfirstlane_b32 s1, v1
	s_mul_i32 s0, s0, s1
	s_mul_hi_u32 s0, s1, s0
	s_add_i32 s1, s1, s0
	s_mul_hi_u32 s0, s6, s1
	s_mul_i32 s2, s0, s30
	s_sub_i32 s2, s6, s2
	s_add_i32 s1, s0, 1
	s_sub_i32 s3, s2, s30
	s_cmp_ge_u32 s2, s30
	s_cselect_b32 s0, s1, s0
	s_cselect_b32 s2, s3, s2
	s_add_i32 s1, s0, 1
	s_cmp_ge_u32 s2, s30
	s_cselect_b32 s60, s1, s0
.LBB209_13:
	s_load_dwordx2 s[62:63], s[4:5], 0xe0
	s_load_dwordx4 s[40:43], s[4:5], 0xd0
	s_load_dwordx2 s[66:67], s[4:5], 0x2a0
	s_load_dwordx4 s[44:47], s[4:5], 0x290
	;; [unrolled: 2-line block ×3, first 2 shown]
	v_pk_mov_b32 v[2:3], s[28:29], s[28:29] op_sel:[0,1]
	v_cmp_lt_u64_e32 vcc, s[60:61], v[2:3]
	s_cbranch_vccnz .LBB209_15
; %bb.14:
	v_cvt_f32_u32_e32 v1, s28
	s_sub_i32 s0, 0, s28
	v_rcp_iflag_f32_e32 v1, v1
	v_mul_f32_e32 v1, 0x4f7ffffe, v1
	v_cvt_u32_f32_e32 v1, v1
	v_readfirstlane_b32 s1, v1
	s_mul_i32 s0, s0, s1
	s_mul_hi_u32 s0, s1, s0
	s_add_i32 s1, s1, s0
	s_mul_hi_u32 s0, s60, s1
	s_mul_i32 s2, s0, s28
	s_sub_i32 s2, s60, s2
	s_add_i32 s1, s0, 1
	s_sub_i32 s3, s2, s28
	s_cmp_ge_u32 s2, s28
	s_cselect_b32 s0, s1, s0
	s_cselect_b32 s2, s3, s2
	s_add_i32 s1, s0, 1
	s_cmp_ge_u32 s2, s28
	s_cselect_b32 s58, s1, s0
.LBB209_15:
	s_load_dwordx4 s[20:23], s[4:5], 0x518
	s_load_dwordx2 s[64:65], s[4:5], 0x0
	s_lshl_b64 s[0:1], s[6:7], 1
	v_mov_b32_e32 v1, 0
	s_mov_b32 s53, 0
	s_waitcnt lgkmcnt(0)
	s_add_u32 s0, s20, s0
	s_addc_u32 s1, s21, s1
	global_load_ushort v1, v1, s[0:1]
	v_cmp_ne_u32_e64 s[0:1], 0, v0
	v_cmp_eq_u32_e64 s[2:3], 0, v0
	s_waitcnt vmcnt(0)
	v_readfirstlane_b32 s7, v1
	s_and_saveexec_b64 s[20:21], s[2:3]
	s_cbranch_execz .LBB209_31
; %bb.16:
	s_load_dwordx2 s[70:71], s[4:5], 0x528
	s_lshl_b64 s[72:73], s[52:53], 2
	s_add_u32 s24, s22, s72
	s_addc_u32 s25, s23, s73
	s_mov_b32 s51, 0
	s_waitcnt lgkmcnt(0)
	s_add_u32 s26, s70, s72
	s_addc_u32 s27, s71, s73
	s_mov_b32 s52, 0
	s_cmp_lt_u32 s35, 4
	s_cbranch_scc1 .LBB209_28
; %bb.17:
	s_mov_b32 s57, 0
.LBB209_18:                             ; =>This Inner Loop Header: Depth=1
	s_add_u32 s24, s22, s72
	s_addc_u32 s25, s23, s73
	s_load_dwordx4 s[24:27], s[24:25], 0x0
	s_add_u32 s74, s70, s72
	s_addc_u32 s75, s71, s73
	s_cmp_ge_u32 s57, s76
	s_cbranch_scc0 .LBB209_25
; %bb.19:                               ;   in Loop: Header=BB209_18 Depth=1
	s_add_i32 s59, s57, 1
	s_cmp_ge_u32 s59, s76
	s_cbranch_scc0 .LBB209_26
.LBB209_20:                             ;   in Loop: Header=BB209_18 Depth=1
	s_add_i32 s59, s59, 1
	s_cmp_ge_u32 s59, s76
	s_cbranch_scc0 .LBB209_27
.LBB209_21:                             ;   in Loop: Header=BB209_18 Depth=1
	s_add_i32 s59, s59, 1
	s_cmp_ge_u32 s59, s76
	s_cbranch_scc1 .LBB209_23
.LBB209_22:                             ;   in Loop: Header=BB209_18 Depth=1
	s_load_dword s74, s[74:75], 0xc
	s_waitcnt lgkmcnt(0)
	s_add_i32 s53, s53, s27
	s_add_i32 s51, s74, s51
.LBB209_23:                             ;   in Loop: Header=BB209_18 Depth=1
	s_waitcnt lgkmcnt(0)
	s_add_i32 s24, s24, s52
	s_add_i32 s24, s24, s25
	;; [unrolled: 1-line block ×4, first 2 shown]
	s_add_u32 s22, s22, 16
	s_addc_u32 s23, s23, 0
	s_add_u32 s70, s70, 16
	s_addc_u32 s71, s71, 0
	s_add_i32 s74, s59, 4
	s_add_u32 s26, s70, s72
	s_addc_u32 s27, s71, s73
	s_add_u32 s24, s22, s72
	s_addc_u32 s25, s23, s73
	s_add_i32 s59, s59, 1
	s_cmp_ge_u32 s74, s35
	s_cbranch_scc1 .LBB209_29
; %bb.24:                               ;   in Loop: Header=BB209_18 Depth=1
	s_mov_b32 s57, s59
	s_branch .LBB209_18
.LBB209_25:                             ;   in Loop: Header=BB209_18 Depth=1
	s_load_dword s59, s[74:75], 0x0
	s_waitcnt lgkmcnt(0)
	s_add_i32 s53, s24, s53
	s_add_i32 s51, s59, s51
	;; [unrolled: 1-line block ×3, first 2 shown]
	s_cmp_ge_u32 s59, s76
	s_cbranch_scc1 .LBB209_20
.LBB209_26:                             ;   in Loop: Header=BB209_18 Depth=1
	s_load_dword s77, s[74:75], 0x4
	s_waitcnt lgkmcnt(0)
	s_add_i32 s53, s53, s25
	s_add_i32 s51, s77, s51
	;; [unrolled: 1-line block ×3, first 2 shown]
	s_cmp_ge_u32 s59, s76
	s_cbranch_scc1 .LBB209_21
.LBB209_27:                             ;   in Loop: Header=BB209_18 Depth=1
	s_load_dword s77, s[74:75], 0x8
	s_waitcnt lgkmcnt(0)
	s_add_i32 s53, s53, s26
	s_add_i32 s51, s77, s51
	;; [unrolled: 1-line block ×3, first 2 shown]
	s_cmp_ge_u32 s59, s76
	s_cbranch_scc0 .LBB209_22
	s_branch .LBB209_23
.LBB209_28:
	s_mov_b32 s22, 0
	s_cmp_ge_u32 s22, s35
	s_cbranch_scc0 .LBB209_52
	s_branch .LBB209_30
.LBB209_29:
	s_add_i32 s22, s57, 4
	s_cmp_ge_u32 s22, s35
	s_cbranch_scc0 .LBB209_52
.LBB209_30:
	v_mov_b32_e32 v2, s51
	v_mov_b32_e32 v3, s52
	;; [unrolled: 1-line block ×4, first 2 shown]
	ds_write_b96 v1, v[2:4] offset:1056
.LBB209_31:
	s_or_b64 exec, exec, s[20:21]
	s_load_dwordx4 s[20:23], s[4:5], 0x1b8
	s_load_dwordx4 s[24:27], s[4:5], 0x360
	s_cmp_eq_u32 s34, 0
	s_waitcnt lgkmcnt(0)
	s_barrier
	s_cbranch_scc1 .LBB209_54
; %bb.32:
	s_mul_i32 s31, s60, s31
	s_mul_hi_u32 s35, s60, s30
	s_add_i32 s35, s35, s31
	s_mul_i32 s30, s60, s30
	s_sub_u32 s30, s6, s30
	s_subb_u32 s31, 0, s35
	s_mul_i32 s35, s30, s69
	s_mul_hi_u32 s51, s30, s68
	s_add_i32 s35, s51, s35
	s_mul_i32 s31, s31, s68
	s_add_i32 s31, s35, s31
	s_mul_i32 s17, s56, s17
	s_mul_hi_u32 s35, s56, s16
	s_add_i32 s35, s35, s17
	s_mul_i32 s16, s56, s16
	s_sub_u32 s16, s54, s16
	s_subb_u32 s17, s55, s35
	s_mul_i32 s35, s16, s47
	s_mul_hi_u32 s47, s16, s46
	s_add_i32 s35, s47, s35
	s_mul_i32 s17, s17, s46
	s_add_i32 s47, s35, s17
	s_mul_i32 s46, s16, s46
	s_mul_i32 s16, s56, s45
	s_mul_hi_u32 s17, s56, s44
	s_add_i32 s45, s17, s16
	s_mul_i32 s16, s54, s19
	s_mul_hi_u32 s17, s54, s18
	s_add_i32 s17, s17, s16
	s_mul_i32 s16, s54, s18
	s_sub_u32 s16, s6, s16
	s_subb_u32 s17, 0, s17
	s_mul_i32 s18, s16, s67
	s_mul_hi_u32 s19, s16, s66
	s_add_i32 s18, s19, s18
	s_mul_i32 s17, s17, s66
	s_add_i32 s19, s18, s17
	s_mul_i32 s18, s16, s66
	s_mul_i32 s13, s50, s13
	s_mul_hi_u32 s16, s50, s12
	s_add_i32 s16, s16, s13
	s_mul_i32 s12, s50, s12
	s_sub_u32 s12, s48, s12
	s_subb_u32 s13, s49, s16
	s_mul_i32 s16, s12, s43
	s_mul_hi_u32 s17, s12, s42
	s_add_i32 s16, s17, s16
	s_mul_i32 s13, s13, s42
	s_add_i32 s13, s16, s13
	s_mul_i32 s16, s50, s41
	s_mul_hi_u32 s17, s50, s40
	s_mul_i32 s15, s48, s15
	s_mul_hi_u32 s35, s48, s14
	s_add_i32 s17, s17, s16
	s_add_i32 s35, s35, s15
	s_mul_i32 s14, s48, s14
	s_sub_u32 s6, s6, s14
	s_subb_u32 s14, 0, s35
	s_mul_i32 s15, s6, s63
	s_mul_hi_u32 s35, s6, s62
	s_add_i32 s15, s35, s15
	s_mul_i32 s14, s14, s62
	s_add_i32 s15, s15, s14
	s_mul_i32 s14, s6, s62
	s_mul_i32 s6, s58, s29
	s_mul_hi_u32 s29, s58, s28
	s_add_i32 s29, s29, s6
	s_mul_i32 s6, s58, s28
	s_sub_u32 s6, s60, s6
	s_subb_u32 s28, s61, s29
	s_mul_i32 s29, s6, s39
	s_mul_hi_u32 s35, s6, s38
	s_add_i32 s29, s35, s29
	s_mul_i32 s28, s28, s38
	s_mul_i32 s16, s50, s40
	s_add_i32 s29, s29, s28
	s_mul_i32 s28, s6, s38
	s_mul_i32 s6, s58, s37
	s_mul_hi_u32 s35, s58, s36
	s_add_i32 s37, s35, s6
	s_lshl_b64 s[16:17], s[16:17], 1
	s_mul_i32 s12, s12, s42
	s_add_u32 s6, s64, s16
	s_addc_u32 s16, s65, s17
	s_lshl_b64 s[12:13], s[12:13], 1
	s_add_u32 s6, s6, s12
	s_addc_u32 s17, s16, s13
	s_lshl_b64 s[12:13], s[14:15], 1
	s_mul_i32 s44, s56, s44
	s_add_u32 s16, s6, s12
	s_addc_u32 s17, s17, s13
	s_lshl_b64 s[12:13], s[44:45], 1
	s_add_u32 s6, s22, s12
	s_addc_u32 s14, s23, s13
	s_lshl_b64 s[12:13], s[46:47], 1
	;; [unrolled: 3-line block ×3, first 2 shown]
	s_mul_i32 s36, s58, s36
	s_add_u32 s18, s6, s12
	s_addc_u32 s19, s14, s13
	s_lshl_b64 s[12:13], s[36:37], 3
	s_add_u32 s6, s26, s12
	s_addc_u32 s14, s27, s13
	s_lshl_b64 s[12:13], s[28:29], 3
	s_mul_i32 s30, s30, s68
	s_add_u32 s6, s6, s12
	s_addc_u32 s14, s14, s13
	s_lshl_b64 s[12:13], s[30:31], 3
	s_add_u32 s22, s6, s12
	v_mov_b32_e32 v1, 0
	s_addc_u32 s23, s14, s13
	s_and_b32 s12, 0xffff, s7
	s_sext_i32_i16 s6, s7
	ds_read_b96 v[2:4], v1 offset:1056
	s_cmp_gt_i32 s6, -1
	s_mov_b32 s6, 0x8000
	s_cselect_b32 s13, s6, 0xffff
	v_cmp_o_f16_e64 s[6:7], s7, s7
	s_xor_b32 s12, s13, s12
	s_and_b64 s[6:7], s[6:7], exec
	s_load_dword s6, s[4:5], 0x1b0
	s_waitcnt lgkmcnt(0)
	v_add_u32_e32 v2, v2, v3
	v_lshrrev_b32_e32 v3, 5, v0
	v_add_lshl_u32 v5, v3, v0, 2
	v_lshlrev_b32_e32 v3, 2, v0
	v_lshrrev_b32_e32 v6, 3, v0
	s_cselect_b32 s26, s12, 0xffff
	s_load_dwordx2 s[12:13], s[4:5], 0x508
	v_add_lshl_u32 v8, v6, v3, 2
	v_add_u32_e32 v3, -1, v0
	v_lshrrev_b32_e32 v6, 5, v3
	v_add_lshl_u32 v9, v6, v3, 2
	v_mbcnt_lo_u32_b32 v3, -1, 0
	s_bitcmp1_b32 s6, 0
	v_mbcnt_hi_u32_b32 v12, -1, v3
	s_cselect_b64 s[4:5], -1, 0
	v_cmp_gt_u32_e64 s[6:7], 64, v0
	v_add_u32_e32 v0, s33, v0
	v_mov_b32_e32 v10, 0xffff
	v_mov_b32_e32 v11, 0x8000
	v_and_b32_e32 v13, 15, v12
	v_bfe_i32 v14, v12, 4, 1
	v_add_u32_e32 v15, -1, v12
	v_and_b32_e32 v16, 64, v12
                                        ; implicit-def: $vgpr17
	s_branch .LBB209_35
.LBB209_33:                             ;   in Loop: Header=BB209_35 Depth=1
	s_or_b64 exec, exec, s[14:15]
	v_add_u32_e32 v2, v3, v2
.LBB209_34:                             ;   in Loop: Header=BB209_35 Depth=1
	s_add_i32 s34, s34, -1
	v_add_u32_e32 v4, v18, v4
	s_cmp_lg_u32 s34, 0
	v_add_u32_e32 v0, 0x100, v0
	s_cbranch_scc0 .LBB209_54
.LBB209_35:                             ; =>This Inner Loop Header: Depth=1
	v_cmp_gt_u64_e32 vcc, s[8:9], v[0:1]
	v_mov_b32_e32 v3, v1
	v_mov_b32_e32 v6, v1
	s_and_saveexec_b64 s[14:15], vcc
	s_cbranch_execz .LBB209_37
; %bb.36:                               ;   in Loop: Header=BB209_35 Depth=1
	v_mad_u64_u32 v[6:7], s[28:29], v0, s20, 0
	v_mov_b32_e32 v18, v7
	v_mad_u64_u32 v[18:19], s[28:29], v0, s21, v[18:19]
	v_mov_b32_e32 v7, v18
	v_lshlrev_b64 v[6:7], 1, v[6:7]
	v_mov_b32_e32 v3, s17
	v_add_co_u32_e32 v6, vcc, s16, v6
	v_addc_co_u32_e32 v7, vcc, v3, v7, vcc
	global_load_ushort v17, v[6:7], off
	s_waitcnt vmcnt(0)
	v_cmp_lt_i16_e32 vcc, -1, v17
	v_cndmask_b32_e32 v3, v10, v11, vcc
	v_xor_b32_sdwa v3, v3, v17 dst_sel:DWORD dst_unused:UNUSED_PAD src0_sel:DWORD src1_sel:WORD_0
	v_cmp_o_f16_e32 vcc, v17, v17
	v_cndmask_b32_e32 v6, v10, v3, vcc
	v_cmp_lt_u32_e32 vcc, s26, v6
	v_cndmask_b32_e64 v3, 0, 1, vcc
	v_cmp_gt_u32_e32 vcc, s26, v6
	v_cndmask_b32_e64 v7, 0, 1, vcc
	v_cndmask_b32_e64 v3, v7, v3, s[4:5]
	v_cmp_eq_u32_e32 vcc, s26, v6
	v_and_b32_e32 v3, 1, v3
	v_cndmask_b32_e64 v6, 0, 1, vcc
.LBB209_37:                             ;   in Loop: Header=BB209_35 Depth=1
	s_or_b64 exec, exec, s[14:15]
	ds_write_b32 v5, v3
	s_waitcnt lgkmcnt(0)
	s_barrier
	s_and_saveexec_b64 s[14:15], s[6:7]
	s_cbranch_execz .LBB209_39
; %bb.38:                               ;   in Loop: Header=BB209_35 Depth=1
	ds_read2_b32 v[18:19], v8 offset1:1
	ds_read2_b32 v[20:21], v8 offset0:2 offset1:3
	v_cmp_ne_u32_e32 vcc, 0, v13
	; wave barrier
	s_waitcnt lgkmcnt(1)
	v_add_u32_e32 v7, v19, v18
	s_waitcnt lgkmcnt(0)
	v_add3_u32 v7, v7, v20, v21
	s_nop 1
	v_mov_b32_dpp v19, v7 row_shr:1 row_mask:0xf bank_mask:0xf
	v_cndmask_b32_e32 v19, 0, v19, vcc
	v_add_u32_e32 v7, v19, v7
	v_cmp_lt_u32_e32 vcc, 1, v13
	s_nop 0
	v_mov_b32_dpp v19, v7 row_shr:2 row_mask:0xf bank_mask:0xf
	v_cndmask_b32_e32 v19, 0, v19, vcc
	v_add_u32_e32 v7, v7, v19
	v_cmp_lt_u32_e32 vcc, 3, v13
	;; [unrolled: 5-line block ×4, first 2 shown]
	s_nop 0
	v_mov_b32_dpp v19, v7 row_bcast:15 row_mask:0xf bank_mask:0xf
	v_and_b32_e32 v19, v14, v19
	v_add_u32_e32 v7, v7, v19
	s_nop 1
	v_mov_b32_dpp v19, v7 row_bcast:31 row_mask:0xf bank_mask:0xf
	v_cndmask_b32_e32 v19, 0, v19, vcc
	v_cmp_lt_i32_e32 vcc, v15, v16
	v_add_u32_e32 v7, v7, v19
	v_cndmask_b32_e32 v19, v15, v12, vcc
	v_lshlrev_b32_e32 v19, 2, v19
	ds_bpermute_b32 v7, v19, v7
	s_waitcnt lgkmcnt(0)
	v_add_u32_e32 v7, v7, v18
	v_cndmask_b32_e64 v7, v7, v3, s[2:3]
	ds_write_b32 v8, v7
	; wave barrier
	ds_read2_b32 v[18:19], v8 offset0:1 offset1:2
	ds_read_b32 v20, v8 offset:12
	s_waitcnt lgkmcnt(1)
	v_add_u32_e32 v7, v18, v7
	v_add_u32_e32 v18, v19, v7
	ds_write2_b32 v8, v7, v18 offset0:1 offset1:2
	s_waitcnt lgkmcnt(1)
	v_add_u32_e32 v7, v20, v18
	ds_write_b32 v8, v7 offset:12
.LBB209_39:                             ;   in Loop: Header=BB209_35 Depth=1
	s_or_b64 exec, exec, s[14:15]
	v_mov_b32_e32 v7, 0
	s_waitcnt lgkmcnt(0)
	s_barrier
	s_and_saveexec_b64 s[14:15], s[0:1]
	s_cbranch_execz .LBB209_41
; %bb.40:                               ;   in Loop: Header=BB209_35 Depth=1
	ds_read_b32 v7, v9
.LBB209_41:                             ;   in Loop: Header=BB209_35 Depth=1
	s_or_b64 exec, exec, s[14:15]
	ds_read_b32 v18, v1 offset:1048
	v_cmp_ne_u32_e32 vcc, 0, v3
	s_waitcnt lgkmcnt(0)
	s_barrier
	s_and_saveexec_b64 s[14:15], vcc
	s_cbranch_execz .LBB209_43
; %bb.42:                               ;   in Loop: Header=BB209_35 Depth=1
	v_add_u32_e32 v3, v7, v4
	v_mad_u64_u32 v[20:21], s[28:29], v3, s24, 0
	v_mov_b32_e32 v22, v21
	v_mad_u64_u32 v[22:23], s[28:29], v3, s25, v[22:23]
	v_mov_b32_e32 v21, v22
	v_lshlrev_b64 v[20:21], 1, v[20:21]
	v_mov_b32_e32 v7, s19
	v_add_co_u32_e32 v20, vcc, s18, v20
	v_addc_co_u32_e32 v21, vcc, v7, v21, vcc
	global_store_short v[20:21], v17, off
	v_mad_u64_u32 v[20:21], s[28:29], v3, s12, 0
	v_mov_b32_e32 v22, v21
	v_mad_u64_u32 v[22:23], s[28:29], v3, s13, v[22:23]
	v_mov_b32_e32 v21, v22
	v_lshlrev_b64 v[20:21], 3, v[20:21]
	v_mov_b32_e32 v3, s23
	v_add_co_u32_e32 v20, vcc, s22, v20
	v_addc_co_u32_e32 v21, vcc, v3, v21, vcc
	global_store_dwordx2 v[20:21], v[0:1], off
.LBB209_43:                             ;   in Loop: Header=BB209_35 Depth=1
	s_or_b64 exec, exec, s[14:15]
	v_mov_b32_e32 v3, v1
	v_cmp_le_u64_e32 vcc, s[10:11], v[2:3]
	s_cbranch_vccnz .LBB209_34
; %bb.44:                               ;   in Loop: Header=BB209_35 Depth=1
	ds_write_b32 v5, v6
	s_waitcnt lgkmcnt(0)
	s_barrier
	s_and_saveexec_b64 s[14:15], s[6:7]
	s_cbranch_execz .LBB209_46
; %bb.45:                               ;   in Loop: Header=BB209_35 Depth=1
	ds_read2_b32 v[20:21], v8 offset1:1
	ds_read2_b32 v[22:23], v8 offset0:2 offset1:3
	v_cmp_ne_u32_e32 vcc, 0, v13
	; wave barrier
	s_waitcnt lgkmcnt(1)
	v_add_u32_e32 v3, v21, v20
	s_waitcnt lgkmcnt(0)
	v_add3_u32 v3, v3, v22, v23
	s_nop 1
	v_mov_b32_dpp v7, v3 row_shr:1 row_mask:0xf bank_mask:0xf
	v_cndmask_b32_e32 v7, 0, v7, vcc
	v_add_u32_e32 v3, v7, v3
	v_cmp_lt_u32_e32 vcc, 1, v13
	s_nop 0
	v_mov_b32_dpp v7, v3 row_shr:2 row_mask:0xf bank_mask:0xf
	v_cndmask_b32_e32 v7, 0, v7, vcc
	v_add_u32_e32 v3, v3, v7
	v_cmp_lt_u32_e32 vcc, 3, v13
	;; [unrolled: 5-line block ×4, first 2 shown]
	s_nop 0
	v_mov_b32_dpp v7, v3 row_bcast:15 row_mask:0xf bank_mask:0xf
	v_and_b32_e32 v7, v14, v7
	v_add_u32_e32 v3, v3, v7
	s_nop 1
	v_mov_b32_dpp v7, v3 row_bcast:31 row_mask:0xf bank_mask:0xf
	v_cndmask_b32_e32 v7, 0, v7, vcc
	v_cmp_lt_i32_e32 vcc, v15, v16
	v_add_u32_e32 v3, v3, v7
	v_cndmask_b32_e32 v7, v15, v12, vcc
	v_lshlrev_b32_e32 v7, 2, v7
	ds_bpermute_b32 v3, v7, v3
	s_waitcnt lgkmcnt(0)
	v_add_u32_e32 v3, v3, v20
	v_cndmask_b32_e64 v3, v3, v6, s[2:3]
	ds_write_b32 v8, v3
	; wave barrier
	ds_read2_b32 v[20:21], v8 offset0:1 offset1:2
	ds_read_b32 v7, v8 offset:12
	s_waitcnt lgkmcnt(1)
	v_add_u32_e32 v3, v20, v3
	v_add_u32_e32 v19, v21, v3
	ds_write2_b32 v8, v3, v19 offset0:1 offset1:2
	s_waitcnt lgkmcnt(1)
	v_add_u32_e32 v3, v7, v19
	ds_write_b32 v8, v3 offset:12
.LBB209_46:                             ;   in Loop: Header=BB209_35 Depth=1
	s_or_b64 exec, exec, s[14:15]
	v_mov_b32_e32 v7, 0
	s_waitcnt lgkmcnt(0)
	s_barrier
	s_and_saveexec_b64 s[14:15], s[0:1]
	s_cbranch_execz .LBB209_48
; %bb.47:                               ;   in Loop: Header=BB209_35 Depth=1
	ds_read_b32 v7, v9
.LBB209_48:                             ;   in Loop: Header=BB209_35 Depth=1
	s_or_b64 exec, exec, s[14:15]
	ds_read_b32 v3, v1 offset:1048
	v_cmp_ne_u32_e32 vcc, 0, v6
	s_waitcnt lgkmcnt(0)
	s_barrier
	s_and_saveexec_b64 s[14:15], vcc
	s_cbranch_execz .LBB209_33
; %bb.49:                               ;   in Loop: Header=BB209_35 Depth=1
	v_add_u32_e32 v6, v7, v2
	v_mov_b32_e32 v7, v1
	v_cmp_gt_u64_e32 vcc, s[10:11], v[6:7]
	s_and_b64 exec, exec, vcc
	s_cbranch_execz .LBB209_33
; %bb.50:                               ;   in Loop: Header=BB209_35 Depth=1
	v_mad_u64_u32 v[20:21], s[28:29], v6, s24, 0
	v_mov_b32_e32 v22, v21
	v_mad_u64_u32 v[22:23], s[28:29], v6, s25, v[22:23]
	v_mov_b32_e32 v21, v22
	v_lshlrev_b64 v[20:21], 1, v[20:21]
	v_mov_b32_e32 v7, s19
	v_add_co_u32_e32 v20, vcc, s18, v20
	v_addc_co_u32_e32 v21, vcc, v7, v21, vcc
	global_store_short v[20:21], v17, off
	v_mad_u64_u32 v[20:21], s[28:29], v6, s12, 0
	v_mov_b32_e32 v22, v21
	v_mad_u64_u32 v[6:7], s[28:29], v6, s13, v[22:23]
	v_mov_b32_e32 v21, v6
	v_lshlrev_b64 v[6:7], 3, v[20:21]
	v_mov_b32_e32 v19, s23
	v_add_co_u32_e32 v6, vcc, s22, v6
	v_addc_co_u32_e32 v7, vcc, v19, v7, vcc
	global_store_dwordx2 v[6:7], v[0:1], off
	s_branch .LBB209_33
.LBB209_51:                             ;   in Loop: Header=BB209_52 Depth=1
	s_add_u32 s24, s24, 4
	s_addc_u32 s25, s25, 0
	s_waitcnt lgkmcnt(0)
	s_add_i32 s52, s23, s52
	s_add_u32 s26, s26, 4
	s_addc_u32 s27, s27, 0
	s_add_i32 s22, s22, 1
	s_cmp_lt_u32 s22, s35
	s_cbranch_scc0 .LBB209_30
.LBB209_52:                             ; =>This Inner Loop Header: Depth=1
	s_load_dword s23, s[24:25], 0x0
	s_cmp_ge_u32 s22, s76
	s_cbranch_scc1 .LBB209_51
; %bb.53:                               ;   in Loop: Header=BB209_52 Depth=1
	s_load_dword s57, s[26:27], 0x0
	s_waitcnt lgkmcnt(0)
	s_add_i32 s53, s23, s53
	s_add_i32 s51, s57, s51
	s_branch .LBB209_51
.LBB209_54:
	s_endpgm
	.section	.rodata,"a",@progbits
	.p2align	6, 0x0
	.amdhsa_kernel _ZN2at6native6mbtopk10gatherTopKIN3c104HalfEmLi3EEEvNS_4cuda6detail10TensorInfoIKT_T0_EESA_SA_bjSA_NS7_IS8_SA_EESA_NS7_IlSA_EESA_jjPS8_PjSF_j
		.amdhsa_group_segment_fixed_size 1068
		.amdhsa_private_segment_fixed_size 0
		.amdhsa_kernarg_size 1592
		.amdhsa_user_sgpr_count 6
		.amdhsa_user_sgpr_private_segment_buffer 1
		.amdhsa_user_sgpr_dispatch_ptr 0
		.amdhsa_user_sgpr_queue_ptr 0
		.amdhsa_user_sgpr_kernarg_segment_ptr 1
		.amdhsa_user_sgpr_dispatch_id 0
		.amdhsa_user_sgpr_flat_scratch_init 0
		.amdhsa_user_sgpr_kernarg_preload_length 0
		.amdhsa_user_sgpr_kernarg_preload_offset 0
		.amdhsa_user_sgpr_private_segment_size 0
		.amdhsa_uses_dynamic_stack 0
		.amdhsa_system_sgpr_private_segment_wavefront_offset 0
		.amdhsa_system_sgpr_workgroup_id_x 1
		.amdhsa_system_sgpr_workgroup_id_y 1
		.amdhsa_system_sgpr_workgroup_id_z 1
		.amdhsa_system_sgpr_workgroup_info 0
		.amdhsa_system_vgpr_workitem_id 0
		.amdhsa_next_free_vgpr 24
		.amdhsa_next_free_sgpr 78
		.amdhsa_accum_offset 24
		.amdhsa_reserve_vcc 1
		.amdhsa_reserve_flat_scratch 0
		.amdhsa_float_round_mode_32 0
		.amdhsa_float_round_mode_16_64 0
		.amdhsa_float_denorm_mode_32 3
		.amdhsa_float_denorm_mode_16_64 3
		.amdhsa_dx10_clamp 1
		.amdhsa_ieee_mode 1
		.amdhsa_fp16_overflow 0
		.amdhsa_tg_split 0
		.amdhsa_exception_fp_ieee_invalid_op 0
		.amdhsa_exception_fp_denorm_src 0
		.amdhsa_exception_fp_ieee_div_zero 0
		.amdhsa_exception_fp_ieee_overflow 0
		.amdhsa_exception_fp_ieee_underflow 0
		.amdhsa_exception_fp_ieee_inexact 0
		.amdhsa_exception_int_div_zero 0
	.end_amdhsa_kernel
	.section	.text._ZN2at6native6mbtopk10gatherTopKIN3c104HalfEmLi3EEEvNS_4cuda6detail10TensorInfoIKT_T0_EESA_SA_bjSA_NS7_IS8_SA_EESA_NS7_IlSA_EESA_jjPS8_PjSF_j,"axG",@progbits,_ZN2at6native6mbtopk10gatherTopKIN3c104HalfEmLi3EEEvNS_4cuda6detail10TensorInfoIKT_T0_EESA_SA_bjSA_NS7_IS8_SA_EESA_NS7_IlSA_EESA_jjPS8_PjSF_j,comdat
.Lfunc_end209:
	.size	_ZN2at6native6mbtopk10gatherTopKIN3c104HalfEmLi3EEEvNS_4cuda6detail10TensorInfoIKT_T0_EESA_SA_bjSA_NS7_IS8_SA_EESA_NS7_IlSA_EESA_jjPS8_PjSF_j, .Lfunc_end209-_ZN2at6native6mbtopk10gatherTopKIN3c104HalfEmLi3EEEvNS_4cuda6detail10TensorInfoIKT_T0_EESA_SA_bjSA_NS7_IS8_SA_EESA_NS7_IlSA_EESA_jjPS8_PjSF_j
                                        ; -- End function
	.section	.AMDGPU.csdata,"",@progbits
; Kernel info:
; codeLenInByte = 3324
; NumSgprs: 82
; NumVgprs: 24
; NumAgprs: 0
; TotalNumVgprs: 24
; ScratchSize: 0
; MemoryBound: 0
; FloatMode: 240
; IeeeMode: 1
; LDSByteSize: 1068 bytes/workgroup (compile time only)
; SGPRBlocks: 10
; VGPRBlocks: 2
; NumSGPRsForWavesPerEU: 82
; NumVGPRsForWavesPerEU: 24
; AccumOffset: 24
; Occupancy: 8
; WaveLimiterHint : 1
; COMPUTE_PGM_RSRC2:SCRATCH_EN: 0
; COMPUTE_PGM_RSRC2:USER_SGPR: 6
; COMPUTE_PGM_RSRC2:TRAP_HANDLER: 0
; COMPUTE_PGM_RSRC2:TGID_X_EN: 1
; COMPUTE_PGM_RSRC2:TGID_Y_EN: 1
; COMPUTE_PGM_RSRC2:TGID_Z_EN: 1
; COMPUTE_PGM_RSRC2:TIDIG_COMP_CNT: 0
; COMPUTE_PGM_RSRC3_GFX90A:ACCUM_OFFSET: 5
; COMPUTE_PGM_RSRC3_GFX90A:TG_SPLIT: 0
	.section	.text._ZN2at6native6sbtopk10gatherTopKIN3c104HalfEmLi3ELb0EEEvNS_4cuda6detail10TensorInfoIKT_T0_EESA_SA_bSA_SA_NS7_IS8_SA_EESA_NS7_IlSA_EESA_PS8_,"axG",@progbits,_ZN2at6native6sbtopk10gatherTopKIN3c104HalfEmLi3ELb0EEEvNS_4cuda6detail10TensorInfoIKT_T0_EESA_SA_bSA_SA_NS7_IS8_SA_EESA_NS7_IlSA_EESA_PS8_,comdat
	.protected	_ZN2at6native6sbtopk10gatherTopKIN3c104HalfEmLi3ELb0EEEvNS_4cuda6detail10TensorInfoIKT_T0_EESA_SA_bSA_SA_NS7_IS8_SA_EESA_NS7_IlSA_EESA_PS8_ ; -- Begin function _ZN2at6native6sbtopk10gatherTopKIN3c104HalfEmLi3ELb0EEEvNS_4cuda6detail10TensorInfoIKT_T0_EESA_SA_bSA_SA_NS7_IS8_SA_EESA_NS7_IlSA_EESA_PS8_
	.globl	_ZN2at6native6sbtopk10gatherTopKIN3c104HalfEmLi3ELb0EEEvNS_4cuda6detail10TensorInfoIKT_T0_EESA_SA_bSA_SA_NS7_IS8_SA_EESA_NS7_IlSA_EESA_PS8_
	.p2align	8
	.type	_ZN2at6native6sbtopk10gatherTopKIN3c104HalfEmLi3ELb0EEEvNS_4cuda6detail10TensorInfoIKT_T0_EESA_SA_bSA_SA_NS7_IS8_SA_EESA_NS7_IlSA_EESA_PS8_,@function
_ZN2at6native6sbtopk10gatherTopKIN3c104HalfEmLi3ELb0EEEvNS_4cuda6detail10TensorInfoIKT_T0_EESA_SA_bSA_SA_NS7_IS8_SA_EESA_NS7_IlSA_EESA_PS8_: ; @_ZN2at6native6sbtopk10gatherTopKIN3c104HalfEmLi3ELb0EEEvNS_4cuda6detail10TensorInfoIKT_T0_EESA_SA_bSA_SA_NS7_IS8_SA_EESA_NS7_IlSA_EESA_PS8_
; %bb.0:
	s_load_dwordx4 s[56:59], s[4:5], 0x1b8
	s_load_dwordx2 s[18:19], s[4:5], 0x520
	s_mov_b64 s[26:27], s[4:5]
	s_add_u32 s16, s26, 0x520
	s_addc_u32 s17, s27, 0
	s_waitcnt lgkmcnt(0)
	v_mov_b32_e32 v2, s56
	s_mul_i32 s0, s19, s8
	s_add_i32 s0, s0, s7
	s_mul_i32 s0, s0, s18
	v_mov_b32_e32 v3, s57
	s_add_i32 s28, s0, s6
	s_mov_b32 s29, 0
	v_cmp_ge_u64_e32 vcc, s[28:29], v[2:3]
	s_cbranch_vccnz .LBB210_492
; %bb.1:
	s_load_dwordx4 s[0:3], s[26:27], 0x10
	s_mov_b64 s[8:9], 0
	s_mov_b64 s[4:5], 0
	s_waitcnt lgkmcnt(0)
	v_pk_mov_b32 v[2:3], s[2:3], s[2:3] op_sel:[0,1]
	v_cmp_lt_u64_e32 vcc, s[28:29], v[2:3]
	s_cbranch_vccnz .LBB210_3
; %bb.2:
	v_cvt_f32_u32_e32 v1, s2
	s_sub_i32 s4, 0, s2
	s_mov_b32 s5, 0
	v_rcp_iflag_f32_e32 v1, v1
	v_mul_f32_e32 v1, 0x4f7ffffe, v1
	v_cvt_u32_f32_e32 v1, v1
	v_readfirstlane_b32 s7, v1
	s_mul_i32 s4, s4, s7
	s_mul_hi_u32 s4, s7, s4
	s_add_i32 s7, s7, s4
	s_mul_hi_u32 s4, s28, s7
	s_mul_i32 s9, s4, s2
	s_sub_i32 s9, s28, s9
	s_add_i32 s7, s4, 1
	s_sub_i32 s10, s9, s2
	s_cmp_ge_u32 s9, s2
	s_cselect_b32 s4, s7, s4
	s_cselect_b32 s9, s10, s9
	s_add_i32 s7, s4, 1
	s_cmp_ge_u32 s9, s2
	s_cselect_b32 s4, s7, s4
.LBB210_3:
	s_load_dwordx4 s[12:15], s[26:27], 0x1d8
	v_pk_mov_b32 v[2:3], s[0:1], s[0:1] op_sel:[0,1]
	v_cmp_lt_u64_e32 vcc, s[4:5], v[2:3]
	s_cbranch_vccnz .LBB210_5
; %bb.4:
	v_cvt_f32_u32_e32 v1, s0
	s_sub_i32 s7, 0, s0
	v_rcp_iflag_f32_e32 v1, v1
	v_mul_f32_e32 v1, 0x4f7ffffe, v1
	v_cvt_u32_f32_e32 v1, v1
	v_readfirstlane_b32 s8, v1
	s_mul_i32 s7, s7, s8
	s_mul_hi_u32 s7, s8, s7
	s_add_i32 s8, s8, s7
	s_mul_hi_u32 s7, s4, s8
	s_mul_i32 s9, s7, s0
	s_sub_i32 s9, s4, s9
	s_add_i32 s8, s7, 1
	s_sub_i32 s10, s9, s0
	s_cmp_ge_u32 s9, s0
	s_cselect_b32 s7, s8, s7
	s_cselect_b32 s9, s10, s9
	s_add_i32 s8, s7, 1
	s_cmp_ge_u32 s9, s0
	s_cselect_b32 s8, s8, s7
.LBB210_5:
	s_waitcnt lgkmcnt(0)
	v_pk_mov_b32 v[2:3], s[14:15], s[14:15] op_sel:[0,1]
	v_cmp_lt_u64_e32 vcc, s[28:29], v[2:3]
	s_mov_b64 s[10:11], 0
                                        ; implicit-def: $vgpr49 : SGPR spill to VGPR lane
	v_writelane_b32 v49, s10, 0
	s_mov_b64 s[20:21], 0
	v_writelane_b32 v49, s11, 1
	s_cbranch_vccnz .LBB210_7
; %bb.6:
	v_cvt_f32_u32_e32 v1, s14
	s_sub_i32 s7, 0, s14
	s_mov_b32 s21, 0
	v_rcp_iflag_f32_e32 v1, v1
	v_mul_f32_e32 v1, 0x4f7ffffe, v1
	v_cvt_u32_f32_e32 v1, v1
	v_readfirstlane_b32 s9, v1
	s_mul_i32 s7, s7, s9
	s_mul_hi_u32 s7, s9, s7
	s_add_i32 s9, s9, s7
	s_mul_hi_u32 s7, s28, s9
	s_mul_i32 s10, s7, s14
	s_sub_i32 s10, s28, s10
	s_add_i32 s9, s7, 1
	s_sub_i32 s11, s10, s14
	s_cmp_ge_u32 s10, s14
	s_cselect_b32 s7, s9, s7
	s_cselect_b32 s10, s11, s10
	s_add_i32 s9, s7, 1
	s_cmp_ge_u32 s10, s14
	s_cselect_b32 s20, s9, s7
.LBB210_7:
	s_load_dwordx4 s[36:39], s[26:27], 0x380
	v_pk_mov_b32 v[2:3], s[12:13], s[12:13] op_sel:[0,1]
	v_cmp_lt_u64_e32 vcc, s[20:21], v[2:3]
	s_cbranch_vccnz .LBB210_9
; %bb.8:
	v_cvt_f32_u32_e32 v1, s12
	s_sub_i32 s7, 0, s12
	v_rcp_iflag_f32_e32 v1, v1
	v_mul_f32_e32 v1, 0x4f7ffffe, v1
	v_cvt_u32_f32_e32 v1, v1
	v_readfirstlane_b32 s9, v1
	s_mul_i32 s7, s7, s9
	s_mul_hi_u32 s7, s9, s7
	s_add_i32 s9, s9, s7
	s_mul_hi_u32 s7, s20, s9
	s_mul_i32 s10, s7, s12
	s_sub_i32 s10, s20, s10
	s_add_i32 s9, s7, 1
	s_sub_i32 s11, s10, s12
	s_cmp_ge_u32 s10, s12
	s_cselect_b32 s7, s9, s7
	s_cselect_b32 s10, s11, s10
	s_add_i32 s9, s7, 1
	s_cmp_ge_u32 s10, s12
	s_cselect_b32 s10, s9, s7
	v_writelane_b32 v49, s10, 0
	v_writelane_b32 v49, s11, 1
.LBB210_9:
	v_writelane_b32 v49, s20, 2
	v_writelane_b32 v49, s21, 3
	;; [unrolled: 1-line block ×6, first 2 shown]
	s_load_dwordx2 s[10:11], s[26:27], 0xe0
	s_load_dwordx4 s[12:15], s[26:27], 0xd0
	s_waitcnt lgkmcnt(0)
	v_pk_mov_b32 v[2:3], s[38:39], s[38:39] op_sel:[0,1]
	s_mov_b64 s[20:21], 0
	v_cmp_lt_u64_e32 vcc, s[28:29], v[2:3]
	v_writelane_b32 v49, s20, 8
	v_writelane_b32 v49, s21, 9
	s_mov_b64 s[20:21], 0
	s_cbranch_vccnz .LBB210_11
; %bb.10:
	v_cvt_f32_u32_e32 v1, s38
	s_sub_i32 s7, 0, s38
	s_mov_b32 s21, 0
	v_rcp_iflag_f32_e32 v1, v1
	v_mul_f32_e32 v1, 0x4f7ffffe, v1
	v_cvt_u32_f32_e32 v1, v1
	v_readfirstlane_b32 s9, v1
	s_mul_i32 s7, s7, s9
	s_mul_hi_u32 s7, s9, s7
	s_add_i32 s9, s9, s7
	s_mul_hi_u32 s7, s28, s9
	s_mul_i32 s19, s7, s38
	s_sub_i32 s19, s28, s19
	s_add_i32 s9, s7, 1
	s_sub_i32 s20, s19, s38
	s_cmp_ge_u32 s19, s38
	s_cselect_b32 s7, s9, s7
	s_cselect_b32 s19, s20, s19
	s_add_i32 s9, s7, 1
	s_cmp_ge_u32 s19, s38
	s_cselect_b32 s20, s9, s7
.LBB210_11:
	s_load_dwordx2 s[22:23], s[26:27], 0x450
	s_load_dwordx4 s[40:43], s[26:27], 0x440
	v_pk_mov_b32 v[2:3], s[36:37], s[36:37] op_sel:[0,1]
	s_waitcnt lgkmcnt(0)
	v_writelane_b32 v49, s22, 10
	v_writelane_b32 v49, s23, 11
	s_load_dwordx2 s[22:23], s[26:27], 0x2a8
	v_writelane_b32 v49, s40, 12
	v_writelane_b32 v49, s41, 13
	;; [unrolled: 1-line block ×4, first 2 shown]
	s_load_dwordx4 s[40:43], s[26:27], 0x298
	s_waitcnt lgkmcnt(0)
	v_writelane_b32 v49, s22, 16
	v_writelane_b32 v49, s23, 17
	s_mov_b64 s[22:23], s[20:21]
	s_load_dwordx2 s[20:21], s[26:27], 0x0
	v_writelane_b32 v49, s40, 18
	v_writelane_b32 v49, s41, 19
	;; [unrolled: 1-line block ×5, first 2 shown]
	v_cmp_lt_u64_e32 vcc, s[22:23], v[2:3]
	v_writelane_b32 v49, s23, 23
	s_cbranch_vccnz .LBB210_13
; %bb.12:
	v_cvt_f32_u32_e32 v1, s36
	s_sub_i32 s7, 0, s36
	v_readlane_b32 s22, v49, 22
	v_readlane_b32 s23, v49, 23
	v_rcp_iflag_f32_e32 v1, v1
	v_mul_f32_e32 v1, 0x4f7ffffe, v1
	v_cvt_u32_f32_e32 v1, v1
	v_readfirstlane_b32 s9, v1
	s_mul_i32 s7, s7, s9
	s_mul_hi_u32 s7, s9, s7
	s_add_i32 s9, s9, s7
	s_mul_hi_u32 s7, s22, s9
	s_mul_i32 s19, s7, s36
	s_sub_i32 s19, s22, s19
	s_add_i32 s9, s7, 1
	s_sub_i32 s22, s19, s36
	s_cmp_ge_u32 s19, s36
	s_cselect_b32 s7, s9, s7
	s_cselect_b32 s19, s22, s19
	s_add_i32 s9, s7, 1
	s_cmp_ge_u32 s19, s36
	s_cselect_b32 s22, s9, s7
	v_writelane_b32 v49, s22, 8
	v_writelane_b32 v49, s23, 9
.LBB210_13:
	s_load_dwordx2 s[22:23], s[26:27], 0x370
	v_writelane_b32 v49, s36, 24
	v_writelane_b32 v49, s37, 25
	;; [unrolled: 1-line block ×4, first 2 shown]
	s_waitcnt lgkmcnt(0)
	v_writelane_b32 v49, s22, 28
	v_writelane_b32 v49, s23, 29
	s_load_dwordx2 s[22:23], s[26:27], 0x1c8
	s_load_dwordx4 s[60:63], s[26:27], 0x1a0
	s_mov_b32 s91, 0
	v_cmp_eq_u32_e64 s[24:25], 0, v0
	s_waitcnt lgkmcnt(0)
	v_writelane_b32 v49, s22, 30
	v_writelane_b32 v49, s23, 31
	s_mov_b64 s[22:23], exec
	v_writelane_b32 v49, s24, 32
	v_writelane_b32 v49, s25, 33
	s_and_b64 s[24:25], s[22:23], s[24:25]
	s_mov_b64 exec, s[24:25]
	s_cbranch_execz .LBB210_15
; %bb.14:
	v_mov_b32_e32 v2, 0
	v_mov_b32_e32 v4, s60
	;; [unrolled: 1-line block ×4, first 2 shown]
	ds_write_b32 v2, v2 offset:5144
	ds_write_b128 v2, v[2:5] offset:5120
.LBB210_15:
	s_or_b64 exec, exec, s[22:23]
	s_mul_i32 s1, s8, s1
	s_mul_hi_u32 s7, s8, s0
	s_add_i32 s7, s7, s1
	s_mul_i32 s0, s8, s0
	s_sub_u32 s0, s4, s0
	s_subb_u32 s1, s5, s7
	s_mul_i32 s5, s0, s15
	s_mul_hi_u32 s7, s0, s14
	s_add_i32 s5, s7, s5
	s_mul_i32 s1, s1, s14
	s_add_i32 s1, s5, s1
	s_mul_i32 s5, s8, s13
	s_mul_hi_u32 s7, s8, s12
	s_add_i32 s9, s7, s5
	s_mul_i32 s3, s4, s3
	s_mul_hi_u32 s5, s4, s2
	s_add_i32 s5, s5, s3
	s_mul_i32 s2, s4, s2
	s_mov_b32 s4, s28
	v_writelane_b32 v49, s4, 34
	s_sub_u32 s2, s28, s2
	v_writelane_b32 v49, s5, 35
	s_subb_u32 s3, 0, s5
	s_mul_i32 s4, s2, s11
	s_mul_hi_u32 s5, s2, s10
	s_mul_i32 s8, s8, s12
	s_add_i32 s4, s5, s4
	s_mul_i32 s3, s3, s10
	s_add_i32 s3, s4, s3
	s_lshl_b64 s[4:5], s[8:9], 1
	s_mul_i32 s0, s0, s14
	s_add_u32 s4, s20, s4
	s_addc_u32 s5, s21, s5
	s_lshl_b64 s[0:1], s[0:1], 1
	v_writelane_b32 v49, s26, 36
	s_load_dword s7, s[26:27], 0x1b0
	s_mul_i32 s2, s2, s10
	s_add_u32 s4, s4, s0
	s_addc_u32 s5, s5, s1
	s_lshl_b64 s[0:1], s[2:3], 1
	s_add_u32 s33, s4, s0
	s_addc_u32 s88, s5, s1
	s_waitcnt lgkmcnt(0)
	s_bitcmp1_b32 s7, 0
	v_writelane_b32 v49, s27, 37
	s_cselect_b64 s[0:1], -1, 0
	v_writelane_b32 v49, s0, 38
	v_mbcnt_lo_u32_b32 v1, -1, 0
	v_writelane_b32 v49, s1, 39
	s_xor_b64 s[0:1], s[0:1], -1
	v_mbcnt_hi_u32_b32 v25, -1, v1
	v_writelane_b32 v49, s0, 40
	v_cmp_gt_u32_e32 vcc, 64, v0
	v_cmp_gt_i32_e64 s[10:11], 4, v25
	v_writelane_b32 v49, s1, 41
	s_and_b64 s[2:3], vcc, s[10:11]
	v_mov_b32_e32 v2, 0x600
	v_writelane_b32 v49, s2, 42
	v_mov_b32_e32 v3, 0
	v_writelane_b32 v49, s3, 43
	v_cmp_gt_u64_e64 s[2:3], s[60:61], v[2:3]
	v_writelane_b32 v49, s2, 44
	v_writelane_b32 v49, s3, 45
	v_mad_u64_u32 v[2:3], s[2:3], v0, s58, 0
	v_mov_b32_e32 v15, 0
	v_mov_b32_e32 v4, v3
	;; [unrolled: 1-line block ×3, first 2 shown]
	v_mad_u64_u32 v[4:5], s[2:3], v0, s59, v[4:5]
	v_cmp_gt_u64_e64 s[2:3], s[60:61], v[0:1]
	v_writelane_b32 v49, s2, 46
	v_writelane_b32 v49, s3, 47
	v_cmp_gt_u32_e64 s[2:3], 2, v0
	v_writelane_b32 v49, s2, 48
	s_barrier
	v_writelane_b32 v49, s3, 49
	s_load_dword s2, s[16:17], 0xc
	v_mov_b32_e32 v3, v4
	v_lshlrev_b64 v[2:3], 1, v[2:3]
	v_add_co_u32_e32 v12, vcc, s33, v2
	s_waitcnt lgkmcnt(0)
	s_and_b32 s89, s2, 0xffff
	s_bfe_u32 s3, s2, 0xa0006
	v_cmp_gt_u16_e64 s[4:5], s2, 63
	v_writelane_b32 v49, s4, 50
	s_add_u32 s2, s89, -1
	v_writelane_b32 v49, s5, 51
	s_addc_u32 s4, 0, -1
	v_writelane_b32 v49, s2, 52
	s_add_u32 s2, s2, s60
	s_addc_u32 s73, s4, s61
	s_cmp_lt_u32 s6, s18
	v_writelane_b32 v49, s2, 53
	s_cselect_b32 s2, 12, 18
	v_writelane_b32 v49, s4, 54
	s_add_u32 s4, s16, s2
	s_addc_u32 s5, s17, 0
	v_writelane_b32 v49, s4, 55
	v_writelane_b32 v49, s5, 56
	s_add_i32 s2, s3, -1
	s_bfe_u32 s5, s89, 0x30006
	s_cmp_gt_u32 s2, 6
	s_cselect_b64 s[6:7], -1, 0
	v_lshrrev_b32_e32 v2, 4, v0
	v_writelane_b32 v49, s6, 57
	s_and_b32 s4, s3, 0x3f8
	v_mov_b32_e32 v26, s88
	v_and_b32_e32 v27, 60, v2
	v_lshlrev_b32_e32 v2, 2, v25
	v_writelane_b32 v49, s7, 58
	s_cmp_lg_u32 s5, 0
	v_addc_co_u32_e32 v13, vcc, v26, v3, vcc
	v_and_b32_e32 v24, 0x100, v2
	v_lshlrev_b64 v[2:3], v25, -1
	v_writelane_b32 v49, s5, 59
	s_cselect_b64 s[2:3], -1, 0
	v_lshlrev_b32_e32 v28, 1, v0
	v_not_b32_e32 v10, v2
	v_writelane_b32 v49, s2, 60
	v_mov_b32_e32 v2, 0xc00
	v_cmp_eq_u32_e64 s[0:1], 0, v25
	v_lshlrev_b32_e32 v16, 2, v0
	v_mov_b32_e32 v17, v15
	v_add_u32_e32 v29, 0xc00, v28
	v_not_b32_e32 v11, v3
	s_mov_b32 s74, s91
	v_writelane_b32 v49, s3, 61
	v_lshlrev_b32_e32 v30, 3, v0
	v_lshl_or_b32 v31, v25, 3, v2
	s_lshl_b32 s5, s89, 1
	s_mov_b32 s75, 14
	s_mov_b64 s[82:83], 0
	v_pk_mov_b32 v[18:19], s[62:63], s[62:63] op_sel:[0,1]
	v_mov_b32_e32 v32, 0xffff
	v_mov_b32_e32 v33, 0x8000
	;; [unrolled: 1-line block ×3, first 2 shown]
	v_mov_b32_e32 v35, -1
	v_mov_b32_e32 v36, 0x5040100
	v_mov_b32_e32 v39, 0
	s_mov_b32 s6, 0
	v_mov_b32_e32 v38, 0
	v_mov_b32_e32 v37, 0
                                        ; implicit-def: $sgpr2_sgpr3
                                        ; implicit-def: $sgpr84_sgpr85
                                        ; implicit-def: $sgpr66_sgpr67
                                        ; implicit-def: $sgpr68_sgpr69
                                        ; implicit-def: $sgpr64_sgpr65
                                        ; implicit-def: $sgpr70_sgpr71
                                        ; implicit-def: $sgpr80_sgpr81
	v_writelane_b32 v49, s6, 62
                                        ; implicit-def: $sgpr86_sgpr87
                                        ; implicit-def: $sgpr76_sgpr77
                                        ; implicit-def: $sgpr78_sgpr79
	s_branch .LBB210_18
.LBB210_16:                             ;   in Loop: Header=BB210_18 Depth=1
	s_or_b64 exec, exec, s[12:13]
	s_andn2_b64 s[12:13], s[78:79], exec
	s_and_b64 s[10:11], s[10:11], exec
	s_or_b64 s[78:79], s[12:13], s[10:11]
	s_andn2_b64 s[76:77], s[76:77], exec
	s_andn2_b64 s[86:87], s[86:87], exec
	;; [unrolled: 1-line block ×4, first 2 shown]
	s_orn2_b64 s[8:9], s[8:9], exec
	v_mov_b32_e32 v37, v9
	v_mov_b32_e32 v38, v8
	v_pk_mov_b32 v[18:19], v[2:3], v[2:3] op_sel:[0,1]
	v_mov_b32_e32 v39, v6
.LBB210_17:                             ;   in Loop: Header=BB210_18 Depth=1
	s_or_b64 exec, exec, s[6:7]
	s_and_b64 s[6:7], exec, s[8:9]
	s_or_b64 s[82:83], s[6:7], s[82:83]
	s_andn2_b64 s[6:7], s[64:65], exec
	s_and_b64 s[8:9], s[78:79], exec
	s_or_b64 s[64:65], s[6:7], s[8:9]
	s_andn2_b64 s[6:7], s[68:69], exec
	s_and_b64 s[8:9], s[76:77], exec
	;; [unrolled: 3-line block ×5, first 2 shown]
	s_or_b64 s[2:3], s[2:3], s[6:7]
	s_andn2_b64 exec, exec, s[82:83]
	s_cbranch_execz .LBB210_488
.LBB210_18:                             ; =>This Loop Header: Depth=1
                                        ;     Child Loop BB210_23 Depth 2
                                        ;     Child Loop BB210_38 Depth 2
	;; [unrolled: 1-line block ×24, first 2 shown]
	ds_read_b128 v[2:5], v15 offset:5120
	s_waitcnt lgkmcnt(0)
	v_readfirstlane_b32 s31, v3
	v_readfirstlane_b32 s30, v2
	s_cmp_lg_u64 s[30:31], 0
	s_cbranch_scc1 .LBB210_45
; %bb.19:                               ;   in Loop: Header=BB210_18 Depth=1
	v_readlane_b32 s6, v49, 44
	v_readlane_b32 s7, v49, 45
	s_and_b64 vcc, exec, s[6:7]
	s_cbranch_vccz .LBB210_31
; %bb.20:                               ;   in Loop: Header=BB210_18 Depth=1
	s_mov_b64 s[6:7], 0x601
	v_cmp_gt_u64_e32 vcc, s[6:7], v[4:5]
	s_mov_b64 s[30:31], 0
	s_mov_b64 s[6:7], 0
	s_cbranch_vccz .LBB210_32
; %bb.21:                               ;   in Loop: Header=BB210_18 Depth=1
	v_readlane_b32 s6, v49, 55
	v_readlane_b32 s7, v49, 56
	global_load_ushort v5, v[12:13], off
	s_mov_b64 s[8:9], 0
	v_pk_mov_b32 v[2:3], v[0:1], v[0:1] op_sel:[0,1]
	s_nop 1
	global_load_ushort v4, v15, s[6:7]
	s_branch .LBB210_23
.LBB210_22:                             ;   in Loop: Header=BB210_23 Depth=2
	s_or_b64 exec, exec, s[6:7]
	s_waitcnt vmcnt(0)
	v_mov_b32_e32 v5, v6
	s_andn2_b64 exec, exec, s[8:9]
	s_cbranch_execz .LBB210_104
.LBB210_23:                             ;   Parent Loop BB210_18 Depth=1
                                        ; =>  This Inner Loop Header: Depth=2
	s_waitcnt vmcnt(0)
	v_add_co_u32_sdwa v2, vcc, v2, v4 dst_sel:DWORD dst_unused:UNUSED_PAD src0_sel:DWORD src1_sel:WORD_0
	v_addc_co_u32_e32 v3, vcc, 0, v3, vcc
	v_cmp_gt_u64_e64 s[6:7], s[60:61], v[2:3]
	v_cmp_le_u64_e32 vcc, s[60:61], v[2:3]
	s_waitcnt lgkmcnt(0)
	v_mov_b32_e32 v7, 0
	v_mov_b32_e32 v6, 0
	s_and_saveexec_b64 s[10:11], s[6:7]
	s_cbranch_execz .LBB210_25
; %bb.24:                               ;   in Loop: Header=BB210_23 Depth=2
	v_mul_lo_u32 v6, v3, s58
	v_mul_lo_u32 v14, v2, s59
	v_mad_u64_u32 v[8:9], s[6:7], v2, s58, 0
	v_add3_u32 v9, v9, v14, v6
	v_lshlrev_b64 v[8:9], 1, v[8:9]
	v_add_co_u32_e64 v8, s[6:7], s33, v8
	v_addc_co_u32_e64 v9, s[6:7], v26, v9, s[6:7]
	global_load_ushort v6, v[8:9], off
.LBB210_25:                             ;   in Loop: Header=BB210_23 Depth=2
	s_or_b64 exec, exec, s[10:11]
	v_cmp_lt_i16_e64 s[6:7], -1, v5
	v_cndmask_b32_e64 v8, v32, v33, s[6:7]
	v_xor_b32_sdwa v8, v8, v5 dst_sel:DWORD dst_unused:UNUSED_PAD src0_sel:DWORD src1_sel:WORD_0
	v_cmp_o_f16_e64 s[6:7], v5, v5
	v_cndmask_b32_e64 v8, v32, v8, s[6:7]
	v_and_b32_e32 v8, v8, v37
	v_cmp_eq_u32_e64 s[14:15], v8, v38
	s_cmp_lg_u64 s[14:15], 0
	s_cselect_b64 s[6:7], -1, 0
	s_and_b64 s[6:7], s[0:1], s[6:7]
	s_and_saveexec_b64 s[10:11], s[6:7]
	s_cbranch_execz .LBB210_29
; %bb.26:                               ;   in Loop: Header=BB210_23 Depth=2
	s_mov_b64 s[16:17], exec
	v_mbcnt_lo_u32_b32 v7, s16, 0
	v_mbcnt_hi_u32_b32 v7, s17, v7
	s_bcnt1_i32_b64 s18, s[14:15]
	v_cmp_eq_u32_e64 s[6:7], 0, v7
                                        ; implicit-def: $vgpr8
	s_and_saveexec_b64 s[12:13], s[6:7]
	s_cbranch_execz .LBB210_28
; %bb.27:                               ;   in Loop: Header=BB210_23 Depth=2
	s_bcnt1_i32_b64 s6, s[16:17]
	s_mul_i32 s6, s18, s6
	v_mov_b32_e32 v8, s6
	ds_add_rtn_u32 v8, v15, v8 offset:5144
.LBB210_28:                             ;   in Loop: Header=BB210_23 Depth=2
	s_or_b64 exec, exec, s[12:13]
	s_waitcnt lgkmcnt(0)
	v_readfirstlane_b32 s6, v8
	v_mov_b32_e32 v8, s6
	v_mad_u32_u24 v7, s18, v7, v8
.LBB210_29:                             ;   in Loop: Header=BB210_23 Depth=2
	s_or_b64 exec, exec, s[10:11]
	ds_bpermute_b32 v7, v24, v7
	s_and_b64 s[6:7], exec, vcc
	s_or_b64 s[8:9], s[6:7], s[8:9]
	s_and_saveexec_b64 s[6:7], s[14:15]
	s_cbranch_execz .LBB210_22
; %bb.30:                               ;   in Loop: Header=BB210_23 Depth=2
	v_and_b32_e32 v9, s14, v10
	v_and_b32_e32 v8, s15, v11
	v_bcnt_u32_b32 v9, v9, 0
	v_bcnt_u32_b32 v8, v8, v9
	v_lshlrev_b32_e32 v8, 1, v8
	s_waitcnt lgkmcnt(0)
	v_lshl_add_u32 v7, v7, 1, v8
	ds_write_b16 v7, v5
	s_branch .LBB210_22
.LBB210_31:                             ;   in Loop: Header=BB210_18 Depth=1
	s_mov_b64 s[30:31], -1
	s_mov_b64 s[6:7], 0
.LBB210_32:                             ;   in Loop: Header=BB210_18 Depth=1
	s_and_b64 vcc, exec, s[30:31]
	s_cbranch_vccz .LBB210_43
.LBB210_33:                             ;   in Loop: Header=BB210_18 Depth=1
	v_mov_b32_e32 v4, 0
	s_mov_b64 s[6:7], exec
	v_readlane_b32 s8, v49, 46
	v_readlane_b32 s9, v49, 47
	s_and_b64 s[8:9], s[6:7], s[8:9]
	s_mov_b64 exec, s[8:9]
	s_cbranch_execz .LBB210_35
; %bb.34:                               ;   in Loop: Header=BB210_18 Depth=1
	global_load_ushort v4, v[12:13], off
.LBB210_35:                             ;   in Loop: Header=BB210_18 Depth=1
	s_or_b64 exec, exec, s[6:7]
	s_mov_b64 s[8:9], exec
	v_readlane_b32 s6, v49, 46
	v_readlane_b32 s7, v49, 47
	s_and_b64 s[6:7], s[8:9], s[6:7]
	s_mov_b64 exec, s[6:7]
	s_cbranch_execz .LBB210_40
; %bb.36:                               ;   in Loop: Header=BB210_18 Depth=1
	v_readlane_b32 s6, v49, 55
	v_readlane_b32 s7, v49, 56
	s_mov_b64 s[10:11], 0
	v_mov_b32_e32 v5, v28
	s_nop 2
	global_load_ushort v2, v15, s[6:7]
	s_waitcnt vmcnt(0)
	v_and_b32_e32 v6, 0xffff, v2
	v_lshlrev_b32_e32 v7, 1, v6
	v_pk_mov_b32 v[2:3], v[0:1], v[0:1] op_sel:[0,1]
	s_branch .LBB210_38
.LBB210_37:                             ;   in Loop: Header=BB210_38 Depth=2
	s_or_b64 exec, exec, s[12:13]
	s_and_b64 s[6:7], exec, vcc
	s_or_b64 s[10:11], s[6:7], s[10:11]
	ds_write_b16 v5, v4
	v_add_u32_e32 v5, v5, v7
	s_waitcnt vmcnt(0)
	v_mov_b32_e32 v4, v8
	s_andn2_b64 exec, exec, s[10:11]
	s_cbranch_execz .LBB210_40
.LBB210_38:                             ;   Parent Loop BB210_18 Depth=1
                                        ; =>  This Inner Loop Header: Depth=2
	v_add_co_u32_e32 v2, vcc, v2, v6
	v_addc_co_u32_e32 v3, vcc, 0, v3, vcc
	v_cmp_gt_u64_e64 s[6:7], s[60:61], v[2:3]
	v_cmp_le_u64_e32 vcc, s[60:61], v[2:3]
	v_mov_b32_e32 v8, 0
	s_and_saveexec_b64 s[12:13], s[6:7]
	s_cbranch_execz .LBB210_37
; %bb.39:                               ;   in Loop: Header=BB210_38 Depth=2
	v_mul_lo_u32 v14, v3, s58
	v_mul_lo_u32 v20, v2, s59
	v_mad_u64_u32 v[8:9], s[6:7], v2, s58, 0
	v_add3_u32 v9, v9, v20, v14
	v_lshlrev_b64 v[8:9], 1, v[8:9]
	v_mov_b32_e32 v14, s88
	v_add_co_u32_e64 v8, s[6:7], s33, v8
	v_addc_co_u32_e64 v9, s[6:7], v14, v9, s[6:7]
	global_load_ushort v8, v[8:9], off
	s_branch .LBB210_37
.LBB210_40:                             ;   in Loop: Header=BB210_18 Depth=1
	s_or_b64 exec, exec, s[8:9]
	s_waitcnt lgkmcnt(0)
	s_barrier
	s_mov_b64 s[6:7], exec
	v_readlane_b32 s8, v49, 32
	v_readlane_b32 s9, v49, 33
	s_and_b64 s[8:9], s[6:7], s[8:9]
	s_mov_b64 exec, s[8:9]
	s_cbranch_execz .LBB210_42
; %bb.41:                               ;   in Loop: Header=BB210_18 Depth=1
	v_pk_mov_b32 v[2:3], s[60:61], s[60:61] op_sel:[0,1]
	ds_write_b64 v15, v[2:3] offset:5120
.LBB210_42:                             ;   in Loop: Header=BB210_18 Depth=1
	s_or_b64 exec, exec, s[6:7]
	s_mov_b64 s[6:7], -1
	s_waitcnt lgkmcnt(0)
	s_barrier
                                        ; implicit-def: $sgpr30_sgpr31
.LBB210_43:                             ;   in Loop: Header=BB210_18 Depth=1
	s_and_b64 vcc, exec, s[6:7]
	s_cbranch_vccz .LBB210_45
; %bb.44:                               ;   in Loop: Header=BB210_18 Depth=1
	ds_read_b64 v[2:3], v15 offset:5120
	s_waitcnt lgkmcnt(0)
	v_readfirstlane_b32 s30, v2
.LBB210_45:                             ;   in Loop: Header=BB210_18 Depth=1
	s_cmp_lt_i32 s30, 1
	s_cbranch_scc0 .LBB210_60
; %bb.46:                               ;   in Loop: Header=BB210_18 Depth=1
	v_readlane_b32 s6, v49, 55
	v_readlane_b32 s7, v49, 56
	s_nop 4
	global_load_ushort v40, v15, s[6:7]
	s_mov_b32 s6, s91
	s_waitcnt vmcnt(0)
	v_readfirstlane_b32 s7, v40
	s_and_b32 s7, 0xffff, s7
	s_lshl_b32 s31, s7, 2
	s_mov_b32 s7, s61
	s_cmp_lg_u64 s[6:7], 0
	s_cbranch_scc0 .LBB210_80
; %bb.47:                               ;   in Loop: Header=BB210_18 Depth=1
	v_cvt_f32_u32_e32 v2, s31
	s_sub_u32 s6, 0, s31
	s_subb_u32 s7, 0, 0
	v_mac_f32_e32 v2, 0, v34
	v_rcp_f32_e32 v2, v2
	v_mul_f32_e32 v2, 0x5f7ffffc, v2
	v_mul_f32_e32 v3, 0x2f800000, v2
	v_trunc_f32_e32 v3, v3
	v_mac_f32_e32 v2, 0xcf800000, v3
	v_cvt_u32_f32_e32 v3, v3
	v_cvt_u32_f32_e32 v2, v2
	v_readfirstlane_b32 s8, v3
	v_readfirstlane_b32 s9, v2
	s_mul_i32 s10, s6, s8
	s_mul_hi_u32 s12, s6, s9
	s_mul_i32 s11, s7, s9
	s_add_i32 s10, s12, s10
	s_mul_i32 s13, s6, s9
	s_add_i32 s10, s10, s11
	s_mul_hi_u32 s12, s9, s13
	s_mul_hi_u32 s11, s9, s10
	s_mul_i32 s9, s9, s10
	s_add_u32 s9, s12, s9
	s_addc_u32 s11, 0, s11
	s_mul_hi_u32 s14, s8, s13
	s_mul_i32 s13, s8, s13
	s_add_u32 s9, s9, s13
	s_mul_hi_u32 s12, s8, s10
	s_addc_u32 s9, s11, s14
	s_addc_u32 s11, s12, 0
	s_mul_i32 s10, s8, s10
	s_add_u32 s9, s9, s10
	s_addc_u32 s10, 0, s11
	v_add_co_u32_e32 v2, vcc, s9, v2
	s_cmp_lg_u64 vcc, 0
	s_addc_u32 s8, s8, s10
	v_readfirstlane_b32 s10, v2
	s_mul_i32 s9, s6, s8
	s_mul_hi_u32 s11, s6, s10
	s_add_i32 s9, s11, s9
	s_mul_i32 s7, s7, s10
	s_add_i32 s9, s9, s7
	s_mul_i32 s6, s6, s10
	s_mul_hi_u32 s11, s8, s6
	s_mul_i32 s12, s8, s6
	s_mul_i32 s14, s10, s9
	s_mul_hi_u32 s6, s10, s6
	s_mul_hi_u32 s13, s10, s9
	s_add_u32 s6, s6, s14
	s_addc_u32 s10, 0, s13
	s_add_u32 s6, s6, s12
	s_mul_hi_u32 s7, s8, s9
	s_addc_u32 s6, s10, s11
	s_addc_u32 s7, s7, 0
	s_mul_i32 s9, s8, s9
	s_add_u32 s6, s6, s9
	s_addc_u32 s7, 0, s7
	v_add_co_u32_e32 v2, vcc, s6, v2
	s_cmp_lg_u64 vcc, 0
	s_addc_u32 s6, s8, s7
	v_readfirstlane_b32 s9, v2
	s_mul_i32 s8, s60, s6
	s_mul_hi_u32 s10, s60, s9
	s_mul_hi_u32 s7, s60, s6
	s_add_u32 s8, s10, s8
	s_addc_u32 s7, 0, s7
	s_mul_hi_u32 s11, s61, s9
	s_mul_i32 s9, s61, s9
	s_add_u32 s8, s8, s9
	s_mul_hi_u32 s10, s61, s6
	s_addc_u32 s7, s7, s11
	s_addc_u32 s8, s10, 0
	s_mul_i32 s6, s61, s6
	s_add_u32 s6, s7, s6
	s_addc_u32 s7, 0, s8
	s_mul_hi_u32 s8, s31, s6
	s_mul_i32 s6, s31, s6
	s_mul_i32 s7, s31, s7
	v_mov_b32_e32 v2, s6
	s_add_i32 s8, s8, s7
	v_sub_co_u32_e32 v2, vcc, s60, v2
	s_cmp_lg_u64 vcc, 0
	s_subb_u32 s6, s61, s8
	v_subrev_co_u32_e32 v3, vcc, s31, v2
	s_cmp_lg_u64 vcc, 0
	s_subb_u32 s7, s6, 0
	v_subrev_co_u32_e32 v4, vcc, s31, v3
	s_cmp_lg_u64 vcc, 0
	s_subb_u32 s8, s7, 0
	v_cmp_le_u32_e32 vcc, s31, v3
	s_cmp_eq_u32 s7, 0
	v_cndmask_b32_e64 v5, 0, -1, vcc
	s_cselect_b64 vcc, -1, 0
	v_cndmask_b32_e32 v5, -1, v5, vcc
	v_mov_b32_e32 v6, s7
	v_mov_b32_e32 v7, s8
	v_cmp_ne_u32_e32 vcc, 0, v5
	v_cndmask_b32_e32 v5, v6, v7, vcc
	v_cndmask_b32_e32 v4, v3, v4, vcc
	v_cmp_le_u32_e32 vcc, s31, v2
	s_cmp_eq_u32 s6, 0
	v_cndmask_b32_e64 v3, 0, -1, vcc
	s_cselect_b64 vcc, -1, 0
	v_cndmask_b32_e32 v3, -1, v3, vcc
	v_mov_b32_e32 v6, s6
	v_cmp_ne_u32_e32 vcc, 0, v3
	v_cndmask_b32_e32 v3, v6, v5, vcc
	v_cndmask_b32_e32 v2, v2, v4, vcc
	s_cbranch_execnz .LBB210_49
.LBB210_48:                             ;   in Loop: Header=BB210_18 Depth=1
	v_cvt_f32_u32_e32 v2, s31
	s_sub_i32 s6, 0, s31
	v_rcp_iflag_f32_e32 v2, v2
	v_mul_f32_e32 v2, 0x4f7ffffe, v2
	v_cvt_u32_f32_e32 v2, v2
	v_mul_lo_u32 v3, s6, v2
	v_mul_hi_u32 v3, v2, v3
	v_add_u32_e32 v2, v2, v3
	v_mul_hi_u32 v2, s60, v2
	v_mul_lo_u32 v2, v2, s31
	v_sub_u32_e32 v2, s60, v2
	v_subrev_u32_e32 v3, s31, v2
	v_cmp_le_u32_e32 vcc, s31, v2
	v_cndmask_b32_e32 v2, v2, v3, vcc
	v_subrev_u32_e32 v3, s31, v2
	v_cmp_le_u32_e32 vcc, s31, v2
	v_cndmask_b32_e32 v14, v2, v3, vcc
	v_pk_mov_b32 v[2:3], v[14:15], v[14:15] op_sel:[0,1]
.LBB210_49:                             ;   in Loop: Header=BB210_18 Depth=1
	v_mov_b32_e32 v4, s61
	v_sub_co_u32_e32 v20, vcc, s60, v2
	v_subb_co_u32_e32 v21, vcc, v4, v3, vcc
	v_pk_mov_b32 v[2:3], 0, 0
	v_cmp_gt_u64_e32 vcc, v[20:21], v[16:17]
	s_mov_b64 s[54:55], 0
	v_pk_mov_b32 v[4:5], v[2:3], v[2:3] op_sel:[0,1]
	v_pk_mov_b32 v[6:7], v[2:3], v[2:3] op_sel:[0,1]
	;; [unrolled: 1-line block ×3, first 2 shown]
	s_and_saveexec_b64 s[8:9], vcc
	s_cbranch_execz .LBB210_53
; %bb.50:                               ;   in Loop: Header=BB210_18 Depth=1
	s_and_b32 s72, s75, 0xfe
	s_mov_b64 s[10:11], 0
	s_mov_b64 s[56:57], 0
	;; [unrolled: 1-line block ×4, first 2 shown]
	v_pk_mov_b32 v[22:23], v[16:17], v[16:17] op_sel:[0,1]
.LBB210_51:                             ;   Parent Loop BB210_18 Depth=1
                                        ; =>  This Inner Loop Header: Depth=2
	v_mul_lo_u32 v4, v23, s58
	v_mul_lo_u32 v5, v22, s59
	v_mad_u64_u32 v[2:3], s[6:7], v22, s58, 0
	v_add3_u32 v3, v3, v5, v4
	v_lshlrev_b64 v[2:3], 1, v[2:3]
	v_mov_b32_e32 v6, s88
	v_add_co_u32_e64 v2, s[6:7], s33, v2
	s_lshl_b64 s[14:15], s[58:59], 1
	v_addc_co_u32_e64 v3, s[6:7], v6, v3, s[6:7]
	v_mov_b32_e32 v4, s15
	global_load_ushort v5, v[2:3], off
	v_add_co_u32_e64 v2, s[6:7], s14, v2
	v_addc_co_u32_e64 v3, s[6:7], v3, v4, s[6:7]
	global_load_ushort v6, v[2:3], off
	v_add_co_u32_e64 v2, s[6:7], s14, v2
	v_addc_co_u32_e64 v3, s[6:7], v3, v4, s[6:7]
	global_load_ushort v7, v[2:3], off
	v_add_co_u32_e64 v2, s[6:7], s14, v2
	v_addc_co_u32_e64 v3, s[6:7], v3, v4, s[6:7]
	global_load_ushort v2, v[2:3], off
	v_add_co_u32_e32 v22, vcc, s31, v22
	v_addc_co_u32_e32 v23, vcc, 0, v23, vcc
	v_cmp_ge_u64_e32 vcc, v[22:23], v[20:21]
	s_waitcnt vmcnt(3)
	v_cmp_lt_i16_e64 s[6:7], -1, v5
	v_cndmask_b32_e64 v3, v32, v33, s[6:7]
	v_xor_b32_sdwa v3, v3, v5 dst_sel:DWORD dst_unused:UNUSED_PAD src0_sel:DWORD src1_sel:WORD_0
	s_waitcnt vmcnt(2)
	v_cmp_lt_i16_e64 s[6:7], -1, v6
	v_cndmask_b32_e64 v4, v32, v33, s[6:7]
	v_cmp_o_f16_e64 s[6:7], v5, v5
	v_cndmask_b32_e64 v3, v32, v3, s[6:7]
	v_xor_b32_sdwa v4, v4, v6 dst_sel:DWORD dst_unused:UNUSED_PAD src0_sel:DWORD src1_sel:WORD_0
	s_waitcnt vmcnt(1)
	v_cmp_lt_i16_e64 s[6:7], -1, v7
	v_cndmask_b32_e64 v5, v32, v33, s[6:7]
	v_cmp_o_f16_e64 s[6:7], v6, v6
	v_cndmask_b32_e64 v4, v32, v4, s[6:7]
	v_xor_b32_sdwa v5, v5, v7 dst_sel:DWORD dst_unused:UNUSED_PAD src0_sel:DWORD src1_sel:WORD_0
	s_waitcnt vmcnt(0)
	v_cmp_lt_i16_e64 s[6:7], -1, v2
	v_cndmask_b32_e64 v6, v32, v33, s[6:7]
	v_and_b32_e32 v8, v3, v37
	v_bfe_u32 v3, v3, s72, 2
	v_cmp_o_f16_e64 s[6:7], v7, v7
	v_cndmask_b32_e64 v5, v32, v5, s[6:7]
	v_xor_b32_sdwa v6, v6, v2 dst_sel:DWORD dst_unused:UNUSED_PAD src0_sel:DWORD src1_sel:WORD_0
	v_cmp_eq_u32_e64 s[14:15], v8, v38
	v_and_b32_e32 v7, v4, v37
	v_bfe_u32 v4, v4, s72, 2
	v_cmp_eq_u32_e64 s[6:7], 0, v3
	v_cmp_o_f16_e64 s[16:17], v2, v2
	v_cndmask_b32_e64 v2, v32, v6, s[16:17]
	v_cmp_eq_u32_e64 s[16:17], v7, v38
	v_cmp_eq_u32_e64 s[26:27], 0, v4
	s_and_b64 s[6:7], s[14:15], s[6:7]
	v_cmp_eq_u32_e64 s[34:35], 1, v3
	v_cmp_eq_u32_e64 s[36:37], 2, v3
	;; [unrolled: 1-line block ×3, first 2 shown]
	v_and_b32_e32 v3, v5, v37
	v_bfe_u32 v5, v5, s72, 2
	v_cmp_eq_u32_e64 s[38:39], 1, v4
	v_cmp_eq_u32_e64 s[40:41], 2, v4
	;; [unrolled: 1-line block ×3, first 2 shown]
	v_cndmask_b32_e64 v4, 0, 1, s[6:7]
	s_and_b64 s[26:27], s[16:17], s[26:27]
	v_cmp_eq_u32_e64 s[22:23], v3, v38
	v_and_b32_e32 v3, v2, v37
	v_bfe_u32 v2, v2, s72, 2
	v_cmp_eq_u32_e64 s[6:7], 0, v5
	v_cmp_ne_u32_e64 s[46:47], 0, v4
	v_cndmask_b32_e64 v4, 0, 1, s[26:27]
	v_cmp_eq_u32_e64 s[26:27], v3, v38
	v_cmp_eq_u32_e64 s[48:49], 0, v2
	s_bcnt1_i32_b64 s90, s[46:47]
	v_cmp_ne_u32_e64 s[46:47], 0, v4
	s_and_b64 s[6:7], s[22:23], s[6:7]
	v_cmp_eq_u32_e64 s[50:51], 1, v2
	v_cmp_eq_u32_e64 s[52:53], 2, v2
	;; [unrolled: 1-line block ×3, first 2 shown]
	v_cndmask_b32_e64 v2, 0, 1, s[6:7]
	s_bcnt1_i32_b64 s92, s[46:47]
	s_and_b64 s[46:47], s[26:27], s[48:49]
	v_cmp_ne_u32_e64 s[6:7], 0, v2
	v_cndmask_b32_e64 v2, 0, 1, s[46:47]
	s_bcnt1_i32_b64 s46, s[6:7]
	v_cmp_ne_u32_e64 s[6:7], 0, v2
	s_bcnt1_i32_b64 s6, s[6:7]
	s_add_u32 s7, s90, s12
	s_addc_u32 s12, 0, s13
	s_add_u32 s7, s7, s92
	s_addc_u32 s12, s12, 0
	;; [unrolled: 2-line block ×4, first 2 shown]
	s_and_b64 s[6:7], s[14:15], s[34:35]
	v_cmp_eq_u32_e64 s[42:43], 1, v5
	v_cndmask_b32_e64 v4, 0, 1, s[6:7]
	s_and_b64 s[6:7], s[16:17], s[38:39]
	v_cmp_eq_u32_e64 s[44:45], 2, v5
	v_cmp_eq_u32_e64 s[24:25], 3, v5
	v_cndmask_b32_e64 v5, 0, 1, s[6:7]
	s_and_b64 s[6:7], s[22:23], s[42:43]
	v_cndmask_b32_e64 v6, 0, 1, s[6:7]
	s_and_b64 s[6:7], s[26:27], s[50:51]
	v_cndmask_b32_e64 v7, 0, 1, s[6:7]
	v_cmp_ne_u32_e64 s[6:7], 0, v4
	v_cmp_ne_u32_e64 s[34:35], 0, v5
	;; [unrolled: 1-line block ×4, first 2 shown]
	s_bcnt1_i32_b64 s6, s[6:7]
	s_bcnt1_i32_b64 s7, s[34:35]
	;; [unrolled: 1-line block ×4, first 2 shown]
	s_add_u32 s6, s6, s94
	s_addc_u32 s38, 0, s95
	s_add_u32 s6, s6, s7
	s_addc_u32 s7, s38, 0
	;; [unrolled: 2-line block ×4, first 2 shown]
	s_and_b64 s[6:7], s[14:15], s[36:37]
	v_cndmask_b32_e64 v6, 0, 1, s[6:7]
	s_and_b64 s[6:7], s[16:17], s[40:41]
	v_cndmask_b32_e64 v7, 0, 1, s[6:7]
	;; [unrolled: 2-line block ×4, first 2 shown]
	v_cmp_ne_u32_e64 s[6:7], 0, v6
	v_cmp_ne_u32_e64 s[34:35], 0, v7
	;; [unrolled: 1-line block ×4, first 2 shown]
	s_bcnt1_i32_b64 s6, s[6:7]
	s_bcnt1_i32_b64 s7, s[34:35]
	;; [unrolled: 1-line block ×4, first 2 shown]
	s_add_u32 s6, s6, s56
	s_addc_u32 s36, 0, s57
	s_add_u32 s6, s6, s7
	s_addc_u32 s7, s36, 0
	;; [unrolled: 2-line block ×4, first 2 shown]
	s_and_b64 s[6:7], s[14:15], s[18:19]
	v_cndmask_b32_e64 v8, 0, 1, s[6:7]
	s_and_b64 s[6:7], s[16:17], s[20:21]
	v_cndmask_b32_e64 v9, 0, 1, s[6:7]
	s_and_b64 s[6:7], s[22:23], s[24:25]
	v_cndmask_b32_e64 v14, 0, 1, s[6:7]
	s_and_b64 s[6:7], s[26:27], s[28:29]
	v_cndmask_b32_e64 v41, 0, 1, s[6:7]
	v_cmp_ne_u32_e64 s[6:7], 0, v8
	v_cmp_ne_u32_e64 s[14:15], 0, v9
	;; [unrolled: 1-line block ×4, first 2 shown]
	s_bcnt1_i32_b64 s6, s[6:7]
	s_bcnt1_i32_b64 s7, s[14:15]
	;; [unrolled: 1-line block ×4, first 2 shown]
	s_add_u32 s6, s6, s10
	s_addc_u32 s10, 0, s11
	s_add_u32 s6, s6, s7
	s_addc_u32 s7, s10, 0
	;; [unrolled: 2-line block ×4, first 2 shown]
	v_pk_mov_b32 v[2:3], s[12:13], s[12:13] op_sel:[0,1]
	v_pk_mov_b32 v[4:5], s[94:95], s[94:95] op_sel:[0,1]
	v_pk_mov_b32 v[6:7], s[56:57], s[56:57] op_sel:[0,1]
	s_or_b64 s[54:55], vcc, s[54:55]
	v_pk_mov_b32 v[8:9], s[10:11], s[10:11] op_sel:[0,1]
	s_andn2_b64 exec, exec, s[54:55]
	s_cbranch_execnz .LBB210_51
; %bb.52:                               ;   in Loop: Header=BB210_18 Depth=1
	s_or_b64 exec, exec, s[54:55]
.LBB210_53:                             ;   in Loop: Header=BB210_18 Depth=1
	s_or_b64 exec, exec, s[8:9]
	v_add_co_u32_e32 v20, vcc, v20, v0
	v_addc_co_u32_e32 v21, vcc, 0, v21, vcc
	v_cmp_gt_u64_e32 vcc, s[60:61], v[20:21]
	v_mov_b32_e32 v14, 0
	s_and_saveexec_b64 s[8:9], vcc
	s_cbranch_execz .LBB210_55
; %bb.54:                               ;   in Loop: Header=BB210_18 Depth=1
	v_mul_lo_u32 v14, v21, s58
	v_mul_lo_u32 v41, v20, s59
	v_mad_u64_u32 v[22:23], s[6:7], v20, s58, 0
	v_add3_u32 v23, v23, v41, v14
	v_lshlrev_b64 v[22:23], 1, v[22:23]
	v_mov_b32_e32 v14, s88
	v_add_co_u32_e64 v22, s[6:7], s33, v22
	v_addc_co_u32_e64 v23, s[6:7], v14, v23, s[6:7]
	global_load_ushort v14, v[22:23], off
.LBB210_55:                             ;   in Loop: Header=BB210_18 Depth=1
	s_or_b64 exec, exec, s[8:9]
	s_and_saveexec_b64 s[8:9], vcc
	s_cbranch_execz .LBB210_62
; %bb.56:                               ;   in Loop: Header=BB210_18 Depth=1
	s_and_b32 s14, s75, 0xfe
	s_mov_b64 s[10:11], 0
	s_branch .LBB210_58
.LBB210_57:                             ;   in Loop: Header=BB210_58 Depth=2
	s_or_b64 exec, exec, s[12:13]
	s_and_b64 s[6:7], exec, vcc
	s_waitcnt vmcnt(0)
	v_cmp_lt_i16_e32 vcc, -1, v14
	v_cndmask_b32_e32 v23, v32, v33, vcc
	v_xor_b32_sdwa v23, v23, v14 dst_sel:DWORD dst_unused:UNUSED_PAD src0_sel:DWORD src1_sel:WORD_0
	v_cmp_o_f16_e32 vcc, v14, v14
	v_cndmask_b32_e32 v14, v32, v23, vcc
	v_and_b32_e32 v23, v14, v37
	v_bfe_u32 v14, v14, s14, 2
	s_or_b64 s[10:11], s[6:7], s[10:11]
	v_cmp_eq_u32_e32 vcc, v23, v38
	v_cmp_eq_u32_e64 s[6:7], 0, v14
	s_and_b64 s[6:7], vcc, s[6:7]
	v_cndmask_b32_e64 v23, 0, 1, s[6:7]
	v_cmp_ne_u32_e64 s[6:7], 0, v23
	s_bcnt1_i32_b64 s6, s[6:7]
	v_add_co_u32_e64 v2, s[6:7], s6, v2
	v_addc_co_u32_e64 v3, s[6:7], 0, v3, s[6:7]
	v_cmp_eq_u32_e64 s[6:7], 1, v14
	s_and_b64 s[6:7], vcc, s[6:7]
	v_cndmask_b32_e64 v23, 0, 1, s[6:7]
	v_cmp_ne_u32_e64 s[6:7], 0, v23
	s_bcnt1_i32_b64 s6, s[6:7]
	v_add_co_u32_e64 v4, s[6:7], s6, v4
	v_addc_co_u32_e64 v5, s[6:7], 0, v5, s[6:7]
	;; [unrolled: 7-line block ×3, first 2 shown]
	v_cmp_eq_u32_e64 s[6:7], 3, v14
	s_and_b64 s[6:7], vcc, s[6:7]
	v_cndmask_b32_e64 v14, 0, 1, s[6:7]
	v_cmp_ne_u32_e32 vcc, 0, v14
	s_bcnt1_i32_b64 s6, vcc
	v_add_co_u32_e32 v8, vcc, s6, v8
	v_addc_co_u32_e32 v9, vcc, 0, v9, vcc
	v_mov_b32_e32 v14, v22
	s_andn2_b64 exec, exec, s[10:11]
	s_cbranch_execz .LBB210_61
.LBB210_58:                             ;   Parent Loop BB210_18 Depth=1
                                        ; =>  This Inner Loop Header: Depth=2
	v_add_co_u32_sdwa v20, vcc, v20, v40 dst_sel:DWORD dst_unused:UNUSED_PAD src0_sel:DWORD src1_sel:WORD_0
	v_addc_co_u32_e32 v21, vcc, 0, v21, vcc
	v_cmp_gt_u64_e64 s[6:7], s[60:61], v[20:21]
	v_cmp_le_u64_e32 vcc, s[60:61], v[20:21]
	v_mov_b32_e32 v22, 0
	s_and_saveexec_b64 s[12:13], s[6:7]
	s_cbranch_execz .LBB210_57
; %bb.59:                               ;   in Loop: Header=BB210_58 Depth=2
	v_mul_lo_u32 v41, v21, s58
	v_mul_lo_u32 v42, v20, s59
	v_mad_u64_u32 v[22:23], s[6:7], v20, s58, 0
	v_add3_u32 v23, v23, v42, v41
	v_lshlrev_b64 v[22:23], 1, v[22:23]
	v_mov_b32_e32 v41, s88
	v_add_co_u32_e64 v22, s[6:7], s33, v22
	v_addc_co_u32_e64 v23, s[6:7], v41, v23, s[6:7]
	global_load_ushort v22, v[22:23], off
	s_branch .LBB210_57
.LBB210_60:                             ;   in Loop: Header=BB210_18 Depth=1
                                        ; implicit-def: $vgpr8_vgpr9
                                        ; implicit-def: $vgpr4_vgpr5
	s_cbranch_execnz .LBB210_63
	s_branch .LBB210_72
.LBB210_61:                             ;   in Loop: Header=BB210_18 Depth=1
	s_or_b64 exec, exec, s[10:11]
.LBB210_62:                             ;   in Loop: Header=BB210_18 Depth=1
	s_or_b64 exec, exec, s[8:9]
	s_branch .LBB210_72
.LBB210_63:                             ;   in Loop: Header=BB210_18 Depth=1
	v_readlane_b32 s6, v49, 55
	v_readlane_b32 s7, v49, 56
	s_mov_b64 s[8:9], 0
	s_nop 3
	global_load_ushort v8, v15, s[6:7]
	s_waitcnt vmcnt(0)
	v_readfirstlane_b32 s6, v8
	s_and_b32 s6, 0xffff, s6
	s_lshl_b32 s31, s6, 2
	v_cvt_f32_u32_e32 v2, s31
	s_sub_i32 s6, 0, s31
	v_and_b32_e32 v22, 0xffff, v8
	v_rcp_iflag_f32_e32 v6, v2
	v_pk_mov_b32 v[2:3], 0, 0
	v_pk_mov_b32 v[4:5], v[2:3], v[2:3] op_sel:[0,1]
	v_mul_f32_e32 v6, 0x4f7ffffe, v6
	v_cvt_u32_f32_e32 v9, v6
	v_pk_mov_b32 v[6:7], v[2:3], v[2:3] op_sel:[0,1]
	v_readfirstlane_b32 s7, v9
	s_mul_i32 s6, s6, s7
	s_mul_hi_u32 s6, s7, s6
	s_add_i32 s7, s7, s6
	s_mul_hi_u32 s6, s30, s7
	s_mul_i32 s6, s6, s31
	s_sub_i32 s6, s30, s6
	s_sub_i32 s7, s6, s31
	s_cmp_ge_u32 s6, s31
	s_cselect_b32 s6, s7, s6
	s_sub_i32 s7, s6, s31
	s_cmp_ge_u32 s6, s31
	s_cselect_b32 s6, s7, s6
	s_sub_i32 s90, s30, s6
	v_cmp_gt_u32_e32 vcc, s90, v16
	v_pk_mov_b32 v[8:9], v[2:3], v[2:3] op_sel:[0,1]
	s_and_saveexec_b64 s[10:11], vcc
	s_cbranch_execz .LBB210_67
; %bb.64:                               ;   in Loop: Header=BB210_18 Depth=1
	s_and_b32 s72, s75, 0xfe
	v_lshlrev_b32_e32 v14, 3, v22
	v_mov_b32_e32 v23, v30
	s_mov_b64 s[12:13], 0
	s_mov_b64 s[56:57], 0
	s_mov_b64 s[94:95], 0
	s_mov_b64 s[92:93], 0
	v_pk_mov_b32 v[20:21], v[16:17], v[16:17] op_sel:[0,1]
.LBB210_65:                             ;   Parent Loop BB210_18 Depth=1
                                        ; =>  This Inner Loop Header: Depth=2
	ds_read_b64 v[2:3], v23
	v_add_co_u32_e32 v20, vcc, s31, v20
	v_addc_co_u32_e32 v21, vcc, 0, v21, vcc
	s_waitcnt lgkmcnt(0)
	v_cmp_lt_i16_e64 s[6:7], -1, v2
	v_cndmask_b32_e64 v4, v32, v33, s[6:7]
	v_cmp_gt_i16_sdwa s[6:7], v2, v35 src0_sel:WORD_1 src1_sel:DWORD
	v_cndmask_b32_e64 v5, v32, v33, s[6:7]
	v_cmp_lt_i16_e64 s[6:7], -1, v3
	v_cndmask_b32_e64 v6, v32, v33, s[6:7]
	v_cmp_gt_i16_sdwa s[6:7], v3, v35 src0_sel:WORD_1 src1_sel:DWORD
	v_cndmask_b32_e64 v7, v32, v33, s[6:7]
	v_xor_b32_sdwa v6, v6, v3 dst_sel:DWORD dst_unused:UNUSED_PAD src0_sel:DWORD src1_sel:WORD_0
	v_cmp_o_f16_e64 s[14:15], v3, v3
	v_xor_b32_sdwa v7, v7, v3 dst_sel:DWORD dst_unused:UNUSED_PAD src0_sel:DWORD src1_sel:WORD_1
	v_cmp_o_f16_sdwa s[16:17], v3, v3 src0_sel:WORD_1 src1_sel:WORD_1
	v_xor_b32_sdwa v3, v4, v2 dst_sel:DWORD dst_unused:UNUSED_PAD src0_sel:DWORD src1_sel:WORD_0
	v_cmp_o_f16_e64 s[18:19], v2, v2
	v_xor_b32_sdwa v5, v5, v2 dst_sel:DWORD dst_unused:UNUSED_PAD src0_sel:DWORD src1_sel:WORD_1
	v_cmp_o_f16_sdwa s[6:7], v2, v2 src0_sel:WORD_1 src1_sel:WORD_1
	v_cndmask_b32_e64 v2, v32, v3, s[18:19]
	v_cndmask_b32_e64 v3, v32, v5, s[6:7]
	;; [unrolled: 1-line block ×3, first 2 shown]
	v_and_b32_e32 v6, v2, v37
	v_bfe_u32 v2, v2, s72, 2
	v_cndmask_b32_e64 v5, v32, v7, s[16:17]
	v_and_b32_e32 v7, v3, v37
	v_bfe_u32 v3, v3, s72, 2
	v_cmp_eq_u32_e64 s[20:21], v6, v38
	v_cmp_eq_u32_e64 s[6:7], 0, v2
	v_and_b32_e32 v8, v4, v37
	v_bfe_u32 v4, v4, s72, 2
	v_cmp_eq_u32_e64 s[18:19], v7, v38
	v_cmp_eq_u32_e64 s[34:35], 0, v3
	s_and_b64 s[6:7], s[20:21], s[6:7]
	v_and_b32_e32 v9, v5, v37
	v_bfe_u32 v5, v5, s72, 2
	v_cmp_eq_u32_e64 s[16:17], v8, v38
	v_cmp_eq_u32_e64 s[36:37], 0, v4
	;; [unrolled: 1-line block ×5, first 2 shown]
	v_cndmask_b32_e64 v2, 0, 1, s[6:7]
	s_and_b64 s[6:7], s[18:19], s[34:35]
	v_cmp_eq_u32_e64 s[14:15], v9, v38
	v_cmp_eq_u32_e64 s[38:39], 0, v5
	;; [unrolled: 1-line block ×5, first 2 shown]
	v_cndmask_b32_e64 v3, 0, 1, s[6:7]
	s_and_b64 s[6:7], s[16:17], s[36:37]
	v_cmp_eq_u32_e64 s[44:45], 1, v4
	v_cmp_eq_u32_e64 s[52:53], 2, v4
	;; [unrolled: 1-line block ×3, first 2 shown]
	v_cndmask_b32_e64 v4, 0, 1, s[6:7]
	s_and_b64 s[6:7], s[14:15], s[38:39]
	v_cmp_eq_u32_e64 s[46:47], 1, v5
	v_cmp_eq_u32_e64 s[54:55], 2, v5
	;; [unrolled: 1-line block ×3, first 2 shown]
	v_cndmask_b32_e64 v5, 0, 1, s[6:7]
	v_cmp_ne_u32_e64 s[6:7], 0, v2
	v_cmp_ne_u32_e64 s[34:35], 0, v3
	v_cmp_ne_u32_e64 s[36:37], 0, v4
	v_cmp_ne_u32_e64 s[38:39], 0, v5
	s_bcnt1_i32_b64 s6, s[6:7]
	s_bcnt1_i32_b64 s7, s[34:35]
	s_bcnt1_i32_b64 s34, s[36:37]
	s_bcnt1_i32_b64 s35, s[38:39]
	s_add_u32 s6, s6, s92
	s_addc_u32 s36, 0, s93
	s_add_u32 s6, s6, s7
	s_addc_u32 s7, s36, 0
	s_add_u32 s6, s6, s34
	s_addc_u32 s7, s7, 0
	s_add_u32 s92, s6, s35
	s_addc_u32 s93, s7, 0
	s_and_b64 s[6:7], s[20:21], s[40:41]
	v_cndmask_b32_e64 v4, 0, 1, s[6:7]
	s_and_b64 s[6:7], s[18:19], s[42:43]
	v_cndmask_b32_e64 v5, 0, 1, s[6:7]
	s_and_b64 s[6:7], s[16:17], s[44:45]
	v_cndmask_b32_e64 v6, 0, 1, s[6:7]
	s_and_b64 s[6:7], s[14:15], s[46:47]
	v_cndmask_b32_e64 v7, 0, 1, s[6:7]
	v_cmp_ne_u32_e64 s[6:7], 0, v4
	v_cmp_ne_u32_e64 s[34:35], 0, v5
	v_cmp_ne_u32_e64 s[36:37], 0, v6
	v_cmp_ne_u32_e64 s[38:39], 0, v7
	s_bcnt1_i32_b64 s6, s[6:7]
	s_bcnt1_i32_b64 s7, s[34:35]
	s_bcnt1_i32_b64 s34, s[36:37]
	s_bcnt1_i32_b64 s35, s[38:39]
	s_add_u32 s6, s6, s94
	s_addc_u32 s36, 0, s95
	s_add_u32 s6, s6, s7
	s_addc_u32 s7, s36, 0
	s_add_u32 s6, s6, s34
	s_addc_u32 s7, s7, 0
	s_add_u32 s94, s6, s35
	s_addc_u32 s95, s7, 0
	s_and_b64 s[6:7], s[20:21], s[48:49]
	v_cndmask_b32_e64 v6, 0, 1, s[6:7]
	s_and_b64 s[6:7], s[18:19], s[50:51]
	v_cndmask_b32_e64 v7, 0, 1, s[6:7]
	s_and_b64 s[6:7], s[16:17], s[52:53]
	v_cndmask_b32_e64 v8, 0, 1, s[6:7]
	s_and_b64 s[6:7], s[14:15], s[54:55]
	v_cndmask_b32_e64 v9, 0, 1, s[6:7]
	v_cmp_ne_u32_e64 s[6:7], 0, v6
	v_cmp_ne_u32_e64 s[34:35], 0, v7
	v_cmp_ne_u32_e64 s[36:37], 0, v8
	v_cmp_ne_u32_e64 s[38:39], 0, v9
	s_bcnt1_i32_b64 s6, s[6:7]
	s_bcnt1_i32_b64 s7, s[34:35]
	s_bcnt1_i32_b64 s34, s[36:37]
	s_bcnt1_i32_b64 s35, s[38:39]
	s_add_u32 s6, s6, s56
	s_addc_u32 s36, 0, s57
	s_add_u32 s6, s6, s7
	s_addc_u32 s7, s36, 0
	s_add_u32 s6, s6, s34
	s_addc_u32 s7, s7, 0
	s_add_u32 s56, s6, s35
	s_addc_u32 s57, s7, 0
	s_and_b64 s[6:7], s[20:21], s[28:29]
	v_cndmask_b32_e64 v8, 0, 1, s[6:7]
	s_and_b64 s[6:7], s[18:19], s[26:27]
	v_cndmask_b32_e64 v9, 0, 1, s[6:7]
	s_and_b64 s[6:7], s[16:17], s[24:25]
	v_cndmask_b32_e64 v40, 0, 1, s[6:7]
	s_and_b64 s[6:7], s[14:15], s[22:23]
	v_cndmask_b32_e64 v41, 0, 1, s[6:7]
	v_cmp_ne_u32_e64 s[6:7], 0, v8
	v_cmp_ne_u32_e64 s[14:15], 0, v9
	;; [unrolled: 1-line block ×4, first 2 shown]
	s_bcnt1_i32_b64 s6, s[6:7]
	s_bcnt1_i32_b64 s7, s[14:15]
	;; [unrolled: 1-line block ×4, first 2 shown]
	s_add_u32 s6, s6, s12
	s_addc_u32 s12, 0, s13
	s_add_u32 s6, s6, s7
	s_addc_u32 s7, s12, 0
	;; [unrolled: 2-line block ×3, first 2 shown]
	s_add_u32 s12, s6, s15
	v_cmp_le_u64_e32 vcc, s[90:91], v[20:21]
	s_addc_u32 s13, s7, 0
	v_add_u32_e32 v23, v23, v14
	v_pk_mov_b32 v[2:3], s[92:93], s[92:93] op_sel:[0,1]
	v_pk_mov_b32 v[4:5], s[94:95], s[94:95] op_sel:[0,1]
	;; [unrolled: 1-line block ×3, first 2 shown]
	s_or_b64 s[8:9], vcc, s[8:9]
	v_pk_mov_b32 v[8:9], s[12:13], s[12:13] op_sel:[0,1]
	s_andn2_b64 exec, exec, s[8:9]
	s_cbranch_execnz .LBB210_65
; %bb.66:                               ;   in Loop: Header=BB210_18 Depth=1
	s_or_b64 exec, exec, s[8:9]
.LBB210_67:                             ;   in Loop: Header=BB210_18 Depth=1
	s_or_b64 exec, exec, s[10:11]
	v_add_u32_e32 v14, s90, v0
	v_cmp_gt_u32_e32 vcc, s30, v14
	s_and_saveexec_b64 s[8:9], vcc
	s_cbranch_execz .LBB210_71
; %bb.68:                               ;   in Loop: Header=BB210_18 Depth=1
	s_and_b32 s90, s30, 0x7fffffff
	s_and_b32 s12, s75, 0xfe
	v_lshlrev_b32_e32 v23, 1, v14
	v_lshlrev_b32_e32 v40, 1, v22
	s_mov_b64 s[10:11], 0
	v_pk_mov_b32 v[20:21], v[14:15], v[14:15] op_sel:[0,1]
.LBB210_69:                             ;   Parent Loop BB210_18 Depth=1
                                        ; =>  This Inner Loop Header: Depth=2
	ds_read_u16 v14, v23
	v_add_co_u32_e32 v20, vcc, v20, v22
	v_addc_co_u32_e32 v21, vcc, 0, v21, vcc
	s_waitcnt lgkmcnt(0)
	v_cmp_lt_i16_e64 s[6:7], -1, v14
	v_cndmask_b32_e64 v41, v32, v33, s[6:7]
	v_xor_b32_sdwa v41, v41, v14 dst_sel:DWORD dst_unused:UNUSED_PAD src0_sel:DWORD src1_sel:WORD_0
	v_cmp_o_f16_e64 s[6:7], v14, v14
	v_cndmask_b32_e64 v14, v32, v41, s[6:7]
	v_and_b32_e32 v41, v14, v37
	v_bfe_u32 v14, v14, s12, 2
	v_cmp_eq_u32_e64 s[6:7], v41, v38
	v_cmp_eq_u32_e64 s[14:15], 0, v14
	;; [unrolled: 1-line block ×3, first 2 shown]
	s_and_b64 s[14:15], s[6:7], s[14:15]
	v_cmp_eq_u32_e64 s[18:19], 2, v14
	v_cmp_eq_u32_e64 s[20:21], 3, v14
	v_cndmask_b32_e64 v14, 0, 1, s[14:15]
	s_and_b64 s[14:15], s[6:7], s[16:17]
	v_cndmask_b32_e64 v41, 0, 1, s[14:15]
	s_and_b64 s[14:15], s[6:7], s[18:19]
	s_and_b64 s[6:7], s[6:7], s[20:21]
	v_cndmask_b32_e64 v42, 0, 1, s[14:15]
	v_cndmask_b32_e64 v43, 0, 1, s[6:7]
	v_cmp_ne_u32_e64 s[6:7], 0, v14
	v_cmp_ne_u32_e64 s[14:15], 0, v41
	;; [unrolled: 1-line block ×4, first 2 shown]
	v_cmp_le_u64_e32 vcc, s[90:91], v[20:21]
	s_bcnt1_i32_b64 s6, s[6:7]
	s_bcnt1_i32_b64 s7, s[14:15]
	;; [unrolled: 1-line block ×4, first 2 shown]
	s_or_b64 s[10:11], vcc, s[10:11]
	v_add_co_u32_e32 v2, vcc, s6, v2
	v_addc_co_u32_e32 v3, vcc, 0, v3, vcc
	v_add_co_u32_e32 v4, vcc, s7, v4
	v_addc_co_u32_e32 v5, vcc, 0, v5, vcc
	;; [unrolled: 2-line block ×3, first 2 shown]
	v_add_co_u32_e32 v8, vcc, s14, v8
	v_add_u32_e32 v23, v23, v40
	v_addc_co_u32_e32 v9, vcc, 0, v9, vcc
	s_andn2_b64 exec, exec, s[10:11]
	s_cbranch_execnz .LBB210_69
; %bb.70:                               ;   in Loop: Header=BB210_18 Depth=1
	s_or_b64 exec, exec, s[10:11]
.LBB210_71:                             ;   in Loop: Header=BB210_18 Depth=1
	s_or_b64 exec, exec, s[8:9]
.LBB210_72:                             ;   in Loop: Header=BB210_18 Depth=1
	v_readlane_b32 s6, v49, 62
	s_lshl_b32 s8, s6, 6
	s_and_saveexec_b64 s[6:7], s[0:1]
	s_cbranch_execz .LBB210_74
; %bb.73:                               ;   in Loop: Header=BB210_18 Depth=1
	s_waitcnt vmcnt(0)
	v_or_b32_e32 v14, s8, v27
	v_lshlrev_b32_e32 v14, 3, v14
	ds_write_b128 v14, v[2:5] offset:3072
	ds_write_b128 v14, v[6:9] offset:3088
.LBB210_74:                             ;   in Loop: Header=BB210_18 Depth=1
	s_or_b64 exec, exec, s[6:7]
	s_waitcnt lgkmcnt(0)
	s_barrier
	s_mov_b64 s[6:7], exec
	v_readlane_b32 s10, v49, 42
	v_readlane_b32 s11, v49, 43
	s_and_b64 s[10:11], s[6:7], s[10:11]
	s_mov_b64 exec, s[10:11]
	s_cbranch_execz .LBB210_86
; %bb.75:                               ;   in Loop: Header=BB210_18 Depth=1
	v_readlane_b32 s10, v49, 50
	v_readlane_b32 s11, v49, 51
	s_andn2_b64 vcc, exec, s[10:11]
	v_pk_mov_b32 v[2:3], 0, 0
	s_cbranch_vccnz .LBB210_85
; %bb.76:                               ;   in Loop: Header=BB210_18 Depth=1
	v_readlane_b32 s10, v49, 57
	v_readlane_b32 s11, v49, 58
	s_andn2_b64 vcc, exec, s[10:11]
	s_cbranch_vccnz .LBB210_81
; %bb.77:                               ;   in Loop: Header=BB210_18 Depth=1
	v_readlane_b32 s9, v49, 62
	s_waitcnt vmcnt(0)
	v_lshl_add_u32 v4, s9, 9, v31
	s_mov_b32 s9, 0
	v_pk_mov_b32 v[2:3], 0, 0
.LBB210_78:                             ;   Parent Loop BB210_18 Depth=1
                                        ; =>  This Inner Loop Header: Depth=2
	ds_read2_b64 v[6:9], v4 offset1:4
	ds_read2_b64 v[20:23], v4 offset0:8 offset1:12
	ds_read2_b64 v[40:43], v4 offset0:16 offset1:20
	;; [unrolled: 1-line block ×3, first 2 shown]
	s_add_i32 s9, s9, 8
	s_waitcnt lgkmcnt(3)
	v_add_co_u32_e32 v2, vcc, v6, v2
	v_addc_co_u32_e32 v3, vcc, v7, v3, vcc
	v_add_co_u32_e32 v2, vcc, v8, v2
	v_addc_co_u32_e32 v3, vcc, v9, v3, vcc
	s_waitcnt lgkmcnt(2)
	v_add_co_u32_e32 v2, vcc, v20, v2
	v_addc_co_u32_e32 v3, vcc, v21, v3, vcc
	v_add_co_u32_e32 v2, vcc, v22, v2
	v_addc_co_u32_e32 v3, vcc, v23, v3, vcc
	;; [unrolled: 5-line block ×3, first 2 shown]
	s_waitcnt lgkmcnt(0)
	v_add_co_u32_e32 v2, vcc, v44, v2
	v_addc_co_u32_e32 v3, vcc, v45, v3, vcc
	v_add_co_u32_e32 v2, vcc, v46, v2
	v_add_u32_e32 v4, 0x100, v4
	s_cmp_eq_u32 s4, s9
	v_addc_co_u32_e32 v3, vcc, v47, v3, vcc
	s_cbranch_scc0 .LBB210_78
; %bb.79:                               ;   in Loop: Header=BB210_18 Depth=1
	s_mov_b32 s9, s4
	s_branch .LBB210_82
.LBB210_80:                             ;   in Loop: Header=BB210_18 Depth=1
                                        ; implicit-def: $vgpr2_vgpr3
	s_branch .LBB210_48
.LBB210_81:                             ;   in Loop: Header=BB210_18 Depth=1
	s_mov_b32 s9, 0
	v_pk_mov_b32 v[2:3], 0, 0
.LBB210_82:                             ;   in Loop: Header=BB210_18 Depth=1
	v_readlane_b32 s10, v49, 60
	v_readlane_b32 s11, v49, 61
	s_andn2_b64 vcc, exec, s[10:11]
	s_cbranch_vccnz .LBB210_85
; %bb.83:                               ;   in Loop: Header=BB210_18 Depth=1
	v_readlane_b32 s10, v49, 62
	s_lshl_b32 s10, s10, 9
	s_lshl_b32 s9, s9, 5
	s_add_i32 s10, s10, s9
	s_waitcnt vmcnt(0)
	v_add_u32_e32 v4, s10, v31
	v_readlane_b32 s9, v49, 59
.LBB210_84:                             ;   Parent Loop BB210_18 Depth=1
                                        ; =>  This Inner Loop Header: Depth=2
	ds_read_b64 v[6:7], v4
	s_add_i32 s9, s9, -1
	v_add_u32_e32 v4, 32, v4
	s_cmp_lg_u32 s9, 0
	s_waitcnt lgkmcnt(0)
	v_add_co_u32_e32 v2, vcc, v6, v2
	v_addc_co_u32_e32 v3, vcc, v7, v3, vcc
	s_cbranch_scc1 .LBB210_84
.LBB210_85:                             ;   in Loop: Header=BB210_18 Depth=1
	s_waitcnt vmcnt(0)
	v_add_lshl_u32 v4, s8, v25, 3
	ds_write_b64 v4, v[2:3] offset:3072
.LBB210_86:                             ;   in Loop: Header=BB210_18 Depth=1
	s_or_b64 exec, exec, s[6:7]
	s_lshl_b32 s6, s8, 3
	v_mov_b32_e32 v6, s6
	s_waitcnt lgkmcnt(0)
	s_barrier
	s_waitcnt vmcnt(0)
	ds_read_b128 v[2:5], v6 offset:3072
	ds_read_b128 v[6:9], v6 offset:3088
	s_and_b32 s49, s75, 0xfe
	v_readlane_b32 s6, v49, 40
	s_lshl_b32 s90, 3, s49
	v_readlane_b32 s7, v49, 41
	s_waitcnt lgkmcnt(1)
	v_readfirstlane_b32 s17, v3
	v_readfirstlane_b32 s16, v2
	;; [unrolled: 1-line block ×4, first 2 shown]
	s_waitcnt lgkmcnt(0)
	v_readfirstlane_b32 s23, v7
	v_readfirstlane_b32 s22, v6
	;; [unrolled: 1-line block ×4, first 2 shown]
	s_not_b32 s48, s90
	s_andn2_b64 vcc, exec, s[6:7]
	v_cmp_eq_u64_e64 s[14:15], 1, v[18:19]
	s_cbranch_vccnz .LBB210_102
; %bb.87:                               ;   in Loop: Header=BB210_18 Depth=1
	s_cmp_eq_u64 s[16:17], 1
	s_cselect_b64 s[6:7], -1, 0
	s_and_b64 s[8:9], s[6:7], s[14:15]
	s_mov_b64 s[6:7], -1
	v_mov_b32_e32 v8, v38
	v_mov_b32_e32 v9, v37
	;; [unrolled: 1-line block ×3, first 2 shown]
                                        ; implicit-def: $sgpr20_sgpr21
                                        ; implicit-def: $sgpr36_sgpr37
                                        ; implicit-def: $sgpr34_sgpr35
	s_and_saveexec_b64 s[26:27], s[8:9]
	s_cbranch_execz .LBB210_124
; %bb.88:                               ;   in Loop: Header=BB210_18 Depth=1
	ds_read_b64 v[2:3], v15 offset:5120
	s_waitcnt lgkmcnt(0)
	s_barrier
	v_readfirstlane_b32 s10, v2
	v_readfirstlane_b32 s11, v3
	s_mov_b64 s[6:7], exec
	v_readlane_b32 s12, v49, 48
	v_readlane_b32 s13, v49, 49
	s_and_b64 s[12:13], s[6:7], s[12:13]
	s_mov_b64 exec, s[12:13]
	s_cbranch_execz .LBB210_90
; %bb.89:                               ;   in Loop: Header=BB210_18 Depth=1
	ds_write_b16 v29, v15
.LBB210_90:                             ;   in Loop: Header=BB210_18 Depth=1
	s_or_b64 exec, exec, s[6:7]
	v_and_b32_e32 v8, s48, v38
	v_or_b32_e32 v9, s90, v37
	s_cmp_eq_u64 s[10:11], 0
	s_waitcnt lgkmcnt(0)
	s_barrier
	s_cbranch_scc1 .LBB210_107
; %bb.91:                               ;   in Loop: Header=BB210_18 Depth=1
	v_readlane_b32 s6, v49, 52
	s_add_u32 s20, s6, s10
	v_readlane_b32 s6, v49, 54
	s_addc_u32 s7, s6, s11
	s_mov_b32 s6, s91
	s_cmp_lg_u64 s[6:7], 0
	s_cbranch_scc0 .LBB210_151
; %bb.92:                               ;   in Loop: Header=BB210_18 Depth=1
	v_cvt_f32_u32_e32 v2, s89
	s_sub_u32 s6, 0, s89
	s_subb_u32 s12, 0, 0
	v_mac_f32_e32 v2, 0, v34
	v_rcp_f32_e32 v2, v2
	v_mul_f32_e32 v2, 0x5f7ffffc, v2
	v_mul_f32_e32 v3, 0x2f800000, v2
	v_trunc_f32_e32 v3, v3
	v_mac_f32_e32 v2, 0xcf800000, v3
	v_cvt_u32_f32_e32 v3, v3
	v_cvt_u32_f32_e32 v2, v2
	v_readfirstlane_b32 s13, v3
	v_readfirstlane_b32 s21, v2
	s_mul_i32 s28, s6, s13
	s_mul_hi_u32 s30, s6, s21
	s_mul_i32 s29, s12, s21
	s_add_i32 s28, s30, s28
	s_mul_i32 s31, s6, s21
	s_add_i32 s28, s28, s29
	s_mul_hi_u32 s30, s21, s31
	s_mul_hi_u32 s29, s21, s28
	s_mul_i32 s21, s21, s28
	s_add_u32 s21, s30, s21
	s_addc_u32 s29, 0, s29
	s_mul_hi_u32 s34, s13, s31
	s_mul_i32 s31, s13, s31
	s_add_u32 s21, s21, s31
	s_mul_hi_u32 s30, s13, s28
	s_addc_u32 s21, s29, s34
	s_addc_u32 s29, s30, 0
	s_mul_i32 s28, s13, s28
	s_add_u32 s21, s21, s28
	s_addc_u32 s28, 0, s29
	v_add_co_u32_e32 v2, vcc, s21, v2
	s_cmp_lg_u64 vcc, 0
	s_addc_u32 s13, s13, s28
	v_readfirstlane_b32 s28, v2
	s_mul_i32 s21, s6, s13
	s_mul_hi_u32 s29, s6, s28
	s_add_i32 s21, s29, s21
	s_mul_i32 s12, s12, s28
	s_add_i32 s21, s21, s12
	s_mul_i32 s6, s6, s28
	s_mul_hi_u32 s29, s13, s6
	s_mul_i32 s30, s13, s6
	s_mul_i32 s34, s28, s21
	s_mul_hi_u32 s6, s28, s6
	s_mul_hi_u32 s31, s28, s21
	s_add_u32 s6, s6, s34
	s_addc_u32 s28, 0, s31
	s_add_u32 s6, s6, s30
	s_mul_hi_u32 s12, s13, s21
	s_addc_u32 s6, s28, s29
	s_addc_u32 s12, s12, 0
	s_mul_i32 s21, s13, s21
	s_add_u32 s6, s6, s21
	s_addc_u32 s12, 0, s12
	v_add_co_u32_e32 v2, vcc, s6, v2
	s_cmp_lg_u64 vcc, 0
	s_addc_u32 s6, s13, s12
	v_readfirstlane_b32 s21, v2
	s_mul_i32 s13, s20, s6
	s_mul_hi_u32 s28, s20, s21
	s_mul_hi_u32 s12, s20, s6
	s_add_u32 s13, s28, s13
	s_addc_u32 s12, 0, s12
	s_mul_hi_u32 s29, s7, s21
	s_mul_i32 s21, s7, s21
	s_add_u32 s13, s13, s21
	s_mul_hi_u32 s28, s7, s6
	s_addc_u32 s12, s12, s29
	s_addc_u32 s13, s28, 0
	s_mul_i32 s6, s7, s6
	s_add_u32 s6, s12, s6
	s_addc_u32 s12, 0, s13
	s_mul_hi_u32 s13, s89, s6
	s_mul_i32 s6, s89, s6
	s_mul_i32 s12, s89, s12
	v_mov_b32_e32 v2, s6
	s_add_i32 s13, s13, s12
	v_sub_co_u32_e32 v2, vcc, s20, v2
	s_cmp_lg_u64 vcc, 0
	s_subb_u32 s6, s7, s13
	v_subrev_co_u32_e32 v3, vcc, s89, v2
	s_cmp_lg_u64 vcc, 0
	s_subb_u32 s12, s6, 0
	v_subrev_co_u32_e32 v4, vcc, s89, v3
	s_cmp_lg_u64 vcc, 0
	s_subb_u32 s13, s12, 0
	v_cmp_le_u32_e32 vcc, s89, v3
	s_cmp_eq_u32 s12, 0
	v_cndmask_b32_e64 v5, 0, -1, vcc
	s_cselect_b64 vcc, -1, 0
	v_cndmask_b32_e32 v5, -1, v5, vcc
	v_mov_b32_e32 v6, s12
	v_mov_b32_e32 v7, s13
	v_cmp_ne_u32_e32 vcc, 0, v5
	v_cndmask_b32_e32 v5, v6, v7, vcc
	v_cndmask_b32_e32 v4, v3, v4, vcc
	v_cmp_le_u32_e32 vcc, s89, v2
	s_cmp_eq_u32 s6, 0
	v_cndmask_b32_e64 v3, 0, -1, vcc
	s_cselect_b64 vcc, -1, 0
	v_cndmask_b32_e32 v3, -1, v3, vcc
	v_mov_b32_e32 v6, s6
	v_cmp_ne_u32_e32 vcc, 0, v3
	v_cndmask_b32_e32 v3, v6, v5, vcc
	v_cndmask_b32_e32 v2, v2, v4, vcc
	s_cbranch_execnz .LBB210_94
.LBB210_93:                             ;   in Loop: Header=BB210_18 Depth=1
	v_cvt_f32_u32_e32 v2, s89
	s_sub_i32 s6, 0, s89
	v_rcp_iflag_f32_e32 v2, v2
	v_mul_f32_e32 v2, 0x4f7ffffe, v2
	v_cvt_u32_f32_e32 v2, v2
	v_mul_lo_u32 v3, s6, v2
	v_mul_hi_u32 v3, v2, v3
	v_add_u32_e32 v2, v2, v3
	v_mul_hi_u32 v2, s20, v2
	v_mul_lo_u32 v2, v2, s89
	v_sub_u32_e32 v2, s20, v2
	v_subrev_u32_e32 v3, s89, v2
	v_cmp_le_u32_e32 vcc, s89, v2
	v_cndmask_b32_e32 v2, v2, v3, vcc
	v_subrev_u32_e32 v3, s89, v2
	v_cmp_le_u32_e32 vcc, s89, v2
	v_cndmask_b32_e32 v14, v2, v3, vcc
	v_pk_mov_b32 v[2:3], v[14:15], v[14:15] op_sel:[0,1]
.LBB210_94:                             ;   in Loop: Header=BB210_18 Depth=1
	v_mov_b32_e32 v4, s7
	v_sub_co_u32_e32 v2, vcc, s20, v2
	v_subb_co_u32_e32 v3, vcc, v4, v3, vcc
	v_cmp_gt_u64_e32 vcc, v[2:3], v[0:1]
	s_mov_b64 s[6:7], 0
                                        ; implicit-def: $vgpr6
	s_and_saveexec_b64 s[12:13], vcc
	s_cbranch_execz .LBB210_109
; %bb.95:                               ;   in Loop: Header=BB210_18 Depth=1
	s_mov_b64 s[20:21], 0
	v_mov_b32_e32 v6, v28
	v_pk_mov_b32 v[4:5], v[0:1], v[0:1] op_sel:[0,1]
                                        ; implicit-def: $sgpr28_sgpr29
	s_branch .LBB210_97
.LBB210_96:                             ;   in Loop: Header=BB210_97 Depth=2
	s_or_b64 exec, exec, s[6:7]
	s_waitcnt lgkmcnt(0)
	s_barrier
	ds_read_b32 v7, v15 offset:3072
	v_mov_b32_e32 v14, s74
	v_add_co_u32_e64 v4, s[6:7], s89, v4
	v_addc_co_u32_e64 v5, s[6:7], v5, v14, s[6:7]
	s_waitcnt lgkmcnt(0)
	v_cmp_neq_f16_e32 vcc, 0, v7
	v_cmp_ge_u64_e64 s[6:7], v[4:5], v[2:3]
	s_or_b64 s[6:7], s[6:7], vcc
	s_and_b64 s[6:7], exec, s[6:7]
	s_or_b64 s[20:21], s[6:7], s[20:21]
	s_andn2_b64 s[6:7], s[28:29], exec
	s_and_b64 s[28:29], vcc, exec
	v_add_u32_e32 v6, s5, v6
	s_or_b64 s[28:29], s[6:7], s[28:29]
	s_barrier
	s_andn2_b64 exec, exec, s[20:21]
	s_cbranch_execz .LBB210_108
.LBB210_97:                             ;   Parent Loop BB210_18 Depth=1
                                        ; =>  This Inner Loop Header: Depth=2
	v_cmp_gt_u64_e32 vcc, s[10:11], v[4:5]
	v_mov_b32_e32 v7, 0
	s_and_saveexec_b64 s[6:7], vcc
	s_cbranch_execz .LBB210_99
; %bb.98:                               ;   in Loop: Header=BB210_97 Depth=2
	ds_read_u16 v7, v6
.LBB210_99:                             ;   in Loop: Header=BB210_97 Depth=2
	s_or_b64 exec, exec, s[6:7]
	s_and_saveexec_b64 s[6:7], vcc
	s_cbranch_execz .LBB210_96
; %bb.100:                              ;   in Loop: Header=BB210_97 Depth=2
	s_waitcnt lgkmcnt(0)
	v_cmp_lt_i16_e32 vcc, -1, v7
	v_cndmask_b32_e32 v14, v32, v33, vcc
	v_xor_b32_sdwa v14, v14, v7 dst_sel:DWORD dst_unused:UNUSED_PAD src0_sel:DWORD src1_sel:WORD_0
	v_cmp_o_f16_e32 vcc, v7, v7
	v_cndmask_b32_e32 v14, v32, v14, vcc
	v_and_b32_e32 v14, v14, v9
	v_cmp_eq_u32_e32 vcc, v14, v8
	s_and_b64 exec, exec, vcc
	s_cbranch_execz .LBB210_96
; %bb.101:                              ;   in Loop: Header=BB210_97 Depth=2
	s_movk_i32 s30, 0x3c00
	v_perm_b32 v7, v7, s30, v36
	ds_write_b32 v15, v7 offset:3072
	s_branch .LBB210_96
.LBB210_102:                            ;   in Loop: Header=BB210_18 Depth=1
	s_mov_b64 s[28:29], 0
	s_mov_b64 s[26:27], 0
                                        ; implicit-def: $sgpr34_sgpr35
                                        ; implicit-def: $sgpr36_sgpr37
                                        ; implicit-def: $sgpr20_sgpr21
                                        ; implicit-def: $vgpr7
                                        ; implicit-def: $vgpr2_vgpr3
                                        ; implicit-def: $vgpr8
                                        ; implicit-def: $vgpr9
                                        ; implicit-def: $vgpr6
	s_cbranch_execnz .LBB210_288
.LBB210_103:                            ;   in Loop: Header=BB210_18 Depth=1
	s_mov_b64 s[14:15], s[20:21]
	s_mov_b64 s[38:39], s[20:21]
	s_and_saveexec_b64 s[6:7], s[28:29]
	s_cbranch_execnz .LBB210_484
	s_branch .LBB210_485
.LBB210_104:                            ;   in Loop: Header=BB210_18 Depth=1
	s_or_b64 exec, exec, s[8:9]
	s_waitcnt lgkmcnt(0)
	s_barrier
	s_mov_b64 s[6:7], exec
	v_readlane_b32 s8, v49, 32
	v_readlane_b32 s9, v49, 33
	s_and_b64 s[8:9], s[6:7], s[8:9]
	s_mov_b64 exec, s[8:9]
	s_cbranch_execz .LBB210_106
; %bb.105:                              ;   in Loop: Header=BB210_18 Depth=1
	ds_read_b32 v2, v15 offset:5144
	s_waitcnt lgkmcnt(0)
	v_ashrrev_i32_e32 v3, 31, v2
	ds_write_b64 v15, v[2:3] offset:5120
.LBB210_106:                            ;   in Loop: Header=BB210_18 Depth=1
	s_or_b64 exec, exec, s[6:7]
	s_waitcnt lgkmcnt(0)
	s_barrier
	s_mov_b64 s[6:7], -1
	s_and_b64 vcc, exec, s[30:31]
	s_cbranch_vccnz .LBB210_33
	s_branch .LBB210_43
.LBB210_107:                            ;   in Loop: Header=BB210_18 Depth=1
	s_mov_b64 s[20:21], -1
	s_mov_b64 s[6:7], 0
                                        ; implicit-def: $sgpr34_sgpr35
                                        ; implicit-def: $vgpr6
	s_mov_b64 s[36:37], s[20:21]
	s_cbranch_execnz .LBB210_110
	s_branch .LBB210_123
.LBB210_108:                            ;   in Loop: Header=BB210_18 Depth=1
	s_or_b64 exec, exec, s[20:21]
	v_lshrrev_b32_e32 v6, 16, v7
	s_and_b64 s[6:7], s[28:29], exec
.LBB210_109:                            ;   in Loop: Header=BB210_18 Depth=1
	s_or_b64 exec, exec, s[12:13]
	s_mov_b64 s[34:35], -1
	s_mov_b64 s[20:21], 0
	s_mov_b64 s[36:37], s[20:21]
	s_branch .LBB210_123
.LBB210_110:                            ;   in Loop: Header=BB210_18 Depth=1
	s_mov_b32 s72, s91
	s_cmp_lg_u64 s[72:73], 0
	s_cbranch_scc0 .LBB210_152
; %bb.111:                              ;   in Loop: Header=BB210_18 Depth=1
	v_cvt_f32_u32_e32 v2, s89
	s_sub_u32 s6, 0, s89
	s_subb_u32 s7, 0, 0
	v_mac_f32_e32 v2, 0, v34
	v_rcp_f32_e32 v2, v2
	v_mul_f32_e32 v2, 0x5f7ffffc, v2
	v_mul_f32_e32 v3, 0x2f800000, v2
	v_trunc_f32_e32 v3, v3
	v_mac_f32_e32 v2, 0xcf800000, v3
	v_cvt_u32_f32_e32 v3, v3
	v_cvt_u32_f32_e32 v2, v2
	v_readfirstlane_b32 s10, v3
	v_readfirstlane_b32 s11, v2
	s_mul_i32 s12, s6, s10
	s_mul_hi_u32 s20, s6, s11
	s_mul_i32 s13, s7, s11
	s_add_i32 s12, s20, s12
	s_mul_i32 s21, s6, s11
	s_add_i32 s12, s12, s13
	s_mul_hi_u32 s20, s11, s21
	s_mul_hi_u32 s13, s11, s12
	s_mul_i32 s11, s11, s12
	s_add_u32 s11, s20, s11
	s_addc_u32 s13, 0, s13
	s_mul_hi_u32 s28, s10, s21
	s_mul_i32 s21, s10, s21
	s_add_u32 s11, s11, s21
	s_mul_hi_u32 s20, s10, s12
	s_addc_u32 s11, s13, s28
	s_addc_u32 s13, s20, 0
	s_mul_i32 s12, s10, s12
	s_add_u32 s11, s11, s12
	s_addc_u32 s12, 0, s13
	v_add_co_u32_e32 v2, vcc, s11, v2
	s_cmp_lg_u64 vcc, 0
	s_addc_u32 s10, s10, s12
	v_readfirstlane_b32 s12, v2
	s_mul_i32 s11, s6, s10
	s_mul_hi_u32 s13, s6, s12
	s_add_i32 s11, s13, s11
	s_mul_i32 s7, s7, s12
	s_add_i32 s11, s11, s7
	s_mul_i32 s6, s6, s12
	s_mul_hi_u32 s13, s10, s6
	s_mul_i32 s20, s10, s6
	s_mul_i32 s28, s12, s11
	s_mul_hi_u32 s6, s12, s6
	s_mul_hi_u32 s21, s12, s11
	s_add_u32 s6, s6, s28
	s_addc_u32 s12, 0, s21
	s_add_u32 s6, s6, s20
	s_mul_hi_u32 s7, s10, s11
	s_addc_u32 s6, s12, s13
	s_addc_u32 s7, s7, 0
	s_mul_i32 s11, s10, s11
	s_add_u32 s6, s6, s11
	s_addc_u32 s7, 0, s7
	v_add_co_u32_e32 v2, vcc, s6, v2
	s_cmp_lg_u64 vcc, 0
	s_addc_u32 s6, s10, s7
	v_readlane_b32 s20, v49, 53
	v_readfirstlane_b32 s11, v2
	s_mul_i32 s10, s20, s6
	s_mul_hi_u32 s12, s20, s11
	s_mul_hi_u32 s7, s20, s6
	s_add_u32 s10, s12, s10
	s_addc_u32 s7, 0, s7
	s_mul_hi_u32 s13, s73, s11
	s_mul_i32 s11, s73, s11
	s_add_u32 s10, s10, s11
	s_mul_hi_u32 s12, s73, s6
	s_addc_u32 s7, s7, s13
	s_addc_u32 s10, s12, 0
	s_mul_i32 s6, s73, s6
	s_add_u32 s6, s7, s6
	s_addc_u32 s7, 0, s10
	s_mul_hi_u32 s10, s89, s6
	s_mul_i32 s6, s89, s6
	s_mul_i32 s7, s89, s7
	v_mov_b32_e32 v2, s6
	s_add_i32 s10, s10, s7
	v_sub_co_u32_e32 v2, vcc, s20, v2
	s_cmp_lg_u64 vcc, 0
	s_subb_u32 s6, s73, s10
	v_subrev_co_u32_e32 v3, vcc, s89, v2
	s_cmp_lg_u64 vcc, 0
	s_subb_u32 s7, s6, 0
	v_subrev_co_u32_e32 v4, vcc, s89, v3
	s_cmp_lg_u64 vcc, 0
	s_subb_u32 s10, s7, 0
	v_cmp_le_u32_e32 vcc, s89, v3
	s_cmp_eq_u32 s7, 0
	v_cndmask_b32_e64 v5, 0, -1, vcc
	s_cselect_b64 vcc, -1, 0
	v_cndmask_b32_e32 v5, -1, v5, vcc
	v_mov_b32_e32 v6, s7
	v_mov_b32_e32 v7, s10
	v_cmp_ne_u32_e32 vcc, 0, v5
	v_cndmask_b32_e32 v5, v6, v7, vcc
	v_cndmask_b32_e32 v4, v3, v4, vcc
	v_cmp_le_u32_e32 vcc, s89, v2
	s_cmp_eq_u32 s6, 0
	v_cndmask_b32_e64 v3, 0, -1, vcc
	s_cselect_b64 vcc, -1, 0
	v_cndmask_b32_e32 v3, -1, v3, vcc
	v_mov_b32_e32 v6, s6
	v_cmp_ne_u32_e32 vcc, 0, v3
	v_cndmask_b32_e32 v3, v6, v5, vcc
	v_cndmask_b32_e32 v2, v2, v4, vcc
	s_cbranch_execnz .LBB210_113
.LBB210_112:                            ;   in Loop: Header=BB210_18 Depth=1
	v_cvt_f32_u32_e32 v2, s89
	s_sub_i32 s6, 0, s89
	v_rcp_iflag_f32_e32 v2, v2
	v_mul_f32_e32 v2, 0x4f7ffffe, v2
	v_cvt_u32_f32_e32 v2, v2
	v_mul_lo_u32 v3, s6, v2
	v_mul_hi_u32 v3, v2, v3
	v_add_u32_e32 v2, v2, v3
	v_readlane_b32 s6, v49, 53
	v_mul_hi_u32 v2, s6, v2
	v_mul_lo_u32 v2, v2, s89
	v_sub_u32_e32 v2, s6, v2
	v_subrev_u32_e32 v3, s89, v2
	v_cmp_le_u32_e32 vcc, s89, v2
	v_cndmask_b32_e32 v2, v2, v3, vcc
	v_subrev_u32_e32 v3, s89, v2
	v_cmp_le_u32_e32 vcc, s89, v2
	v_cndmask_b32_e32 v14, v2, v3, vcc
	v_pk_mov_b32 v[2:3], v[14:15], v[14:15] op_sel:[0,1]
.LBB210_113:                            ;   in Loop: Header=BB210_18 Depth=1
	v_readlane_b32 s6, v49, 53
	v_mov_b32_e32 v4, s73
	v_sub_co_u32_e32 v2, vcc, s6, v2
	v_subb_co_u32_e32 v3, vcc, v4, v3, vcc
	v_cmp_gt_u64_e32 vcc, v[2:3], v[0:1]
	s_mov_b64 s[6:7], 0
                                        ; implicit-def: $vgpr6
	s_and_saveexec_b64 s[10:11], vcc
	s_cbranch_execz .LBB210_122
; %bb.114:                              ;   in Loop: Header=BB210_18 Depth=1
	s_mov_b64 s[12:13], 0
	v_pk_mov_b32 v[4:5], v[0:1], v[0:1] op_sel:[0,1]
                                        ; implicit-def: $sgpr20_sgpr21
	s_branch .LBB210_116
.LBB210_115:                            ;   in Loop: Header=BB210_116 Depth=2
	s_or_b64 exec, exec, s[6:7]
	s_waitcnt lgkmcnt(0)
	s_barrier
	s_waitcnt vmcnt(0)
	ds_read_b32 v6, v15 offset:3072
	v_mov_b32_e32 v7, s74
	v_add_co_u32_e64 v4, s[6:7], s89, v4
	v_addc_co_u32_e64 v5, s[6:7], v5, v7, s[6:7]
	s_waitcnt lgkmcnt(0)
	v_cmp_neq_f16_e32 vcc, 0, v6
	v_cmp_ge_u64_e64 s[6:7], v[4:5], v[2:3]
	s_or_b64 s[6:7], s[6:7], vcc
	s_and_b64 s[6:7], exec, s[6:7]
	s_or_b64 s[12:13], s[6:7], s[12:13]
	s_andn2_b64 s[6:7], s[20:21], exec
	s_and_b64 s[20:21], vcc, exec
	s_or_b64 s[20:21], s[6:7], s[20:21]
	s_barrier
	s_andn2_b64 exec, exec, s[12:13]
	s_cbranch_execz .LBB210_121
.LBB210_116:                            ;   Parent Loop BB210_18 Depth=1
                                        ; =>  This Inner Loop Header: Depth=2
	v_cmp_gt_u64_e32 vcc, s[60:61], v[4:5]
	v_mov_b32_e32 v6, 0
	s_and_saveexec_b64 s[28:29], vcc
	s_cbranch_execz .LBB210_118
; %bb.117:                              ;   in Loop: Header=BB210_116 Depth=2
	v_mul_lo_u32 v14, v5, s58
	v_mul_lo_u32 v20, v4, s59
	v_mad_u64_u32 v[6:7], s[6:7], v4, s58, 0
	v_add3_u32 v7, v7, v20, v14
	v_lshlrev_b64 v[6:7], 1, v[6:7]
	v_mov_b32_e32 v14, s88
	v_add_co_u32_e64 v6, s[6:7], s33, v6
	v_addc_co_u32_e64 v7, s[6:7], v14, v7, s[6:7]
	global_load_ushort v6, v[6:7], off
.LBB210_118:                            ;   in Loop: Header=BB210_116 Depth=2
	s_or_b64 exec, exec, s[28:29]
	s_and_saveexec_b64 s[6:7], vcc
	s_cbranch_execz .LBB210_115
; %bb.119:                              ;   in Loop: Header=BB210_116 Depth=2
	s_waitcnt vmcnt(0)
	v_cmp_lt_i16_e32 vcc, -1, v6
	v_cndmask_b32_e32 v7, v32, v33, vcc
	v_xor_b32_sdwa v7, v7, v6 dst_sel:DWORD dst_unused:UNUSED_PAD src0_sel:DWORD src1_sel:WORD_0
	v_cmp_o_f16_e32 vcc, v6, v6
	v_cndmask_b32_e32 v7, v32, v7, vcc
	v_and_b32_e32 v7, v7, v9
	v_cmp_eq_u32_e32 vcc, v7, v8
	s_and_b64 exec, exec, vcc
	s_cbranch_execz .LBB210_115
; %bb.120:                              ;   in Loop: Header=BB210_116 Depth=2
	s_movk_i32 s28, 0x3c00
	v_perm_b32 v6, v6, s28, v36
	ds_write_b32 v15, v6 offset:3072
	s_branch .LBB210_115
.LBB210_121:                            ;   in Loop: Header=BB210_18 Depth=1
	s_or_b64 exec, exec, s[12:13]
	v_lshrrev_b32_e32 v6, 16, v6
	s_and_b64 s[6:7], s[20:21], exec
.LBB210_122:                            ;   in Loop: Header=BB210_18 Depth=1
	s_or_b64 exec, exec, s[10:11]
	s_mov_b64 s[36:37], -1
	s_mov_b64 s[20:21], 0
	s_mov_b64 s[34:35], 0
.LBB210_123:                            ;   in Loop: Header=BB210_18 Depth=1
	s_orn2_b64 s[6:7], s[6:7], exec
.LBB210_124:                            ;   in Loop: Header=BB210_18 Depth=1
	s_or_b64 exec, exec, s[26:27]
	s_mov_b64 s[38:39], 0
	s_mov_b64 s[28:29], 0
	;; [unrolled: 1-line block ×3, first 2 shown]
                                        ; implicit-def: $vgpr7
                                        ; implicit-def: $vgpr2_vgpr3
	s_and_saveexec_b64 s[40:41], s[6:7]
	s_cbranch_execz .LBB210_287
; %bb.125:                              ;   in Loop: Header=BB210_18 Depth=1
	v_mov_b32_e32 v2, 1
	s_xor_b64 s[8:9], s[8:9], -1
	v_mov_b32_e32 v3, 0
	v_mov_b32_e32 v7, 1
	s_and_saveexec_b64 s[6:7], s[8:9]
	s_cbranch_execz .LBB210_135
; %bb.126:                              ;   in Loop: Header=BB210_18 Depth=1
	v_cmp_ge_u64_e32 vcc, s[16:17], v[18:19]
                                        ; implicit-def: $sgpr12
                                        ; implicit-def: $sgpr8_sgpr9
	s_and_saveexec_b64 s[10:11], vcc
	s_xor_b64 s[10:11], exec, s[10:11]
	s_cbranch_execz .LBB210_132
; %bb.127:                              ;   in Loop: Header=BB210_18 Depth=1
	ds_read_b64 v[2:3], v15 offset:5120
	s_waitcnt lgkmcnt(0)
	v_cmp_ne_u64_e32 vcc, 0, v[2:3]
	s_cbranch_vccnz .LBB210_131
; %bb.128:                              ;   in Loop: Header=BB210_18 Depth=1
	s_mov_b64 s[8:9], exec
	v_readlane_b32 s12, v49, 32
	v_readlane_b32 s13, v49, 33
	s_and_b64 s[12:13], s[8:9], s[12:13]
	s_mov_b64 exec, s[12:13]
	s_cbranch_execz .LBB210_130
; %bb.129:                              ;   in Loop: Header=BB210_18 Depth=1
	v_pk_mov_b32 v[2:3], s[16:17], s[16:17] op_sel:[0,1]
	ds_write_b64 v15, v[2:3] offset:5128
.LBB210_130:                            ;   in Loop: Header=BB210_18 Depth=1
	s_or_b64 exec, exec, s[8:9]
	s_waitcnt lgkmcnt(0)
	s_barrier
.LBB210_131:                            ;   in Loop: Header=BB210_18 Depth=1
	v_and_b32_e32 v8, s48, v8
	v_or_b32_e32 v9, s90, v9
	s_mov_b64 s[8:9], 0
	s_mov_b32 s12, 8
.LBB210_132:                            ;   in Loop: Header=BB210_18 Depth=1
	s_or_saveexec_b64 s[10:11], s[10:11]
	v_mov_b32_e32 v7, s12
	v_pk_mov_b32 v[2:3], v[18:19], v[18:19] op_sel:[0,1]
	s_xor_b64 exec, exec, s[10:11]
; %bb.133:                              ;   in Loop: Header=BB210_18 Depth=1
	v_mov_b32_e32 v3, s17
	v_subrev_co_u32_e32 v2, vcc, s16, v18
	v_subb_co_u32_e32 v3, vcc, v19, v3, vcc
	v_mov_b32_e32 v7, 0
	s_or_b64 s[8:9], s[8:9], exec
; %bb.134:                              ;   in Loop: Header=BB210_18 Depth=1
	s_or_b64 exec, exec, s[10:11]
	s_and_b64 s[26:27], s[8:9], exec
.LBB210_135:                            ;   in Loop: Header=BB210_18 Depth=1
	s_or_b64 exec, exec, s[6:7]
	s_mov_b64 s[28:29], -1
                                        ; implicit-def: $sgpr8_sgpr9
                                        ; implicit-def: $sgpr10_sgpr11
                                        ; implicit-def: $sgpr12_sgpr13
	s_and_saveexec_b64 s[6:7], s[26:27]
	s_xor_b64 s[26:27], exec, s[6:7]
	s_cbranch_execz .LBB210_284
; %bb.136:                              ;   in Loop: Header=BB210_18 Depth=1
	s_cmp_eq_u64 s[18:19], 1
	s_cselect_b64 s[6:7], -1, 0
	v_cmp_eq_u64_e32 vcc, 1, v[2:3]
	s_and_b64 s[8:9], s[6:7], vcc
	s_mov_b64 s[10:11], -1
                                        ; implicit-def: $sgpr28_sgpr29
                                        ; implicit-def: $sgpr44_sgpr45
                                        ; implicit-def: $sgpr42_sgpr43
	s_and_saveexec_b64 s[30:31], s[8:9]
	s_cbranch_execz .LBB210_170
; %bb.137:                              ;   in Loop: Header=BB210_18 Depth=1
	ds_read_b64 v[4:5], v15 offset:5120
	s_waitcnt lgkmcnt(0)
	s_barrier
	v_readfirstlane_b32 s10, v4
	v_readfirstlane_b32 s11, v5
	s_mov_b64 s[6:7], exec
	v_readlane_b32 s12, v49, 48
	v_readlane_b32 s13, v49, 49
	s_and_b64 s[12:13], s[6:7], s[12:13]
	s_mov_b64 exec, s[12:13]
	s_cbranch_execz .LBB210_139
; %bb.138:                              ;   in Loop: Header=BB210_18 Depth=1
	ds_write_b16 v29, v15
.LBB210_139:                            ;   in Loop: Header=BB210_18 Depth=1
	s_or_b64 exec, exec, s[6:7]
	v_and_b32_e32 v4, s48, v8
	v_lshl_or_b32 v8, 1, s49, v4
	v_or_b32_e32 v9, s90, v9
	s_cmp_eq_u64 s[10:11], 0
	s_waitcnt lgkmcnt(0)
	s_barrier
	s_cbranch_scc1 .LBB210_153
; %bb.140:                              ;   in Loop: Header=BB210_18 Depth=1
	v_readlane_b32 s6, v49, 52
	s_add_u32 s28, s6, s10
	v_readlane_b32 s6, v49, 54
	s_addc_u32 s7, s6, s11
	s_mov_b32 s6, s91
	s_cmp_lg_u64 s[6:7], 0
	s_cbranch_scc0 .LBB210_197
; %bb.141:                              ;   in Loop: Header=BB210_18 Depth=1
	v_cvt_f32_u32_e32 v4, s89
	s_sub_u32 s6, 0, s89
	s_subb_u32 s12, 0, 0
	v_mac_f32_e32 v4, 0, v34
	v_rcp_f32_e32 v4, v4
	v_mul_f32_e32 v4, 0x5f7ffffc, v4
	v_mul_f32_e32 v5, 0x2f800000, v4
	v_trunc_f32_e32 v5, v5
	v_mac_f32_e32 v4, 0xcf800000, v5
	v_cvt_u32_f32_e32 v5, v5
	v_cvt_u32_f32_e32 v4, v4
	v_readfirstlane_b32 s13, v5
	v_readfirstlane_b32 s29, v4
	s_mul_i32 s42, s6, s13
	s_mul_hi_u32 s44, s6, s29
	s_mul_i32 s43, s12, s29
	s_add_i32 s42, s44, s42
	s_mul_i32 s45, s6, s29
	s_add_i32 s42, s42, s43
	s_mul_hi_u32 s44, s29, s45
	s_mul_hi_u32 s43, s29, s42
	s_mul_i32 s29, s29, s42
	s_add_u32 s29, s44, s29
	s_addc_u32 s43, 0, s43
	s_mul_hi_u32 s46, s13, s45
	s_mul_i32 s45, s13, s45
	s_add_u32 s29, s29, s45
	s_mul_hi_u32 s44, s13, s42
	s_addc_u32 s29, s43, s46
	s_addc_u32 s43, s44, 0
	s_mul_i32 s42, s13, s42
	s_add_u32 s29, s29, s42
	s_addc_u32 s42, 0, s43
	v_add_co_u32_e32 v4, vcc, s29, v4
	s_cmp_lg_u64 vcc, 0
	s_addc_u32 s13, s13, s42
	v_readfirstlane_b32 s42, v4
	s_mul_i32 s29, s6, s13
	s_mul_hi_u32 s43, s6, s42
	s_add_i32 s29, s43, s29
	s_mul_i32 s12, s12, s42
	s_add_i32 s29, s29, s12
	s_mul_i32 s6, s6, s42
	s_mul_hi_u32 s43, s13, s6
	s_mul_i32 s44, s13, s6
	s_mul_i32 s46, s42, s29
	s_mul_hi_u32 s6, s42, s6
	s_mul_hi_u32 s45, s42, s29
	s_add_u32 s6, s6, s46
	s_addc_u32 s42, 0, s45
	s_add_u32 s6, s6, s44
	s_mul_hi_u32 s12, s13, s29
	s_addc_u32 s6, s42, s43
	s_addc_u32 s12, s12, 0
	s_mul_i32 s29, s13, s29
	s_add_u32 s6, s6, s29
	s_addc_u32 s12, 0, s12
	v_add_co_u32_e32 v4, vcc, s6, v4
	s_cmp_lg_u64 vcc, 0
	s_addc_u32 s6, s13, s12
	v_readfirstlane_b32 s29, v4
	s_mul_i32 s13, s28, s6
	s_mul_hi_u32 s42, s28, s29
	s_mul_hi_u32 s12, s28, s6
	s_add_u32 s13, s42, s13
	s_addc_u32 s12, 0, s12
	s_mul_hi_u32 s43, s7, s29
	s_mul_i32 s29, s7, s29
	s_add_u32 s13, s13, s29
	s_mul_hi_u32 s42, s7, s6
	s_addc_u32 s12, s12, s43
	s_addc_u32 s13, s42, 0
	s_mul_i32 s6, s7, s6
	s_add_u32 s6, s12, s6
	s_addc_u32 s12, 0, s13
	s_mul_hi_u32 s13, s89, s6
	s_mul_i32 s6, s89, s6
	s_mul_i32 s12, s89, s12
	v_mov_b32_e32 v4, s6
	s_add_i32 s13, s13, s12
	v_sub_co_u32_e32 v4, vcc, s28, v4
	s_cmp_lg_u64 vcc, 0
	s_subb_u32 s6, s7, s13
	v_subrev_co_u32_e32 v5, vcc, s89, v4
	s_cmp_lg_u64 vcc, 0
	s_subb_u32 s12, s6, 0
	v_subrev_co_u32_e32 v6, vcc, s89, v5
	s_cmp_lg_u64 vcc, 0
	s_subb_u32 s13, s12, 0
	v_cmp_le_u32_e32 vcc, s89, v5
	s_cmp_eq_u32 s12, 0
	v_cndmask_b32_e64 v7, 0, -1, vcc
	s_cselect_b64 vcc, -1, 0
	v_cndmask_b32_e32 v7, -1, v7, vcc
	v_mov_b32_e32 v14, s12
	v_mov_b32_e32 v20, s13
	v_cmp_ne_u32_e32 vcc, 0, v7
	v_cndmask_b32_e32 v7, v14, v20, vcc
	v_cndmask_b32_e32 v6, v5, v6, vcc
	v_cmp_le_u32_e32 vcc, s89, v4
	s_cmp_eq_u32 s6, 0
	v_cndmask_b32_e64 v5, 0, -1, vcc
	s_cselect_b64 vcc, -1, 0
	v_cndmask_b32_e32 v5, -1, v5, vcc
	v_mov_b32_e32 v14, s6
	v_cmp_ne_u32_e32 vcc, 0, v5
	v_cndmask_b32_e32 v5, v14, v7, vcc
	v_cndmask_b32_e32 v4, v4, v6, vcc
	s_cbranch_execnz .LBB210_143
.LBB210_142:                            ;   in Loop: Header=BB210_18 Depth=1
	v_cvt_f32_u32_e32 v4, s89
	s_sub_i32 s6, 0, s89
	v_rcp_iflag_f32_e32 v4, v4
	v_mul_f32_e32 v4, 0x4f7ffffe, v4
	v_cvt_u32_f32_e32 v4, v4
	v_mul_lo_u32 v5, s6, v4
	v_mul_hi_u32 v5, v4, v5
	v_add_u32_e32 v4, v4, v5
	v_mul_hi_u32 v4, s28, v4
	v_mul_lo_u32 v4, v4, s89
	v_sub_u32_e32 v4, s28, v4
	v_subrev_u32_e32 v5, s89, v4
	v_cmp_le_u32_e32 vcc, s89, v4
	v_cndmask_b32_e32 v4, v4, v5, vcc
	v_subrev_u32_e32 v5, s89, v4
	v_cmp_le_u32_e32 vcc, s89, v4
	v_cndmask_b32_e32 v14, v4, v5, vcc
	v_pk_mov_b32 v[4:5], v[14:15], v[14:15] op_sel:[0,1]
.LBB210_143:                            ;   in Loop: Header=BB210_18 Depth=1
	v_mov_b32_e32 v6, s7
	v_sub_co_u32_e32 v4, vcc, s28, v4
	v_subb_co_u32_e32 v5, vcc, v6, v5, vcc
	v_cmp_gt_u64_e32 vcc, v[4:5], v[0:1]
	s_mov_b64 s[6:7], 0
                                        ; implicit-def: $vgpr6
	s_and_saveexec_b64 s[12:13], vcc
	s_cbranch_execz .LBB210_155
; %bb.144:                              ;   in Loop: Header=BB210_18 Depth=1
	s_mov_b64 s[28:29], 0
	v_mov_b32_e32 v14, v28
	v_pk_mov_b32 v[6:7], v[0:1], v[0:1] op_sel:[0,1]
                                        ; implicit-def: $sgpr42_sgpr43
	s_branch .LBB210_146
.LBB210_145:                            ;   in Loop: Header=BB210_146 Depth=2
	s_or_b64 exec, exec, s[6:7]
	s_waitcnt lgkmcnt(0)
	s_barrier
	ds_read_b32 v20, v15 offset:3072
	v_mov_b32_e32 v21, s74
	v_add_co_u32_e64 v6, s[6:7], s89, v6
	v_addc_co_u32_e64 v7, s[6:7], v7, v21, s[6:7]
	s_waitcnt lgkmcnt(0)
	v_cmp_neq_f16_e32 vcc, 0, v20
	v_cmp_ge_u64_e64 s[6:7], v[6:7], v[4:5]
	s_or_b64 s[6:7], s[6:7], vcc
	s_and_b64 s[6:7], exec, s[6:7]
	s_or_b64 s[28:29], s[6:7], s[28:29]
	s_andn2_b64 s[6:7], s[42:43], exec
	s_and_b64 s[42:43], vcc, exec
	v_add_u32_e32 v14, s5, v14
	s_or_b64 s[42:43], s[6:7], s[42:43]
	s_barrier
	s_andn2_b64 exec, exec, s[28:29]
	s_cbranch_execz .LBB210_154
.LBB210_146:                            ;   Parent Loop BB210_18 Depth=1
                                        ; =>  This Inner Loop Header: Depth=2
	v_cmp_gt_u64_e32 vcc, s[10:11], v[6:7]
	v_mov_b32_e32 v20, 0
	s_and_saveexec_b64 s[6:7], vcc
	s_cbranch_execz .LBB210_148
; %bb.147:                              ;   in Loop: Header=BB210_146 Depth=2
	ds_read_u16 v20, v14
.LBB210_148:                            ;   in Loop: Header=BB210_146 Depth=2
	s_or_b64 exec, exec, s[6:7]
	s_and_saveexec_b64 s[6:7], vcc
	s_cbranch_execz .LBB210_145
; %bb.149:                              ;   in Loop: Header=BB210_146 Depth=2
	s_waitcnt lgkmcnt(0)
	v_cmp_lt_i16_e32 vcc, -1, v20
	v_cndmask_b32_e32 v21, v32, v33, vcc
	v_xor_b32_sdwa v21, v21, v20 dst_sel:DWORD dst_unused:UNUSED_PAD src0_sel:DWORD src1_sel:WORD_0
	v_cmp_o_f16_e32 vcc, v20, v20
	v_cndmask_b32_e32 v21, v32, v21, vcc
	v_and_b32_e32 v21, v21, v9
	v_cmp_eq_u32_e32 vcc, v21, v8
	s_and_b64 exec, exec, vcc
	s_cbranch_execz .LBB210_145
; %bb.150:                              ;   in Loop: Header=BB210_146 Depth=2
	s_movk_i32 s44, 0x3c00
	v_perm_b32 v20, v20, s44, v36
	ds_write_b32 v15, v20 offset:3072
	s_branch .LBB210_145
.LBB210_151:                            ;   in Loop: Header=BB210_18 Depth=1
                                        ; implicit-def: $vgpr2_vgpr3
	s_branch .LBB210_93
.LBB210_152:                            ;   in Loop: Header=BB210_18 Depth=1
                                        ; implicit-def: $vgpr2_vgpr3
	s_branch .LBB210_112
.LBB210_153:                            ;   in Loop: Header=BB210_18 Depth=1
	s_mov_b64 s[28:29], -1
	s_mov_b64 s[6:7], 0
                                        ; implicit-def: $sgpr42_sgpr43
                                        ; implicit-def: $vgpr6
	s_mov_b64 s[44:45], s[28:29]
	s_cbranch_execnz .LBB210_156
	s_branch .LBB210_169
.LBB210_154:                            ;   in Loop: Header=BB210_18 Depth=1
	s_or_b64 exec, exec, s[28:29]
	v_lshrrev_b32_e32 v6, 16, v20
	s_and_b64 s[6:7], s[42:43], exec
.LBB210_155:                            ;   in Loop: Header=BB210_18 Depth=1
	s_or_b64 exec, exec, s[12:13]
	s_mov_b64 s[42:43], -1
	s_mov_b64 s[28:29], 0
	s_mov_b64 s[44:45], s[28:29]
	s_branch .LBB210_169
.LBB210_156:                            ;   in Loop: Header=BB210_18 Depth=1
	s_mov_b32 s72, s91
	s_cmp_lg_u64 s[72:73], 0
	s_cbranch_scc0 .LBB210_198
; %bb.157:                              ;   in Loop: Header=BB210_18 Depth=1
	v_cvt_f32_u32_e32 v4, s89
	s_sub_u32 s6, 0, s89
	s_subb_u32 s7, 0, 0
	v_mac_f32_e32 v4, 0, v34
	v_rcp_f32_e32 v4, v4
	v_mul_f32_e32 v4, 0x5f7ffffc, v4
	v_mul_f32_e32 v5, 0x2f800000, v4
	v_trunc_f32_e32 v5, v5
	v_mac_f32_e32 v4, 0xcf800000, v5
	v_cvt_u32_f32_e32 v5, v5
	v_cvt_u32_f32_e32 v4, v4
	v_readfirstlane_b32 s10, v5
	v_readfirstlane_b32 s11, v4
	s_mul_i32 s12, s6, s10
	s_mul_hi_u32 s28, s6, s11
	s_mul_i32 s13, s7, s11
	s_add_i32 s12, s28, s12
	s_mul_i32 s29, s6, s11
	s_add_i32 s12, s12, s13
	s_mul_hi_u32 s28, s11, s29
	s_mul_hi_u32 s13, s11, s12
	s_mul_i32 s11, s11, s12
	s_add_u32 s11, s28, s11
	s_addc_u32 s13, 0, s13
	s_mul_hi_u32 s42, s10, s29
	s_mul_i32 s29, s10, s29
	s_add_u32 s11, s11, s29
	s_mul_hi_u32 s28, s10, s12
	s_addc_u32 s11, s13, s42
	s_addc_u32 s13, s28, 0
	s_mul_i32 s12, s10, s12
	s_add_u32 s11, s11, s12
	s_addc_u32 s12, 0, s13
	v_add_co_u32_e32 v4, vcc, s11, v4
	s_cmp_lg_u64 vcc, 0
	s_addc_u32 s10, s10, s12
	v_readfirstlane_b32 s12, v4
	s_mul_i32 s11, s6, s10
	s_mul_hi_u32 s13, s6, s12
	s_add_i32 s11, s13, s11
	s_mul_i32 s7, s7, s12
	s_add_i32 s11, s11, s7
	s_mul_i32 s6, s6, s12
	s_mul_hi_u32 s13, s10, s6
	s_mul_i32 s28, s10, s6
	s_mul_i32 s42, s12, s11
	s_mul_hi_u32 s6, s12, s6
	s_mul_hi_u32 s29, s12, s11
	s_add_u32 s6, s6, s42
	s_addc_u32 s12, 0, s29
	s_add_u32 s6, s6, s28
	s_mul_hi_u32 s7, s10, s11
	s_addc_u32 s6, s12, s13
	s_addc_u32 s7, s7, 0
	s_mul_i32 s11, s10, s11
	s_add_u32 s6, s6, s11
	s_addc_u32 s7, 0, s7
	v_add_co_u32_e32 v4, vcc, s6, v4
	s_cmp_lg_u64 vcc, 0
	s_addc_u32 s6, s10, s7
	v_readlane_b32 s28, v49, 53
	v_readfirstlane_b32 s11, v4
	s_mul_i32 s10, s28, s6
	s_mul_hi_u32 s12, s28, s11
	s_mul_hi_u32 s7, s28, s6
	s_add_u32 s10, s12, s10
	s_addc_u32 s7, 0, s7
	s_mul_hi_u32 s13, s73, s11
	s_mul_i32 s11, s73, s11
	s_add_u32 s10, s10, s11
	s_mul_hi_u32 s12, s73, s6
	s_addc_u32 s7, s7, s13
	s_addc_u32 s10, s12, 0
	s_mul_i32 s6, s73, s6
	s_add_u32 s6, s7, s6
	s_addc_u32 s7, 0, s10
	s_mul_hi_u32 s10, s89, s6
	s_mul_i32 s6, s89, s6
	s_mul_i32 s7, s89, s7
	v_mov_b32_e32 v4, s6
	s_add_i32 s10, s10, s7
	v_sub_co_u32_e32 v4, vcc, s28, v4
	s_cmp_lg_u64 vcc, 0
	s_subb_u32 s6, s73, s10
	v_subrev_co_u32_e32 v5, vcc, s89, v4
	s_cmp_lg_u64 vcc, 0
	s_subb_u32 s7, s6, 0
	v_subrev_co_u32_e32 v6, vcc, s89, v5
	s_cmp_lg_u64 vcc, 0
	s_subb_u32 s10, s7, 0
	v_cmp_le_u32_e32 vcc, s89, v5
	s_cmp_eq_u32 s7, 0
	v_cndmask_b32_e64 v7, 0, -1, vcc
	s_cselect_b64 vcc, -1, 0
	v_cndmask_b32_e32 v7, -1, v7, vcc
	v_mov_b32_e32 v14, s7
	v_mov_b32_e32 v20, s10
	v_cmp_ne_u32_e32 vcc, 0, v7
	v_cndmask_b32_e32 v7, v14, v20, vcc
	v_cndmask_b32_e32 v6, v5, v6, vcc
	v_cmp_le_u32_e32 vcc, s89, v4
	s_cmp_eq_u32 s6, 0
	v_cndmask_b32_e64 v5, 0, -1, vcc
	s_cselect_b64 vcc, -1, 0
	v_cndmask_b32_e32 v5, -1, v5, vcc
	v_mov_b32_e32 v14, s6
	v_cmp_ne_u32_e32 vcc, 0, v5
	v_cndmask_b32_e32 v5, v14, v7, vcc
	v_cndmask_b32_e32 v4, v4, v6, vcc
	s_cbranch_execnz .LBB210_159
.LBB210_158:                            ;   in Loop: Header=BB210_18 Depth=1
	v_cvt_f32_u32_e32 v4, s89
	s_sub_i32 s6, 0, s89
	v_rcp_iflag_f32_e32 v4, v4
	v_mul_f32_e32 v4, 0x4f7ffffe, v4
	v_cvt_u32_f32_e32 v4, v4
	v_mul_lo_u32 v5, s6, v4
	v_mul_hi_u32 v5, v4, v5
	v_add_u32_e32 v4, v4, v5
	v_readlane_b32 s6, v49, 53
	v_mul_hi_u32 v4, s6, v4
	v_mul_lo_u32 v4, v4, s89
	v_sub_u32_e32 v4, s6, v4
	v_subrev_u32_e32 v5, s89, v4
	v_cmp_le_u32_e32 vcc, s89, v4
	v_cndmask_b32_e32 v4, v4, v5, vcc
	v_subrev_u32_e32 v5, s89, v4
	v_cmp_le_u32_e32 vcc, s89, v4
	v_cndmask_b32_e32 v14, v4, v5, vcc
	v_pk_mov_b32 v[4:5], v[14:15], v[14:15] op_sel:[0,1]
.LBB210_159:                            ;   in Loop: Header=BB210_18 Depth=1
	v_readlane_b32 s6, v49, 53
	v_mov_b32_e32 v6, s73
	v_sub_co_u32_e32 v4, vcc, s6, v4
	v_subb_co_u32_e32 v5, vcc, v6, v5, vcc
	v_cmp_gt_u64_e32 vcc, v[4:5], v[0:1]
	s_mov_b64 s[6:7], 0
                                        ; implicit-def: $vgpr6
	s_and_saveexec_b64 s[10:11], vcc
	s_cbranch_execz .LBB210_168
; %bb.160:                              ;   in Loop: Header=BB210_18 Depth=1
	s_mov_b64 s[12:13], 0
	v_pk_mov_b32 v[6:7], v[0:1], v[0:1] op_sel:[0,1]
                                        ; implicit-def: $sgpr28_sgpr29
	s_branch .LBB210_162
.LBB210_161:                            ;   in Loop: Header=BB210_162 Depth=2
	s_or_b64 exec, exec, s[6:7]
	s_waitcnt lgkmcnt(0)
	s_barrier
	s_waitcnt vmcnt(0)
	ds_read_b32 v14, v15 offset:3072
	v_mov_b32_e32 v20, s74
	v_add_co_u32_e64 v6, s[6:7], s89, v6
	v_addc_co_u32_e64 v7, s[6:7], v7, v20, s[6:7]
	s_waitcnt lgkmcnt(0)
	v_cmp_neq_f16_e32 vcc, 0, v14
	v_cmp_ge_u64_e64 s[6:7], v[6:7], v[4:5]
	s_or_b64 s[6:7], s[6:7], vcc
	s_and_b64 s[6:7], exec, s[6:7]
	s_or_b64 s[12:13], s[6:7], s[12:13]
	s_andn2_b64 s[6:7], s[28:29], exec
	s_and_b64 s[28:29], vcc, exec
	s_or_b64 s[28:29], s[6:7], s[28:29]
	s_barrier
	s_andn2_b64 exec, exec, s[12:13]
	s_cbranch_execz .LBB210_167
.LBB210_162:                            ;   Parent Loop BB210_18 Depth=1
                                        ; =>  This Inner Loop Header: Depth=2
	v_cmp_gt_u64_e32 vcc, s[60:61], v[6:7]
	v_mov_b32_e32 v14, 0
	s_and_saveexec_b64 s[42:43], vcc
	s_cbranch_execz .LBB210_164
; %bb.163:                              ;   in Loop: Header=BB210_162 Depth=2
	v_mul_lo_u32 v14, v7, s58
	v_mul_lo_u32 v22, v6, s59
	v_mad_u64_u32 v[20:21], s[6:7], v6, s58, 0
	v_add3_u32 v21, v21, v22, v14
	v_lshlrev_b64 v[20:21], 1, v[20:21]
	v_mov_b32_e32 v14, s88
	v_add_co_u32_e64 v20, s[6:7], s33, v20
	v_addc_co_u32_e64 v21, s[6:7], v14, v21, s[6:7]
	global_load_ushort v14, v[20:21], off
.LBB210_164:                            ;   in Loop: Header=BB210_162 Depth=2
	s_or_b64 exec, exec, s[42:43]
	s_and_saveexec_b64 s[6:7], vcc
	s_cbranch_execz .LBB210_161
; %bb.165:                              ;   in Loop: Header=BB210_162 Depth=2
	s_waitcnt vmcnt(0)
	v_cmp_lt_i16_e32 vcc, -1, v14
	v_cndmask_b32_e32 v20, v32, v33, vcc
	v_xor_b32_sdwa v20, v20, v14 dst_sel:DWORD dst_unused:UNUSED_PAD src0_sel:DWORD src1_sel:WORD_0
	v_cmp_o_f16_e32 vcc, v14, v14
	v_cndmask_b32_e32 v20, v32, v20, vcc
	v_and_b32_e32 v20, v20, v9
	v_cmp_eq_u32_e32 vcc, v20, v8
	s_and_b64 exec, exec, vcc
	s_cbranch_execz .LBB210_161
; %bb.166:                              ;   in Loop: Header=BB210_162 Depth=2
	s_movk_i32 s42, 0x3c00
	v_perm_b32 v14, v14, s42, v36
	ds_write_b32 v15, v14 offset:3072
	s_branch .LBB210_161
.LBB210_167:                            ;   in Loop: Header=BB210_18 Depth=1
	s_or_b64 exec, exec, s[12:13]
	v_lshrrev_b32_e32 v6, 16, v14
	s_and_b64 s[6:7], s[28:29], exec
.LBB210_168:                            ;   in Loop: Header=BB210_18 Depth=1
	s_or_b64 exec, exec, s[10:11]
	s_mov_b64 s[44:45], -1
	s_mov_b64 s[28:29], 0
	s_mov_b64 s[42:43], 0
.LBB210_169:                            ;   in Loop: Header=BB210_18 Depth=1
	s_orn2_b64 s[10:11], s[6:7], exec
.LBB210_170:                            ;   in Loop: Header=BB210_18 Depth=1
	s_or_b64 exec, exec, s[30:31]
	s_mov_b64 s[6:7], 0
                                        ; implicit-def: $vgpr7
	s_and_saveexec_b64 s[46:47], s[10:11]
	s_cbranch_execz .LBB210_283
; %bb.171:                              ;   in Loop: Header=BB210_18 Depth=1
	v_mov_b32_e32 v4, 1
	s_xor_b64 s[8:9], s[8:9], -1
	s_mov_b64 s[30:31], 0
	v_mov_b32_e32 v5, 0
	v_mov_b32_e32 v7, 1
	s_and_saveexec_b64 s[6:7], s[8:9]
	s_cbranch_execz .LBB210_181
; %bb.172:                              ;   in Loop: Header=BB210_18 Depth=1
	v_cmp_ge_u64_e32 vcc, s[18:19], v[2:3]
                                        ; implicit-def: $sgpr12
                                        ; implicit-def: $sgpr8_sgpr9
	s_and_saveexec_b64 s[10:11], vcc
	s_xor_b64 s[10:11], exec, s[10:11]
	s_cbranch_execz .LBB210_178
; %bb.173:                              ;   in Loop: Header=BB210_18 Depth=1
	ds_read_b64 v[4:5], v15 offset:5120
	s_waitcnt lgkmcnt(0)
	v_cmp_ne_u64_e32 vcc, 0, v[4:5]
	s_cbranch_vccnz .LBB210_177
; %bb.174:                              ;   in Loop: Header=BB210_18 Depth=1
	s_mov_b64 s[8:9], exec
	v_readlane_b32 s12, v49, 32
	v_readlane_b32 s13, v49, 33
	s_and_b64 s[12:13], s[8:9], s[12:13]
	s_mov_b64 exec, s[12:13]
	s_cbranch_execz .LBB210_176
; %bb.175:                              ;   in Loop: Header=BB210_18 Depth=1
	v_pk_mov_b32 v[4:5], s[18:19], s[18:19] op_sel:[0,1]
	ds_write_b64 v15, v[4:5] offset:5128
.LBB210_176:                            ;   in Loop: Header=BB210_18 Depth=1
	s_or_b64 exec, exec, s[8:9]
	s_waitcnt lgkmcnt(0)
	s_barrier
.LBB210_177:                            ;   in Loop: Header=BB210_18 Depth=1
	v_and_b32_e32 v4, s48, v8
	v_lshl_or_b32 v8, 1, s49, v4
	v_or_b32_e32 v9, s90, v9
	s_mov_b64 s[8:9], 0
	s_mov_b32 s12, 8
.LBB210_178:                            ;   in Loop: Header=BB210_18 Depth=1
	s_or_saveexec_b64 s[10:11], s[10:11]
	v_mov_b32_e32 v7, s12
	s_xor_b64 exec, exec, s[10:11]
; %bb.179:                              ;   in Loop: Header=BB210_18 Depth=1
	v_mov_b32_e32 v4, s19
	v_subrev_co_u32_e32 v2, vcc, s18, v2
	v_subb_co_u32_e32 v3, vcc, v3, v4, vcc
	v_mov_b32_e32 v7, 0
	s_or_b64 s[8:9], s[8:9], exec
; %bb.180:                              ;   in Loop: Header=BB210_18 Depth=1
	s_or_b64 exec, exec, s[10:11]
	s_and_b64 s[30:31], s[8:9], exec
	v_pk_mov_b32 v[4:5], v[2:3], v[2:3] op_sel:[0,1]
.LBB210_181:                            ;   in Loop: Header=BB210_18 Depth=1
	s_or_b64 exec, exec, s[6:7]
	s_mov_b64 s[6:7], -1
                                        ; implicit-def: $sgpr8_sgpr9
                                        ; implicit-def: $sgpr10_sgpr11
                                        ; implicit-def: $sgpr12_sgpr13
	s_and_saveexec_b64 s[52:53], s[30:31]
	s_cbranch_execz .LBB210_282
; %bb.182:                              ;   in Loop: Header=BB210_18 Depth=1
	s_cmp_eq_u64 s[22:23], 1
	s_cselect_b64 s[6:7], -1, 0
	v_cmp_eq_u64_e32 vcc, 1, v[4:5]
	s_and_b64 s[8:9], s[6:7], vcc
	s_mov_b64 s[10:11], -1
                                        ; implicit-def: $sgpr30_sgpr31
                                        ; implicit-def: $sgpr50_sgpr51
                                        ; implicit-def: $vcc
	s_and_saveexec_b64 s[54:55], s[8:9]
	s_cbranch_execz .LBB210_216
; %bb.183:                              ;   in Loop: Header=BB210_18 Depth=1
	ds_read_b64 v[2:3], v15 offset:5120
	s_waitcnt lgkmcnt(0)
	s_barrier
	v_readfirstlane_b32 s10, v2
	v_readfirstlane_b32 s11, v3
	s_mov_b64 s[6:7], exec
	v_readlane_b32 s12, v49, 48
	v_readlane_b32 s13, v49, 49
	s_and_b64 s[12:13], s[6:7], s[12:13]
	s_mov_b64 exec, s[12:13]
	s_cbranch_execz .LBB210_185
; %bb.184:                              ;   in Loop: Header=BB210_18 Depth=1
	ds_write_b16 v29, v15
.LBB210_185:                            ;   in Loop: Header=BB210_18 Depth=1
	s_or_b64 exec, exec, s[6:7]
	v_and_b32_e32 v2, s48, v8
	v_lshl_or_b32 v8, 2, s49, v2
	v_or_b32_e32 v9, s90, v9
	s_cmp_eq_u64 s[10:11], 0
	s_waitcnt lgkmcnt(0)
	s_barrier
	s_cbranch_scc1 .LBB210_199
; %bb.186:                              ;   in Loop: Header=BB210_18 Depth=1
	v_readlane_b32 s6, v49, 52
	s_add_u32 s30, s6, s10
	v_readlane_b32 s6, v49, 54
	s_addc_u32 s7, s6, s11
	s_mov_b32 s6, s91
	s_cmp_lg_u64 s[6:7], 0
	s_cbranch_scc0 .LBB210_234
; %bb.187:                              ;   in Loop: Header=BB210_18 Depth=1
	v_cvt_f32_u32_e32 v2, s89
	s_sub_u32 s6, 0, s89
	s_subb_u32 s12, 0, 0
	v_mac_f32_e32 v2, 0, v34
	v_rcp_f32_e32 v2, v2
	v_mul_f32_e32 v2, 0x5f7ffffc, v2
	v_mul_f32_e32 v3, 0x2f800000, v2
	v_trunc_f32_e32 v3, v3
	v_mac_f32_e32 v2, 0xcf800000, v3
	v_cvt_u32_f32_e32 v3, v3
	v_cvt_u32_f32_e32 v2, v2
	v_readfirstlane_b32 s13, v3
	v_readfirstlane_b32 s31, v2
	s_mul_i32 s50, s6, s13
	s_mul_hi_u32 s56, s6, s31
	s_mul_i32 s51, s12, s31
	s_add_i32 s50, s56, s50
	s_mul_i32 s57, s6, s31
	s_add_i32 s50, s50, s51
	s_mul_hi_u32 s56, s31, s57
	s_mul_hi_u32 s51, s31, s50
	s_mul_i32 s31, s31, s50
	s_add_u32 s31, s56, s31
	s_addc_u32 s51, 0, s51
	s_mul_hi_u32 s72, s13, s57
	s_mul_i32 s57, s13, s57
	s_add_u32 s31, s31, s57
	s_mul_hi_u32 s56, s13, s50
	s_addc_u32 s31, s51, s72
	s_addc_u32 s51, s56, 0
	s_mul_i32 s50, s13, s50
	s_add_u32 s31, s31, s50
	s_addc_u32 s50, 0, s51
	v_add_co_u32_e32 v2, vcc, s31, v2
	s_cmp_lg_u64 vcc, 0
	s_addc_u32 s13, s13, s50
	v_readfirstlane_b32 s50, v2
	s_mul_i32 s31, s6, s13
	s_mul_hi_u32 s51, s6, s50
	s_add_i32 s31, s51, s31
	s_mul_i32 s12, s12, s50
	s_add_i32 s31, s31, s12
	s_mul_i32 s6, s6, s50
	s_mul_hi_u32 s51, s13, s6
	s_mul_i32 s56, s13, s6
	s_mul_i32 s72, s50, s31
	s_mul_hi_u32 s6, s50, s6
	s_mul_hi_u32 s57, s50, s31
	s_add_u32 s6, s6, s72
	s_addc_u32 s50, 0, s57
	s_add_u32 s6, s6, s56
	s_mul_hi_u32 s12, s13, s31
	s_addc_u32 s6, s50, s51
	s_addc_u32 s12, s12, 0
	s_mul_i32 s31, s13, s31
	s_add_u32 s6, s6, s31
	s_addc_u32 s12, 0, s12
	v_add_co_u32_e32 v2, vcc, s6, v2
	s_cmp_lg_u64 vcc, 0
	s_addc_u32 s6, s13, s12
	v_readfirstlane_b32 s31, v2
	s_mul_i32 s13, s30, s6
	s_mul_hi_u32 s50, s30, s31
	s_mul_hi_u32 s12, s30, s6
	s_add_u32 s13, s50, s13
	s_addc_u32 s12, 0, s12
	s_mul_hi_u32 s51, s7, s31
	s_mul_i32 s31, s7, s31
	s_add_u32 s13, s13, s31
	s_mul_hi_u32 s50, s7, s6
	s_addc_u32 s12, s12, s51
	s_addc_u32 s13, s50, 0
	s_mul_i32 s6, s7, s6
	s_add_u32 s6, s12, s6
	s_addc_u32 s12, 0, s13
	s_mul_hi_u32 s13, s89, s6
	s_mul_i32 s6, s89, s6
	s_mul_i32 s12, s89, s12
	v_mov_b32_e32 v2, s6
	s_add_i32 s13, s13, s12
	v_sub_co_u32_e32 v2, vcc, s30, v2
	s_cmp_lg_u64 vcc, 0
	s_subb_u32 s6, s7, s13
	v_subrev_co_u32_e32 v3, vcc, s89, v2
	s_cmp_lg_u64 vcc, 0
	s_subb_u32 s12, s6, 0
	v_subrev_co_u32_e32 v6, vcc, s89, v3
	s_cmp_lg_u64 vcc, 0
	s_subb_u32 s13, s12, 0
	v_cmp_le_u32_e32 vcc, s89, v3
	s_cmp_eq_u32 s12, 0
	v_cndmask_b32_e64 v7, 0, -1, vcc
	s_cselect_b64 vcc, -1, 0
	v_cndmask_b32_e32 v7, -1, v7, vcc
	v_mov_b32_e32 v14, s12
	v_mov_b32_e32 v20, s13
	v_cmp_ne_u32_e32 vcc, 0, v7
	v_cndmask_b32_e32 v7, v14, v20, vcc
	v_cndmask_b32_e32 v6, v3, v6, vcc
	v_cmp_le_u32_e32 vcc, s89, v2
	s_cmp_eq_u32 s6, 0
	v_cndmask_b32_e64 v3, 0, -1, vcc
	s_cselect_b64 vcc, -1, 0
	v_cndmask_b32_e32 v3, -1, v3, vcc
	v_mov_b32_e32 v14, s6
	v_cmp_ne_u32_e32 vcc, 0, v3
	v_cndmask_b32_e32 v3, v14, v7, vcc
	v_cndmask_b32_e32 v2, v2, v6, vcc
	s_cbranch_execnz .LBB210_189
.LBB210_188:                            ;   in Loop: Header=BB210_18 Depth=1
	v_cvt_f32_u32_e32 v2, s89
	s_sub_i32 s6, 0, s89
	v_rcp_iflag_f32_e32 v2, v2
	v_mul_f32_e32 v2, 0x4f7ffffe, v2
	v_cvt_u32_f32_e32 v2, v2
	v_mul_lo_u32 v3, s6, v2
	v_mul_hi_u32 v3, v2, v3
	v_add_u32_e32 v2, v2, v3
	v_mul_hi_u32 v2, s30, v2
	v_mul_lo_u32 v2, v2, s89
	v_sub_u32_e32 v2, s30, v2
	v_subrev_u32_e32 v3, s89, v2
	v_cmp_le_u32_e32 vcc, s89, v2
	v_cndmask_b32_e32 v2, v2, v3, vcc
	v_subrev_u32_e32 v3, s89, v2
	v_cmp_le_u32_e32 vcc, s89, v2
	v_cndmask_b32_e32 v14, v2, v3, vcc
	v_pk_mov_b32 v[2:3], v[14:15], v[14:15] op_sel:[0,1]
.LBB210_189:                            ;   in Loop: Header=BB210_18 Depth=1
	v_mov_b32_e32 v6, s7
	v_sub_co_u32_e32 v2, vcc, s30, v2
	v_subb_co_u32_e32 v3, vcc, v6, v3, vcc
	v_cmp_gt_u64_e32 vcc, v[2:3], v[0:1]
	s_mov_b64 s[6:7], 0
                                        ; implicit-def: $vgpr6
	s_and_saveexec_b64 s[12:13], vcc
	s_cbranch_execz .LBB210_201
; %bb.190:                              ;   in Loop: Header=BB210_18 Depth=1
	s_mov_b64 s[30:31], 0
	v_mov_b32_e32 v14, v28
	v_pk_mov_b32 v[6:7], v[0:1], v[0:1] op_sel:[0,1]
                                        ; implicit-def: $sgpr50_sgpr51
	s_branch .LBB210_192
.LBB210_191:                            ;   in Loop: Header=BB210_192 Depth=2
	s_or_b64 exec, exec, s[6:7]
	s_waitcnt lgkmcnt(0)
	s_barrier
	ds_read_b32 v20, v15 offset:3072
	v_mov_b32_e32 v21, s74
	v_add_co_u32_e64 v6, s[6:7], s89, v6
	v_addc_co_u32_e64 v7, s[6:7], v7, v21, s[6:7]
	s_waitcnt lgkmcnt(0)
	v_cmp_neq_f16_e32 vcc, 0, v20
	v_cmp_ge_u64_e64 s[6:7], v[6:7], v[2:3]
	s_or_b64 s[6:7], s[6:7], vcc
	s_and_b64 s[6:7], exec, s[6:7]
	s_or_b64 s[30:31], s[6:7], s[30:31]
	s_andn2_b64 s[6:7], s[50:51], exec
	s_and_b64 s[50:51], vcc, exec
	v_add_u32_e32 v14, s5, v14
	s_or_b64 s[50:51], s[6:7], s[50:51]
	s_barrier
	s_andn2_b64 exec, exec, s[30:31]
	s_cbranch_execz .LBB210_200
.LBB210_192:                            ;   Parent Loop BB210_18 Depth=1
                                        ; =>  This Inner Loop Header: Depth=2
	v_cmp_gt_u64_e32 vcc, s[10:11], v[6:7]
	v_mov_b32_e32 v20, 0
	s_and_saveexec_b64 s[6:7], vcc
	s_cbranch_execz .LBB210_194
; %bb.193:                              ;   in Loop: Header=BB210_192 Depth=2
	ds_read_u16 v20, v14
.LBB210_194:                            ;   in Loop: Header=BB210_192 Depth=2
	s_or_b64 exec, exec, s[6:7]
	s_and_saveexec_b64 s[6:7], vcc
	s_cbranch_execz .LBB210_191
; %bb.195:                              ;   in Loop: Header=BB210_192 Depth=2
	s_waitcnt lgkmcnt(0)
	v_cmp_lt_i16_e32 vcc, -1, v20
	v_cndmask_b32_e32 v21, v32, v33, vcc
	v_xor_b32_sdwa v21, v21, v20 dst_sel:DWORD dst_unused:UNUSED_PAD src0_sel:DWORD src1_sel:WORD_0
	v_cmp_o_f16_e32 vcc, v20, v20
	v_cndmask_b32_e32 v21, v32, v21, vcc
	v_and_b32_e32 v21, v21, v9
	v_cmp_eq_u32_e32 vcc, v21, v8
	s_and_b64 exec, exec, vcc
	s_cbranch_execz .LBB210_191
; %bb.196:                              ;   in Loop: Header=BB210_192 Depth=2
	s_movk_i32 s56, 0x3c00
	v_perm_b32 v20, v20, s56, v36
	ds_write_b32 v15, v20 offset:3072
	s_branch .LBB210_191
.LBB210_197:                            ;   in Loop: Header=BB210_18 Depth=1
                                        ; implicit-def: $vgpr4_vgpr5
	s_branch .LBB210_142
.LBB210_198:                            ;   in Loop: Header=BB210_18 Depth=1
                                        ; implicit-def: $vgpr4_vgpr5
	s_branch .LBB210_158
.LBB210_199:                            ;   in Loop: Header=BB210_18 Depth=1
	s_mov_b64 s[30:31], -1
	s_mov_b64 s[6:7], 0
                                        ; implicit-def: $sgpr12_sgpr13
                                        ; implicit-def: $vgpr6
	s_mov_b64 s[50:51], s[30:31]
	s_cbranch_execnz .LBB210_202
	s_branch .LBB210_215
.LBB210_200:                            ;   in Loop: Header=BB210_18 Depth=1
	s_or_b64 exec, exec, s[30:31]
	v_lshrrev_b32_e32 v6, 16, v20
	s_and_b64 s[6:7], s[50:51], exec
.LBB210_201:                            ;   in Loop: Header=BB210_18 Depth=1
	s_or_b64 exec, exec, s[12:13]
	s_mov_b64 s[12:13], -1
	s_mov_b64 s[30:31], 0
	s_mov_b64 s[50:51], s[30:31]
	s_branch .LBB210_215
.LBB210_202:                            ;   in Loop: Header=BB210_18 Depth=1
	s_mov_b32 s72, s91
	s_cmp_lg_u64 s[72:73], 0
	s_cbranch_scc0 .LBB210_235
; %bb.203:                              ;   in Loop: Header=BB210_18 Depth=1
	v_cvt_f32_u32_e32 v2, s89
	s_sub_u32 s6, 0, s89
	s_subb_u32 s7, 0, 0
	v_mac_f32_e32 v2, 0, v34
	v_rcp_f32_e32 v2, v2
	v_mul_f32_e32 v2, 0x5f7ffffc, v2
	v_mul_f32_e32 v3, 0x2f800000, v2
	v_trunc_f32_e32 v3, v3
	v_mac_f32_e32 v2, 0xcf800000, v3
	v_cvt_u32_f32_e32 v3, v3
	v_cvt_u32_f32_e32 v2, v2
	v_readfirstlane_b32 s10, v3
	v_readfirstlane_b32 s11, v2
	s_mul_i32 s12, s6, s10
	s_mul_hi_u32 s30, s6, s11
	s_mul_i32 s13, s7, s11
	s_add_i32 s12, s30, s12
	s_mul_i32 s31, s6, s11
	s_add_i32 s12, s12, s13
	s_mul_hi_u32 s30, s11, s31
	s_mul_hi_u32 s13, s11, s12
	s_mul_i32 s11, s11, s12
	s_add_u32 s11, s30, s11
	s_addc_u32 s13, 0, s13
	s_mul_hi_u32 s50, s10, s31
	s_mul_i32 s31, s10, s31
	s_add_u32 s11, s11, s31
	s_mul_hi_u32 s30, s10, s12
	s_addc_u32 s11, s13, s50
	s_addc_u32 s13, s30, 0
	s_mul_i32 s12, s10, s12
	s_add_u32 s11, s11, s12
	s_addc_u32 s12, 0, s13
	v_add_co_u32_e32 v2, vcc, s11, v2
	s_cmp_lg_u64 vcc, 0
	s_addc_u32 s10, s10, s12
	v_readfirstlane_b32 s12, v2
	s_mul_i32 s11, s6, s10
	s_mul_hi_u32 s13, s6, s12
	s_add_i32 s11, s13, s11
	s_mul_i32 s7, s7, s12
	s_add_i32 s11, s11, s7
	s_mul_i32 s6, s6, s12
	s_mul_hi_u32 s13, s10, s6
	s_mul_i32 s30, s10, s6
	s_mul_i32 s50, s12, s11
	s_mul_hi_u32 s6, s12, s6
	s_mul_hi_u32 s31, s12, s11
	s_add_u32 s6, s6, s50
	s_addc_u32 s12, 0, s31
	s_add_u32 s6, s6, s30
	s_mul_hi_u32 s7, s10, s11
	s_addc_u32 s6, s12, s13
	s_addc_u32 s7, s7, 0
	s_mul_i32 s11, s10, s11
	s_add_u32 s6, s6, s11
	s_addc_u32 s7, 0, s7
	v_add_co_u32_e32 v2, vcc, s6, v2
	s_cmp_lg_u64 vcc, 0
	s_addc_u32 s6, s10, s7
	v_readlane_b32 s30, v49, 53
	v_readfirstlane_b32 s11, v2
	s_mul_i32 s10, s30, s6
	s_mul_hi_u32 s12, s30, s11
	s_mul_hi_u32 s7, s30, s6
	s_add_u32 s10, s12, s10
	s_addc_u32 s7, 0, s7
	s_mul_hi_u32 s13, s73, s11
	s_mul_i32 s11, s73, s11
	s_add_u32 s10, s10, s11
	s_mul_hi_u32 s12, s73, s6
	s_addc_u32 s7, s7, s13
	s_addc_u32 s10, s12, 0
	s_mul_i32 s6, s73, s6
	s_add_u32 s6, s7, s6
	s_addc_u32 s7, 0, s10
	s_mul_hi_u32 s10, s89, s6
	s_mul_i32 s6, s89, s6
	s_mul_i32 s7, s89, s7
	v_mov_b32_e32 v2, s6
	s_add_i32 s10, s10, s7
	v_sub_co_u32_e32 v2, vcc, s30, v2
	s_cmp_lg_u64 vcc, 0
	s_subb_u32 s6, s73, s10
	v_subrev_co_u32_e32 v3, vcc, s89, v2
	s_cmp_lg_u64 vcc, 0
	s_subb_u32 s7, s6, 0
	v_subrev_co_u32_e32 v6, vcc, s89, v3
	s_cmp_lg_u64 vcc, 0
	s_subb_u32 s10, s7, 0
	v_cmp_le_u32_e32 vcc, s89, v3
	s_cmp_eq_u32 s7, 0
	v_cndmask_b32_e64 v7, 0, -1, vcc
	s_cselect_b64 vcc, -1, 0
	v_cndmask_b32_e32 v7, -1, v7, vcc
	v_mov_b32_e32 v14, s7
	v_mov_b32_e32 v20, s10
	v_cmp_ne_u32_e32 vcc, 0, v7
	v_cndmask_b32_e32 v7, v14, v20, vcc
	v_cndmask_b32_e32 v6, v3, v6, vcc
	v_cmp_le_u32_e32 vcc, s89, v2
	s_cmp_eq_u32 s6, 0
	v_cndmask_b32_e64 v3, 0, -1, vcc
	s_cselect_b64 vcc, -1, 0
	v_cndmask_b32_e32 v3, -1, v3, vcc
	v_mov_b32_e32 v14, s6
	v_cmp_ne_u32_e32 vcc, 0, v3
	v_cndmask_b32_e32 v3, v14, v7, vcc
	v_cndmask_b32_e32 v2, v2, v6, vcc
	s_cbranch_execnz .LBB210_205
.LBB210_204:                            ;   in Loop: Header=BB210_18 Depth=1
	v_cvt_f32_u32_e32 v2, s89
	s_sub_i32 s6, 0, s89
	v_rcp_iflag_f32_e32 v2, v2
	v_mul_f32_e32 v2, 0x4f7ffffe, v2
	v_cvt_u32_f32_e32 v2, v2
	v_mul_lo_u32 v3, s6, v2
	v_mul_hi_u32 v3, v2, v3
	v_add_u32_e32 v2, v2, v3
	v_readlane_b32 s6, v49, 53
	v_mul_hi_u32 v2, s6, v2
	v_mul_lo_u32 v2, v2, s89
	v_sub_u32_e32 v2, s6, v2
	v_subrev_u32_e32 v3, s89, v2
	v_cmp_le_u32_e32 vcc, s89, v2
	v_cndmask_b32_e32 v2, v2, v3, vcc
	v_subrev_u32_e32 v3, s89, v2
	v_cmp_le_u32_e32 vcc, s89, v2
	v_cndmask_b32_e32 v14, v2, v3, vcc
	v_pk_mov_b32 v[2:3], v[14:15], v[14:15] op_sel:[0,1]
.LBB210_205:                            ;   in Loop: Header=BB210_18 Depth=1
	v_readlane_b32 s6, v49, 53
	v_mov_b32_e32 v6, s73
	v_sub_co_u32_e32 v2, vcc, s6, v2
	v_subb_co_u32_e32 v3, vcc, v6, v3, vcc
	v_cmp_gt_u64_e32 vcc, v[2:3], v[0:1]
	s_mov_b64 s[6:7], 0
                                        ; implicit-def: $vgpr6
	s_and_saveexec_b64 s[10:11], vcc
	s_cbranch_execz .LBB210_214
; %bb.206:                              ;   in Loop: Header=BB210_18 Depth=1
	s_mov_b64 s[12:13], 0
	v_pk_mov_b32 v[6:7], v[0:1], v[0:1] op_sel:[0,1]
                                        ; implicit-def: $sgpr30_sgpr31
	s_branch .LBB210_208
.LBB210_207:                            ;   in Loop: Header=BB210_208 Depth=2
	s_or_b64 exec, exec, s[6:7]
	s_waitcnt lgkmcnt(0)
	s_barrier
	s_waitcnt vmcnt(0)
	ds_read_b32 v14, v15 offset:3072
	v_mov_b32_e32 v20, s74
	v_add_co_u32_e64 v6, s[6:7], s89, v6
	v_addc_co_u32_e64 v7, s[6:7], v7, v20, s[6:7]
	s_waitcnt lgkmcnt(0)
	v_cmp_neq_f16_e32 vcc, 0, v14
	v_cmp_ge_u64_e64 s[6:7], v[6:7], v[2:3]
	s_or_b64 s[6:7], s[6:7], vcc
	s_and_b64 s[6:7], exec, s[6:7]
	s_or_b64 s[12:13], s[6:7], s[12:13]
	s_andn2_b64 s[6:7], s[30:31], exec
	s_and_b64 s[30:31], vcc, exec
	s_or_b64 s[30:31], s[6:7], s[30:31]
	s_barrier
	s_andn2_b64 exec, exec, s[12:13]
	s_cbranch_execz .LBB210_213
.LBB210_208:                            ;   Parent Loop BB210_18 Depth=1
                                        ; =>  This Inner Loop Header: Depth=2
	v_cmp_gt_u64_e32 vcc, s[60:61], v[6:7]
	v_mov_b32_e32 v14, 0
	s_and_saveexec_b64 s[50:51], vcc
	s_cbranch_execz .LBB210_210
; %bb.209:                              ;   in Loop: Header=BB210_208 Depth=2
	v_mul_lo_u32 v14, v7, s58
	v_mul_lo_u32 v22, v6, s59
	v_mad_u64_u32 v[20:21], s[6:7], v6, s58, 0
	v_add3_u32 v21, v21, v22, v14
	v_lshlrev_b64 v[20:21], 1, v[20:21]
	v_mov_b32_e32 v14, s88
	v_add_co_u32_e64 v20, s[6:7], s33, v20
	v_addc_co_u32_e64 v21, s[6:7], v14, v21, s[6:7]
	global_load_ushort v14, v[20:21], off
.LBB210_210:                            ;   in Loop: Header=BB210_208 Depth=2
	s_or_b64 exec, exec, s[50:51]
	s_and_saveexec_b64 s[6:7], vcc
	s_cbranch_execz .LBB210_207
; %bb.211:                              ;   in Loop: Header=BB210_208 Depth=2
	s_waitcnt vmcnt(0)
	v_cmp_lt_i16_e32 vcc, -1, v14
	v_cndmask_b32_e32 v20, v32, v33, vcc
	v_xor_b32_sdwa v20, v20, v14 dst_sel:DWORD dst_unused:UNUSED_PAD src0_sel:DWORD src1_sel:WORD_0
	v_cmp_o_f16_e32 vcc, v14, v14
	v_cndmask_b32_e32 v20, v32, v20, vcc
	v_and_b32_e32 v20, v20, v9
	v_cmp_eq_u32_e32 vcc, v20, v8
	s_and_b64 exec, exec, vcc
	s_cbranch_execz .LBB210_207
; %bb.212:                              ;   in Loop: Header=BB210_208 Depth=2
	s_movk_i32 s50, 0x3c00
	v_perm_b32 v14, v14, s50, v36
	ds_write_b32 v15, v14 offset:3072
	s_branch .LBB210_207
.LBB210_213:                            ;   in Loop: Header=BB210_18 Depth=1
	s_or_b64 exec, exec, s[12:13]
	v_lshrrev_b32_e32 v6, 16, v14
	s_and_b64 s[6:7], s[30:31], exec
.LBB210_214:                            ;   in Loop: Header=BB210_18 Depth=1
	s_or_b64 exec, exec, s[10:11]
	s_mov_b64 s[50:51], -1
	s_mov_b64 s[30:31], 0
	s_mov_b64 s[12:13], 0
.LBB210_215:                            ;   in Loop: Header=BB210_18 Depth=1
	s_orn2_b64 s[10:11], s[6:7], exec
	s_mov_b64 vcc, s[12:13]
.LBB210_216:                            ;   in Loop: Header=BB210_18 Depth=1
	s_or_b64 exec, exec, s[54:55]
	s_mov_b64 s[6:7], 0
                                        ; implicit-def: $vgpr7
	s_and_saveexec_b64 s[54:55], s[10:11]
	s_cbranch_execz .LBB210_281
; %bb.217:                              ;   in Loop: Header=BB210_18 Depth=1
	v_mov_b32_e32 v2, 1
	s_xor_b64 s[8:9], s[8:9], -1
	s_mov_b64 s[92:93], 0
	v_mov_b32_e32 v3, 0
	v_mov_b32_e32 v7, 1
	s_and_saveexec_b64 s[6:7], s[8:9]
	s_cbranch_execz .LBB210_227
; %bb.218:                              ;   in Loop: Header=BB210_18 Depth=1
	s_mov_b64 s[94:95], vcc
	v_cmp_ge_u64_e32 vcc, s[22:23], v[4:5]
                                        ; implicit-def: $sgpr12
                                        ; implicit-def: $sgpr8_sgpr9
	s_and_saveexec_b64 s[10:11], vcc
	s_xor_b64 s[10:11], exec, s[10:11]
	s_cbranch_execz .LBB210_224
; %bb.219:                              ;   in Loop: Header=BB210_18 Depth=1
	ds_read_b64 v[2:3], v15 offset:5120
	s_waitcnt lgkmcnt(0)
	v_cmp_ne_u64_e32 vcc, 0, v[2:3]
	s_cbranch_vccnz .LBB210_223
; %bb.220:                              ;   in Loop: Header=BB210_18 Depth=1
	s_mov_b64 s[8:9], exec
	v_readlane_b32 s12, v49, 32
	v_readlane_b32 s13, v49, 33
	s_and_b64 s[12:13], s[8:9], s[12:13]
	s_mov_b64 exec, s[12:13]
	s_cbranch_execz .LBB210_222
; %bb.221:                              ;   in Loop: Header=BB210_18 Depth=1
	v_pk_mov_b32 v[2:3], s[22:23], s[22:23] op_sel:[0,1]
	ds_write_b64 v15, v[2:3] offset:5128
.LBB210_222:                            ;   in Loop: Header=BB210_18 Depth=1
	s_or_b64 exec, exec, s[8:9]
	s_waitcnt lgkmcnt(0)
	s_barrier
.LBB210_223:                            ;   in Loop: Header=BB210_18 Depth=1
	v_and_b32_e32 v2, s48, v8
	v_lshl_or_b32 v8, 2, s49, v2
	v_or_b32_e32 v9, s90, v9
	s_mov_b64 s[8:9], 0
	s_mov_b32 s12, 8
.LBB210_224:                            ;   in Loop: Header=BB210_18 Depth=1
	s_or_saveexec_b64 s[10:11], s[10:11]
	v_mov_b32_e32 v7, s12
	s_xor_b64 exec, exec, s[10:11]
; %bb.225:                              ;   in Loop: Header=BB210_18 Depth=1
	v_mov_b32_e32 v2, s23
	v_subrev_co_u32_e32 v4, vcc, s22, v4
	v_subb_co_u32_e32 v5, vcc, v5, v2, vcc
	v_mov_b32_e32 v7, 0
	s_or_b64 s[8:9], s[8:9], exec
; %bb.226:                              ;   in Loop: Header=BB210_18 Depth=1
	s_or_b64 exec, exec, s[10:11]
	s_and_b64 s[92:93], s[8:9], exec
	v_pk_mov_b32 v[2:3], v[4:5], v[4:5] op_sel:[0,1]
	s_mov_b64 vcc, s[94:95]
.LBB210_227:                            ;   in Loop: Header=BB210_18 Depth=1
	s_or_b64 exec, exec, s[6:7]
	s_mov_b64 s[56:57], -1
                                        ; implicit-def: $sgpr6_sgpr7
                                        ; implicit-def: $sgpr12_sgpr13
                                        ; implicit-def: $sgpr10_sgpr11
	s_and_saveexec_b64 s[8:9], s[92:93]
	s_cbranch_execz .LBB210_280
; %bb.228:                              ;   in Loop: Header=BB210_18 Depth=1
                                        ; implicit-def: $vgpr48 : SGPR spill to VGPR lane
	v_writelane_b32 v49, vcc_lo, 63
	s_cmp_eq_u64 s[24:25], 1
	v_writelane_b32 v48, vcc_hi, 0
	s_cselect_b64 s[6:7], -1, 0
	v_cmp_eq_u64_e32 vcc, 1, v[2:3]
	s_mov_b64 s[92:93], -1
	s_and_b64 s[56:57], s[6:7], vcc
                                        ; implicit-def: $sgpr6_sgpr7
                                        ; implicit-def: $sgpr12_sgpr13
                                        ; implicit-def: $sgpr10_sgpr11
	s_mov_b64 s[94:95], exec
	v_writelane_b32 v48, s56, 1
	v_writelane_b32 v48, s57, 2
	s_and_b64 s[56:57], s[94:95], s[56:57]
	s_mov_b64 exec, s[56:57]
	s_cbranch_execz .LBB210_267
; %bb.229:                              ;   in Loop: Header=BB210_18 Depth=1
	ds_read_b64 v[4:5], v15 offset:5120
	s_waitcnt lgkmcnt(0)
	s_barrier
	v_readfirstlane_b32 s10, v4
	v_readfirstlane_b32 s11, v5
	s_mov_b64 s[6:7], exec
	v_readlane_b32 s12, v49, 48
	v_readlane_b32 s13, v49, 49
	s_and_b64 s[12:13], s[6:7], s[12:13]
	s_mov_b64 exec, s[12:13]
	s_cbranch_execz .LBB210_231
; %bb.230:                              ;   in Loop: Header=BB210_18 Depth=1
	ds_write_b16 v29, v15
.LBB210_231:                            ;   in Loop: Header=BB210_18 Depth=1
	s_or_b64 exec, exec, s[6:7]
	v_or_b32_e32 v8, s90, v8
	v_or_b32_e32 v9, s90, v9
	s_cmp_eq_u64 s[10:11], 0
	v_writelane_b32 v48, s94, 3
	s_waitcnt lgkmcnt(0)
	s_barrier
	v_writelane_b32 v48, s95, 4
	s_cbranch_scc1 .LBB210_236
; %bb.232:                              ;   in Loop: Header=BB210_18 Depth=1
	v_readlane_b32 s6, v49, 52
	s_add_u32 s56, s6, s10
	v_readlane_b32 s6, v49, 54
	s_addc_u32 s7, s6, s11
	s_mov_b32 s6, s91
	s_cmp_lg_u64 s[6:7], 0
	s_cbranch_scc0 .LBB210_237
; %bb.233:                              ;   in Loop: Header=BB210_18 Depth=1
	v_cvt_f32_u32_e32 v4, s89
	s_sub_u32 s6, 0, s89
	s_subb_u32 s12, 0, 0
	v_mac_f32_e32 v4, 0, v34
	v_rcp_f32_e32 v4, v4
	v_mul_f32_e32 v4, 0x5f7ffffc, v4
	v_mul_f32_e32 v5, 0x2f800000, v4
	v_trunc_f32_e32 v5, v5
	v_mac_f32_e32 v4, 0xcf800000, v5
	v_cvt_u32_f32_e32 v5, v5
	v_cvt_u32_f32_e32 v4, v4
	v_readfirstlane_b32 s13, v5
	v_readfirstlane_b32 s57, v4
	s_mul_i32 s72, s6, s13
	s_mul_hi_u32 s93, s6, s57
	s_mul_i32 s92, s12, s57
	s_add_i32 s72, s93, s72
	s_mul_i32 s94, s6, s57
	s_add_i32 s72, s72, s92
	s_mul_hi_u32 s93, s57, s94
	s_mul_hi_u32 s92, s57, s72
	s_mul_i32 s57, s57, s72
	s_add_u32 s57, s93, s57
	s_addc_u32 s92, 0, s92
	s_mul_hi_u32 s95, s13, s94
	s_mul_i32 s94, s13, s94
	s_add_u32 s57, s57, s94
	s_mul_hi_u32 s93, s13, s72
	s_addc_u32 s57, s92, s95
	s_addc_u32 s92, s93, 0
	s_mul_i32 s72, s13, s72
	s_add_u32 s57, s57, s72
	s_addc_u32 s72, 0, s92
	v_add_co_u32_e32 v4, vcc, s57, v4
	s_cmp_lg_u64 vcc, 0
	s_addc_u32 s13, s13, s72
	v_readfirstlane_b32 s72, v4
	s_mul_i32 s57, s6, s13
	s_mul_hi_u32 s92, s6, s72
	s_add_i32 s57, s92, s57
	s_mul_i32 s12, s12, s72
	s_add_i32 s57, s57, s12
	s_mul_i32 s6, s6, s72
	s_mul_hi_u32 s92, s13, s6
	s_mul_i32 s93, s13, s6
	s_mul_i32 s95, s72, s57
	s_mul_hi_u32 s6, s72, s6
	s_mul_hi_u32 s94, s72, s57
	s_add_u32 s6, s6, s95
	s_addc_u32 s72, 0, s94
	s_add_u32 s6, s6, s93
	s_mul_hi_u32 s12, s13, s57
	s_addc_u32 s6, s72, s92
	s_addc_u32 s12, s12, 0
	s_mul_i32 s57, s13, s57
	s_add_u32 s6, s6, s57
	s_addc_u32 s12, 0, s12
	v_add_co_u32_e32 v4, vcc, s6, v4
	s_cmp_lg_u64 vcc, 0
	s_addc_u32 s6, s13, s12
	v_readfirstlane_b32 s57, v4
	s_mul_i32 s13, s56, s6
	s_mul_hi_u32 s72, s56, s57
	s_mul_hi_u32 s12, s56, s6
	s_add_u32 s13, s72, s13
	s_addc_u32 s12, 0, s12
	s_mul_hi_u32 s92, s7, s57
	s_mul_i32 s57, s7, s57
	s_add_u32 s13, s13, s57
	s_mul_hi_u32 s72, s7, s6
	s_addc_u32 s12, s12, s92
	s_addc_u32 s13, s72, 0
	s_mul_i32 s6, s7, s6
	s_add_u32 s6, s12, s6
	s_addc_u32 s12, 0, s13
	s_mul_hi_u32 s13, s89, s6
	s_mul_i32 s6, s89, s6
	s_mul_i32 s12, s89, s12
	v_mov_b32_e32 v4, s6
	s_add_i32 s13, s13, s12
	v_sub_co_u32_e32 v4, vcc, s56, v4
	s_cmp_lg_u64 vcc, 0
	s_subb_u32 s6, s7, s13
	v_subrev_co_u32_e32 v5, vcc, s89, v4
	s_cmp_lg_u64 vcc, 0
	s_subb_u32 s12, s6, 0
	v_subrev_co_u32_e32 v6, vcc, s89, v5
	s_cmp_lg_u64 vcc, 0
	s_subb_u32 s13, s12, 0
	v_cmp_le_u32_e32 vcc, s89, v5
	s_cmp_eq_u32 s12, 0
	v_cndmask_b32_e64 v7, 0, -1, vcc
	s_cselect_b64 vcc, -1, 0
	v_cndmask_b32_e32 v7, -1, v7, vcc
	v_mov_b32_e32 v14, s12
	v_mov_b32_e32 v20, s13
	v_cmp_ne_u32_e32 vcc, 0, v7
	v_cndmask_b32_e32 v7, v14, v20, vcc
	v_cndmask_b32_e32 v6, v5, v6, vcc
	v_cmp_le_u32_e32 vcc, s89, v4
	s_cmp_eq_u32 s6, 0
	v_cndmask_b32_e64 v5, 0, -1, vcc
	s_cselect_b64 vcc, -1, 0
	v_cndmask_b32_e32 v5, -1, v5, vcc
	v_mov_b32_e32 v14, s6
	v_cmp_ne_u32_e32 vcc, 0, v5
	v_cndmask_b32_e32 v5, v14, v7, vcc
	v_cndmask_b32_e32 v4, v4, v6, vcc
	s_mov_b64 s[12:13], 0
	s_branch .LBB210_238
.LBB210_234:                            ;   in Loop: Header=BB210_18 Depth=1
                                        ; implicit-def: $vgpr2_vgpr3
	s_branch .LBB210_188
.LBB210_235:                            ;   in Loop: Header=BB210_18 Depth=1
                                        ; implicit-def: $vgpr2_vgpr3
	s_branch .LBB210_204
.LBB210_236:                            ;   in Loop: Header=BB210_18 Depth=1
	s_mov_b64 s[6:7], -1
	s_mov_b64 s[56:57], 0
                                        ; implicit-def: $sgpr10_sgpr11
                                        ; implicit-def: $vgpr6
	s_branch .LBB210_250
.LBB210_237:                            ;   in Loop: Header=BB210_18 Depth=1
	s_mov_b64 s[12:13], -1
                                        ; implicit-def: $vgpr4_vgpr5
.LBB210_238:                            ;   in Loop: Header=BB210_18 Depth=1
	s_andn2_b64 vcc, exec, s[12:13]
	s_cbranch_vccnz .LBB210_240
; %bb.239:                              ;   in Loop: Header=BB210_18 Depth=1
	v_cvt_f32_u32_e32 v4, s89
	s_sub_i32 s6, 0, s89
	v_rcp_iflag_f32_e32 v4, v4
	v_mul_f32_e32 v4, 0x4f7ffffe, v4
	v_cvt_u32_f32_e32 v4, v4
	v_mul_lo_u32 v5, s6, v4
	v_mul_hi_u32 v5, v4, v5
	v_add_u32_e32 v4, v4, v5
	v_mul_hi_u32 v4, s56, v4
	v_mul_lo_u32 v4, v4, s89
	v_sub_u32_e32 v4, s56, v4
	v_subrev_u32_e32 v5, s89, v4
	v_cmp_le_u32_e32 vcc, s89, v4
	v_cndmask_b32_e32 v4, v4, v5, vcc
	v_subrev_u32_e32 v5, s89, v4
	v_cmp_le_u32_e32 vcc, s89, v4
	v_cndmask_b32_e32 v14, v4, v5, vcc
	v_pk_mov_b32 v[4:5], v[14:15], v[14:15] op_sel:[0,1]
.LBB210_240:                            ;   in Loop: Header=BB210_18 Depth=1
	v_mov_b32_e32 v6, s7
	v_sub_co_u32_e32 v4, vcc, s56, v4
	v_subb_co_u32_e32 v5, vcc, v6, v5, vcc
	v_cmp_gt_u64_e32 vcc, v[4:5], v[0:1]
	s_mov_b64 s[56:57], 0
                                        ; implicit-def: $vgpr6
	s_and_saveexec_b64 s[12:13], vcc
	s_cbranch_execz .LBB210_249
; %bb.241:                              ;   in Loop: Header=BB210_18 Depth=1
	v_mov_b32_e32 v14, v28
	v_pk_mov_b32 v[6:7], v[0:1], v[0:1] op_sel:[0,1]
                                        ; implicit-def: $sgpr92_sgpr93
	s_branch .LBB210_243
.LBB210_242:                            ;   in Loop: Header=BB210_243 Depth=2
	s_or_b64 exec, exec, s[6:7]
	s_waitcnt lgkmcnt(0)
	s_barrier
	ds_read_b32 v20, v15 offset:3072
	v_mov_b32_e32 v21, s74
	v_add_co_u32_e64 v6, s[6:7], s89, v6
	v_addc_co_u32_e64 v7, s[6:7], v7, v21, s[6:7]
	s_waitcnt lgkmcnt(0)
	v_cmp_neq_f16_e32 vcc, 0, v20
	v_cmp_ge_u64_e64 s[6:7], v[6:7], v[4:5]
	s_or_b64 s[6:7], s[6:7], vcc
	s_and_b64 s[6:7], exec, s[6:7]
	s_or_b64 s[56:57], s[6:7], s[56:57]
	s_andn2_b64 s[6:7], s[92:93], exec
	s_and_b64 s[92:93], vcc, exec
	v_add_u32_e32 v14, s5, v14
	s_or_b64 s[92:93], s[6:7], s[92:93]
	s_barrier
	s_andn2_b64 exec, exec, s[56:57]
	s_cbranch_execz .LBB210_248
.LBB210_243:                            ;   Parent Loop BB210_18 Depth=1
                                        ; =>  This Inner Loop Header: Depth=2
	v_cmp_gt_u64_e32 vcc, s[10:11], v[6:7]
	v_mov_b32_e32 v20, 0
	s_and_saveexec_b64 s[6:7], vcc
	s_cbranch_execz .LBB210_245
; %bb.244:                              ;   in Loop: Header=BB210_243 Depth=2
	ds_read_u16 v20, v14
.LBB210_245:                            ;   in Loop: Header=BB210_243 Depth=2
	s_or_b64 exec, exec, s[6:7]
	s_and_saveexec_b64 s[6:7], vcc
	s_cbranch_execz .LBB210_242
; %bb.246:                              ;   in Loop: Header=BB210_243 Depth=2
	s_waitcnt lgkmcnt(0)
	v_cmp_lt_i16_e32 vcc, -1, v20
	v_cndmask_b32_e32 v21, v32, v33, vcc
	v_xor_b32_sdwa v21, v21, v20 dst_sel:DWORD dst_unused:UNUSED_PAD src0_sel:DWORD src1_sel:WORD_0
	v_cmp_o_f16_e32 vcc, v20, v20
	v_cndmask_b32_e32 v21, v32, v21, vcc
	v_and_b32_e32 v21, v21, v9
	v_cmp_eq_u32_e32 vcc, v21, v8
	s_and_b64 exec, exec, vcc
	s_cbranch_execz .LBB210_242
; %bb.247:                              ;   in Loop: Header=BB210_243 Depth=2
	s_movk_i32 s72, 0x3c00
	v_perm_b32 v20, v20, s72, v36
	ds_write_b32 v15, v20 offset:3072
	s_branch .LBB210_242
.LBB210_248:                            ;   in Loop: Header=BB210_18 Depth=1
	s_or_b64 exec, exec, s[56:57]
	v_lshrrev_b32_e32 v6, 16, v20
	s_and_b64 s[56:57], s[92:93], exec
.LBB210_249:                            ;   in Loop: Header=BB210_18 Depth=1
	s_or_b64 exec, exec, s[12:13]
	s_mov_b64 s[10:11], -1
	s_mov_b64 s[6:7], 0
.LBB210_250:                            ;   in Loop: Header=BB210_18 Depth=1
	s_and_b64 vcc, exec, s[6:7]
	s_mov_b64 s[12:13], s[6:7]
	s_cbranch_vccz .LBB210_266
; %bb.251:                              ;   in Loop: Header=BB210_18 Depth=1
	s_mov_b32 s72, s91
	s_cmp_lg_u64 s[72:73], 0
	s_cbranch_scc0 .LBB210_253
; %bb.252:                              ;   in Loop: Header=BB210_18 Depth=1
	v_cvt_f32_u32_e32 v4, s89
	s_sub_u32 s6, 0, s89
	s_subb_u32 s7, 0, 0
	v_mac_f32_e32 v4, 0, v34
	v_rcp_f32_e32 v4, v4
	v_mul_f32_e32 v4, 0x5f7ffffc, v4
	v_mul_f32_e32 v5, 0x2f800000, v4
	v_trunc_f32_e32 v5, v5
	v_mac_f32_e32 v4, 0xcf800000, v5
	v_cvt_u32_f32_e32 v5, v5
	v_cvt_u32_f32_e32 v4, v4
	v_readfirstlane_b32 s10, v5
	v_readfirstlane_b32 s11, v4
	s_mul_i32 s12, s6, s10
	s_mul_hi_u32 s56, s6, s11
	s_mul_i32 s13, s7, s11
	s_add_i32 s12, s56, s12
	s_mul_i32 s57, s6, s11
	s_add_i32 s12, s12, s13
	s_mul_hi_u32 s56, s11, s57
	s_mul_hi_u32 s13, s11, s12
	s_mul_i32 s11, s11, s12
	s_add_u32 s11, s56, s11
	s_addc_u32 s13, 0, s13
	s_mul_hi_u32 s72, s10, s57
	s_mul_i32 s57, s10, s57
	s_add_u32 s11, s11, s57
	s_mul_hi_u32 s56, s10, s12
	s_addc_u32 s11, s13, s72
	s_addc_u32 s13, s56, 0
	s_mul_i32 s12, s10, s12
	s_add_u32 s11, s11, s12
	s_addc_u32 s12, 0, s13
	v_add_co_u32_e32 v4, vcc, s11, v4
	s_cmp_lg_u64 vcc, 0
	s_addc_u32 s10, s10, s12
	v_readfirstlane_b32 s12, v4
	s_mul_i32 s11, s6, s10
	s_mul_hi_u32 s13, s6, s12
	s_add_i32 s11, s13, s11
	s_mul_i32 s7, s7, s12
	s_add_i32 s11, s11, s7
	s_mul_i32 s6, s6, s12
	s_mul_hi_u32 s13, s10, s6
	s_mul_i32 s56, s10, s6
	s_mul_i32 s72, s12, s11
	s_mul_hi_u32 s6, s12, s6
	s_mul_hi_u32 s57, s12, s11
	s_add_u32 s6, s6, s72
	s_addc_u32 s12, 0, s57
	s_add_u32 s6, s6, s56
	s_mul_hi_u32 s7, s10, s11
	s_addc_u32 s6, s12, s13
	s_addc_u32 s7, s7, 0
	s_mul_i32 s11, s10, s11
	s_add_u32 s6, s6, s11
	s_addc_u32 s7, 0, s7
	v_add_co_u32_e32 v4, vcc, s6, v4
	s_cmp_lg_u64 vcc, 0
	s_addc_u32 s6, s10, s7
	v_readlane_b32 s56, v49, 53
	v_readfirstlane_b32 s11, v4
	s_mul_i32 s10, s56, s6
	s_mul_hi_u32 s12, s56, s11
	s_mul_hi_u32 s7, s56, s6
	s_add_u32 s10, s12, s10
	s_addc_u32 s7, 0, s7
	s_mul_hi_u32 s13, s73, s11
	s_mul_i32 s11, s73, s11
	s_add_u32 s10, s10, s11
	s_mul_hi_u32 s12, s73, s6
	s_addc_u32 s7, s7, s13
	s_addc_u32 s10, s12, 0
	s_mul_i32 s6, s73, s6
	s_add_u32 s6, s7, s6
	s_addc_u32 s7, 0, s10
	s_mul_hi_u32 s10, s89, s6
	s_mul_i32 s6, s89, s6
	s_mul_i32 s7, s89, s7
	v_mov_b32_e32 v4, s6
	s_add_i32 s10, s10, s7
	v_sub_co_u32_e32 v4, vcc, s56, v4
	s_cmp_lg_u64 vcc, 0
	s_subb_u32 s6, s73, s10
	v_subrev_co_u32_e32 v5, vcc, s89, v4
	s_cmp_lg_u64 vcc, 0
	s_subb_u32 s7, s6, 0
	v_subrev_co_u32_e32 v6, vcc, s89, v5
	s_cmp_lg_u64 vcc, 0
	s_subb_u32 s10, s7, 0
	v_cmp_le_u32_e32 vcc, s89, v5
	s_cmp_eq_u32 s7, 0
	v_cndmask_b32_e64 v7, 0, -1, vcc
	s_cselect_b64 vcc, -1, 0
	v_cndmask_b32_e32 v7, -1, v7, vcc
	v_mov_b32_e32 v14, s7
	v_mov_b32_e32 v20, s10
	v_cmp_ne_u32_e32 vcc, 0, v7
	v_cndmask_b32_e32 v7, v14, v20, vcc
	v_cndmask_b32_e32 v6, v5, v6, vcc
	v_cmp_le_u32_e32 vcc, s89, v4
	s_cmp_eq_u32 s6, 0
	v_cndmask_b32_e64 v5, 0, -1, vcc
	s_cselect_b64 vcc, -1, 0
	v_cndmask_b32_e32 v5, -1, v5, vcc
	v_mov_b32_e32 v14, s6
	v_cmp_ne_u32_e32 vcc, 0, v5
	v_cndmask_b32_e32 v5, v14, v7, vcc
	v_cndmask_b32_e32 v4, v4, v6, vcc
	s_mov_b64 s[6:7], 0
	s_branch .LBB210_254
.LBB210_253:                            ;   in Loop: Header=BB210_18 Depth=1
	s_mov_b64 s[6:7], -1
                                        ; implicit-def: $vgpr4_vgpr5
.LBB210_254:                            ;   in Loop: Header=BB210_18 Depth=1
	s_andn2_b64 vcc, exec, s[6:7]
	s_cbranch_vccnz .LBB210_256
; %bb.255:                              ;   in Loop: Header=BB210_18 Depth=1
	v_cvt_f32_u32_e32 v4, s89
	s_sub_i32 s6, 0, s89
	v_rcp_iflag_f32_e32 v4, v4
	v_mul_f32_e32 v4, 0x4f7ffffe, v4
	v_cvt_u32_f32_e32 v4, v4
	v_mul_lo_u32 v5, s6, v4
	v_mul_hi_u32 v5, v4, v5
	v_add_u32_e32 v4, v4, v5
	v_readlane_b32 s6, v49, 53
	v_mul_hi_u32 v4, s6, v4
	v_mul_lo_u32 v4, v4, s89
	v_sub_u32_e32 v4, s6, v4
	v_subrev_u32_e32 v5, s89, v4
	v_cmp_le_u32_e32 vcc, s89, v4
	v_cndmask_b32_e32 v4, v4, v5, vcc
	v_subrev_u32_e32 v5, s89, v4
	v_cmp_le_u32_e32 vcc, s89, v4
	v_cndmask_b32_e32 v14, v4, v5, vcc
	v_pk_mov_b32 v[4:5], v[14:15], v[14:15] op_sel:[0,1]
.LBB210_256:                            ;   in Loop: Header=BB210_18 Depth=1
	v_readlane_b32 s6, v49, 53
	v_mov_b32_e32 v6, s73
	v_sub_co_u32_e32 v4, vcc, s6, v4
	v_subb_co_u32_e32 v5, vcc, v6, v5, vcc
	v_cmp_gt_u64_e32 vcc, v[4:5], v[0:1]
	s_mov_b64 s[56:57], 0
                                        ; implicit-def: $vgpr6
	s_and_saveexec_b64 s[10:11], vcc
	s_cbranch_execz .LBB210_265
; %bb.257:                              ;   in Loop: Header=BB210_18 Depth=1
	s_mov_b64 s[12:13], 0
	v_pk_mov_b32 v[6:7], v[0:1], v[0:1] op_sel:[0,1]
                                        ; implicit-def: $sgpr56_sgpr57
	s_branch .LBB210_259
.LBB210_258:                            ;   in Loop: Header=BB210_259 Depth=2
	s_or_b64 exec, exec, s[6:7]
	s_waitcnt lgkmcnt(0)
	s_barrier
	s_waitcnt vmcnt(0)
	ds_read_b32 v14, v15 offset:3072
	v_mov_b32_e32 v20, s74
	v_add_co_u32_e64 v6, s[6:7], s89, v6
	v_addc_co_u32_e64 v7, s[6:7], v7, v20, s[6:7]
	s_waitcnt lgkmcnt(0)
	v_cmp_neq_f16_e32 vcc, 0, v14
	v_cmp_ge_u64_e64 s[6:7], v[6:7], v[4:5]
	s_or_b64 s[6:7], s[6:7], vcc
	s_and_b64 s[6:7], exec, s[6:7]
	s_or_b64 s[12:13], s[6:7], s[12:13]
	s_andn2_b64 s[6:7], s[56:57], exec
	s_and_b64 s[56:57], vcc, exec
	s_or_b64 s[56:57], s[6:7], s[56:57]
	s_barrier
	s_andn2_b64 exec, exec, s[12:13]
	s_cbranch_execz .LBB210_264
.LBB210_259:                            ;   Parent Loop BB210_18 Depth=1
                                        ; =>  This Inner Loop Header: Depth=2
	v_cmp_gt_u64_e32 vcc, s[60:61], v[6:7]
	v_mov_b32_e32 v14, 0
	s_and_saveexec_b64 s[92:93], vcc
	s_cbranch_execz .LBB210_261
; %bb.260:                              ;   in Loop: Header=BB210_259 Depth=2
	v_mul_lo_u32 v14, v7, s58
	v_mul_lo_u32 v22, v6, s59
	v_mad_u64_u32 v[20:21], s[6:7], v6, s58, 0
	v_add3_u32 v21, v21, v22, v14
	v_lshlrev_b64 v[20:21], 1, v[20:21]
	v_mov_b32_e32 v14, s88
	v_add_co_u32_e64 v20, s[6:7], s33, v20
	v_addc_co_u32_e64 v21, s[6:7], v14, v21, s[6:7]
	global_load_ushort v14, v[20:21], off
.LBB210_261:                            ;   in Loop: Header=BB210_259 Depth=2
	s_or_b64 exec, exec, s[92:93]
	s_and_saveexec_b64 s[6:7], vcc
	s_cbranch_execz .LBB210_258
; %bb.262:                              ;   in Loop: Header=BB210_259 Depth=2
	s_waitcnt vmcnt(0)
	v_cmp_lt_i16_e32 vcc, -1, v14
	v_cndmask_b32_e32 v20, v32, v33, vcc
	v_xor_b32_sdwa v20, v20, v14 dst_sel:DWORD dst_unused:UNUSED_PAD src0_sel:DWORD src1_sel:WORD_0
	v_cmp_o_f16_e32 vcc, v14, v14
	v_cndmask_b32_e32 v20, v32, v20, vcc
	v_and_b32_e32 v20, v20, v9
	v_cmp_eq_u32_e32 vcc, v20, v8
	s_and_b64 exec, exec, vcc
	s_cbranch_execz .LBB210_258
; %bb.263:                              ;   in Loop: Header=BB210_259 Depth=2
	s_movk_i32 s72, 0x3c00
	v_perm_b32 v14, v14, s72, v36
	ds_write_b32 v15, v14 offset:3072
	s_branch .LBB210_258
.LBB210_264:                            ;   in Loop: Header=BB210_18 Depth=1
	s_or_b64 exec, exec, s[12:13]
	v_lshrrev_b32_e32 v6, 16, v14
	s_and_b64 s[56:57], s[56:57], exec
.LBB210_265:                            ;   in Loop: Header=BB210_18 Depth=1
	s_or_b64 exec, exec, s[10:11]
	s_mov_b64 s[12:13], -1
	s_mov_b64 s[6:7], 0
	s_mov_b64 s[10:11], 0
.LBB210_266:                            ;   in Loop: Header=BB210_18 Depth=1
	v_readlane_b32 s94, v48, 3
	s_orn2_b64 s[92:93], s[56:57], exec
	v_readlane_b32 s95, v48, 4
.LBB210_267:                            ;   in Loop: Header=BB210_18 Depth=1
	s_or_b64 exec, exec, s[94:95]
	s_mov_b64 s[94:95], 0
                                        ; implicit-def: $vgpr7
                                        ; implicit-def: $vgpr4_vgpr5
	s_and_saveexec_b64 s[56:57], s[92:93]
	v_readlane_b32 vcc_lo, v49, 63
	v_readlane_b32 vcc_hi, v48, 0
	s_cbranch_execz .LBB210_279
; %bb.268:                              ;   in Loop: Header=BB210_18 Depth=1
	v_readlane_b32 s92, v48, 1
	v_readlane_b32 s93, v48, 2
	v_mov_b32_e32 v4, 1
	s_xor_b64 s[94:95], s[92:93], -1
	v_mov_b32_e32 v7, 1
	v_mov_b32_e32 v5, 0
	s_and_saveexec_b64 s[92:93], s[94:95]
	s_cbranch_execz .LBB210_278
; %bb.269:                              ;   in Loop: Header=BB210_18 Depth=1
	v_cmp_ge_u64_e32 vcc, s[24:25], v[2:3]
                                        ; implicit-def: $sgpr72
	s_and_saveexec_b64 s[94:95], vcc
	s_xor_b64 s[94:95], exec, s[94:95]
	s_cbranch_execz .LBB210_275
; %bb.270:                              ;   in Loop: Header=BB210_18 Depth=1
	ds_read_b64 v[4:5], v15 offset:5120
	s_waitcnt lgkmcnt(0)
	v_cmp_ne_u64_e32 vcc, 0, v[4:5]
	s_cbranch_vccnz .LBB210_274
; %bb.271:                              ;   in Loop: Header=BB210_18 Depth=1
	v_writelane_b32 v48, s8, 5
	v_writelane_b32 v48, s9, 6
	s_mov_b64 s[8:9], exec
	v_writelane_b32 v48, s8, 7
	v_writelane_b32 v48, s9, 8
	v_readlane_b32 vcc_lo, v49, 32
	v_readlane_b32 s8, v48, 7
	v_readlane_b32 vcc_hi, v49, 33
	v_readlane_b32 s9, v48, 8
	s_and_b64 vcc, s[8:9], vcc
	s_mov_b64 exec, vcc
	s_cbranch_execz .LBB210_273
; %bb.272:                              ;   in Loop: Header=BB210_18 Depth=1
	v_pk_mov_b32 v[4:5], s[24:25], s[24:25] op_sel:[0,1]
	ds_write_b64 v15, v[4:5] offset:5128
.LBB210_273:                            ;   in Loop: Header=BB210_18 Depth=1
	v_readlane_b32 vcc_lo, v48, 7
	v_readlane_b32 vcc_hi, v48, 8
	s_or_b64 exec, exec, vcc
	v_readlane_b32 s8, v48, 5
	v_readlane_b32 s9, v48, 6
	s_waitcnt lgkmcnt(0)
	s_barrier
.LBB210_274:                            ;   in Loop: Header=BB210_18 Depth=1
	v_or_b32_e32 v8, s90, v8
	v_or_b32_e32 v9, s90, v9
	s_mov_b32 s72, 8
.LBB210_275:                            ;   in Loop: Header=BB210_18 Depth=1
	s_or_saveexec_b64 s[94:95], s[94:95]
	v_mov_b32_e32 v7, s72
	s_xor_b64 exec, exec, s[94:95]
; %bb.276:                              ;   in Loop: Header=BB210_18 Depth=1
	v_mov_b32_e32 v4, s25
	v_subrev_co_u32_e32 v2, vcc, s24, v2
	v_subb_co_u32_e32 v3, vcc, v3, v4, vcc
	v_mov_b32_e32 v7, 8
; %bb.277:                              ;   in Loop: Header=BB210_18 Depth=1
	s_or_b64 exec, exec, s[94:95]
	v_readlane_b32 vcc_lo, v49, 63
	v_pk_mov_b32 v[4:5], v[2:3], v[2:3] op_sel:[0,1]
	v_readlane_b32 vcc_hi, v48, 0
.LBB210_278:                            ;   in Loop: Header=BB210_18 Depth=1
	s_or_b64 exec, exec, s[92:93]
	s_mov_b64 s[94:95], exec
.LBB210_279:                            ;   in Loop: Header=BB210_18 Depth=1
	s_or_b64 exec, exec, s[56:57]
	s_orn2_b64 s[56:57], s[94:95], exec
	v_pk_mov_b32 v[2:3], v[4:5], v[4:5] op_sel:[0,1]
.LBB210_280:                            ;   in Loop: Header=BB210_18 Depth=1
	s_or_b64 exec, exec, s[8:9]
	s_andn2_b64 s[8:9], s[30:31], exec
	s_and_b64 s[6:7], s[6:7], exec
	s_or_b64 s[30:31], s[8:9], s[6:7]
	s_andn2_b64 s[6:7], s[50:51], exec
	s_and_b64 s[8:9], s[12:13], exec
	s_or_b64 s[50:51], s[6:7], s[8:9]
	s_andn2_b64 s[6:7], vcc, exec
	s_and_b64 s[8:9], s[10:11], exec
	s_or_b64 vcc, s[6:7], s[8:9]
	s_and_b64 s[6:7], s[56:57], exec
	v_pk_mov_b32 v[4:5], v[2:3], v[2:3] op_sel:[0,1]
.LBB210_281:                            ;   in Loop: Header=BB210_18 Depth=1
	s_or_b64 exec, exec, s[54:55]
	s_and_b64 s[12:13], s[30:31], exec
	s_and_b64 s[10:11], s[50:51], exec
	s_and_b64 s[8:9], vcc, exec
	s_orn2_b64 s[6:7], s[6:7], exec
.LBB210_282:                            ;   in Loop: Header=BB210_18 Depth=1
	s_or_b64 exec, exec, s[52:53]
	s_andn2_b64 s[28:29], s[28:29], exec
	s_and_b64 s[12:13], s[12:13], exec
	s_or_b64 s[28:29], s[28:29], s[12:13]
	s_andn2_b64 s[12:13], s[44:45], exec
	s_and_b64 s[10:11], s[10:11], exec
	s_or_b64 s[44:45], s[12:13], s[10:11]
	s_andn2_b64 s[10:11], s[42:43], exec
	s_and_b64 s[8:9], s[8:9], exec
	s_or_b64 s[42:43], s[10:11], s[8:9]
	s_and_b64 s[6:7], s[6:7], exec
	v_pk_mov_b32 v[2:3], v[4:5], v[4:5] op_sel:[0,1]
.LBB210_283:                            ;   in Loop: Header=BB210_18 Depth=1
	s_or_b64 exec, exec, s[46:47]
	s_and_b64 s[12:13], s[28:29], exec
	s_and_b64 s[10:11], s[44:45], exec
	;; [unrolled: 1-line block ×3, first 2 shown]
	s_orn2_b64 s[28:29], s[6:7], exec
.LBB210_284:                            ;   in Loop: Header=BB210_18 Depth=1
	s_or_b64 exec, exec, s[26:27]
	s_mov_b64 s[6:7], 0
	s_mov_b64 s[26:27], 0
	s_and_saveexec_b64 s[30:31], s[28:29]
	s_xor_b64 s[28:29], exec, s[30:31]
; %bb.285:                              ;   in Loop: Header=BB210_18 Depth=1
	v_cmp_eq_u32_e32 vcc, 8, v7
	v_cmp_ne_u32_e64 s[6:7], 8, v7
	s_andn2_b64 s[12:13], s[12:13], exec
	s_andn2_b64 s[10:11], s[10:11], exec
	;; [unrolled: 1-line block ×3, first 2 shown]
	s_and_b64 s[26:27], s[6:7], exec
	s_and_b64 s[6:7], vcc, exec
; %bb.286:                              ;   in Loop: Header=BB210_18 Depth=1
	s_or_b64 exec, exec, s[28:29]
	s_andn2_b64 s[20:21], s[20:21], exec
	s_and_b64 s[12:13], s[12:13], exec
	s_or_b64 s[20:21], s[20:21], s[12:13]
	s_andn2_b64 s[12:13], s[36:37], exec
	s_and_b64 s[10:11], s[10:11], exec
	s_or_b64 s[36:37], s[12:13], s[10:11]
	;; [unrolled: 3-line block ×3, first 2 shown]
	s_and_b64 s[26:27], s[26:27], exec
	s_and_b64 s[28:29], s[6:7], exec
.LBB210_287:                            ;   in Loop: Header=BB210_18 Depth=1
	s_or_b64 exec, exec, s[40:41]
	s_and_b64 vcc, exec, s[38:39]
	s_cbranch_vccz .LBB210_103
.LBB210_288:                            ;   in Loop: Header=BB210_18 Depth=1
	s_cmp_eq_u64 s[24:25], 1
	s_cselect_b64 s[6:7], -1, 0
	s_and_b64 s[8:9], s[6:7], s[14:15]
	s_mov_b64 s[6:7], -1
                                        ; implicit-def: $sgpr14_sgpr15
                                        ; implicit-def: $sgpr38_sgpr39
                                        ; implicit-def: $sgpr20_sgpr21
	s_and_saveexec_b64 s[30:31], s[8:9]
	s_cbranch_execz .LBB210_320
; %bb.289:                              ;   in Loop: Header=BB210_18 Depth=1
	ds_read_b64 v[2:3], v15 offset:5120
	s_waitcnt lgkmcnt(0)
	s_barrier
	v_readfirstlane_b32 s10, v2
	v_readfirstlane_b32 s11, v3
	s_mov_b64 s[6:7], exec
	v_readlane_b32 s12, v49, 48
	v_readlane_b32 s13, v49, 49
	s_and_b64 s[12:13], s[6:7], s[12:13]
	s_mov_b64 exec, s[12:13]
	s_cbranch_execz .LBB210_291
; %bb.290:                              ;   in Loop: Header=BB210_18 Depth=1
	ds_write_b16 v29, v15
.LBB210_291:                            ;   in Loop: Header=BB210_18 Depth=1
	s_or_b64 exec, exec, s[6:7]
	v_or_b32_e32 v38, s90, v38
	v_or_b32_e32 v37, s90, v37
	s_cmp_eq_u64 s[10:11], 0
	s_waitcnt lgkmcnt(0)
	s_barrier
	s_cbranch_scc1 .LBB210_303
; %bb.292:                              ;   in Loop: Header=BB210_18 Depth=1
	v_readlane_b32 s6, v49, 52
	s_add_u32 s14, s6, s10
	v_readlane_b32 s6, v49, 54
	s_addc_u32 s7, s6, s11
	s_mov_b32 s6, s91
	s_cmp_lg_u64 s[6:7], 0
	s_cbranch_scc0 .LBB210_347
; %bb.293:                              ;   in Loop: Header=BB210_18 Depth=1
	v_cvt_f32_u32_e32 v2, s89
	s_sub_u32 s6, 0, s89
	s_subb_u32 s12, 0, 0
	v_mac_f32_e32 v2, 0, v34
	v_rcp_f32_e32 v2, v2
	v_mul_f32_e32 v2, 0x5f7ffffc, v2
	v_mul_f32_e32 v3, 0x2f800000, v2
	v_trunc_f32_e32 v3, v3
	v_mac_f32_e32 v2, 0xcf800000, v3
	v_cvt_u32_f32_e32 v3, v3
	v_cvt_u32_f32_e32 v2, v2
	v_readfirstlane_b32 s13, v3
	v_readfirstlane_b32 s15, v2
	s_mul_i32 s20, s6, s13
	s_mul_hi_u32 s34, s6, s15
	s_mul_i32 s21, s12, s15
	s_add_i32 s20, s34, s20
	s_mul_i32 s35, s6, s15
	s_add_i32 s20, s20, s21
	s_mul_hi_u32 s34, s15, s35
	s_mul_hi_u32 s21, s15, s20
	s_mul_i32 s15, s15, s20
	s_add_u32 s15, s34, s15
	s_addc_u32 s21, 0, s21
	s_mul_hi_u32 s36, s13, s35
	s_mul_i32 s35, s13, s35
	s_add_u32 s15, s15, s35
	s_mul_hi_u32 s34, s13, s20
	s_addc_u32 s15, s21, s36
	s_addc_u32 s21, s34, 0
	s_mul_i32 s20, s13, s20
	s_add_u32 s15, s15, s20
	s_addc_u32 s20, 0, s21
	v_add_co_u32_e32 v2, vcc, s15, v2
	s_cmp_lg_u64 vcc, 0
	s_addc_u32 s13, s13, s20
	v_readfirstlane_b32 s20, v2
	s_mul_i32 s15, s6, s13
	s_mul_hi_u32 s21, s6, s20
	s_add_i32 s15, s21, s15
	s_mul_i32 s12, s12, s20
	s_add_i32 s15, s15, s12
	s_mul_i32 s6, s6, s20
	s_mul_hi_u32 s21, s13, s6
	s_mul_i32 s34, s13, s6
	s_mul_i32 s36, s20, s15
	s_mul_hi_u32 s6, s20, s6
	s_mul_hi_u32 s35, s20, s15
	s_add_u32 s6, s6, s36
	s_addc_u32 s20, 0, s35
	s_add_u32 s6, s6, s34
	s_mul_hi_u32 s12, s13, s15
	s_addc_u32 s6, s20, s21
	s_addc_u32 s12, s12, 0
	s_mul_i32 s15, s13, s15
	s_add_u32 s6, s6, s15
	s_addc_u32 s12, 0, s12
	v_add_co_u32_e32 v2, vcc, s6, v2
	s_cmp_lg_u64 vcc, 0
	s_addc_u32 s6, s13, s12
	v_readfirstlane_b32 s15, v2
	s_mul_i32 s13, s14, s6
	s_mul_hi_u32 s20, s14, s15
	s_mul_hi_u32 s12, s14, s6
	s_add_u32 s13, s20, s13
	s_addc_u32 s12, 0, s12
	s_mul_hi_u32 s21, s7, s15
	s_mul_i32 s15, s7, s15
	s_add_u32 s13, s13, s15
	s_mul_hi_u32 s20, s7, s6
	s_addc_u32 s12, s12, s21
	s_addc_u32 s13, s20, 0
	s_mul_i32 s6, s7, s6
	s_add_u32 s6, s12, s6
	s_addc_u32 s12, 0, s13
	s_mul_hi_u32 s13, s89, s6
	s_mul_i32 s6, s89, s6
	s_mul_i32 s12, s89, s12
	v_mov_b32_e32 v2, s6
	s_add_i32 s13, s13, s12
	v_sub_co_u32_e32 v2, vcc, s14, v2
	s_cmp_lg_u64 vcc, 0
	s_subb_u32 s6, s7, s13
	v_subrev_co_u32_e32 v3, vcc, s89, v2
	s_cmp_lg_u64 vcc, 0
	s_subb_u32 s12, s6, 0
	v_subrev_co_u32_e32 v4, vcc, s89, v3
	s_cmp_lg_u64 vcc, 0
	s_subb_u32 s13, s12, 0
	v_cmp_le_u32_e32 vcc, s89, v3
	s_cmp_eq_u32 s12, 0
	v_cndmask_b32_e64 v5, 0, -1, vcc
	s_cselect_b64 vcc, -1, 0
	v_cndmask_b32_e32 v5, -1, v5, vcc
	v_mov_b32_e32 v6, s12
	v_mov_b32_e32 v7, s13
	v_cmp_ne_u32_e32 vcc, 0, v5
	v_cndmask_b32_e32 v5, v6, v7, vcc
	v_cndmask_b32_e32 v4, v3, v4, vcc
	v_cmp_le_u32_e32 vcc, s89, v2
	s_cmp_eq_u32 s6, 0
	v_cndmask_b32_e64 v3, 0, -1, vcc
	s_cselect_b64 vcc, -1, 0
	v_cndmask_b32_e32 v3, -1, v3, vcc
	v_mov_b32_e32 v6, s6
	v_cmp_ne_u32_e32 vcc, 0, v3
	v_cndmask_b32_e32 v3, v6, v5, vcc
	v_cndmask_b32_e32 v2, v2, v4, vcc
	s_cbranch_execnz .LBB210_295
.LBB210_294:                            ;   in Loop: Header=BB210_18 Depth=1
	v_cvt_f32_u32_e32 v2, s89
	s_sub_i32 s6, 0, s89
	v_rcp_iflag_f32_e32 v2, v2
	v_mul_f32_e32 v2, 0x4f7ffffe, v2
	v_cvt_u32_f32_e32 v2, v2
	v_mul_lo_u32 v3, s6, v2
	v_mul_hi_u32 v3, v2, v3
	v_add_u32_e32 v2, v2, v3
	v_mul_hi_u32 v2, s14, v2
	v_mul_lo_u32 v2, v2, s89
	v_sub_u32_e32 v2, s14, v2
	v_subrev_u32_e32 v3, s89, v2
	v_cmp_le_u32_e32 vcc, s89, v2
	v_cndmask_b32_e32 v2, v2, v3, vcc
	v_subrev_u32_e32 v3, s89, v2
	v_cmp_le_u32_e32 vcc, s89, v2
	v_cndmask_b32_e32 v14, v2, v3, vcc
	v_pk_mov_b32 v[2:3], v[14:15], v[14:15] op_sel:[0,1]
.LBB210_295:                            ;   in Loop: Header=BB210_18 Depth=1
	v_mov_b32_e32 v4, s7
	v_sub_co_u32_e32 v2, vcc, s14, v2
	v_subb_co_u32_e32 v3, vcc, v4, v3, vcc
	v_cmp_gt_u64_e32 vcc, v[2:3], v[0:1]
	s_mov_b64 s[6:7], 0
                                        ; implicit-def: $vgpr39
	s_and_saveexec_b64 s[12:13], vcc
	s_cbranch_execz .LBB210_305
; %bb.296:                              ;   in Loop: Header=BB210_18 Depth=1
	s_mov_b64 s[14:15], 0
	v_mov_b32_e32 v6, v28
	v_pk_mov_b32 v[4:5], v[0:1], v[0:1] op_sel:[0,1]
                                        ; implicit-def: $sgpr20_sgpr21
	s_branch .LBB210_298
.LBB210_297:                            ;   in Loop: Header=BB210_298 Depth=2
	s_or_b64 exec, exec, s[6:7]
	s_waitcnt lgkmcnt(0)
	s_barrier
	ds_read_b32 v7, v15 offset:3072
	v_mov_b32_e32 v8, s74
	v_add_co_u32_e64 v4, s[6:7], s89, v4
	v_addc_co_u32_e64 v5, s[6:7], v5, v8, s[6:7]
	s_waitcnt lgkmcnt(0)
	v_cmp_neq_f16_e32 vcc, 0, v7
	v_cmp_ge_u64_e64 s[6:7], v[4:5], v[2:3]
	s_or_b64 s[6:7], s[6:7], vcc
	s_and_b64 s[6:7], exec, s[6:7]
	s_or_b64 s[14:15], s[6:7], s[14:15]
	s_andn2_b64 s[6:7], s[20:21], exec
	s_and_b64 s[20:21], vcc, exec
	v_add_u32_e32 v6, s5, v6
	s_or_b64 s[20:21], s[6:7], s[20:21]
	s_barrier
	s_andn2_b64 exec, exec, s[14:15]
	s_cbranch_execz .LBB210_304
.LBB210_298:                            ;   Parent Loop BB210_18 Depth=1
                                        ; =>  This Inner Loop Header: Depth=2
	v_cmp_gt_u64_e32 vcc, s[10:11], v[4:5]
	v_mov_b32_e32 v7, 0
	s_and_saveexec_b64 s[6:7], vcc
	s_cbranch_execz .LBB210_300
; %bb.299:                              ;   in Loop: Header=BB210_298 Depth=2
	ds_read_u16 v7, v6
.LBB210_300:                            ;   in Loop: Header=BB210_298 Depth=2
	s_or_b64 exec, exec, s[6:7]
	s_and_saveexec_b64 s[6:7], vcc
	s_cbranch_execz .LBB210_297
; %bb.301:                              ;   in Loop: Header=BB210_298 Depth=2
	s_waitcnt lgkmcnt(0)
	v_cmp_lt_i16_e32 vcc, -1, v7
	v_cndmask_b32_e32 v8, v32, v33, vcc
	v_xor_b32_sdwa v8, v8, v7 dst_sel:DWORD dst_unused:UNUSED_PAD src0_sel:DWORD src1_sel:WORD_0
	v_cmp_o_f16_e32 vcc, v7, v7
	v_cndmask_b32_e32 v8, v32, v8, vcc
	v_and_b32_e32 v8, v8, v37
	v_cmp_eq_u32_e32 vcc, v8, v38
	s_and_b64 exec, exec, vcc
	s_cbranch_execz .LBB210_297
; %bb.302:                              ;   in Loop: Header=BB210_298 Depth=2
	s_movk_i32 s34, 0x3c00
	v_perm_b32 v7, v7, s34, v36
	ds_write_b32 v15, v7 offset:3072
	s_branch .LBB210_297
.LBB210_303:                            ;   in Loop: Header=BB210_18 Depth=1
	s_mov_b64 s[14:15], -1
	s_mov_b64 s[6:7], 0
                                        ; implicit-def: $sgpr38_sgpr39
                                        ; implicit-def: $vgpr39
	s_mov_b64 s[20:21], s[14:15]
	s_cbranch_execnz .LBB210_306
	s_branch .LBB210_319
.LBB210_304:                            ;   in Loop: Header=BB210_18 Depth=1
	s_or_b64 exec, exec, s[14:15]
	v_lshrrev_b32_e32 v39, 16, v7
	s_and_b64 s[6:7], s[20:21], exec
.LBB210_305:                            ;   in Loop: Header=BB210_18 Depth=1
	s_or_b64 exec, exec, s[12:13]
	s_mov_b64 s[14:15], 0
	s_mov_b64 s[38:39], -1
	s_mov_b64 s[20:21], s[14:15]
	s_branch .LBB210_319
.LBB210_306:                            ;   in Loop: Header=BB210_18 Depth=1
	s_mov_b32 s72, s91
	s_cmp_lg_u64 s[72:73], 0
	s_cbranch_scc0 .LBB210_348
; %bb.307:                              ;   in Loop: Header=BB210_18 Depth=1
	v_cvt_f32_u32_e32 v2, s89
	s_sub_u32 s6, 0, s89
	s_subb_u32 s7, 0, 0
	v_mac_f32_e32 v2, 0, v34
	v_rcp_f32_e32 v2, v2
	v_mul_f32_e32 v2, 0x5f7ffffc, v2
	v_mul_f32_e32 v3, 0x2f800000, v2
	v_trunc_f32_e32 v3, v3
	v_mac_f32_e32 v2, 0xcf800000, v3
	v_cvt_u32_f32_e32 v3, v3
	v_cvt_u32_f32_e32 v2, v2
	v_readfirstlane_b32 s10, v3
	v_readfirstlane_b32 s11, v2
	s_mul_i32 s12, s6, s10
	s_mul_hi_u32 s14, s6, s11
	s_mul_i32 s13, s7, s11
	s_add_i32 s12, s14, s12
	s_mul_i32 s15, s6, s11
	s_add_i32 s12, s12, s13
	s_mul_hi_u32 s14, s11, s15
	s_mul_hi_u32 s13, s11, s12
	s_mul_i32 s11, s11, s12
	s_add_u32 s11, s14, s11
	s_addc_u32 s13, 0, s13
	s_mul_hi_u32 s20, s10, s15
	s_mul_i32 s15, s10, s15
	s_add_u32 s11, s11, s15
	s_mul_hi_u32 s14, s10, s12
	s_addc_u32 s11, s13, s20
	s_addc_u32 s13, s14, 0
	s_mul_i32 s12, s10, s12
	s_add_u32 s11, s11, s12
	s_addc_u32 s12, 0, s13
	v_add_co_u32_e32 v2, vcc, s11, v2
	s_cmp_lg_u64 vcc, 0
	s_addc_u32 s10, s10, s12
	v_readfirstlane_b32 s12, v2
	s_mul_i32 s11, s6, s10
	s_mul_hi_u32 s13, s6, s12
	s_add_i32 s11, s13, s11
	s_mul_i32 s7, s7, s12
	s_add_i32 s11, s11, s7
	s_mul_i32 s6, s6, s12
	s_mul_hi_u32 s13, s10, s6
	s_mul_i32 s14, s10, s6
	s_mul_i32 s20, s12, s11
	s_mul_hi_u32 s6, s12, s6
	s_mul_hi_u32 s15, s12, s11
	s_add_u32 s6, s6, s20
	s_addc_u32 s12, 0, s15
	s_add_u32 s6, s6, s14
	s_mul_hi_u32 s7, s10, s11
	s_addc_u32 s6, s12, s13
	s_addc_u32 s7, s7, 0
	s_mul_i32 s11, s10, s11
	s_add_u32 s6, s6, s11
	s_addc_u32 s7, 0, s7
	v_add_co_u32_e32 v2, vcc, s6, v2
	s_cmp_lg_u64 vcc, 0
	s_addc_u32 s6, s10, s7
	v_readlane_b32 s14, v49, 53
	v_readfirstlane_b32 s11, v2
	s_mul_i32 s10, s14, s6
	s_mul_hi_u32 s12, s14, s11
	s_mul_hi_u32 s7, s14, s6
	s_add_u32 s10, s12, s10
	s_addc_u32 s7, 0, s7
	s_mul_hi_u32 s13, s73, s11
	s_mul_i32 s11, s73, s11
	s_add_u32 s10, s10, s11
	s_mul_hi_u32 s12, s73, s6
	s_addc_u32 s7, s7, s13
	s_addc_u32 s10, s12, 0
	s_mul_i32 s6, s73, s6
	s_add_u32 s6, s7, s6
	s_addc_u32 s7, 0, s10
	s_mul_hi_u32 s10, s89, s6
	s_mul_i32 s6, s89, s6
	s_mul_i32 s7, s89, s7
	v_mov_b32_e32 v2, s6
	s_add_i32 s10, s10, s7
	v_sub_co_u32_e32 v2, vcc, s14, v2
	s_cmp_lg_u64 vcc, 0
	s_subb_u32 s6, s73, s10
	v_subrev_co_u32_e32 v3, vcc, s89, v2
	s_cmp_lg_u64 vcc, 0
	s_subb_u32 s7, s6, 0
	v_subrev_co_u32_e32 v4, vcc, s89, v3
	s_cmp_lg_u64 vcc, 0
	s_subb_u32 s10, s7, 0
	v_cmp_le_u32_e32 vcc, s89, v3
	s_cmp_eq_u32 s7, 0
	v_cndmask_b32_e64 v5, 0, -1, vcc
	s_cselect_b64 vcc, -1, 0
	v_cndmask_b32_e32 v5, -1, v5, vcc
	v_mov_b32_e32 v6, s7
	v_mov_b32_e32 v7, s10
	v_cmp_ne_u32_e32 vcc, 0, v5
	v_cndmask_b32_e32 v5, v6, v7, vcc
	v_cndmask_b32_e32 v4, v3, v4, vcc
	v_cmp_le_u32_e32 vcc, s89, v2
	s_cmp_eq_u32 s6, 0
	v_cndmask_b32_e64 v3, 0, -1, vcc
	s_cselect_b64 vcc, -1, 0
	v_cndmask_b32_e32 v3, -1, v3, vcc
	v_mov_b32_e32 v6, s6
	v_cmp_ne_u32_e32 vcc, 0, v3
	v_cndmask_b32_e32 v3, v6, v5, vcc
	v_cndmask_b32_e32 v2, v2, v4, vcc
	s_cbranch_execnz .LBB210_309
.LBB210_308:                            ;   in Loop: Header=BB210_18 Depth=1
	v_cvt_f32_u32_e32 v2, s89
	s_sub_i32 s6, 0, s89
	v_rcp_iflag_f32_e32 v2, v2
	v_mul_f32_e32 v2, 0x4f7ffffe, v2
	v_cvt_u32_f32_e32 v2, v2
	v_mul_lo_u32 v3, s6, v2
	v_mul_hi_u32 v3, v2, v3
	v_add_u32_e32 v2, v2, v3
	v_readlane_b32 s6, v49, 53
	v_mul_hi_u32 v2, s6, v2
	v_mul_lo_u32 v2, v2, s89
	v_sub_u32_e32 v2, s6, v2
	v_subrev_u32_e32 v3, s89, v2
	v_cmp_le_u32_e32 vcc, s89, v2
	v_cndmask_b32_e32 v2, v2, v3, vcc
	v_subrev_u32_e32 v3, s89, v2
	v_cmp_le_u32_e32 vcc, s89, v2
	v_cndmask_b32_e32 v14, v2, v3, vcc
	v_pk_mov_b32 v[2:3], v[14:15], v[14:15] op_sel:[0,1]
.LBB210_309:                            ;   in Loop: Header=BB210_18 Depth=1
	v_readlane_b32 s6, v49, 53
	v_mov_b32_e32 v4, s73
	v_sub_co_u32_e32 v2, vcc, s6, v2
	v_subb_co_u32_e32 v3, vcc, v4, v3, vcc
	v_cmp_gt_u64_e32 vcc, v[2:3], v[0:1]
	s_mov_b64 s[6:7], 0
                                        ; implicit-def: $vgpr39
	s_and_saveexec_b64 s[10:11], vcc
	s_cbranch_execz .LBB210_318
; %bb.310:                              ;   in Loop: Header=BB210_18 Depth=1
	s_mov_b64 s[12:13], 0
	v_pk_mov_b32 v[4:5], v[0:1], v[0:1] op_sel:[0,1]
                                        ; implicit-def: $sgpr14_sgpr15
	s_branch .LBB210_312
.LBB210_311:                            ;   in Loop: Header=BB210_312 Depth=2
	s_or_b64 exec, exec, s[6:7]
	s_waitcnt lgkmcnt(0)
	s_barrier
	s_waitcnt vmcnt(0)
	ds_read_b32 v6, v15 offset:3072
	v_mov_b32_e32 v7, s74
	v_add_co_u32_e64 v4, s[6:7], s89, v4
	v_addc_co_u32_e64 v5, s[6:7], v5, v7, s[6:7]
	s_waitcnt lgkmcnt(0)
	v_cmp_neq_f16_e32 vcc, 0, v6
	v_cmp_ge_u64_e64 s[6:7], v[4:5], v[2:3]
	s_or_b64 s[6:7], s[6:7], vcc
	s_and_b64 s[6:7], exec, s[6:7]
	s_or_b64 s[12:13], s[6:7], s[12:13]
	s_andn2_b64 s[6:7], s[14:15], exec
	s_and_b64 s[14:15], vcc, exec
	s_or_b64 s[14:15], s[6:7], s[14:15]
	s_barrier
	s_andn2_b64 exec, exec, s[12:13]
	s_cbranch_execz .LBB210_317
.LBB210_312:                            ;   Parent Loop BB210_18 Depth=1
                                        ; =>  This Inner Loop Header: Depth=2
	v_cmp_gt_u64_e32 vcc, s[60:61], v[4:5]
	v_mov_b32_e32 v6, 0
	s_and_saveexec_b64 s[20:21], vcc
	s_cbranch_execz .LBB210_314
; %bb.313:                              ;   in Loop: Header=BB210_312 Depth=2
	v_mul_lo_u32 v8, v5, s58
	v_mul_lo_u32 v9, v4, s59
	v_mad_u64_u32 v[6:7], s[6:7], v4, s58, 0
	v_add3_u32 v7, v7, v9, v8
	v_lshlrev_b64 v[6:7], 1, v[6:7]
	v_mov_b32_e32 v8, s88
	v_add_co_u32_e64 v6, s[6:7], s33, v6
	v_addc_co_u32_e64 v7, s[6:7], v8, v7, s[6:7]
	global_load_ushort v6, v[6:7], off
.LBB210_314:                            ;   in Loop: Header=BB210_312 Depth=2
	s_or_b64 exec, exec, s[20:21]
	s_and_saveexec_b64 s[6:7], vcc
	s_cbranch_execz .LBB210_311
; %bb.315:                              ;   in Loop: Header=BB210_312 Depth=2
	s_waitcnt vmcnt(0)
	v_cmp_lt_i16_e32 vcc, -1, v6
	v_cndmask_b32_e32 v7, v32, v33, vcc
	v_xor_b32_sdwa v7, v7, v6 dst_sel:DWORD dst_unused:UNUSED_PAD src0_sel:DWORD src1_sel:WORD_0
	v_cmp_o_f16_e32 vcc, v6, v6
	v_cndmask_b32_e32 v7, v32, v7, vcc
	v_and_b32_e32 v7, v7, v37
	v_cmp_eq_u32_e32 vcc, v7, v38
	s_and_b64 exec, exec, vcc
	s_cbranch_execz .LBB210_311
; %bb.316:                              ;   in Loop: Header=BB210_312 Depth=2
	s_movk_i32 s20, 0x3c00
	v_perm_b32 v6, v6, s20, v36
	ds_write_b32 v15, v6 offset:3072
	s_branch .LBB210_311
.LBB210_317:                            ;   in Loop: Header=BB210_18 Depth=1
	s_or_b64 exec, exec, s[12:13]
	v_lshrrev_b32_e32 v39, 16, v6
	s_and_b64 s[6:7], s[14:15], exec
.LBB210_318:                            ;   in Loop: Header=BB210_18 Depth=1
	s_or_b64 exec, exec, s[10:11]
	s_mov_b64 s[38:39], 0
	s_mov_b64 s[14:15], -1
	s_mov_b64 s[20:21], 0
.LBB210_319:                            ;   in Loop: Header=BB210_18 Depth=1
	s_orn2_b64 s[6:7], s[6:7], exec
.LBB210_320:                            ;   in Loop: Header=BB210_18 Depth=1
	s_or_b64 exec, exec, s[30:31]
                                        ; implicit-def: $vgpr7
                                        ; implicit-def: $vgpr2_vgpr3
                                        ; implicit-def: $vgpr8
                                        ; implicit-def: $vgpr9
                                        ; implicit-def: $vgpr6
	s_and_saveexec_b64 s[34:35], s[6:7]
	s_cbranch_execz .LBB210_483
; %bb.321:                              ;   in Loop: Header=BB210_18 Depth=1
	v_mov_b32_e32 v2, 1
	s_xor_b64 s[8:9], s[8:9], -1
	s_mov_b64 s[36:37], 0
	v_mov_b32_e32 v3, 0
	v_mov_b32_e32 v7, 1
	s_and_saveexec_b64 s[6:7], s[8:9]
	s_cbranch_execz .LBB210_331
; %bb.322:                              ;   in Loop: Header=BB210_18 Depth=1
	v_cmp_ge_u64_e32 vcc, s[24:25], v[18:19]
                                        ; implicit-def: $sgpr12
                                        ; implicit-def: $sgpr8_sgpr9
	s_and_saveexec_b64 s[10:11], vcc
	s_xor_b64 s[10:11], exec, s[10:11]
	s_cbranch_execz .LBB210_328
; %bb.323:                              ;   in Loop: Header=BB210_18 Depth=1
	ds_read_b64 v[2:3], v15 offset:5120
	s_waitcnt lgkmcnt(0)
	v_cmp_ne_u64_e32 vcc, 0, v[2:3]
	s_cbranch_vccnz .LBB210_327
; %bb.324:                              ;   in Loop: Header=BB210_18 Depth=1
	s_mov_b64 s[8:9], exec
	v_readlane_b32 s12, v49, 32
	v_readlane_b32 s13, v49, 33
	s_and_b64 s[12:13], s[8:9], s[12:13]
	s_mov_b64 exec, s[12:13]
	s_cbranch_execz .LBB210_326
; %bb.325:                              ;   in Loop: Header=BB210_18 Depth=1
	v_pk_mov_b32 v[2:3], s[24:25], s[24:25] op_sel:[0,1]
	ds_write_b64 v15, v[2:3] offset:5128
.LBB210_326:                            ;   in Loop: Header=BB210_18 Depth=1
	s_or_b64 exec, exec, s[8:9]
	s_waitcnt lgkmcnt(0)
	s_barrier
.LBB210_327:                            ;   in Loop: Header=BB210_18 Depth=1
	v_or_b32_e32 v38, s90, v38
	v_or_b32_e32 v37, s90, v37
	s_mov_b64 s[8:9], 0
	s_mov_b32 s12, 5
.LBB210_328:                            ;   in Loop: Header=BB210_18 Depth=1
	s_or_saveexec_b64 s[10:11], s[10:11]
	v_mov_b32_e32 v7, s12
	s_xor_b64 exec, exec, s[10:11]
; %bb.329:                              ;   in Loop: Header=BB210_18 Depth=1
	v_mov_b32_e32 v2, s25
	v_subrev_co_u32_e32 v18, vcc, s24, v18
	v_subb_co_u32_e32 v19, vcc, v19, v2, vcc
	v_mov_b32_e32 v7, 0
	s_or_b64 s[8:9], s[8:9], exec
; %bb.330:                              ;   in Loop: Header=BB210_18 Depth=1
	s_or_b64 exec, exec, s[10:11]
	s_and_b64 s[36:37], s[8:9], exec
	v_pk_mov_b32 v[2:3], v[18:19], v[18:19] op_sel:[0,1]
.LBB210_331:                            ;   in Loop: Header=BB210_18 Depth=1
	s_or_b64 exec, exec, s[6:7]
	s_mov_b64 s[30:31], -1
                                        ; implicit-def: $sgpr8_sgpr9
                                        ; implicit-def: $sgpr10_sgpr11
                                        ; implicit-def: $sgpr12_sgpr13
	s_and_saveexec_b64 s[6:7], s[36:37]
	s_xor_b64 s[24:25], exec, s[6:7]
	s_cbranch_execz .LBB210_480
; %bb.332:                              ;   in Loop: Header=BB210_18 Depth=1
	s_cmp_eq_u64 s[22:23], 1
	s_cselect_b64 s[6:7], -1, 0
	v_cmp_eq_u64_e32 vcc, 1, v[2:3]
	s_and_b64 s[8:9], s[6:7], vcc
	s_mov_b64 s[10:11], -1
                                        ; implicit-def: $sgpr36_sgpr37
                                        ; implicit-def: $sgpr40_sgpr41
                                        ; implicit-def: $sgpr42_sgpr43
	s_and_saveexec_b64 s[30:31], s[8:9]
	s_cbranch_execz .LBB210_366
; %bb.333:                              ;   in Loop: Header=BB210_18 Depth=1
	ds_read_b64 v[4:5], v15 offset:5120
	s_waitcnt lgkmcnt(0)
	s_barrier
	v_readfirstlane_b32 s10, v4
	v_readfirstlane_b32 s11, v5
	s_mov_b64 s[6:7], exec
	v_readlane_b32 s12, v49, 48
	v_readlane_b32 s13, v49, 49
	s_and_b64 s[12:13], s[6:7], s[12:13]
	s_mov_b64 exec, s[12:13]
	s_cbranch_execz .LBB210_335
; %bb.334:                              ;   in Loop: Header=BB210_18 Depth=1
	ds_write_b16 v29, v15
.LBB210_335:                            ;   in Loop: Header=BB210_18 Depth=1
	s_or_b64 exec, exec, s[6:7]
	v_and_b32_e32 v4, s48, v38
	v_lshl_or_b32 v38, 2, s49, v4
	v_or_b32_e32 v37, s90, v37
	s_cmp_eq_u64 s[10:11], 0
	s_waitcnt lgkmcnt(0)
	s_barrier
	s_cbranch_scc1 .LBB210_349
; %bb.336:                              ;   in Loop: Header=BB210_18 Depth=1
	v_readlane_b32 s6, v49, 52
	s_add_u32 s36, s6, s10
	v_readlane_b32 s6, v49, 54
	s_addc_u32 s7, s6, s11
	s_mov_b32 s6, s91
	s_cmp_lg_u64 s[6:7], 0
	s_cbranch_scc0 .LBB210_393
; %bb.337:                              ;   in Loop: Header=BB210_18 Depth=1
	v_cvt_f32_u32_e32 v4, s89
	s_sub_u32 s6, 0, s89
	s_subb_u32 s12, 0, 0
	v_mac_f32_e32 v4, 0, v34
	v_rcp_f32_e32 v4, v4
	v_mul_f32_e32 v4, 0x5f7ffffc, v4
	v_mul_f32_e32 v5, 0x2f800000, v4
	v_trunc_f32_e32 v5, v5
	v_mac_f32_e32 v4, 0xcf800000, v5
	v_cvt_u32_f32_e32 v5, v5
	v_cvt_u32_f32_e32 v4, v4
	v_readfirstlane_b32 s13, v5
	v_readfirstlane_b32 s37, v4
	s_mul_i32 s40, s6, s13
	s_mul_hi_u32 s42, s6, s37
	s_mul_i32 s41, s12, s37
	s_add_i32 s40, s42, s40
	s_mul_i32 s43, s6, s37
	s_add_i32 s40, s40, s41
	s_mul_hi_u32 s42, s37, s43
	s_mul_hi_u32 s41, s37, s40
	s_mul_i32 s37, s37, s40
	s_add_u32 s37, s42, s37
	s_addc_u32 s41, 0, s41
	s_mul_hi_u32 s44, s13, s43
	s_mul_i32 s43, s13, s43
	s_add_u32 s37, s37, s43
	s_mul_hi_u32 s42, s13, s40
	s_addc_u32 s37, s41, s44
	s_addc_u32 s41, s42, 0
	s_mul_i32 s40, s13, s40
	s_add_u32 s37, s37, s40
	s_addc_u32 s40, 0, s41
	v_add_co_u32_e32 v4, vcc, s37, v4
	s_cmp_lg_u64 vcc, 0
	s_addc_u32 s13, s13, s40
	v_readfirstlane_b32 s40, v4
	s_mul_i32 s37, s6, s13
	s_mul_hi_u32 s41, s6, s40
	s_add_i32 s37, s41, s37
	s_mul_i32 s12, s12, s40
	s_add_i32 s37, s37, s12
	s_mul_i32 s6, s6, s40
	s_mul_hi_u32 s41, s13, s6
	s_mul_i32 s42, s13, s6
	s_mul_i32 s44, s40, s37
	s_mul_hi_u32 s6, s40, s6
	s_mul_hi_u32 s43, s40, s37
	s_add_u32 s6, s6, s44
	s_addc_u32 s40, 0, s43
	s_add_u32 s6, s6, s42
	s_mul_hi_u32 s12, s13, s37
	s_addc_u32 s6, s40, s41
	s_addc_u32 s12, s12, 0
	s_mul_i32 s37, s13, s37
	s_add_u32 s6, s6, s37
	s_addc_u32 s12, 0, s12
	v_add_co_u32_e32 v4, vcc, s6, v4
	s_cmp_lg_u64 vcc, 0
	s_addc_u32 s6, s13, s12
	v_readfirstlane_b32 s37, v4
	s_mul_i32 s13, s36, s6
	s_mul_hi_u32 s40, s36, s37
	s_mul_hi_u32 s12, s36, s6
	s_add_u32 s13, s40, s13
	s_addc_u32 s12, 0, s12
	s_mul_hi_u32 s41, s7, s37
	s_mul_i32 s37, s7, s37
	s_add_u32 s13, s13, s37
	s_mul_hi_u32 s40, s7, s6
	s_addc_u32 s12, s12, s41
	s_addc_u32 s13, s40, 0
	s_mul_i32 s6, s7, s6
	s_add_u32 s6, s12, s6
	s_addc_u32 s12, 0, s13
	s_mul_hi_u32 s13, s89, s6
	s_mul_i32 s6, s89, s6
	s_mul_i32 s12, s89, s12
	v_mov_b32_e32 v4, s6
	s_add_i32 s13, s13, s12
	v_sub_co_u32_e32 v4, vcc, s36, v4
	s_cmp_lg_u64 vcc, 0
	s_subb_u32 s6, s7, s13
	v_subrev_co_u32_e32 v5, vcc, s89, v4
	s_cmp_lg_u64 vcc, 0
	s_subb_u32 s12, s6, 0
	v_subrev_co_u32_e32 v6, vcc, s89, v5
	s_cmp_lg_u64 vcc, 0
	s_subb_u32 s13, s12, 0
	v_cmp_le_u32_e32 vcc, s89, v5
	s_cmp_eq_u32 s12, 0
	v_cndmask_b32_e64 v7, 0, -1, vcc
	s_cselect_b64 vcc, -1, 0
	v_cndmask_b32_e32 v7, -1, v7, vcc
	v_mov_b32_e32 v8, s12
	v_mov_b32_e32 v9, s13
	v_cmp_ne_u32_e32 vcc, 0, v7
	v_cndmask_b32_e32 v7, v8, v9, vcc
	v_cndmask_b32_e32 v6, v5, v6, vcc
	v_cmp_le_u32_e32 vcc, s89, v4
	s_cmp_eq_u32 s6, 0
	v_cndmask_b32_e64 v5, 0, -1, vcc
	s_cselect_b64 vcc, -1, 0
	v_cndmask_b32_e32 v5, -1, v5, vcc
	v_mov_b32_e32 v8, s6
	v_cmp_ne_u32_e32 vcc, 0, v5
	v_cndmask_b32_e32 v5, v8, v7, vcc
	v_cndmask_b32_e32 v4, v4, v6, vcc
	s_cbranch_execnz .LBB210_339
.LBB210_338:                            ;   in Loop: Header=BB210_18 Depth=1
	v_cvt_f32_u32_e32 v4, s89
	s_sub_i32 s6, 0, s89
	v_rcp_iflag_f32_e32 v4, v4
	v_mul_f32_e32 v4, 0x4f7ffffe, v4
	v_cvt_u32_f32_e32 v4, v4
	v_mul_lo_u32 v5, s6, v4
	v_mul_hi_u32 v5, v4, v5
	v_add_u32_e32 v4, v4, v5
	v_mul_hi_u32 v4, s36, v4
	v_mul_lo_u32 v4, v4, s89
	v_sub_u32_e32 v4, s36, v4
	v_subrev_u32_e32 v5, s89, v4
	v_cmp_le_u32_e32 vcc, s89, v4
	v_cndmask_b32_e32 v4, v4, v5, vcc
	v_subrev_u32_e32 v5, s89, v4
	v_cmp_le_u32_e32 vcc, s89, v4
	v_cndmask_b32_e32 v14, v4, v5, vcc
	v_pk_mov_b32 v[4:5], v[14:15], v[14:15] op_sel:[0,1]
.LBB210_339:                            ;   in Loop: Header=BB210_18 Depth=1
	v_mov_b32_e32 v6, s7
	v_sub_co_u32_e32 v4, vcc, s36, v4
	v_subb_co_u32_e32 v5, vcc, v6, v5, vcc
	v_cmp_gt_u64_e32 vcc, v[4:5], v[0:1]
	s_mov_b64 s[6:7], 0
                                        ; implicit-def: $vgpr39
	s_and_saveexec_b64 s[12:13], vcc
	s_cbranch_execz .LBB210_351
; %bb.340:                              ;   in Loop: Header=BB210_18 Depth=1
	s_mov_b64 s[36:37], 0
	v_mov_b32_e32 v8, v28
	v_pk_mov_b32 v[6:7], v[0:1], v[0:1] op_sel:[0,1]
                                        ; implicit-def: $sgpr40_sgpr41
	s_branch .LBB210_342
.LBB210_341:                            ;   in Loop: Header=BB210_342 Depth=2
	s_or_b64 exec, exec, s[6:7]
	s_waitcnt lgkmcnt(0)
	s_barrier
	ds_read_b32 v9, v15 offset:3072
	v_mov_b32_e32 v14, s74
	v_add_co_u32_e64 v6, s[6:7], s89, v6
	v_addc_co_u32_e64 v7, s[6:7], v7, v14, s[6:7]
	s_waitcnt lgkmcnt(0)
	v_cmp_neq_f16_e32 vcc, 0, v9
	v_cmp_ge_u64_e64 s[6:7], v[6:7], v[4:5]
	s_or_b64 s[6:7], s[6:7], vcc
	s_and_b64 s[6:7], exec, s[6:7]
	s_or_b64 s[36:37], s[6:7], s[36:37]
	s_andn2_b64 s[6:7], s[40:41], exec
	s_and_b64 s[40:41], vcc, exec
	v_add_u32_e32 v8, s5, v8
	s_or_b64 s[40:41], s[6:7], s[40:41]
	s_barrier
	s_andn2_b64 exec, exec, s[36:37]
	s_cbranch_execz .LBB210_350
.LBB210_342:                            ;   Parent Loop BB210_18 Depth=1
                                        ; =>  This Inner Loop Header: Depth=2
	v_cmp_gt_u64_e32 vcc, s[10:11], v[6:7]
	v_mov_b32_e32 v9, 0
	s_and_saveexec_b64 s[6:7], vcc
	s_cbranch_execz .LBB210_344
; %bb.343:                              ;   in Loop: Header=BB210_342 Depth=2
	ds_read_u16 v9, v8
.LBB210_344:                            ;   in Loop: Header=BB210_342 Depth=2
	s_or_b64 exec, exec, s[6:7]
	s_and_saveexec_b64 s[6:7], vcc
	s_cbranch_execz .LBB210_341
; %bb.345:                              ;   in Loop: Header=BB210_342 Depth=2
	s_waitcnt lgkmcnt(0)
	v_cmp_lt_i16_e32 vcc, -1, v9
	v_cndmask_b32_e32 v14, v32, v33, vcc
	v_xor_b32_sdwa v14, v14, v9 dst_sel:DWORD dst_unused:UNUSED_PAD src0_sel:DWORD src1_sel:WORD_0
	v_cmp_o_f16_e32 vcc, v9, v9
	v_cndmask_b32_e32 v14, v32, v14, vcc
	v_and_b32_e32 v14, v14, v37
	v_cmp_eq_u32_e32 vcc, v14, v38
	s_and_b64 exec, exec, vcc
	s_cbranch_execz .LBB210_341
; %bb.346:                              ;   in Loop: Header=BB210_342 Depth=2
	s_movk_i32 s42, 0x3c00
	v_perm_b32 v9, v9, s42, v36
	ds_write_b32 v15, v9 offset:3072
	s_branch .LBB210_341
.LBB210_347:                            ;   in Loop: Header=BB210_18 Depth=1
                                        ; implicit-def: $vgpr2_vgpr3
	s_branch .LBB210_294
.LBB210_348:                            ;   in Loop: Header=BB210_18 Depth=1
                                        ; implicit-def: $vgpr2_vgpr3
	s_branch .LBB210_308
.LBB210_349:                            ;   in Loop: Header=BB210_18 Depth=1
	s_mov_b64 s[36:37], -1
	s_mov_b64 s[6:7], 0
                                        ; implicit-def: $sgpr40_sgpr41
                                        ; implicit-def: $vgpr39
	s_mov_b64 s[42:43], s[36:37]
	s_cbranch_execnz .LBB210_352
	s_branch .LBB210_365
.LBB210_350:                            ;   in Loop: Header=BB210_18 Depth=1
	s_or_b64 exec, exec, s[36:37]
	v_lshrrev_b32_e32 v39, 16, v9
	s_and_b64 s[6:7], s[40:41], exec
.LBB210_351:                            ;   in Loop: Header=BB210_18 Depth=1
	s_or_b64 exec, exec, s[12:13]
	s_mov_b64 s[36:37], 0
	s_mov_b64 s[40:41], -1
	s_mov_b64 s[42:43], s[36:37]
	s_branch .LBB210_365
.LBB210_352:                            ;   in Loop: Header=BB210_18 Depth=1
	s_mov_b32 s72, s91
	s_cmp_lg_u64 s[72:73], 0
	s_cbranch_scc0 .LBB210_394
; %bb.353:                              ;   in Loop: Header=BB210_18 Depth=1
	v_cvt_f32_u32_e32 v4, s89
	s_sub_u32 s6, 0, s89
	s_subb_u32 s7, 0, 0
	v_mac_f32_e32 v4, 0, v34
	v_rcp_f32_e32 v4, v4
	v_mul_f32_e32 v4, 0x5f7ffffc, v4
	v_mul_f32_e32 v5, 0x2f800000, v4
	v_trunc_f32_e32 v5, v5
	v_mac_f32_e32 v4, 0xcf800000, v5
	v_cvt_u32_f32_e32 v5, v5
	v_cvt_u32_f32_e32 v4, v4
	v_readfirstlane_b32 s10, v5
	v_readfirstlane_b32 s11, v4
	s_mul_i32 s12, s6, s10
	s_mul_hi_u32 s36, s6, s11
	s_mul_i32 s13, s7, s11
	s_add_i32 s12, s36, s12
	s_mul_i32 s37, s6, s11
	s_add_i32 s12, s12, s13
	s_mul_hi_u32 s36, s11, s37
	s_mul_hi_u32 s13, s11, s12
	s_mul_i32 s11, s11, s12
	s_add_u32 s11, s36, s11
	s_addc_u32 s13, 0, s13
	s_mul_hi_u32 s40, s10, s37
	s_mul_i32 s37, s10, s37
	s_add_u32 s11, s11, s37
	s_mul_hi_u32 s36, s10, s12
	s_addc_u32 s11, s13, s40
	s_addc_u32 s13, s36, 0
	s_mul_i32 s12, s10, s12
	s_add_u32 s11, s11, s12
	s_addc_u32 s12, 0, s13
	v_add_co_u32_e32 v4, vcc, s11, v4
	s_cmp_lg_u64 vcc, 0
	s_addc_u32 s10, s10, s12
	v_readfirstlane_b32 s12, v4
	s_mul_i32 s11, s6, s10
	s_mul_hi_u32 s13, s6, s12
	s_add_i32 s11, s13, s11
	s_mul_i32 s7, s7, s12
	s_add_i32 s11, s11, s7
	s_mul_i32 s6, s6, s12
	s_mul_hi_u32 s13, s10, s6
	s_mul_i32 s36, s10, s6
	s_mul_i32 s40, s12, s11
	s_mul_hi_u32 s6, s12, s6
	s_mul_hi_u32 s37, s12, s11
	s_add_u32 s6, s6, s40
	s_addc_u32 s12, 0, s37
	s_add_u32 s6, s6, s36
	s_mul_hi_u32 s7, s10, s11
	s_addc_u32 s6, s12, s13
	s_addc_u32 s7, s7, 0
	s_mul_i32 s11, s10, s11
	s_add_u32 s6, s6, s11
	s_addc_u32 s7, 0, s7
	v_add_co_u32_e32 v4, vcc, s6, v4
	s_cmp_lg_u64 vcc, 0
	s_addc_u32 s6, s10, s7
	v_readlane_b32 s36, v49, 53
	v_readfirstlane_b32 s11, v4
	s_mul_i32 s10, s36, s6
	s_mul_hi_u32 s12, s36, s11
	s_mul_hi_u32 s7, s36, s6
	s_add_u32 s10, s12, s10
	s_addc_u32 s7, 0, s7
	s_mul_hi_u32 s13, s73, s11
	s_mul_i32 s11, s73, s11
	s_add_u32 s10, s10, s11
	s_mul_hi_u32 s12, s73, s6
	s_addc_u32 s7, s7, s13
	s_addc_u32 s10, s12, 0
	s_mul_i32 s6, s73, s6
	s_add_u32 s6, s7, s6
	s_addc_u32 s7, 0, s10
	s_mul_hi_u32 s10, s89, s6
	s_mul_i32 s6, s89, s6
	s_mul_i32 s7, s89, s7
	v_mov_b32_e32 v4, s6
	s_add_i32 s10, s10, s7
	v_sub_co_u32_e32 v4, vcc, s36, v4
	s_cmp_lg_u64 vcc, 0
	s_subb_u32 s6, s73, s10
	v_subrev_co_u32_e32 v5, vcc, s89, v4
	s_cmp_lg_u64 vcc, 0
	s_subb_u32 s7, s6, 0
	v_subrev_co_u32_e32 v6, vcc, s89, v5
	s_cmp_lg_u64 vcc, 0
	s_subb_u32 s10, s7, 0
	v_cmp_le_u32_e32 vcc, s89, v5
	s_cmp_eq_u32 s7, 0
	v_cndmask_b32_e64 v7, 0, -1, vcc
	s_cselect_b64 vcc, -1, 0
	v_cndmask_b32_e32 v7, -1, v7, vcc
	v_mov_b32_e32 v8, s7
	v_mov_b32_e32 v9, s10
	v_cmp_ne_u32_e32 vcc, 0, v7
	v_cndmask_b32_e32 v7, v8, v9, vcc
	v_cndmask_b32_e32 v6, v5, v6, vcc
	v_cmp_le_u32_e32 vcc, s89, v4
	s_cmp_eq_u32 s6, 0
	v_cndmask_b32_e64 v5, 0, -1, vcc
	s_cselect_b64 vcc, -1, 0
	v_cndmask_b32_e32 v5, -1, v5, vcc
	v_mov_b32_e32 v8, s6
	v_cmp_ne_u32_e32 vcc, 0, v5
	v_cndmask_b32_e32 v5, v8, v7, vcc
	v_cndmask_b32_e32 v4, v4, v6, vcc
	s_cbranch_execnz .LBB210_355
.LBB210_354:                            ;   in Loop: Header=BB210_18 Depth=1
	v_cvt_f32_u32_e32 v4, s89
	s_sub_i32 s6, 0, s89
	v_rcp_iflag_f32_e32 v4, v4
	v_mul_f32_e32 v4, 0x4f7ffffe, v4
	v_cvt_u32_f32_e32 v4, v4
	v_mul_lo_u32 v5, s6, v4
	v_mul_hi_u32 v5, v4, v5
	v_add_u32_e32 v4, v4, v5
	v_readlane_b32 s6, v49, 53
	v_mul_hi_u32 v4, s6, v4
	v_mul_lo_u32 v4, v4, s89
	v_sub_u32_e32 v4, s6, v4
	v_subrev_u32_e32 v5, s89, v4
	v_cmp_le_u32_e32 vcc, s89, v4
	v_cndmask_b32_e32 v4, v4, v5, vcc
	v_subrev_u32_e32 v5, s89, v4
	v_cmp_le_u32_e32 vcc, s89, v4
	v_cndmask_b32_e32 v14, v4, v5, vcc
	v_pk_mov_b32 v[4:5], v[14:15], v[14:15] op_sel:[0,1]
.LBB210_355:                            ;   in Loop: Header=BB210_18 Depth=1
	v_readlane_b32 s6, v49, 53
	v_mov_b32_e32 v6, s73
	v_sub_co_u32_e32 v4, vcc, s6, v4
	v_subb_co_u32_e32 v5, vcc, v6, v5, vcc
	v_cmp_gt_u64_e32 vcc, v[4:5], v[0:1]
	s_mov_b64 s[6:7], 0
                                        ; implicit-def: $vgpr39
	s_and_saveexec_b64 s[10:11], vcc
	s_cbranch_execz .LBB210_364
; %bb.356:                              ;   in Loop: Header=BB210_18 Depth=1
	s_mov_b64 s[12:13], 0
	v_pk_mov_b32 v[6:7], v[0:1], v[0:1] op_sel:[0,1]
                                        ; implicit-def: $sgpr36_sgpr37
	s_branch .LBB210_358
.LBB210_357:                            ;   in Loop: Header=BB210_358 Depth=2
	s_or_b64 exec, exec, s[6:7]
	s_waitcnt lgkmcnt(0)
	s_barrier
	s_waitcnt vmcnt(0)
	ds_read_b32 v8, v15 offset:3072
	v_mov_b32_e32 v9, s74
	v_add_co_u32_e64 v6, s[6:7], s89, v6
	v_addc_co_u32_e64 v7, s[6:7], v7, v9, s[6:7]
	s_waitcnt lgkmcnt(0)
	v_cmp_neq_f16_e32 vcc, 0, v8
	v_cmp_ge_u64_e64 s[6:7], v[6:7], v[4:5]
	s_or_b64 s[6:7], s[6:7], vcc
	s_and_b64 s[6:7], exec, s[6:7]
	s_or_b64 s[12:13], s[6:7], s[12:13]
	s_andn2_b64 s[6:7], s[36:37], exec
	s_and_b64 s[36:37], vcc, exec
	s_or_b64 s[36:37], s[6:7], s[36:37]
	s_barrier
	s_andn2_b64 exec, exec, s[12:13]
	s_cbranch_execz .LBB210_363
.LBB210_358:                            ;   Parent Loop BB210_18 Depth=1
                                        ; =>  This Inner Loop Header: Depth=2
	v_cmp_gt_u64_e32 vcc, s[60:61], v[6:7]
	v_mov_b32_e32 v8, 0
	s_and_saveexec_b64 s[40:41], vcc
	s_cbranch_execz .LBB210_360
; %bb.359:                              ;   in Loop: Header=BB210_358 Depth=2
	v_mul_lo_u32 v14, v7, s58
	v_mul_lo_u32 v18, v6, s59
	v_mad_u64_u32 v[8:9], s[6:7], v6, s58, 0
	v_add3_u32 v9, v9, v18, v14
	v_lshlrev_b64 v[8:9], 1, v[8:9]
	v_mov_b32_e32 v14, s88
	v_add_co_u32_e64 v8, s[6:7], s33, v8
	v_addc_co_u32_e64 v9, s[6:7], v14, v9, s[6:7]
	global_load_ushort v8, v[8:9], off
.LBB210_360:                            ;   in Loop: Header=BB210_358 Depth=2
	s_or_b64 exec, exec, s[40:41]
	s_and_saveexec_b64 s[6:7], vcc
	s_cbranch_execz .LBB210_357
; %bb.361:                              ;   in Loop: Header=BB210_358 Depth=2
	s_waitcnt vmcnt(0)
	v_cmp_lt_i16_e32 vcc, -1, v8
	v_cndmask_b32_e32 v9, v32, v33, vcc
	v_xor_b32_sdwa v9, v9, v8 dst_sel:DWORD dst_unused:UNUSED_PAD src0_sel:DWORD src1_sel:WORD_0
	v_cmp_o_f16_e32 vcc, v8, v8
	v_cndmask_b32_e32 v9, v32, v9, vcc
	v_and_b32_e32 v9, v9, v37
	v_cmp_eq_u32_e32 vcc, v9, v38
	s_and_b64 exec, exec, vcc
	s_cbranch_execz .LBB210_357
; %bb.362:                              ;   in Loop: Header=BB210_358 Depth=2
	s_movk_i32 s40, 0x3c00
	v_perm_b32 v8, v8, s40, v36
	ds_write_b32 v15, v8 offset:3072
	s_branch .LBB210_357
.LBB210_363:                            ;   in Loop: Header=BB210_18 Depth=1
	s_or_b64 exec, exec, s[12:13]
	v_lshrrev_b32_e32 v39, 16, v8
	s_and_b64 s[6:7], s[36:37], exec
.LBB210_364:                            ;   in Loop: Header=BB210_18 Depth=1
	s_or_b64 exec, exec, s[10:11]
	s_mov_b64 s[40:41], 0
	s_mov_b64 s[36:37], -1
	s_mov_b64 s[42:43], 0
.LBB210_365:                            ;   in Loop: Header=BB210_18 Depth=1
	s_orn2_b64 s[10:11], s[6:7], exec
.LBB210_366:                            ;   in Loop: Header=BB210_18 Depth=1
	s_or_b64 exec, exec, s[30:31]
	s_mov_b64 s[6:7], 0
                                        ; implicit-def: $vgpr7
	s_and_saveexec_b64 s[44:45], s[10:11]
	s_cbranch_execz .LBB210_479
; %bb.367:                              ;   in Loop: Header=BB210_18 Depth=1
	v_mov_b32_e32 v4, 1
	s_xor_b64 s[8:9], s[8:9], -1
	s_mov_b64 s[30:31], 0
	v_mov_b32_e32 v5, 0
	v_mov_b32_e32 v7, 1
	s_and_saveexec_b64 s[6:7], s[8:9]
	s_cbranch_execz .LBB210_377
; %bb.368:                              ;   in Loop: Header=BB210_18 Depth=1
	v_cmp_ge_u64_e32 vcc, s[22:23], v[2:3]
                                        ; implicit-def: $sgpr12
                                        ; implicit-def: $sgpr8_sgpr9
	s_and_saveexec_b64 s[10:11], vcc
	s_xor_b64 s[10:11], exec, s[10:11]
	s_cbranch_execz .LBB210_374
; %bb.369:                              ;   in Loop: Header=BB210_18 Depth=1
	ds_read_b64 v[4:5], v15 offset:5120
	s_waitcnt lgkmcnt(0)
	v_cmp_ne_u64_e32 vcc, 0, v[4:5]
	s_cbranch_vccnz .LBB210_373
; %bb.370:                              ;   in Loop: Header=BB210_18 Depth=1
	s_mov_b64 s[8:9], exec
	v_readlane_b32 s12, v49, 32
	v_readlane_b32 s13, v49, 33
	s_and_b64 s[12:13], s[8:9], s[12:13]
	s_mov_b64 exec, s[12:13]
	s_cbranch_execz .LBB210_372
; %bb.371:                              ;   in Loop: Header=BB210_18 Depth=1
	v_pk_mov_b32 v[4:5], s[22:23], s[22:23] op_sel:[0,1]
	ds_write_b64 v15, v[4:5] offset:5128
.LBB210_372:                            ;   in Loop: Header=BB210_18 Depth=1
	s_or_b64 exec, exec, s[8:9]
	s_waitcnt lgkmcnt(0)
	s_barrier
.LBB210_373:                            ;   in Loop: Header=BB210_18 Depth=1
	v_and_b32_e32 v4, s48, v38
	v_lshl_or_b32 v38, 2, s49, v4
	v_or_b32_e32 v37, s90, v37
	s_mov_b64 s[8:9], 0
	s_mov_b32 s12, 5
.LBB210_374:                            ;   in Loop: Header=BB210_18 Depth=1
	s_or_saveexec_b64 s[10:11], s[10:11]
	v_mov_b32_e32 v7, s12
	s_xor_b64 exec, exec, s[10:11]
; %bb.375:                              ;   in Loop: Header=BB210_18 Depth=1
	v_mov_b32_e32 v4, s23
	v_subrev_co_u32_e32 v2, vcc, s22, v2
	v_subb_co_u32_e32 v3, vcc, v3, v4, vcc
	v_mov_b32_e32 v7, 0
	s_or_b64 s[8:9], s[8:9], exec
; %bb.376:                              ;   in Loop: Header=BB210_18 Depth=1
	s_or_b64 exec, exec, s[10:11]
	s_and_b64 s[30:31], s[8:9], exec
	v_pk_mov_b32 v[4:5], v[2:3], v[2:3] op_sel:[0,1]
.LBB210_377:                            ;   in Loop: Header=BB210_18 Depth=1
	s_or_b64 exec, exec, s[6:7]
	s_mov_b64 s[6:7], -1
                                        ; implicit-def: $sgpr8_sgpr9
                                        ; implicit-def: $sgpr10_sgpr11
                                        ; implicit-def: $sgpr12_sgpr13
	s_and_saveexec_b64 s[22:23], s[30:31]
	s_cbranch_execz .LBB210_478
; %bb.378:                              ;   in Loop: Header=BB210_18 Depth=1
	s_cmp_eq_u64 s[18:19], 1
	s_cselect_b64 s[6:7], -1, 0
	v_cmp_eq_u64_e32 vcc, 1, v[4:5]
	s_and_b64 s[8:9], s[6:7], vcc
	s_mov_b64 s[10:11], -1
                                        ; implicit-def: $sgpr30_sgpr31
                                        ; implicit-def: $sgpr46_sgpr47
                                        ; implicit-def: $sgpr92_sgpr93
	s_and_saveexec_b64 s[50:51], s[8:9]
	s_cbranch_execz .LBB210_412
; %bb.379:                              ;   in Loop: Header=BB210_18 Depth=1
	ds_read_b64 v[2:3], v15 offset:5120
	s_waitcnt lgkmcnt(0)
	s_barrier
	v_readfirstlane_b32 s10, v2
	v_readfirstlane_b32 s11, v3
	s_mov_b64 s[6:7], exec
	v_readlane_b32 s12, v49, 48
	v_readlane_b32 s13, v49, 49
	s_and_b64 s[12:13], s[6:7], s[12:13]
	s_mov_b64 exec, s[12:13]
	s_cbranch_execz .LBB210_381
; %bb.380:                              ;   in Loop: Header=BB210_18 Depth=1
	ds_write_b16 v29, v15
.LBB210_381:                            ;   in Loop: Header=BB210_18 Depth=1
	s_or_b64 exec, exec, s[6:7]
	v_and_b32_e32 v2, s48, v38
	v_lshl_or_b32 v38, 1, s49, v2
	v_or_b32_e32 v37, s90, v37
	s_cmp_eq_u64 s[10:11], 0
	s_waitcnt lgkmcnt(0)
	s_barrier
	s_cbranch_scc1 .LBB210_395
; %bb.382:                              ;   in Loop: Header=BB210_18 Depth=1
	v_readlane_b32 s6, v49, 52
	s_add_u32 s30, s6, s10
	v_readlane_b32 s6, v49, 54
	s_addc_u32 s7, s6, s11
	s_mov_b32 s6, s91
	s_cmp_lg_u64 s[6:7], 0
	s_cbranch_scc0 .LBB210_430
; %bb.383:                              ;   in Loop: Header=BB210_18 Depth=1
	v_cvt_f32_u32_e32 v2, s89
	s_sub_u32 s6, 0, s89
	s_subb_u32 s12, 0, 0
	v_mac_f32_e32 v2, 0, v34
	v_rcp_f32_e32 v2, v2
	v_mul_f32_e32 v2, 0x5f7ffffc, v2
	v_mul_f32_e32 v3, 0x2f800000, v2
	v_trunc_f32_e32 v3, v3
	v_mac_f32_e32 v2, 0xcf800000, v3
	v_cvt_u32_f32_e32 v3, v3
	v_cvt_u32_f32_e32 v2, v2
	v_readfirstlane_b32 s13, v3
	v_readfirstlane_b32 s31, v2
	s_mul_i32 s46, s6, s13
	s_mul_hi_u32 s52, s6, s31
	s_mul_i32 s47, s12, s31
	s_add_i32 s46, s52, s46
	s_mul_i32 s53, s6, s31
	s_add_i32 s46, s46, s47
	s_mul_hi_u32 s52, s31, s53
	s_mul_hi_u32 s47, s31, s46
	s_mul_i32 s31, s31, s46
	s_add_u32 s31, s52, s31
	s_addc_u32 s47, 0, s47
	s_mul_hi_u32 s54, s13, s53
	s_mul_i32 s53, s13, s53
	s_add_u32 s31, s31, s53
	s_mul_hi_u32 s52, s13, s46
	s_addc_u32 s31, s47, s54
	s_addc_u32 s47, s52, 0
	s_mul_i32 s46, s13, s46
	s_add_u32 s31, s31, s46
	s_addc_u32 s46, 0, s47
	v_add_co_u32_e32 v2, vcc, s31, v2
	s_cmp_lg_u64 vcc, 0
	s_addc_u32 s13, s13, s46
	v_readfirstlane_b32 s46, v2
	s_mul_i32 s31, s6, s13
	s_mul_hi_u32 s47, s6, s46
	s_add_i32 s31, s47, s31
	s_mul_i32 s12, s12, s46
	s_add_i32 s31, s31, s12
	s_mul_i32 s6, s6, s46
	s_mul_hi_u32 s47, s13, s6
	s_mul_i32 s52, s13, s6
	s_mul_i32 s54, s46, s31
	s_mul_hi_u32 s6, s46, s6
	s_mul_hi_u32 s53, s46, s31
	s_add_u32 s6, s6, s54
	s_addc_u32 s46, 0, s53
	s_add_u32 s6, s6, s52
	s_mul_hi_u32 s12, s13, s31
	s_addc_u32 s6, s46, s47
	s_addc_u32 s12, s12, 0
	s_mul_i32 s31, s13, s31
	s_add_u32 s6, s6, s31
	s_addc_u32 s12, 0, s12
	v_add_co_u32_e32 v2, vcc, s6, v2
	s_cmp_lg_u64 vcc, 0
	s_addc_u32 s6, s13, s12
	v_readfirstlane_b32 s31, v2
	s_mul_i32 s13, s30, s6
	s_mul_hi_u32 s46, s30, s31
	s_mul_hi_u32 s12, s30, s6
	s_add_u32 s13, s46, s13
	s_addc_u32 s12, 0, s12
	s_mul_hi_u32 s47, s7, s31
	s_mul_i32 s31, s7, s31
	s_add_u32 s13, s13, s31
	s_mul_hi_u32 s46, s7, s6
	s_addc_u32 s12, s12, s47
	s_addc_u32 s13, s46, 0
	s_mul_i32 s6, s7, s6
	s_add_u32 s6, s12, s6
	s_addc_u32 s12, 0, s13
	s_mul_hi_u32 s13, s89, s6
	s_mul_i32 s6, s89, s6
	s_mul_i32 s12, s89, s12
	v_mov_b32_e32 v2, s6
	s_add_i32 s13, s13, s12
	v_sub_co_u32_e32 v2, vcc, s30, v2
	s_cmp_lg_u64 vcc, 0
	s_subb_u32 s6, s7, s13
	v_subrev_co_u32_e32 v3, vcc, s89, v2
	s_cmp_lg_u64 vcc, 0
	s_subb_u32 s12, s6, 0
	v_subrev_co_u32_e32 v6, vcc, s89, v3
	s_cmp_lg_u64 vcc, 0
	s_subb_u32 s13, s12, 0
	v_cmp_le_u32_e32 vcc, s89, v3
	s_cmp_eq_u32 s12, 0
	v_cndmask_b32_e64 v7, 0, -1, vcc
	s_cselect_b64 vcc, -1, 0
	v_cndmask_b32_e32 v7, -1, v7, vcc
	v_mov_b32_e32 v8, s12
	v_mov_b32_e32 v9, s13
	v_cmp_ne_u32_e32 vcc, 0, v7
	v_cndmask_b32_e32 v7, v8, v9, vcc
	v_cndmask_b32_e32 v6, v3, v6, vcc
	v_cmp_le_u32_e32 vcc, s89, v2
	s_cmp_eq_u32 s6, 0
	v_cndmask_b32_e64 v3, 0, -1, vcc
	s_cselect_b64 vcc, -1, 0
	v_cndmask_b32_e32 v3, -1, v3, vcc
	v_mov_b32_e32 v8, s6
	v_cmp_ne_u32_e32 vcc, 0, v3
	v_cndmask_b32_e32 v3, v8, v7, vcc
	v_cndmask_b32_e32 v2, v2, v6, vcc
	s_cbranch_execnz .LBB210_385
.LBB210_384:                            ;   in Loop: Header=BB210_18 Depth=1
	v_cvt_f32_u32_e32 v2, s89
	s_sub_i32 s6, 0, s89
	v_rcp_iflag_f32_e32 v2, v2
	v_mul_f32_e32 v2, 0x4f7ffffe, v2
	v_cvt_u32_f32_e32 v2, v2
	v_mul_lo_u32 v3, s6, v2
	v_mul_hi_u32 v3, v2, v3
	v_add_u32_e32 v2, v2, v3
	v_mul_hi_u32 v2, s30, v2
	v_mul_lo_u32 v2, v2, s89
	v_sub_u32_e32 v2, s30, v2
	v_subrev_u32_e32 v3, s89, v2
	v_cmp_le_u32_e32 vcc, s89, v2
	v_cndmask_b32_e32 v2, v2, v3, vcc
	v_subrev_u32_e32 v3, s89, v2
	v_cmp_le_u32_e32 vcc, s89, v2
	v_cndmask_b32_e32 v14, v2, v3, vcc
	v_pk_mov_b32 v[2:3], v[14:15], v[14:15] op_sel:[0,1]
.LBB210_385:                            ;   in Loop: Header=BB210_18 Depth=1
	v_mov_b32_e32 v6, s7
	v_sub_co_u32_e32 v2, vcc, s30, v2
	v_subb_co_u32_e32 v3, vcc, v6, v3, vcc
	v_cmp_gt_u64_e32 vcc, v[2:3], v[0:1]
	s_mov_b64 s[6:7], 0
                                        ; implicit-def: $vgpr39
	s_and_saveexec_b64 s[12:13], vcc
	s_cbranch_execz .LBB210_397
; %bb.386:                              ;   in Loop: Header=BB210_18 Depth=1
	s_mov_b64 s[30:31], 0
	v_mov_b32_e32 v8, v28
	v_pk_mov_b32 v[6:7], v[0:1], v[0:1] op_sel:[0,1]
                                        ; implicit-def: $sgpr46_sgpr47
	s_branch .LBB210_388
.LBB210_387:                            ;   in Loop: Header=BB210_388 Depth=2
	s_or_b64 exec, exec, s[6:7]
	s_waitcnt lgkmcnt(0)
	s_barrier
	ds_read_b32 v9, v15 offset:3072
	v_mov_b32_e32 v14, s74
	v_add_co_u32_e64 v6, s[6:7], s89, v6
	v_addc_co_u32_e64 v7, s[6:7], v7, v14, s[6:7]
	s_waitcnt lgkmcnt(0)
	v_cmp_neq_f16_e32 vcc, 0, v9
	v_cmp_ge_u64_e64 s[6:7], v[6:7], v[2:3]
	s_or_b64 s[6:7], s[6:7], vcc
	s_and_b64 s[6:7], exec, s[6:7]
	s_or_b64 s[30:31], s[6:7], s[30:31]
	s_andn2_b64 s[6:7], s[46:47], exec
	s_and_b64 s[46:47], vcc, exec
	v_add_u32_e32 v8, s5, v8
	s_or_b64 s[46:47], s[6:7], s[46:47]
	s_barrier
	s_andn2_b64 exec, exec, s[30:31]
	s_cbranch_execz .LBB210_396
.LBB210_388:                            ;   Parent Loop BB210_18 Depth=1
                                        ; =>  This Inner Loop Header: Depth=2
	v_cmp_gt_u64_e32 vcc, s[10:11], v[6:7]
	v_mov_b32_e32 v9, 0
	s_and_saveexec_b64 s[6:7], vcc
	s_cbranch_execz .LBB210_390
; %bb.389:                              ;   in Loop: Header=BB210_388 Depth=2
	ds_read_u16 v9, v8
.LBB210_390:                            ;   in Loop: Header=BB210_388 Depth=2
	s_or_b64 exec, exec, s[6:7]
	s_and_saveexec_b64 s[6:7], vcc
	s_cbranch_execz .LBB210_387
; %bb.391:                              ;   in Loop: Header=BB210_388 Depth=2
	s_waitcnt lgkmcnt(0)
	v_cmp_lt_i16_e32 vcc, -1, v9
	v_cndmask_b32_e32 v14, v32, v33, vcc
	v_xor_b32_sdwa v14, v14, v9 dst_sel:DWORD dst_unused:UNUSED_PAD src0_sel:DWORD src1_sel:WORD_0
	v_cmp_o_f16_e32 vcc, v9, v9
	v_cndmask_b32_e32 v14, v32, v14, vcc
	v_and_b32_e32 v14, v14, v37
	v_cmp_eq_u32_e32 vcc, v14, v38
	s_and_b64 exec, exec, vcc
	s_cbranch_execz .LBB210_387
; %bb.392:                              ;   in Loop: Header=BB210_388 Depth=2
	s_movk_i32 s52, 0x3c00
	v_perm_b32 v9, v9, s52, v36
	ds_write_b32 v15, v9 offset:3072
	s_branch .LBB210_387
.LBB210_393:                            ;   in Loop: Header=BB210_18 Depth=1
                                        ; implicit-def: $vgpr4_vgpr5
	s_branch .LBB210_338
.LBB210_394:                            ;   in Loop: Header=BB210_18 Depth=1
                                        ; implicit-def: $vgpr4_vgpr5
	s_branch .LBB210_354
.LBB210_395:                            ;   in Loop: Header=BB210_18 Depth=1
	s_mov_b64 s[30:31], -1
	s_mov_b64 s[6:7], 0
                                        ; implicit-def: $sgpr46_sgpr47
                                        ; implicit-def: $vgpr39
	s_mov_b64 s[92:93], s[30:31]
	s_cbranch_execnz .LBB210_398
	s_branch .LBB210_411
.LBB210_396:                            ;   in Loop: Header=BB210_18 Depth=1
	s_or_b64 exec, exec, s[30:31]
	v_lshrrev_b32_e32 v39, 16, v9
	s_and_b64 s[6:7], s[46:47], exec
.LBB210_397:                            ;   in Loop: Header=BB210_18 Depth=1
	s_or_b64 exec, exec, s[12:13]
	s_mov_b64 s[30:31], 0
	s_mov_b64 s[46:47], -1
	s_mov_b64 s[92:93], s[30:31]
	s_branch .LBB210_411
.LBB210_398:                            ;   in Loop: Header=BB210_18 Depth=1
	s_mov_b32 s72, s91
	s_cmp_lg_u64 s[72:73], 0
	s_cbranch_scc0 .LBB210_431
; %bb.399:                              ;   in Loop: Header=BB210_18 Depth=1
	v_cvt_f32_u32_e32 v2, s89
	s_sub_u32 s6, 0, s89
	s_subb_u32 s7, 0, 0
	v_mac_f32_e32 v2, 0, v34
	v_rcp_f32_e32 v2, v2
	v_mul_f32_e32 v2, 0x5f7ffffc, v2
	v_mul_f32_e32 v3, 0x2f800000, v2
	v_trunc_f32_e32 v3, v3
	v_mac_f32_e32 v2, 0xcf800000, v3
	v_cvt_u32_f32_e32 v3, v3
	v_cvt_u32_f32_e32 v2, v2
	v_readfirstlane_b32 s10, v3
	v_readfirstlane_b32 s11, v2
	s_mul_i32 s12, s6, s10
	s_mul_hi_u32 s30, s6, s11
	s_mul_i32 s13, s7, s11
	s_add_i32 s12, s30, s12
	s_mul_i32 s31, s6, s11
	s_add_i32 s12, s12, s13
	s_mul_hi_u32 s30, s11, s31
	s_mul_hi_u32 s13, s11, s12
	s_mul_i32 s11, s11, s12
	s_add_u32 s11, s30, s11
	s_addc_u32 s13, 0, s13
	s_mul_hi_u32 s46, s10, s31
	s_mul_i32 s31, s10, s31
	s_add_u32 s11, s11, s31
	s_mul_hi_u32 s30, s10, s12
	s_addc_u32 s11, s13, s46
	s_addc_u32 s13, s30, 0
	s_mul_i32 s12, s10, s12
	s_add_u32 s11, s11, s12
	s_addc_u32 s12, 0, s13
	v_add_co_u32_e32 v2, vcc, s11, v2
	s_cmp_lg_u64 vcc, 0
	s_addc_u32 s10, s10, s12
	v_readfirstlane_b32 s12, v2
	s_mul_i32 s11, s6, s10
	s_mul_hi_u32 s13, s6, s12
	s_add_i32 s11, s13, s11
	s_mul_i32 s7, s7, s12
	s_add_i32 s11, s11, s7
	s_mul_i32 s6, s6, s12
	s_mul_hi_u32 s13, s10, s6
	s_mul_i32 s30, s10, s6
	s_mul_i32 s46, s12, s11
	s_mul_hi_u32 s6, s12, s6
	s_mul_hi_u32 s31, s12, s11
	s_add_u32 s6, s6, s46
	s_addc_u32 s12, 0, s31
	s_add_u32 s6, s6, s30
	s_mul_hi_u32 s7, s10, s11
	s_addc_u32 s6, s12, s13
	s_addc_u32 s7, s7, 0
	s_mul_i32 s11, s10, s11
	s_add_u32 s6, s6, s11
	s_addc_u32 s7, 0, s7
	v_add_co_u32_e32 v2, vcc, s6, v2
	s_cmp_lg_u64 vcc, 0
	s_addc_u32 s6, s10, s7
	v_readlane_b32 s30, v49, 53
	v_readfirstlane_b32 s11, v2
	s_mul_i32 s10, s30, s6
	s_mul_hi_u32 s12, s30, s11
	s_mul_hi_u32 s7, s30, s6
	s_add_u32 s10, s12, s10
	s_addc_u32 s7, 0, s7
	s_mul_hi_u32 s13, s73, s11
	s_mul_i32 s11, s73, s11
	s_add_u32 s10, s10, s11
	s_mul_hi_u32 s12, s73, s6
	s_addc_u32 s7, s7, s13
	s_addc_u32 s10, s12, 0
	s_mul_i32 s6, s73, s6
	s_add_u32 s6, s7, s6
	s_addc_u32 s7, 0, s10
	s_mul_hi_u32 s10, s89, s6
	s_mul_i32 s6, s89, s6
	s_mul_i32 s7, s89, s7
	v_mov_b32_e32 v2, s6
	s_add_i32 s10, s10, s7
	v_sub_co_u32_e32 v2, vcc, s30, v2
	s_cmp_lg_u64 vcc, 0
	s_subb_u32 s6, s73, s10
	v_subrev_co_u32_e32 v3, vcc, s89, v2
	s_cmp_lg_u64 vcc, 0
	s_subb_u32 s7, s6, 0
	v_subrev_co_u32_e32 v6, vcc, s89, v3
	s_cmp_lg_u64 vcc, 0
	s_subb_u32 s10, s7, 0
	v_cmp_le_u32_e32 vcc, s89, v3
	s_cmp_eq_u32 s7, 0
	v_cndmask_b32_e64 v7, 0, -1, vcc
	s_cselect_b64 vcc, -1, 0
	v_cndmask_b32_e32 v7, -1, v7, vcc
	v_mov_b32_e32 v8, s7
	v_mov_b32_e32 v9, s10
	v_cmp_ne_u32_e32 vcc, 0, v7
	v_cndmask_b32_e32 v7, v8, v9, vcc
	v_cndmask_b32_e32 v6, v3, v6, vcc
	v_cmp_le_u32_e32 vcc, s89, v2
	s_cmp_eq_u32 s6, 0
	v_cndmask_b32_e64 v3, 0, -1, vcc
	s_cselect_b64 vcc, -1, 0
	v_cndmask_b32_e32 v3, -1, v3, vcc
	v_mov_b32_e32 v8, s6
	v_cmp_ne_u32_e32 vcc, 0, v3
	v_cndmask_b32_e32 v3, v8, v7, vcc
	v_cndmask_b32_e32 v2, v2, v6, vcc
	s_cbranch_execnz .LBB210_401
.LBB210_400:                            ;   in Loop: Header=BB210_18 Depth=1
	v_cvt_f32_u32_e32 v2, s89
	s_sub_i32 s6, 0, s89
	v_rcp_iflag_f32_e32 v2, v2
	v_mul_f32_e32 v2, 0x4f7ffffe, v2
	v_cvt_u32_f32_e32 v2, v2
	v_mul_lo_u32 v3, s6, v2
	v_mul_hi_u32 v3, v2, v3
	v_add_u32_e32 v2, v2, v3
	v_readlane_b32 s6, v49, 53
	v_mul_hi_u32 v2, s6, v2
	v_mul_lo_u32 v2, v2, s89
	v_sub_u32_e32 v2, s6, v2
	v_subrev_u32_e32 v3, s89, v2
	v_cmp_le_u32_e32 vcc, s89, v2
	v_cndmask_b32_e32 v2, v2, v3, vcc
	v_subrev_u32_e32 v3, s89, v2
	v_cmp_le_u32_e32 vcc, s89, v2
	v_cndmask_b32_e32 v14, v2, v3, vcc
	v_pk_mov_b32 v[2:3], v[14:15], v[14:15] op_sel:[0,1]
.LBB210_401:                            ;   in Loop: Header=BB210_18 Depth=1
	v_readlane_b32 s6, v49, 53
	v_mov_b32_e32 v6, s73
	v_sub_co_u32_e32 v2, vcc, s6, v2
	v_subb_co_u32_e32 v3, vcc, v6, v3, vcc
	v_cmp_gt_u64_e32 vcc, v[2:3], v[0:1]
	s_mov_b64 s[6:7], 0
                                        ; implicit-def: $vgpr39
	s_and_saveexec_b64 s[10:11], vcc
	s_cbranch_execz .LBB210_410
; %bb.402:                              ;   in Loop: Header=BB210_18 Depth=1
	s_mov_b64 s[12:13], 0
	v_pk_mov_b32 v[6:7], v[0:1], v[0:1] op_sel:[0,1]
                                        ; implicit-def: $sgpr30_sgpr31
	s_branch .LBB210_404
.LBB210_403:                            ;   in Loop: Header=BB210_404 Depth=2
	s_or_b64 exec, exec, s[6:7]
	s_waitcnt lgkmcnt(0)
	s_barrier
	s_waitcnt vmcnt(0)
	ds_read_b32 v8, v15 offset:3072
	v_mov_b32_e32 v9, s74
	v_add_co_u32_e64 v6, s[6:7], s89, v6
	v_addc_co_u32_e64 v7, s[6:7], v7, v9, s[6:7]
	s_waitcnt lgkmcnt(0)
	v_cmp_neq_f16_e32 vcc, 0, v8
	v_cmp_ge_u64_e64 s[6:7], v[6:7], v[2:3]
	s_or_b64 s[6:7], s[6:7], vcc
	s_and_b64 s[6:7], exec, s[6:7]
	s_or_b64 s[12:13], s[6:7], s[12:13]
	s_andn2_b64 s[6:7], s[30:31], exec
	s_and_b64 s[30:31], vcc, exec
	s_or_b64 s[30:31], s[6:7], s[30:31]
	s_barrier
	s_andn2_b64 exec, exec, s[12:13]
	s_cbranch_execz .LBB210_409
.LBB210_404:                            ;   Parent Loop BB210_18 Depth=1
                                        ; =>  This Inner Loop Header: Depth=2
	v_cmp_gt_u64_e32 vcc, s[60:61], v[6:7]
	v_mov_b32_e32 v8, 0
	s_and_saveexec_b64 s[46:47], vcc
	s_cbranch_execz .LBB210_406
; %bb.405:                              ;   in Loop: Header=BB210_404 Depth=2
	v_mul_lo_u32 v14, v7, s58
	v_mul_lo_u32 v18, v6, s59
	v_mad_u64_u32 v[8:9], s[6:7], v6, s58, 0
	v_add3_u32 v9, v9, v18, v14
	v_lshlrev_b64 v[8:9], 1, v[8:9]
	v_mov_b32_e32 v14, s88
	v_add_co_u32_e64 v8, s[6:7], s33, v8
	v_addc_co_u32_e64 v9, s[6:7], v14, v9, s[6:7]
	global_load_ushort v8, v[8:9], off
.LBB210_406:                            ;   in Loop: Header=BB210_404 Depth=2
	s_or_b64 exec, exec, s[46:47]
	s_and_saveexec_b64 s[6:7], vcc
	s_cbranch_execz .LBB210_403
; %bb.407:                              ;   in Loop: Header=BB210_404 Depth=2
	s_waitcnt vmcnt(0)
	v_cmp_lt_i16_e32 vcc, -1, v8
	v_cndmask_b32_e32 v9, v32, v33, vcc
	v_xor_b32_sdwa v9, v9, v8 dst_sel:DWORD dst_unused:UNUSED_PAD src0_sel:DWORD src1_sel:WORD_0
	v_cmp_o_f16_e32 vcc, v8, v8
	v_cndmask_b32_e32 v9, v32, v9, vcc
	v_and_b32_e32 v9, v9, v37
	v_cmp_eq_u32_e32 vcc, v9, v38
	s_and_b64 exec, exec, vcc
	s_cbranch_execz .LBB210_403
; %bb.408:                              ;   in Loop: Header=BB210_404 Depth=2
	s_movk_i32 s46, 0x3c00
	v_perm_b32 v8, v8, s46, v36
	ds_write_b32 v15, v8 offset:3072
	s_branch .LBB210_403
.LBB210_409:                            ;   in Loop: Header=BB210_18 Depth=1
	s_or_b64 exec, exec, s[12:13]
	v_lshrrev_b32_e32 v39, 16, v8
	s_and_b64 s[6:7], s[30:31], exec
.LBB210_410:                            ;   in Loop: Header=BB210_18 Depth=1
	s_or_b64 exec, exec, s[10:11]
	s_mov_b64 s[46:47], 0
	s_mov_b64 s[30:31], -1
	s_mov_b64 s[92:93], 0
.LBB210_411:                            ;   in Loop: Header=BB210_18 Depth=1
	s_orn2_b64 s[10:11], s[6:7], exec
.LBB210_412:                            ;   in Loop: Header=BB210_18 Depth=1
	s_or_b64 exec, exec, s[50:51]
	s_mov_b64 s[6:7], 0
                                        ; implicit-def: $vgpr7
	s_and_saveexec_b64 s[50:51], s[10:11]
	s_cbranch_execz .LBB210_477
; %bb.413:                              ;   in Loop: Header=BB210_18 Depth=1
	v_mov_b32_e32 v2, 1
	s_xor_b64 s[8:9], s[8:9], -1
	s_mov_b64 s[52:53], 0
	v_mov_b32_e32 v3, 0
	v_mov_b32_e32 v7, 1
	s_and_saveexec_b64 s[6:7], s[8:9]
	s_cbranch_execz .LBB210_423
; %bb.414:                              ;   in Loop: Header=BB210_18 Depth=1
	v_cmp_ge_u64_e32 vcc, s[18:19], v[4:5]
                                        ; implicit-def: $sgpr12
                                        ; implicit-def: $sgpr8_sgpr9
	s_and_saveexec_b64 s[10:11], vcc
	s_xor_b64 s[10:11], exec, s[10:11]
	s_cbranch_execz .LBB210_420
; %bb.415:                              ;   in Loop: Header=BB210_18 Depth=1
	ds_read_b64 v[2:3], v15 offset:5120
	s_waitcnt lgkmcnt(0)
	v_cmp_ne_u64_e32 vcc, 0, v[2:3]
	s_cbranch_vccnz .LBB210_419
; %bb.416:                              ;   in Loop: Header=BB210_18 Depth=1
	s_mov_b64 s[8:9], exec
	v_readlane_b32 s12, v49, 32
	v_readlane_b32 s13, v49, 33
	s_and_b64 s[12:13], s[8:9], s[12:13]
	s_mov_b64 exec, s[12:13]
	s_cbranch_execz .LBB210_418
; %bb.417:                              ;   in Loop: Header=BB210_18 Depth=1
	v_pk_mov_b32 v[2:3], s[18:19], s[18:19] op_sel:[0,1]
	ds_write_b64 v15, v[2:3] offset:5128
.LBB210_418:                            ;   in Loop: Header=BB210_18 Depth=1
	s_or_b64 exec, exec, s[8:9]
	s_waitcnt lgkmcnt(0)
	s_barrier
.LBB210_419:                            ;   in Loop: Header=BB210_18 Depth=1
	v_and_b32_e32 v2, s48, v38
	v_lshl_or_b32 v38, 1, s49, v2
	v_or_b32_e32 v37, s90, v37
	s_mov_b64 s[8:9], 0
	s_mov_b32 s12, 5
.LBB210_420:                            ;   in Loop: Header=BB210_18 Depth=1
	s_or_saveexec_b64 s[10:11], s[10:11]
	v_mov_b32_e32 v7, s12
	s_xor_b64 exec, exec, s[10:11]
; %bb.421:                              ;   in Loop: Header=BB210_18 Depth=1
	v_mov_b32_e32 v2, s19
	v_subrev_co_u32_e32 v4, vcc, s18, v4
	v_subb_co_u32_e32 v5, vcc, v5, v2, vcc
	v_mov_b32_e32 v7, 0
	s_or_b64 s[8:9], s[8:9], exec
; %bb.422:                              ;   in Loop: Header=BB210_18 Depth=1
	s_or_b64 exec, exec, s[10:11]
	s_and_b64 s[52:53], s[8:9], exec
	v_pk_mov_b32 v[2:3], v[4:5], v[4:5] op_sel:[0,1]
.LBB210_423:                            ;   in Loop: Header=BB210_18 Depth=1
	s_or_b64 exec, exec, s[6:7]
	s_mov_b64 s[8:9], -1
                                        ; implicit-def: $sgpr6_sgpr7
                                        ; implicit-def: $sgpr10_sgpr11
                                        ; implicit-def: $sgpr12_sgpr13
	s_and_saveexec_b64 s[18:19], s[52:53]
	s_cbranch_execz .LBB210_476
; %bb.424:                              ;   in Loop: Header=BB210_18 Depth=1
	s_cmp_eq_u64 s[16:17], 1
	s_cselect_b64 s[6:7], -1, 0
	v_cmp_eq_u64_e32 vcc, 1, v[2:3]
	s_and_b64 s[8:9], s[6:7], vcc
	s_mov_b64 s[54:55], -1
                                        ; implicit-def: $sgpr6_sgpr7
                                        ; implicit-def: $sgpr10_sgpr11
                                        ; implicit-def: $sgpr12_sgpr13
	s_and_saveexec_b64 s[52:53], s[8:9]
	s_cbranch_execz .LBB210_463
; %bb.425:                              ;   in Loop: Header=BB210_18 Depth=1
	ds_read_b64 v[4:5], v15 offset:5120
	s_waitcnt lgkmcnt(0)
	s_barrier
	v_readfirstlane_b32 s10, v4
	v_readfirstlane_b32 s11, v5
	s_mov_b64 s[6:7], exec
	v_readlane_b32 s12, v49, 48
	v_readlane_b32 s13, v49, 49
	s_and_b64 s[12:13], s[6:7], s[12:13]
	s_mov_b64 exec, s[12:13]
	s_cbranch_execz .LBB210_427
; %bb.426:                              ;   in Loop: Header=BB210_18 Depth=1
	ds_write_b16 v29, v15
.LBB210_427:                            ;   in Loop: Header=BB210_18 Depth=1
	s_or_b64 exec, exec, s[6:7]
	v_and_b32_e32 v38, s48, v38
	v_or_b32_e32 v37, s90, v37
	s_cmp_eq_u64 s[10:11], 0
	s_waitcnt lgkmcnt(0)
	s_barrier
	s_cbranch_scc1 .LBB210_432
; %bb.428:                              ;   in Loop: Header=BB210_18 Depth=1
	v_readlane_b32 s6, v49, 52
	s_add_u32 s49, s6, s10
	v_readlane_b32 s6, v49, 54
	s_addc_u32 s7, s6, s11
	s_mov_b32 s6, s91
	s_cmp_lg_u64 s[6:7], 0
	s_cbranch_scc0 .LBB210_433
; %bb.429:                              ;   in Loop: Header=BB210_18 Depth=1
	v_cvt_f32_u32_e32 v4, s89
	s_sub_u32 s6, 0, s89
	s_subb_u32 s12, 0, 0
	v_mac_f32_e32 v4, 0, v34
	v_rcp_f32_e32 v4, v4
	v_mul_f32_e32 v4, 0x5f7ffffc, v4
	v_mul_f32_e32 v5, 0x2f800000, v4
	v_trunc_f32_e32 v5, v5
	v_mac_f32_e32 v4, 0xcf800000, v5
	v_cvt_u32_f32_e32 v5, v5
	v_cvt_u32_f32_e32 v4, v4
	v_readfirstlane_b32 s13, v5
	v_readfirstlane_b32 s54, v4
	s_mul_i32 s55, s6, s13
	s_mul_hi_u32 s57, s6, s54
	s_mul_i32 s56, s12, s54
	s_add_i32 s55, s57, s55
	s_mul_i32 s72, s6, s54
	s_add_i32 s55, s55, s56
	s_mul_hi_u32 s57, s54, s72
	s_mul_hi_u32 s56, s54, s55
	s_mul_i32 s54, s54, s55
	s_add_u32 s54, s57, s54
	s_addc_u32 s56, 0, s56
	s_mul_hi_u32 s94, s13, s72
	s_mul_i32 s72, s13, s72
	s_add_u32 s54, s54, s72
	s_mul_hi_u32 s57, s13, s55
	s_addc_u32 s54, s56, s94
	s_addc_u32 s56, s57, 0
	s_mul_i32 s55, s13, s55
	s_add_u32 s54, s54, s55
	s_addc_u32 s55, 0, s56
	v_add_co_u32_e32 v4, vcc, s54, v4
	s_cmp_lg_u64 vcc, 0
	s_addc_u32 s13, s13, s55
	v_readfirstlane_b32 s55, v4
	s_mul_i32 s54, s6, s13
	s_mul_hi_u32 s56, s6, s55
	s_add_i32 s54, s56, s54
	s_mul_i32 s12, s12, s55
	s_add_i32 s54, s54, s12
	s_mul_i32 s6, s6, s55
	s_mul_hi_u32 s56, s13, s6
	s_mul_i32 s57, s13, s6
	s_mul_i32 s94, s55, s54
	s_mul_hi_u32 s6, s55, s6
	s_mul_hi_u32 s72, s55, s54
	s_add_u32 s6, s6, s94
	s_addc_u32 s55, 0, s72
	s_add_u32 s6, s6, s57
	s_mul_hi_u32 s12, s13, s54
	s_addc_u32 s6, s55, s56
	s_addc_u32 s12, s12, 0
	s_mul_i32 s54, s13, s54
	s_add_u32 s6, s6, s54
	s_addc_u32 s12, 0, s12
	v_add_co_u32_e32 v4, vcc, s6, v4
	s_cmp_lg_u64 vcc, 0
	s_addc_u32 s6, s13, s12
	v_readfirstlane_b32 s54, v4
	s_mul_i32 s13, s49, s6
	s_mul_hi_u32 s55, s49, s54
	s_mul_hi_u32 s12, s49, s6
	s_add_u32 s13, s55, s13
	s_addc_u32 s12, 0, s12
	s_mul_hi_u32 s56, s7, s54
	s_mul_i32 s54, s7, s54
	s_add_u32 s13, s13, s54
	s_mul_hi_u32 s55, s7, s6
	s_addc_u32 s12, s12, s56
	s_addc_u32 s13, s55, 0
	s_mul_i32 s6, s7, s6
	s_add_u32 s6, s12, s6
	s_addc_u32 s12, 0, s13
	s_mul_hi_u32 s13, s89, s6
	s_mul_i32 s6, s89, s6
	s_mul_i32 s12, s89, s12
	v_mov_b32_e32 v4, s6
	s_add_i32 s13, s13, s12
	v_sub_co_u32_e32 v4, vcc, s49, v4
	s_cmp_lg_u64 vcc, 0
	s_subb_u32 s6, s7, s13
	v_subrev_co_u32_e32 v5, vcc, s89, v4
	s_cmp_lg_u64 vcc, 0
	s_subb_u32 s12, s6, 0
	v_subrev_co_u32_e32 v6, vcc, s89, v5
	s_cmp_lg_u64 vcc, 0
	s_subb_u32 s13, s12, 0
	v_cmp_le_u32_e32 vcc, s89, v5
	s_cmp_eq_u32 s12, 0
	v_cndmask_b32_e64 v7, 0, -1, vcc
	s_cselect_b64 vcc, -1, 0
	v_cndmask_b32_e32 v7, -1, v7, vcc
	v_mov_b32_e32 v8, s12
	v_mov_b32_e32 v9, s13
	v_cmp_ne_u32_e32 vcc, 0, v7
	v_cndmask_b32_e32 v7, v8, v9, vcc
	v_cndmask_b32_e32 v6, v5, v6, vcc
	v_cmp_le_u32_e32 vcc, s89, v4
	s_cmp_eq_u32 s6, 0
	v_cndmask_b32_e64 v5, 0, -1, vcc
	s_cselect_b64 vcc, -1, 0
	v_cndmask_b32_e32 v5, -1, v5, vcc
	v_mov_b32_e32 v8, s6
	v_cmp_ne_u32_e32 vcc, 0, v5
	v_cndmask_b32_e32 v5, v8, v7, vcc
	v_cndmask_b32_e32 v4, v4, v6, vcc
	s_mov_b64 s[12:13], 0
	s_branch .LBB210_434
.LBB210_430:                            ;   in Loop: Header=BB210_18 Depth=1
                                        ; implicit-def: $vgpr2_vgpr3
	s_branch .LBB210_384
.LBB210_431:                            ;   in Loop: Header=BB210_18 Depth=1
                                        ; implicit-def: $vgpr2_vgpr3
	s_branch .LBB210_400
.LBB210_432:                            ;   in Loop: Header=BB210_18 Depth=1
	s_mov_b64 s[6:7], -1
	s_mov_b64 s[54:55], 0
                                        ; implicit-def: $sgpr10_sgpr11
                                        ; implicit-def: $vgpr39
	s_branch .LBB210_446
.LBB210_433:                            ;   in Loop: Header=BB210_18 Depth=1
	s_mov_b64 s[12:13], -1
                                        ; implicit-def: $vgpr4_vgpr5
.LBB210_434:                            ;   in Loop: Header=BB210_18 Depth=1
	s_andn2_b64 vcc, exec, s[12:13]
	s_cbranch_vccnz .LBB210_436
; %bb.435:                              ;   in Loop: Header=BB210_18 Depth=1
	v_cvt_f32_u32_e32 v4, s89
	s_sub_i32 s6, 0, s89
	v_rcp_iflag_f32_e32 v4, v4
	v_mul_f32_e32 v4, 0x4f7ffffe, v4
	v_cvt_u32_f32_e32 v4, v4
	v_mul_lo_u32 v5, s6, v4
	v_mul_hi_u32 v5, v4, v5
	v_add_u32_e32 v4, v4, v5
	v_mul_hi_u32 v4, s49, v4
	v_mul_lo_u32 v4, v4, s89
	v_sub_u32_e32 v4, s49, v4
	v_subrev_u32_e32 v5, s89, v4
	v_cmp_le_u32_e32 vcc, s89, v4
	v_cndmask_b32_e32 v4, v4, v5, vcc
	v_subrev_u32_e32 v5, s89, v4
	v_cmp_le_u32_e32 vcc, s89, v4
	v_cndmask_b32_e32 v14, v4, v5, vcc
	v_pk_mov_b32 v[4:5], v[14:15], v[14:15] op_sel:[0,1]
.LBB210_436:                            ;   in Loop: Header=BB210_18 Depth=1
	v_mov_b32_e32 v6, s7
	v_sub_co_u32_e32 v4, vcc, s49, v4
	v_subb_co_u32_e32 v5, vcc, v6, v5, vcc
	v_cmp_gt_u64_e32 vcc, v[4:5], v[0:1]
	s_mov_b64 s[54:55], 0
                                        ; implicit-def: $vgpr39
	s_and_saveexec_b64 s[12:13], vcc
	s_cbranch_execz .LBB210_445
; %bb.437:                              ;   in Loop: Header=BB210_18 Depth=1
	v_mov_b32_e32 v8, v28
	v_pk_mov_b32 v[6:7], v[0:1], v[0:1] op_sel:[0,1]
                                        ; implicit-def: $sgpr56_sgpr57
	s_branch .LBB210_439
.LBB210_438:                            ;   in Loop: Header=BB210_439 Depth=2
	s_or_b64 exec, exec, s[6:7]
	s_waitcnt lgkmcnt(0)
	s_barrier
	ds_read_b32 v9, v15 offset:3072
	v_mov_b32_e32 v14, s74
	v_add_co_u32_e64 v6, s[6:7], s89, v6
	v_addc_co_u32_e64 v7, s[6:7], v7, v14, s[6:7]
	s_waitcnt lgkmcnt(0)
	v_cmp_neq_f16_e32 vcc, 0, v9
	v_cmp_ge_u64_e64 s[6:7], v[6:7], v[4:5]
	s_or_b64 s[6:7], s[6:7], vcc
	s_and_b64 s[6:7], exec, s[6:7]
	s_or_b64 s[54:55], s[6:7], s[54:55]
	s_andn2_b64 s[6:7], s[56:57], exec
	s_and_b64 s[56:57], vcc, exec
	v_add_u32_e32 v8, s5, v8
	s_or_b64 s[56:57], s[6:7], s[56:57]
	s_barrier
	s_andn2_b64 exec, exec, s[54:55]
	s_cbranch_execz .LBB210_444
.LBB210_439:                            ;   Parent Loop BB210_18 Depth=1
                                        ; =>  This Inner Loop Header: Depth=2
	v_cmp_gt_u64_e32 vcc, s[10:11], v[6:7]
	v_mov_b32_e32 v9, 0
	s_and_saveexec_b64 s[6:7], vcc
	s_cbranch_execz .LBB210_441
; %bb.440:                              ;   in Loop: Header=BB210_439 Depth=2
	ds_read_u16 v9, v8
.LBB210_441:                            ;   in Loop: Header=BB210_439 Depth=2
	s_or_b64 exec, exec, s[6:7]
	s_and_saveexec_b64 s[6:7], vcc
	s_cbranch_execz .LBB210_438
; %bb.442:                              ;   in Loop: Header=BB210_439 Depth=2
	s_waitcnt lgkmcnt(0)
	v_cmp_lt_i16_e32 vcc, -1, v9
	v_cndmask_b32_e32 v14, v32, v33, vcc
	v_xor_b32_sdwa v14, v14, v9 dst_sel:DWORD dst_unused:UNUSED_PAD src0_sel:DWORD src1_sel:WORD_0
	v_cmp_o_f16_e32 vcc, v9, v9
	v_cndmask_b32_e32 v14, v32, v14, vcc
	v_and_b32_e32 v14, v14, v37
	v_cmp_eq_u32_e32 vcc, v14, v38
	s_and_b64 exec, exec, vcc
	s_cbranch_execz .LBB210_438
; %bb.443:                              ;   in Loop: Header=BB210_439 Depth=2
	s_movk_i32 s49, 0x3c00
	v_perm_b32 v9, v9, s49, v36
	ds_write_b32 v15, v9 offset:3072
	s_branch .LBB210_438
.LBB210_444:                            ;   in Loop: Header=BB210_18 Depth=1
	s_or_b64 exec, exec, s[54:55]
	v_lshrrev_b32_e32 v39, 16, v9
	s_and_b64 s[54:55], s[56:57], exec
.LBB210_445:                            ;   in Loop: Header=BB210_18 Depth=1
	s_or_b64 exec, exec, s[12:13]
	s_mov_b64 s[6:7], 0
	s_mov_b64 s[10:11], -1
.LBB210_446:                            ;   in Loop: Header=BB210_18 Depth=1
	s_and_b64 vcc, exec, s[6:7]
	s_mov_b64 s[12:13], s[6:7]
	s_cbranch_vccz .LBB210_462
; %bb.447:                              ;   in Loop: Header=BB210_18 Depth=1
	s_mov_b32 s72, s91
	s_cmp_lg_u64 s[72:73], 0
	s_cbranch_scc0 .LBB210_449
; %bb.448:                              ;   in Loop: Header=BB210_18 Depth=1
	v_cvt_f32_u32_e32 v4, s89
	s_sub_u32 s6, 0, s89
	s_subb_u32 s7, 0, 0
	v_mac_f32_e32 v4, 0, v34
	v_rcp_f32_e32 v4, v4
	v_mul_f32_e32 v4, 0x5f7ffffc, v4
	v_mul_f32_e32 v5, 0x2f800000, v4
	v_trunc_f32_e32 v5, v5
	v_mac_f32_e32 v4, 0xcf800000, v5
	v_cvt_u32_f32_e32 v5, v5
	v_cvt_u32_f32_e32 v4, v4
	v_readfirstlane_b32 s10, v5
	v_readfirstlane_b32 s11, v4
	s_mul_i32 s12, s6, s10
	s_mul_hi_u32 s49, s6, s11
	s_mul_i32 s13, s7, s11
	s_add_i32 s12, s49, s12
	s_mul_i32 s54, s6, s11
	s_add_i32 s12, s12, s13
	s_mul_hi_u32 s49, s11, s54
	s_mul_hi_u32 s13, s11, s12
	s_mul_i32 s11, s11, s12
	s_add_u32 s11, s49, s11
	s_addc_u32 s13, 0, s13
	s_mul_hi_u32 s55, s10, s54
	s_mul_i32 s54, s10, s54
	s_add_u32 s11, s11, s54
	s_mul_hi_u32 s49, s10, s12
	s_addc_u32 s11, s13, s55
	s_addc_u32 s13, s49, 0
	s_mul_i32 s12, s10, s12
	s_add_u32 s11, s11, s12
	s_addc_u32 s12, 0, s13
	v_add_co_u32_e32 v4, vcc, s11, v4
	s_cmp_lg_u64 vcc, 0
	s_addc_u32 s10, s10, s12
	v_readfirstlane_b32 s12, v4
	s_mul_i32 s11, s6, s10
	s_mul_hi_u32 s13, s6, s12
	s_add_i32 s11, s13, s11
	s_mul_i32 s7, s7, s12
	s_add_i32 s11, s11, s7
	s_mul_i32 s6, s6, s12
	s_mul_hi_u32 s13, s10, s6
	s_mul_i32 s49, s10, s6
	s_mul_i32 s55, s12, s11
	s_mul_hi_u32 s6, s12, s6
	s_mul_hi_u32 s54, s12, s11
	s_add_u32 s6, s6, s55
	s_addc_u32 s12, 0, s54
	s_add_u32 s6, s6, s49
	s_mul_hi_u32 s7, s10, s11
	s_addc_u32 s6, s12, s13
	s_addc_u32 s7, s7, 0
	s_mul_i32 s11, s10, s11
	s_add_u32 s6, s6, s11
	s_addc_u32 s7, 0, s7
	v_add_co_u32_e32 v4, vcc, s6, v4
	s_cmp_lg_u64 vcc, 0
	s_addc_u32 s6, s10, s7
	v_readlane_b32 s49, v49, 53
	v_readfirstlane_b32 s11, v4
	s_mul_i32 s10, s49, s6
	s_mul_hi_u32 s12, s49, s11
	s_mul_hi_u32 s7, s49, s6
	s_add_u32 s10, s12, s10
	s_addc_u32 s7, 0, s7
	s_mul_hi_u32 s13, s73, s11
	s_mul_i32 s11, s73, s11
	s_add_u32 s10, s10, s11
	s_mul_hi_u32 s12, s73, s6
	s_addc_u32 s7, s7, s13
	s_addc_u32 s10, s12, 0
	s_mul_i32 s6, s73, s6
	s_add_u32 s6, s7, s6
	s_addc_u32 s7, 0, s10
	s_mul_hi_u32 s10, s89, s6
	s_mul_i32 s6, s89, s6
	s_mul_i32 s7, s89, s7
	v_mov_b32_e32 v4, s6
	s_add_i32 s10, s10, s7
	v_sub_co_u32_e32 v4, vcc, s49, v4
	s_cmp_lg_u64 vcc, 0
	s_subb_u32 s6, s73, s10
	v_subrev_co_u32_e32 v5, vcc, s89, v4
	s_cmp_lg_u64 vcc, 0
	s_subb_u32 s7, s6, 0
	v_subrev_co_u32_e32 v6, vcc, s89, v5
	s_cmp_lg_u64 vcc, 0
	s_subb_u32 s10, s7, 0
	v_cmp_le_u32_e32 vcc, s89, v5
	s_cmp_eq_u32 s7, 0
	v_cndmask_b32_e64 v7, 0, -1, vcc
	s_cselect_b64 vcc, -1, 0
	v_cndmask_b32_e32 v7, -1, v7, vcc
	v_mov_b32_e32 v8, s7
	v_mov_b32_e32 v9, s10
	v_cmp_ne_u32_e32 vcc, 0, v7
	v_cndmask_b32_e32 v7, v8, v9, vcc
	v_cndmask_b32_e32 v6, v5, v6, vcc
	v_cmp_le_u32_e32 vcc, s89, v4
	s_cmp_eq_u32 s6, 0
	v_cndmask_b32_e64 v5, 0, -1, vcc
	s_cselect_b64 vcc, -1, 0
	v_cndmask_b32_e32 v5, -1, v5, vcc
	v_mov_b32_e32 v8, s6
	v_cmp_ne_u32_e32 vcc, 0, v5
	v_cndmask_b32_e32 v5, v8, v7, vcc
	v_cndmask_b32_e32 v4, v4, v6, vcc
	s_mov_b64 s[6:7], 0
	s_branch .LBB210_450
.LBB210_449:                            ;   in Loop: Header=BB210_18 Depth=1
	s_mov_b64 s[6:7], -1
                                        ; implicit-def: $vgpr4_vgpr5
.LBB210_450:                            ;   in Loop: Header=BB210_18 Depth=1
	s_andn2_b64 vcc, exec, s[6:7]
	s_cbranch_vccnz .LBB210_452
; %bb.451:                              ;   in Loop: Header=BB210_18 Depth=1
	v_cvt_f32_u32_e32 v4, s89
	s_sub_i32 s6, 0, s89
	v_rcp_iflag_f32_e32 v4, v4
	v_mul_f32_e32 v4, 0x4f7ffffe, v4
	v_cvt_u32_f32_e32 v4, v4
	v_mul_lo_u32 v5, s6, v4
	v_mul_hi_u32 v5, v4, v5
	v_add_u32_e32 v4, v4, v5
	v_readlane_b32 s6, v49, 53
	v_mul_hi_u32 v4, s6, v4
	v_mul_lo_u32 v4, v4, s89
	v_sub_u32_e32 v4, s6, v4
	v_subrev_u32_e32 v5, s89, v4
	v_cmp_le_u32_e32 vcc, s89, v4
	v_cndmask_b32_e32 v4, v4, v5, vcc
	v_subrev_u32_e32 v5, s89, v4
	v_cmp_le_u32_e32 vcc, s89, v4
	v_cndmask_b32_e32 v14, v4, v5, vcc
	v_pk_mov_b32 v[4:5], v[14:15], v[14:15] op_sel:[0,1]
.LBB210_452:                            ;   in Loop: Header=BB210_18 Depth=1
	v_readlane_b32 s6, v49, 53
	v_mov_b32_e32 v6, s73
	v_sub_co_u32_e32 v4, vcc, s6, v4
	v_subb_co_u32_e32 v5, vcc, v6, v5, vcc
	v_cmp_gt_u64_e32 vcc, v[4:5], v[0:1]
	s_mov_b64 s[54:55], 0
                                        ; implicit-def: $vgpr39
	s_and_saveexec_b64 s[10:11], vcc
	s_cbranch_execz .LBB210_461
; %bb.453:                              ;   in Loop: Header=BB210_18 Depth=1
	s_mov_b64 s[12:13], 0
	v_pk_mov_b32 v[6:7], v[0:1], v[0:1] op_sel:[0,1]
                                        ; implicit-def: $sgpr54_sgpr55
	s_branch .LBB210_455
.LBB210_454:                            ;   in Loop: Header=BB210_455 Depth=2
	s_or_b64 exec, exec, s[6:7]
	s_waitcnt lgkmcnt(0)
	s_barrier
	s_waitcnt vmcnt(0)
	ds_read_b32 v8, v15 offset:3072
	v_mov_b32_e32 v9, s74
	v_add_co_u32_e64 v6, s[6:7], s89, v6
	v_addc_co_u32_e64 v7, s[6:7], v7, v9, s[6:7]
	s_waitcnt lgkmcnt(0)
	v_cmp_neq_f16_e32 vcc, 0, v8
	v_cmp_ge_u64_e64 s[6:7], v[6:7], v[4:5]
	s_or_b64 s[6:7], s[6:7], vcc
	s_and_b64 s[6:7], exec, s[6:7]
	s_or_b64 s[12:13], s[6:7], s[12:13]
	s_andn2_b64 s[6:7], s[54:55], exec
	s_and_b64 s[54:55], vcc, exec
	s_or_b64 s[54:55], s[6:7], s[54:55]
	s_barrier
	s_andn2_b64 exec, exec, s[12:13]
	s_cbranch_execz .LBB210_460
.LBB210_455:                            ;   Parent Loop BB210_18 Depth=1
                                        ; =>  This Inner Loop Header: Depth=2
	v_cmp_gt_u64_e32 vcc, s[60:61], v[6:7]
	v_mov_b32_e32 v8, 0
	s_and_saveexec_b64 s[56:57], vcc
	s_cbranch_execz .LBB210_457
; %bb.456:                              ;   in Loop: Header=BB210_455 Depth=2
	v_mul_lo_u32 v14, v7, s58
	v_mul_lo_u32 v18, v6, s59
	v_mad_u64_u32 v[8:9], s[6:7], v6, s58, 0
	v_add3_u32 v9, v9, v18, v14
	v_lshlrev_b64 v[8:9], 1, v[8:9]
	v_mov_b32_e32 v14, s88
	v_add_co_u32_e64 v8, s[6:7], s33, v8
	v_addc_co_u32_e64 v9, s[6:7], v14, v9, s[6:7]
	global_load_ushort v8, v[8:9], off
.LBB210_457:                            ;   in Loop: Header=BB210_455 Depth=2
	s_or_b64 exec, exec, s[56:57]
	s_and_saveexec_b64 s[6:7], vcc
	s_cbranch_execz .LBB210_454
; %bb.458:                              ;   in Loop: Header=BB210_455 Depth=2
	s_waitcnt vmcnt(0)
	v_cmp_lt_i16_e32 vcc, -1, v8
	v_cndmask_b32_e32 v9, v32, v33, vcc
	v_xor_b32_sdwa v9, v9, v8 dst_sel:DWORD dst_unused:UNUSED_PAD src0_sel:DWORD src1_sel:WORD_0
	v_cmp_o_f16_e32 vcc, v8, v8
	v_cndmask_b32_e32 v9, v32, v9, vcc
	v_and_b32_e32 v9, v9, v37
	v_cmp_eq_u32_e32 vcc, v9, v38
	s_and_b64 exec, exec, vcc
	s_cbranch_execz .LBB210_454
; %bb.459:                              ;   in Loop: Header=BB210_455 Depth=2
	s_movk_i32 s49, 0x3c00
	v_perm_b32 v8, v8, s49, v36
	ds_write_b32 v15, v8 offset:3072
	s_branch .LBB210_454
.LBB210_460:                            ;   in Loop: Header=BB210_18 Depth=1
	s_or_b64 exec, exec, s[12:13]
	v_lshrrev_b32_e32 v39, 16, v8
	s_and_b64 s[54:55], s[54:55], exec
.LBB210_461:                            ;   in Loop: Header=BB210_18 Depth=1
	s_or_b64 exec, exec, s[10:11]
	s_mov_b64 s[10:11], 0
	s_mov_b64 s[6:7], -1
	s_mov_b64 s[12:13], 0
.LBB210_462:                            ;   in Loop: Header=BB210_18 Depth=1
	s_orn2_b64 s[54:55], s[54:55], exec
.LBB210_463:                            ;   in Loop: Header=BB210_18 Depth=1
	s_or_b64 exec, exec, s[52:53]
	s_mov_b64 s[56:57], 0
                                        ; implicit-def: $vgpr7
                                        ; implicit-def: $vgpr4_vgpr5
	s_and_saveexec_b64 s[52:53], s[54:55]
	s_cbranch_execz .LBB210_475
; %bb.464:                              ;   in Loop: Header=BB210_18 Depth=1
	v_mov_b32_e32 v4, 1
	s_xor_b64 s[54:55], s[8:9], -1
	v_mov_b32_e32 v7, 1
	v_mov_b32_e32 v5, 0
	s_and_saveexec_b64 s[8:9], s[54:55]
	s_cbranch_execz .LBB210_474
; %bb.465:                              ;   in Loop: Header=BB210_18 Depth=1
	v_cmp_ge_u64_e32 vcc, s[16:17], v[2:3]
                                        ; implicit-def: $sgpr49
	s_and_saveexec_b64 s[54:55], vcc
	s_xor_b64 s[54:55], exec, s[54:55]
	s_cbranch_execz .LBB210_471
; %bb.466:                              ;   in Loop: Header=BB210_18 Depth=1
	ds_read_b64 v[4:5], v15 offset:5120
	s_waitcnt lgkmcnt(0)
	v_cmp_ne_u64_e32 vcc, 0, v[4:5]
	s_cbranch_vccnz .LBB210_470
; %bb.467:                              ;   in Loop: Header=BB210_18 Depth=1
	s_mov_b64 s[56:57], exec
	v_readlane_b32 s94, v49, 32
	v_readlane_b32 s95, v49, 33
	s_and_b64 s[94:95], s[56:57], s[94:95]
	s_mov_b64 exec, s[94:95]
	s_cbranch_execz .LBB210_469
; %bb.468:                              ;   in Loop: Header=BB210_18 Depth=1
	v_pk_mov_b32 v[4:5], s[16:17], s[16:17] op_sel:[0,1]
	ds_write_b64 v15, v[4:5] offset:5128
.LBB210_469:                            ;   in Loop: Header=BB210_18 Depth=1
	s_or_b64 exec, exec, s[56:57]
	s_waitcnt lgkmcnt(0)
	s_barrier
.LBB210_470:                            ;   in Loop: Header=BB210_18 Depth=1
	v_and_b32_e32 v38, s48, v38
	v_or_b32_e32 v37, s90, v37
	s_mov_b32 s49, 5
.LBB210_471:                            ;   in Loop: Header=BB210_18 Depth=1
	s_or_saveexec_b64 s[54:55], s[54:55]
	v_mov_b32_e32 v7, s49
	s_xor_b64 exec, exec, s[54:55]
; %bb.472:                              ;   in Loop: Header=BB210_18 Depth=1
	v_mov_b32_e32 v4, s17
	v_subrev_co_u32_e32 v2, vcc, s16, v2
	v_subb_co_u32_e32 v3, vcc, v3, v4, vcc
	v_mov_b32_e32 v7, 5
; %bb.473:                              ;   in Loop: Header=BB210_18 Depth=1
	s_or_b64 exec, exec, s[54:55]
	v_pk_mov_b32 v[4:5], v[2:3], v[2:3] op_sel:[0,1]
.LBB210_474:                            ;   in Loop: Header=BB210_18 Depth=1
	s_or_b64 exec, exec, s[8:9]
	s_mov_b64 s[56:57], exec
.LBB210_475:                            ;   in Loop: Header=BB210_18 Depth=1
	s_or_b64 exec, exec, s[52:53]
	s_orn2_b64 s[8:9], s[56:57], exec
	v_pk_mov_b32 v[2:3], v[4:5], v[4:5] op_sel:[0,1]
.LBB210_476:                            ;   in Loop: Header=BB210_18 Depth=1
	s_or_b64 exec, exec, s[18:19]
	s_andn2_b64 s[16:17], s[30:31], exec
	s_and_b64 s[6:7], s[6:7], exec
	s_or_b64 s[30:31], s[16:17], s[6:7]
	s_andn2_b64 s[6:7], s[46:47], exec
	s_and_b64 s[10:11], s[10:11], exec
	s_or_b64 s[46:47], s[6:7], s[10:11]
	s_andn2_b64 s[6:7], s[92:93], exec
	s_and_b64 s[10:11], s[12:13], exec
	s_or_b64 s[92:93], s[6:7], s[10:11]
	s_and_b64 s[6:7], s[8:9], exec
	v_pk_mov_b32 v[4:5], v[2:3], v[2:3] op_sel:[0,1]
.LBB210_477:                            ;   in Loop: Header=BB210_18 Depth=1
	s_or_b64 exec, exec, s[50:51]
	s_and_b64 s[12:13], s[30:31], exec
	s_and_b64 s[10:11], s[46:47], exec
	;; [unrolled: 1-line block ×3, first 2 shown]
	s_orn2_b64 s[6:7], s[6:7], exec
.LBB210_478:                            ;   in Loop: Header=BB210_18 Depth=1
	s_or_b64 exec, exec, s[22:23]
	s_andn2_b64 s[16:17], s[36:37], exec
	s_and_b64 s[12:13], s[12:13], exec
	s_or_b64 s[36:37], s[16:17], s[12:13]
	s_andn2_b64 s[12:13], s[40:41], exec
	s_and_b64 s[10:11], s[10:11], exec
	s_or_b64 s[40:41], s[12:13], s[10:11]
	;; [unrolled: 3-line block ×3, first 2 shown]
	s_and_b64 s[6:7], s[6:7], exec
	v_pk_mov_b32 v[2:3], v[4:5], v[4:5] op_sel:[0,1]
.LBB210_479:                            ;   in Loop: Header=BB210_18 Depth=1
	s_or_b64 exec, exec, s[44:45]
	s_and_b64 s[12:13], s[36:37], exec
	s_and_b64 s[10:11], s[40:41], exec
	;; [unrolled: 1-line block ×3, first 2 shown]
	s_orn2_b64 s[30:31], s[6:7], exec
.LBB210_480:                            ;   in Loop: Header=BB210_18 Depth=1
	s_or_b64 exec, exec, s[24:25]
	s_mov_b64 s[6:7], s[28:29]
	s_mov_b64 s[16:17], s[26:27]
	s_and_saveexec_b64 s[18:19], s[30:31]
; %bb.481:                              ;   in Loop: Header=BB210_18 Depth=1
	v_cmp_ne_u32_e64 s[6:7], 5, v7
	v_cmp_eq_u32_e32 vcc, 5, v7
	s_andn2_b64 s[16:17], s[26:27], exec
	s_and_b64 s[6:7], s[6:7], exec
	s_or_b64 s[16:17], s[16:17], s[6:7]
	s_andn2_b64 s[6:7], s[28:29], exec
	s_and_b64 s[22:23], vcc, exec
	s_andn2_b64 s[12:13], s[12:13], exec
	s_andn2_b64 s[10:11], s[10:11], exec
	s_andn2_b64 s[8:9], s[8:9], exec
	s_or_b64 s[6:7], s[6:7], s[22:23]
; %bb.482:                              ;   in Loop: Header=BB210_18 Depth=1
	s_or_b64 exec, exec, s[18:19]
	s_andn2_b64 s[14:15], s[14:15], exec
	s_and_b64 s[12:13], s[12:13], exec
	s_or_b64 s[14:15], s[14:15], s[12:13]
	s_andn2_b64 s[12:13], s[38:39], exec
	s_and_b64 s[10:11], s[10:11], exec
	s_or_b64 s[38:39], s[12:13], s[10:11]
	;; [unrolled: 3-line block ×5, first 2 shown]
	v_mov_b32_e32 v8, v38
	v_mov_b32_e32 v9, v37
	;; [unrolled: 1-line block ×3, first 2 shown]
.LBB210_483:                            ;   in Loop: Header=BB210_18 Depth=1
	s_or_b64 exec, exec, s[34:35]
	s_mov_b64 s[36:37], s[20:21]
	s_mov_b64 s[34:35], s[20:21]
	s_and_saveexec_b64 s[6:7], s[28:29]
.LBB210_484:                            ;   in Loop: Header=BB210_18 Depth=1
	v_mov_b32_e32 v7, 0
	s_andn2_b64 s[20:21], s[20:21], exec
	s_andn2_b64 s[14:15], s[14:15], exec
	;; [unrolled: 1-line block ×5, first 2 shown]
	s_or_b64 s[26:27], s[26:27], exec
.LBB210_485:                            ;   in Loop: Header=BB210_18 Depth=1
	s_or_b64 exec, exec, s[6:7]
	s_andn2_b64 s[6:7], s[78:79], exec
	s_and_b64 s[10:11], s[20:21], exec
	s_or_b64 s[78:79], s[6:7], s[10:11]
	s_andn2_b64 s[6:7], s[76:77], exec
	s_and_b64 s[10:11], s[14:15], exec
	s_or_b64 s[76:77], s[6:7], s[10:11]
	;; [unrolled: 3-line block ×4, first 2 shown]
	s_andn2_b64 s[6:7], s[70:71], exec
	s_and_b64 s[10:11], s[34:35], exec
	s_mov_b64 s[8:9], -1
	s_or_b64 s[70:71], s[6:7], s[10:11]
                                        ; implicit-def: $vgpr37
                                        ; implicit-def: $vgpr38
                                        ; implicit-def: $vgpr18_vgpr19
                                        ; implicit-def: $vgpr39
	s_and_saveexec_b64 s[6:7], s[26:27]
	s_xor_b64 s[6:7], exec, s[6:7]
	s_cbranch_execz .LBB210_17
; %bb.486:                              ;   in Loop: Header=BB210_18 Depth=1
	v_cmp_eq_u32_e32 vcc, 0, v7
	s_mov_b64 s[10:11], -1
	s_and_saveexec_b64 s[12:13], vcc
	s_cbranch_execz .LBB210_16
; %bb.487:                              ;   in Loop: Header=BB210_18 Depth=1
	v_readlane_b32 s8, v49, 62
	s_xor_b32 s8, s8, 1
	s_add_i32 s14, s75, -2
	s_cmp_eq_u32 s75, 0
	v_writelane_b32 v49, s8, 62
	s_cselect_b64 s[8:9], -1, 0
	s_xor_b64 s[10:11], exec, -1
	s_orn2_b64 s[8:9], s[8:9], exec
	s_mov_b32 s75, s14
	s_branch .LBB210_16
.LBB210_488:
	s_or_b64 exec, exec, s[82:83]
	s_xor_b64 s[4:5], s[68:69], -1
	s_xor_b64 s[12:13], s[66:67], -1
	s_xor_b64 s[8:9], s[84:85], -1
	s_xor_b64 s[10:11], s[2:3], -1
	s_xor_b64 s[2:3], s[64:65], -1
	s_mov_b64 s[6:7], 0
	s_and_saveexec_b64 s[14:15], s[10:11]
	s_xor_b64 s[10:11], exec, s[14:15]
	s_cbranch_execnz .LBB210_493
; %bb.489:
	s_andn2_saveexec_b64 s[0:1], s[10:11]
	s_cbranch_execnz .LBB210_512
.LBB210_490:
	s_or_b64 exec, exec, s[0:1]
	s_and_saveexec_b64 s[0:1], s[6:7]
.LBB210_491:
	; divergent unreachable
.LBB210_492:
	s_endpgm
.LBB210_493:
	s_and_saveexec_b64 s[14:15], s[8:9]
	s_xor_b64 s[8:9], exec, s[14:15]
	s_cbranch_execz .LBB210_510
; %bb.494:
	s_and_saveexec_b64 s[14:15], s[12:13]
	s_xor_b64 s[12:13], exec, s[14:15]
	s_cbranch_execz .LBB210_508
; %bb.495:
	;; [unrolled: 4-line block ×3, first 2 shown]
	s_and_saveexec_b64 s[4:5], s[2:3]
	s_xor_b64 s[2:3], exec, s[4:5]
; %bb.497:
	v_and_b32_e32 v2, 0x8000, v8
	v_mov_b32_e32 v3, 0x8000
	v_mov_b32_e32 v4, 0xffff
	v_cmp_eq_u32_e32 vcc, 0, v2
	v_cndmask_b32_e32 v2, v3, v4, vcc
	v_xor_b32_e32 v6, v2, v8
; %bb.498:
	s_or_b64 exec, exec, s[2:3]
	s_mov_b64 s[2:3], exec
	v_readlane_b32 s4, v49, 32
	v_readlane_b32 s5, v49, 33
	;; [unrolled: 1-line block ×4, first 2 shown]
	s_and_b64 s[4:5], s[2:3], s[4:5]
	v_readlane_b32 s25, v49, 37
	v_readlane_b32 s20, v49, 34
	;; [unrolled: 1-line block ×4, first 2 shown]
	s_mov_b64 exec, s[4:5]
	s_cbranch_execz .LBB210_500
; %bb.499:
	v_mov_b32_e32 v2, 0
	v_mov_b32_e32 v3, v2
	ds_write_b64 v2, v[2:3] offset:5136
.LBB210_500:
	s_or_b64 exec, exec, s[2:3]
	v_mov_b32_e32 v19, 0
	s_waitcnt lgkmcnt(0)
	s_barrier
	s_mov_b64 s[2:3], exec
	v_readlane_b32 s4, v49, 46
	v_readlane_b32 s5, v49, 47
	s_and_b64 s[4:5], s[2:3], s[4:5]
	s_mov_b64 exec, s[4:5]
	s_cbranch_execz .LBB210_502
; %bb.501:
	global_load_ushort v19, v[12:13], off
.LBB210_502:
	s_or_b64 exec, exec, s[2:3]
	v_readlane_b32 s36, v49, 24
	s_add_u32 s2, s60, 63
	v_readlane_b32 s38, v49, 26
	v_readlane_b32 s39, v49, 27
	;; [unrolled: 1-line block ×3, first 2 shown]
	s_addc_u32 s17, s61, 0
	s_and_b32 s16, s2, 0xffffffc0
	s_mul_i32 s2, s34, s39
	s_mul_hi_u32 s3, s34, s38
	s_add_i32 s3, s3, s2
	s_mul_i32 s2, s34, s38
	v_readlane_b32 s6, v49, 10
	s_sub_u32 s2, s20, s2
	v_readlane_b32 s7, v49, 11
	s_subb_u32 s3, 0, s3
	s_mul_i32 s4, s2, s7
	s_mul_hi_u32 s5, s2, s6
	s_add_i32 s4, s5, s4
	s_mul_i32 s3, s3, s6
	s_add_i32 s3, s4, s3
	v_readlane_b32 s28, v49, 4
	v_readlane_b32 s4, v49, 0
	;; [unrolled: 1-line block ×4, first 2 shown]
	s_mov_b32 s18, s4
	s_mul_i32 s4, s4, s29
	s_mul_hi_u32 s5, s18, s28
	s_add_i32 s5, s5, s4
	s_mul_i32 s4, s18, s28
	v_readlane_b32 s22, v49, 2
	v_readlane_b32 s40, v49, 18
	;; [unrolled: 1-line block ×3, first 2 shown]
	s_sub_u32 s4, s22, s4
	v_readlane_b32 s42, v49, 20
	v_readlane_b32 s43, v49, 21
	s_mul_i32 s2, s2, s6
	s_subb_u32 s5, s23, s5
	s_mul_i32 s6, s4, s43
	s_mul_hi_u32 s7, s4, s42
	v_readlane_b32 s41, v49, 19
	s_add_i32 s6, s7, s6
	s_mul_i32 s5, s5, s42
	v_readlane_b32 s30, v49, 6
	v_readlane_b32 s31, v49, 7
	s_add_i32 s5, s6, s5
	s_mul_i32 s6, s18, s41
	s_mul_hi_u32 s7, s18, s40
	s_add_i32 s7, s7, s6
	s_mul_i32 s6, s18, s40
	s_mul_i32 s18, s22, s31
	s_mul_hi_u32 s19, s22, s30
	s_add_i32 s19, s19, s18
	s_mul_i32 s18, s22, s30
	v_readlane_b32 s22, v49, 16
	s_sub_u32 s18, s20, s18
	v_readlane_b32 s23, v49, 17
	s_subb_u32 s19, 0, s19
	s_mul_i32 s20, s18, s23
	s_mul_hi_u32 s21, s18, s22
	s_add_i32 s20, s21, s20
	s_mul_i32 s19, s19, s22
	s_add_i32 s19, s20, s19
	v_readlane_b32 s20, v49, 8
	v_readlane_b32 s37, v49, 25
	;; [unrolled: 1-line block ×3, first 2 shown]
	s_mov_b32 s26, s20
	s_mul_i32 s20, s20, s37
	s_mul_hi_u32 s21, s26, s36
	s_add_i32 s21, s21, s20
	s_mul_i32 s20, s26, s36
	v_readlane_b32 s28, v49, 12
	v_readlane_b32 s35, v49, 23
	s_sub_u32 s20, s34, s20
	v_readlane_b32 s30, v49, 14
	v_readlane_b32 s31, v49, 15
	s_mul_i32 s18, s18, s22
	s_subb_u32 s21, s35, s21
	s_mul_i32 s22, s20, s31
	s_mul_hi_u32 s23, s20, s30
	v_readlane_b32 s29, v49, 13
	s_add_i32 s22, s23, s22
	s_mul_i32 s21, s21, s30
	s_add_i32 s21, s22, s21
	s_mul_i32 s22, s26, s29
	s_mul_hi_u32 s23, s26, s28
	s_add_i32 s23, s23, s22
	s_mul_i32 s22, s26, s28
	s_lshl_b64 s[6:7], s[6:7], 1
	v_readlane_b32 s26, v49, 30
	s_mul_i32 s4, s4, s42
	v_readlane_b32 s27, v49, 31
	s_add_u32 s6, s26, s6
	s_addc_u32 s7, s27, s7
	s_lshl_b64 s[4:5], s[4:5], 1
	s_add_u32 s6, s6, s4
	s_addc_u32 s7, s7, s5
	s_lshl_b64 s[4:5], s[18:19], 1
	;; [unrolled: 3-line block ×3, first 2 shown]
	v_readlane_b32 s6, v49, 28
	s_mul_i32 s20, s20, s30
	v_readlane_b32 s7, v49, 29
	s_add_u32 s6, s6, s4
	s_addc_u32 s7, s7, s5
	s_lshl_b64 s[4:5], s[20:21], 3
	s_load_dwordx2 s[18:19], s[24:25], 0x368
	s_load_dwordx2 s[20:21], s[24:25], 0x510
	v_mov_b32_e32 v17, 0xffff
	v_mov_b32_e32 v18, 0x8000
	v_cmp_lt_i16_e32 vcc, -1, v6
	s_add_u32 s4, s6, s4
	v_cndmask_b32_e32 v2, v17, v18, vcc
	s_addc_u32 s5, s7, s5
	s_lshl_b64 s[2:3], s[2:3], 3
	v_xor_b32_sdwa v2, v2, v6 dst_sel:DWORD dst_unused:UNUSED_PAD src0_sel:DWORD src1_sel:WORD_0
	v_cmp_o_f16_e32 vcc, v6, v6
	s_add_u32 s40, s4, s2
	v_cndmask_b32_e32 v16, v17, v2, vcc
	s_addc_u32 s41, s5, s3
	v_cmp_gt_u64_e32 vcc, s[16:17], v[0:1]
	s_mov_b64 s[24:25], -1
	s_mov_b64 s[2:3], 0
	s_mov_b64 s[4:5], 0
	s_and_saveexec_b64 s[22:23], vcc
	s_cbranch_execnz .LBB210_513
; %bb.503:
	s_or_b64 exec, exec, s[22:23]
	s_and_saveexec_b64 s[6:7], s[24:25]
	s_cbranch_execnz .LBB210_530
.LBB210_504:
	s_or_b64 exec, exec, s[6:7]
	s_and_saveexec_b64 s[0:1], s[4:5]
	s_xor_b64 s[0:1], exec, s[0:1]
	s_cbranch_execnz .LBB210_553
.LBB210_505:
	s_or_b64 exec, exec, s[0:1]
	s_and_b64 s[6:7], s[2:3], exec
.LBB210_506:
	s_andn2_saveexec_b64 s[0:1], s[14:15]
	s_cbranch_execnz .LBB210_555
.LBB210_507:
	s_or_b64 exec, exec, s[0:1]
	s_and_b64 s[6:7], s[6:7], exec
.LBB210_508:
	s_andn2_saveexec_b64 s[0:1], s[12:13]
	s_cbranch_execnz .LBB210_554
.LBB210_509:
	s_or_b64 exec, exec, s[0:1]
	s_and_b64 s[6:7], s[6:7], exec
.LBB210_510:
	s_andn2_saveexec_b64 s[0:1], s[8:9]
	s_cbranch_execnz .LBB210_549
.LBB210_511:
	s_or_b64 exec, exec, s[0:1]
	s_and_b64 s[6:7], s[6:7], exec
	s_andn2_saveexec_b64 s[0:1], s[10:11]
	s_cbranch_execz .LBB210_490
.LBB210_512:
	s_or_b64 s[6:7], s[6:7], exec
	s_trap 2
	s_or_b64 exec, exec, s[0:1]
	s_and_saveexec_b64 s[0:1], s[6:7]
	s_cbranch_execnz .LBB210_491
	s_branch .LBB210_492
.LBB210_513:
	s_mov_b64 s[24:25], 0
	v_mov_b32_e32 v20, s74
	v_mov_b32_e32 v3, 0
	v_pk_mov_b32 v[8:9], v[0:1], v[0:1] op_sel:[0,1]
                                        ; implicit-def: $sgpr26_sgpr27
                                        ; implicit-def: $vgpr6_vgpr7
	s_branch .LBB210_515
.LBB210_514:                            ;   in Loop: Header=BB210_515 Depth=1
	s_or_b64 exec, exec, s[28:29]
	s_xor_b64 s[4:5], s[34:35], -1
	s_and_b64 s[6:7], exec, s[6:7]
	s_or_b64 s[24:25], s[6:7], s[24:25]
	s_andn2_b64 s[6:7], s[26:27], exec
	s_and_b64 s[4:5], s[4:5], exec
	s_or_b64 s[26:27], s[6:7], s[4:5]
	v_pk_mov_b32 v[8:9], v[4:5], v[4:5] op_sel:[0,1]
	s_waitcnt vmcnt(0)
	v_mov_b32_e32 v19, v21
	s_andn2_b64 exec, exec, s[24:25]
	s_cbranch_execz .LBB210_529
.LBB210_515:                            ; =>This Inner Loop Header: Depth=1
	v_add_co_u32_e64 v4, s[4:5], s89, v8
	v_addc_co_u32_e64 v5, s[4:5], v9, v20, s[4:5]
	v_cmp_gt_u64_e64 s[4:5], s[60:61], v[4:5]
	v_mov_b32_e32 v21, 0
	s_and_saveexec_b64 s[6:7], s[4:5]
	s_cbranch_execz .LBB210_517
; %bb.516:                              ;   in Loop: Header=BB210_515 Depth=1
	v_mul_lo_u32 v2, v5, s58
	v_mul_lo_u32 v21, v4, s59
	v_mad_u64_u32 v[14:15], s[4:5], v4, s58, 0
	v_add3_u32 v15, v15, v21, v2
	v_lshlrev_b64 v[14:15], 1, v[14:15]
	v_mov_b32_e32 v2, s88
	v_add_co_u32_e64 v14, s[4:5], s33, v14
	v_addc_co_u32_e64 v15, s[4:5], v2, v15, s[4:5]
	global_load_ushort v21, v[14:15], off
.LBB210_517:                            ;   in Loop: Header=BB210_515 Depth=1
	s_or_b64 exec, exec, s[6:7]
	v_cmp_gt_u64_e64 s[4:5], s[60:61], v[8:9]
	s_mov_b64 s[28:29], 0
	s_and_saveexec_b64 s[6:7], s[4:5]
	s_cbranch_execz .LBB210_519
; %bb.518:                              ;   in Loop: Header=BB210_515 Depth=1
	s_waitcnt vmcnt(0)
	v_cmp_lt_i16_e64 s[4:5], -1, v19
	v_cndmask_b32_e64 v2, v17, v18, s[4:5]
	v_xor_b32_sdwa v2, v2, v19 dst_sel:DWORD dst_unused:UNUSED_PAD src0_sel:DWORD src1_sel:WORD_0
	v_cmp_o_f16_e64 s[4:5], v19, v19
	v_cndmask_b32_e64 v2, v17, v2, s[4:5]
	v_cmp_gt_u32_e64 s[4:5], v2, v16
	v_cndmask_b32_e64 v14, 0, 1, s[4:5]
	v_cmp_lt_u32_e64 s[4:5], v2, v16
	v_cndmask_b32_e64 v2, 0, 1, s[4:5]
	v_cndmask_b32_e64 v2, v2, v14, s[44:45]
	v_and_b32_e32 v2, 1, v2
	v_cmp_eq_u32_e64 s[4:5], 1, v2
	s_and_b64 s[28:29], s[4:5], exec
.LBB210_519:                            ;   in Loop: Header=BB210_515 Depth=1
	s_or_b64 exec, exec, s[6:7]
	v_cndmask_b32_e64 v2, 0, 1, s[28:29]
	v_cmp_ne_u32_e64 s[4:5], 0, v2
	s_cmp_lg_u64 s[4:5], 0
	s_cselect_b64 s[6:7], -1, 0
	s_and_b64 s[6:7], s[0:1], s[6:7]
	s_and_saveexec_b64 s[30:31], s[6:7]
	s_cbranch_execz .LBB210_523
; %bb.520:                              ;   in Loop: Header=BB210_515 Depth=1
	s_mov_b64 s[36:37], exec
	v_mbcnt_lo_u32_b32 v2, s36, 0
	v_mbcnt_hi_u32_b32 v14, s37, v2
	s_bcnt1_i32_b64 s42, s[4:5]
	v_cmp_eq_u32_e64 s[6:7], 0, v14
                                        ; implicit-def: $vgpr6_vgpr7
	s_and_saveexec_b64 s[34:35], s[6:7]
	s_cbranch_execz .LBB210_522
; %bb.521:                              ;   in Loop: Header=BB210_515 Depth=1
	s_bcnt1_i32_b64 s6, s[36:37]
	s_mul_i32 s6, s42, s6
	v_mov_b32_e32 v2, s6
	s_waitcnt lgkmcnt(0)
	ds_add_rtn_u64 v[6:7], v3, v[2:3] offset:5136
.LBB210_522:                            ;   in Loop: Header=BB210_515 Depth=1
	s_or_b64 exec, exec, s[34:35]
	s_waitcnt lgkmcnt(0)
	v_readfirstlane_b32 s6, v7
	v_readfirstlane_b32 s7, v6
	v_mov_b32_e32 v6, s7
	v_mov_b32_e32 v7, s6
	v_mad_u64_u32 v[6:7], s[6:7], s42, v14, v[6:7]
.LBB210_523:                            ;   in Loop: Header=BB210_515 Depth=1
	s_or_b64 exec, exec, s[30:31]
	s_waitcnt lgkmcnt(0)
	ds_bpermute_b32 v6, v24, v6
	ds_bpermute_b32 v7, v24, v7
	s_mov_b64 s[6:7], -1
	s_mov_b64 s[36:37], -1
                                        ; implicit-def: $sgpr34_sgpr35
	s_and_saveexec_b64 s[30:31], s[28:29]
	s_cbranch_execz .LBB210_527
; %bb.524:                              ;   in Loop: Header=BB210_515 Depth=1
	v_and_b32_e32 v14, s4, v10
	v_and_b32_e32 v2, s5, v11
	v_bcnt_u32_b32 v14, v14, 0
	v_bcnt_u32_b32 v2, v2, v14
	s_waitcnt lgkmcnt(0)
	v_add_co_u32_e64 v14, s[4:5], v6, v2
	v_addc_co_u32_e64 v15, s[4:5], 0, v7, s[4:5]
	v_cmp_gt_u64_e64 s[4:5], s[62:63], v[14:15]
	s_mov_b64 s[28:29], 0
	s_and_saveexec_b64 s[34:35], s[4:5]
	s_cbranch_execz .LBB210_526
; %bb.525:                              ;   in Loop: Header=BB210_515 Depth=1
	v_mul_lo_u32 v2, v15, s18
	v_mul_lo_u32 v25, v14, s19
	v_mad_u64_u32 v[22:23], s[4:5], v14, s18, 0
	v_add3_u32 v23, v23, v25, v2
	v_mul_lo_u32 v2, v15, s20
	v_mul_lo_u32 v25, v14, s21
	v_mad_u64_u32 v[14:15], s[4:5], v14, s20, 0
	v_lshlrev_b64 v[22:23], 1, v[22:23]
	v_add3_u32 v15, v15, v25, v2
	v_mov_b32_e32 v2, s39
	v_add_co_u32_e64 v22, s[4:5], s38, v22
	v_addc_co_u32_e64 v23, s[4:5], v2, v23, s[4:5]
	v_lshlrev_b64 v[14:15], 3, v[14:15]
	v_mov_b32_e32 v2, s41
	v_add_co_u32_e64 v14, s[4:5], s40, v14
	s_mov_b64 s[28:29], exec
	v_addc_co_u32_e64 v15, s[4:5], v2, v15, s[4:5]
	s_waitcnt vmcnt(0)
	global_store_short v[22:23], v19, off
	global_store_dwordx2 v[14:15], v[8:9], off
.LBB210_526:                            ;   in Loop: Header=BB210_515 Depth=1
	s_or_b64 exec, exec, s[34:35]
	s_mov_b64 s[34:35], -1
	s_orn2_b64 s[36:37], s[28:29], exec
.LBB210_527:                            ;   in Loop: Header=BB210_515 Depth=1
	s_or_b64 exec, exec, s[30:31]
	s_and_saveexec_b64 s[28:29], s[36:37]
	s_cbranch_execz .LBB210_514
; %bb.528:                              ;   in Loop: Header=BB210_515 Depth=1
	v_cmp_le_u64_e64 s[4:5], s[16:17], v[4:5]
	s_andn2_b64 s[34:35], s[34:35], exec
	s_orn2_b64 s[6:7], s[4:5], exec
	s_branch .LBB210_514
.LBB210_529:
	s_or_b64 exec, exec, s[24:25]
	s_mov_b64 s[4:5], exec
	s_orn2_b64 s[24:25], s[26:27], exec
	s_or_b64 exec, exec, s[22:23]
	s_and_saveexec_b64 s[6:7], s[24:25]
	s_cbranch_execz .LBB210_504
.LBB210_530:
	v_mov_b32_e32 v15, 0
	s_waitcnt lgkmcnt(0)
	s_barrier
	s_mov_b64 s[2:3], exec
	v_readlane_b32 s22, v49, 46
	v_readlane_b32 s23, v49, 47
	s_and_b64 s[22:23], s[2:3], s[22:23]
	s_mov_b64 exec, s[22:23]
	s_cbranch_execz .LBB210_532
; %bb.531:
	global_load_ushort v15, v[12:13], off
.LBB210_532:
	s_or_b64 exec, exec, s[2:3]
	s_mov_b64 s[2:3], 0
	s_and_saveexec_b64 s[22:23], vcc
	s_cbranch_execz .LBB210_552
; %bb.533:
	s_mov_b64 s[24:25], 0
	v_mov_b32_e32 v12, s74
	v_mov_b32_e32 v13, 0xffff
	;; [unrolled: 1-line block ×4, first 2 shown]
                                        ; implicit-def: $sgpr26_sgpr27
                                        ; implicit-def: $vgpr4_vgpr5
	s_branch .LBB210_536
.LBB210_534:                            ;   in Loop: Header=BB210_536 Depth=1
	s_or_b64 exec, exec, s[30:31]
	s_orn2_b64 s[34:35], s[34:35], exec
	s_orn2_b64 s[30:31], s[28:29], exec
	v_mov_b32_e32 v15, v17
	v_pk_mov_b32 v[0:1], v[6:7], v[6:7] op_sel:[0,1]
.LBB210_535:                            ;   in Loop: Header=BB210_536 Depth=1
	s_or_b64 exec, exec, s[2:3]
	s_xor_b64 s[2:3], s[34:35], -1
	s_and_b64 s[28:29], exec, s[30:31]
	s_or_b64 s[24:25], s[28:29], s[24:25]
	s_andn2_b64 s[26:27], s[26:27], exec
	s_and_b64 s[2:3], s[2:3], exec
	s_or_b64 s[26:27], s[26:27], s[2:3]
	s_andn2_b64 exec, exec, s[24:25]
	s_cbranch_execz .LBB210_550
.LBB210_536:                            ; =>This Inner Loop Header: Depth=1
	v_add_co_u32_e32 v6, vcc, s89, v0
	v_addc_co_u32_e32 v7, vcc, v1, v12, vcc
	v_cmp_gt_u64_e32 vcc, s[60:61], v[6:7]
	v_mov_b32_e32 v17, 0
	s_and_saveexec_b64 s[2:3], vcc
	s_cbranch_execz .LBB210_538
; %bb.537:                              ;   in Loop: Header=BB210_536 Depth=1
	v_mul_lo_u32 v2, v7, s58
	v_mul_lo_u32 v17, v6, s59
	v_mad_u64_u32 v[8:9], s[28:29], v6, s58, 0
	v_add3_u32 v9, v9, v17, v2
	v_lshlrev_b64 v[8:9], 1, v[8:9]
	v_mov_b32_e32 v2, s88
	v_add_co_u32_e32 v8, vcc, s33, v8
	v_addc_co_u32_e32 v9, vcc, v2, v9, vcc
	global_load_ushort v17, v[8:9], off
.LBB210_538:                            ;   in Loop: Header=BB210_536 Depth=1
	s_or_b64 exec, exec, s[2:3]
	s_waitcnt vmcnt(0)
	v_cmp_lt_i16_e64 s[2:3], -1, v15
	v_cndmask_b32_e64 v2, v13, v14, s[2:3]
	v_xor_b32_sdwa v2, v2, v15 dst_sel:DWORD dst_unused:UNUSED_PAD src0_sel:DWORD src1_sel:WORD_0
	v_cmp_o_f16_e64 s[2:3], v15, v15
	v_cndmask_b32_e64 v2, v13, v2, s[2:3]
	v_cmp_gt_u64_e32 vcc, s[60:61], v[0:1]
	v_cmp_eq_u32_e64 s[2:3], v2, v16
	s_and_b64 s[28:29], vcc, s[2:3]
	v_cndmask_b32_e64 v2, 0, 1, s[28:29]
	v_cmp_ne_u32_e32 vcc, 0, v2
	s_cmp_lg_u64 vcc, 0
	s_cselect_b64 s[2:3], -1, 0
	s_and_b64 s[2:3], s[0:1], s[2:3]
	s_and_saveexec_b64 s[30:31], s[2:3]
	s_cbranch_execz .LBB210_542
; %bb.539:                              ;   in Loop: Header=BB210_536 Depth=1
	s_mov_b64 s[36:37], exec
	v_mbcnt_lo_u32_b32 v2, s36, 0
	v_mbcnt_hi_u32_b32 v8, s37, v2
	s_bcnt1_i32_b64 s42, vcc
	v_cmp_eq_u32_e64 s[2:3], 0, v8
                                        ; implicit-def: $vgpr4_vgpr5
	s_and_saveexec_b64 s[34:35], s[2:3]
	s_cbranch_execz .LBB210_541
; %bb.540:                              ;   in Loop: Header=BB210_536 Depth=1
	s_bcnt1_i32_b64 s2, s[36:37]
	s_mul_i32 s2, s42, s2
	v_mov_b32_e32 v2, s2
	ds_add_rtn_u64 v[4:5], v3, v[2:3] offset:5136
.LBB210_541:                            ;   in Loop: Header=BB210_536 Depth=1
	s_or_b64 exec, exec, s[34:35]
	s_waitcnt lgkmcnt(0)
	v_readfirstlane_b32 s2, v5
	v_readfirstlane_b32 s3, v4
	v_mov_b32_e32 v4, s3
	v_mov_b32_e32 v5, s2
	v_mad_u64_u32 v[4:5], s[2:3], s42, v8, v[4:5]
.LBB210_542:                            ;   in Loop: Header=BB210_536 Depth=1
	s_or_b64 exec, exec, s[30:31]
	ds_bpermute_b32 v4, v24, v4
	ds_bpermute_b32 v5, v24, v5
	s_cmp_eq_u64 vcc, 0
	s_cselect_b64 s[34:35], -1, 0
	s_mov_b64 s[30:31], -1
	s_waitcnt lgkmcnt(0)
	v_cmp_gt_u64_e64 s[2:3], s[62:63], v[4:5]
	s_or_b64 s[36:37], s[34:35], s[2:3]
	s_mov_b64 s[34:35], -1
	s_and_saveexec_b64 s[2:3], s[36:37]
	s_cbranch_execz .LBB210_535
; %bb.543:                              ;   in Loop: Header=BB210_536 Depth=1
	v_and_b32_e32 v8, vcc_lo, v10
	v_and_b32_e32 v2, vcc_hi, v11
	v_bcnt_u32_b32 v8, v8, 0
	v_bcnt_u32_b32 v2, v2, v8
	v_mov_b32_e32 v9, s63
	v_sub_co_u32_e32 v8, vcc, s62, v4
	v_subb_co_u32_e32 v9, vcc, v9, v5, vcc
	v_cmp_gt_u64_e32 vcc, v[8:9], v[2:3]
	s_and_b64 s[42:43], s[28:29], vcc
	s_mov_b64 s[28:29], -1
	s_mov_b64 s[36:37], -1
	s_and_saveexec_b64 s[30:31], s[42:43]
	s_cbranch_execz .LBB210_547
; %bb.544:                              ;   in Loop: Header=BB210_536 Depth=1
	v_add_co_u32_e32 v8, vcc, v4, v2
	v_addc_co_u32_e32 v9, vcc, 0, v5, vcc
	v_cmp_gt_u64_e32 vcc, s[62:63], v[8:9]
	s_mov_b64 s[36:37], 0
	s_and_saveexec_b64 s[34:35], vcc
	s_cbranch_execz .LBB210_546
; %bb.545:                              ;   in Loop: Header=BB210_536 Depth=1
	v_mul_lo_u32 v2, v9, s18
	v_mul_lo_u32 v20, v8, s19
	v_mad_u64_u32 v[18:19], s[42:43], v8, s18, 0
	v_add3_u32 v19, v19, v20, v2
	v_mul_lo_u32 v2, v9, s20
	v_mul_lo_u32 v20, v8, s21
	v_mad_u64_u32 v[8:9], s[42:43], v8, s20, 0
	v_lshlrev_b64 v[18:19], 1, v[18:19]
	v_add3_u32 v9, v9, v20, v2
	v_mov_b32_e32 v2, s39
	v_add_co_u32_e32 v18, vcc, s38, v18
	v_addc_co_u32_e32 v19, vcc, v2, v19, vcc
	v_lshlrev_b64 v[8:9], 3, v[8:9]
	v_mov_b32_e32 v2, s41
	v_add_co_u32_e32 v8, vcc, s40, v8
	s_mov_b64 s[36:37], exec
	v_addc_co_u32_e32 v9, vcc, v2, v9, vcc
	global_store_short v[18:19], v15, off
	global_store_dwordx2 v[8:9], v[0:1], off
.LBB210_546:                            ;   in Loop: Header=BB210_536 Depth=1
	s_or_b64 exec, exec, s[34:35]
	s_xor_b64 s[34:35], exec, -1
	s_orn2_b64 s[36:37], s[36:37], exec
.LBB210_547:                            ;   in Loop: Header=BB210_536 Depth=1
	s_or_b64 exec, exec, s[30:31]
	s_and_saveexec_b64 s[30:31], s[36:37]
	s_cbranch_execz .LBB210_534
; %bb.548:                              ;   in Loop: Header=BB210_536 Depth=1
	v_cmp_le_u64_e32 vcc, s[16:17], v[6:7]
	s_or_b64 s[34:35], s[34:35], exec
	s_orn2_b64 s[28:29], vcc, exec
	s_branch .LBB210_534
.LBB210_549:
	s_or_b64 s[6:7], s[6:7], exec
	s_trap 2
	s_branch .LBB210_511
.LBB210_550:
	s_or_b64 exec, exec, s[24:25]
	s_mov_b64 s[0:1], 0
	s_and_saveexec_b64 s[2:3], s[26:27]
	s_xor_b64 s[2:3], exec, s[2:3]
	s_cbranch_execnz .LBB210_556
.LBB210_551:
	s_or_b64 exec, exec, s[2:3]
	s_and_b64 s[2:3], s[0:1], exec
.LBB210_552:
	s_or_b64 exec, exec, s[22:23]
	s_and_b64 s[2:3], s[2:3], exec
	s_andn2_b64 s[4:5], s[4:5], exec
	s_or_b64 exec, exec, s[6:7]
	s_and_saveexec_b64 s[0:1], s[4:5]
	s_xor_b64 s[0:1], exec, s[0:1]
	s_cbranch_execz .LBB210_505
.LBB210_553:
	s_trap 2
	s_or_b64 s[2:3], s[2:3], exec
	s_branch .LBB210_505
.LBB210_554:
	s_or_b64 s[6:7], s[6:7], exec
	s_trap 2
	s_branch .LBB210_509
.LBB210_555:
	s_trap 2
	s_or_b64 s[6:7], s[6:7], exec
	s_branch .LBB210_507
.LBB210_556:
	s_mov_b64 s[0:1], exec
	s_trap 2
	s_branch .LBB210_551
	.section	.rodata,"a",@progbits
	.p2align	6, 0x0
	.amdhsa_kernel _ZN2at6native6sbtopk10gatherTopKIN3c104HalfEmLi3ELb0EEEvNS_4cuda6detail10TensorInfoIKT_T0_EESA_SA_bSA_SA_NS7_IS8_SA_EESA_NS7_IlSA_EESA_PS8_
		.amdhsa_group_segment_fixed_size 5152
		.amdhsa_private_segment_fixed_size 0
		.amdhsa_kernarg_size 1568
		.amdhsa_user_sgpr_count 6
		.amdhsa_user_sgpr_private_segment_buffer 1
		.amdhsa_user_sgpr_dispatch_ptr 0
		.amdhsa_user_sgpr_queue_ptr 0
		.amdhsa_user_sgpr_kernarg_segment_ptr 1
		.amdhsa_user_sgpr_dispatch_id 0
		.amdhsa_user_sgpr_flat_scratch_init 0
		.amdhsa_user_sgpr_kernarg_preload_length 0
		.amdhsa_user_sgpr_kernarg_preload_offset 0
		.amdhsa_user_sgpr_private_segment_size 0
		.amdhsa_uses_dynamic_stack 0
		.amdhsa_system_sgpr_private_segment_wavefront_offset 0
		.amdhsa_system_sgpr_workgroup_id_x 1
		.amdhsa_system_sgpr_workgroup_id_y 1
		.amdhsa_system_sgpr_workgroup_id_z 1
		.amdhsa_system_sgpr_workgroup_info 0
		.amdhsa_system_vgpr_workitem_id 0
		.amdhsa_next_free_vgpr 50
		.amdhsa_next_free_sgpr 96
		.amdhsa_accum_offset 52
		.amdhsa_reserve_vcc 1
		.amdhsa_reserve_flat_scratch 0
		.amdhsa_float_round_mode_32 0
		.amdhsa_float_round_mode_16_64 0
		.amdhsa_float_denorm_mode_32 3
		.amdhsa_float_denorm_mode_16_64 3
		.amdhsa_dx10_clamp 1
		.amdhsa_ieee_mode 1
		.amdhsa_fp16_overflow 0
		.amdhsa_tg_split 0
		.amdhsa_exception_fp_ieee_invalid_op 0
		.amdhsa_exception_fp_denorm_src 0
		.amdhsa_exception_fp_ieee_div_zero 0
		.amdhsa_exception_fp_ieee_overflow 0
		.amdhsa_exception_fp_ieee_underflow 0
		.amdhsa_exception_fp_ieee_inexact 0
		.amdhsa_exception_int_div_zero 0
	.end_amdhsa_kernel
	.section	.text._ZN2at6native6sbtopk10gatherTopKIN3c104HalfEmLi3ELb0EEEvNS_4cuda6detail10TensorInfoIKT_T0_EESA_SA_bSA_SA_NS7_IS8_SA_EESA_NS7_IlSA_EESA_PS8_,"axG",@progbits,_ZN2at6native6sbtopk10gatherTopKIN3c104HalfEmLi3ELb0EEEvNS_4cuda6detail10TensorInfoIKT_T0_EESA_SA_bSA_SA_NS7_IS8_SA_EESA_NS7_IlSA_EESA_PS8_,comdat
.Lfunc_end210:
	.size	_ZN2at6native6sbtopk10gatherTopKIN3c104HalfEmLi3ELb0EEEvNS_4cuda6detail10TensorInfoIKT_T0_EESA_SA_bSA_SA_NS7_IS8_SA_EESA_NS7_IlSA_EESA_PS8_, .Lfunc_end210-_ZN2at6native6sbtopk10gatherTopKIN3c104HalfEmLi3ELb0EEEvNS_4cuda6detail10TensorInfoIKT_T0_EESA_SA_bSA_SA_NS7_IS8_SA_EESA_NS7_IlSA_EESA_PS8_
                                        ; -- End function
	.section	.AMDGPU.csdata,"",@progbits
; Kernel info:
; codeLenInByte = 28596
; NumSgprs: 100
; NumVgprs: 50
; NumAgprs: 0
; TotalNumVgprs: 50
; ScratchSize: 0
; MemoryBound: 0
; FloatMode: 240
; IeeeMode: 1
; LDSByteSize: 5152 bytes/workgroup (compile time only)
; SGPRBlocks: 12
; VGPRBlocks: 6
; NumSGPRsForWavesPerEU: 100
; NumVGPRsForWavesPerEU: 50
; AccumOffset: 52
; Occupancy: 8
; WaveLimiterHint : 1
; COMPUTE_PGM_RSRC2:SCRATCH_EN: 0
; COMPUTE_PGM_RSRC2:USER_SGPR: 6
; COMPUTE_PGM_RSRC2:TRAP_HANDLER: 0
; COMPUTE_PGM_RSRC2:TGID_X_EN: 1
; COMPUTE_PGM_RSRC2:TGID_Y_EN: 1
; COMPUTE_PGM_RSRC2:TGID_Z_EN: 1
; COMPUTE_PGM_RSRC2:TIDIG_COMP_CNT: 0
; COMPUTE_PGM_RSRC3_GFX90A:ACCUM_OFFSET: 12
; COMPUTE_PGM_RSRC3_GFX90A:TG_SPLIT: 0
	.section	.text._ZN2at6native6mbtopk23computeBlockDigitCountsIN3c104HalfEmjLin1EEEvNS_4cuda6detail10TensorInfoIKT_T0_EEjPjjSA_iijT1_PSD_Ps,"axG",@progbits,_ZN2at6native6mbtopk23computeBlockDigitCountsIN3c104HalfEmjLin1EEEvNS_4cuda6detail10TensorInfoIKT_T0_EEjPjjSA_iijT1_PSD_Ps,comdat
	.protected	_ZN2at6native6mbtopk23computeBlockDigitCountsIN3c104HalfEmjLin1EEEvNS_4cuda6detail10TensorInfoIKT_T0_EEjPjjSA_iijT1_PSD_Ps ; -- Begin function _ZN2at6native6mbtopk23computeBlockDigitCountsIN3c104HalfEmjLin1EEEvNS_4cuda6detail10TensorInfoIKT_T0_EEjPjjSA_iijT1_PSD_Ps
	.globl	_ZN2at6native6mbtopk23computeBlockDigitCountsIN3c104HalfEmjLin1EEEvNS_4cuda6detail10TensorInfoIKT_T0_EEjPjjSA_iijT1_PSD_Ps
	.p2align	8
	.type	_ZN2at6native6mbtopk23computeBlockDigitCountsIN3c104HalfEmjLin1EEEvNS_4cuda6detail10TensorInfoIKT_T0_EEjPjjSA_iijT1_PSD_Ps,@function
_ZN2at6native6mbtopk23computeBlockDigitCountsIN3c104HalfEmjLin1EEEvNS_4cuda6detail10TensorInfoIKT_T0_EEjPjjSA_iijT1_PSD_Ps: ; @_ZN2at6native6mbtopk23computeBlockDigitCountsIN3c104HalfEmjLin1EEEvNS_4cuda6detail10TensorInfoIKT_T0_EEjPjjSA_iijT1_PSD_Ps
; %bb.0:
	s_load_dwordx4 s[12:15], s[4:5], 0x1c0
	s_load_dword s2, s[4:5], 0x1b0
	s_load_dwordx2 s[0:1], s[4:5], 0x1e0
	s_mov_b32 s9, 0
	s_waitcnt lgkmcnt(0)
	v_cvt_f32_u32_e32 v1, s14
	s_sub_i32 s3, 0, s14
	s_mul_i32 s1, s1, s8
	s_add_i32 s1, s1, s7
	v_rcp_iflag_f32_e32 v1, v1
	s_mul_i32 s26, s1, s0
	s_add_i32 s26, s26, s6
	v_mul_f32_e32 v1, 0x4f7ffffe, v1
	v_cvt_u32_f32_e32 v1, v1
	v_readfirstlane_b32 s0, v1
	s_mul_i32 s3, s3, s0
	s_mul_hi_u32 s1, s0, s3
	s_add_i32 s0, s0, s1
	s_mul_hi_u32 s0, s26, s0
	s_mul_i32 s1, s0, s14
	s_sub_i32 s1, s26, s1
	s_add_i32 s3, s0, 1
	s_sub_i32 s6, s1, s14
	s_cmp_ge_u32 s1, s14
	s_cselect_b32 s0, s3, s0
	s_cselect_b32 s1, s6, s1
	s_add_i32 s3, s0, 1
	s_cmp_ge_u32 s1, s14
	s_cselect_b32 s8, s3, s0
	s_cmp_ge_u32 s8, s2
	s_cbranch_scc1 .LBB211_32
; %bb.1:
	s_load_dwordx4 s[0:3], s[4:5], 0x1d0
	s_load_dword s16, s[4:5], 0x198
	s_lshl_b64 s[6:7], s[8:9], 2
	s_mov_b64 s[20:21], s[8:9]
	s_waitcnt lgkmcnt(0)
	s_add_u32 s10, s0, s6
	s_addc_u32 s11, s1, s7
	s_cmp_lt_i32 s16, 2
	s_mov_b64 s[6:7], 0
	s_cbranch_scc1 .LBB211_9
; %bb.2:
	s_add_i32 s9, s16, 1
	s_add_i32 s0, s16, -1
	s_mov_b32 s16, 0
	s_mov_b32 s1, s16
	s_lshl_b64 s[0:1], s[0:1], 3
	s_add_u32 s0, s0, s4
	s_addc_u32 s1, s1, s5
	s_add_u32 s18, s0, 8
	s_addc_u32 s19, s1, 0
.LBB211_3:                              ; =>This Inner Loop Header: Depth=1
	s_load_dwordx2 s[22:23], s[18:19], 0x0
	s_waitcnt lgkmcnt(0)
	s_or_b64 s[0:1], s[20:21], s[22:23]
	s_mov_b32 s17, s1
	s_cmp_lg_u64 s[16:17], 0
	s_cbranch_scc0 .LBB211_8
; %bb.4:                                ;   in Loop: Header=BB211_3 Depth=1
	v_cvt_f32_u32_e32 v1, s22
	v_cvt_f32_u32_e32 v2, s23
	s_sub_u32 s0, 0, s22
	s_subb_u32 s1, 0, s23
	v_mac_f32_e32 v1, 0x4f800000, v2
	v_rcp_f32_e32 v1, v1
	v_mul_f32_e32 v1, 0x5f7ffffc, v1
	v_mul_f32_e32 v2, 0x2f800000, v1
	v_trunc_f32_e32 v2, v2
	v_mac_f32_e32 v1, 0xcf800000, v2
	v_cvt_u32_f32_e32 v2, v2
	v_cvt_u32_f32_e32 v1, v1
	v_readfirstlane_b32 s17, v2
	v_readfirstlane_b32 s24, v1
	s_mul_i32 s25, s0, s17
	s_mul_hi_u32 s28, s0, s24
	s_mul_i32 s27, s1, s24
	s_add_i32 s25, s28, s25
	s_mul_i32 s29, s0, s24
	s_add_i32 s25, s25, s27
	s_mul_hi_u32 s27, s24, s25
	s_mul_i32 s28, s24, s25
	s_mul_hi_u32 s24, s24, s29
	s_add_u32 s24, s24, s28
	s_addc_u32 s27, 0, s27
	s_mul_hi_u32 s30, s17, s29
	s_mul_i32 s29, s17, s29
	s_add_u32 s24, s24, s29
	s_mul_hi_u32 s28, s17, s25
	s_addc_u32 s24, s27, s30
	s_addc_u32 s27, s28, 0
	s_mul_i32 s25, s17, s25
	s_add_u32 s24, s24, s25
	s_addc_u32 s25, 0, s27
	v_add_co_u32_e32 v1, vcc, s24, v1
	s_cmp_lg_u64 vcc, 0
	s_addc_u32 s17, s17, s25
	v_readfirstlane_b32 s25, v1
	s_mul_i32 s24, s0, s17
	s_mul_hi_u32 s27, s0, s25
	s_add_i32 s24, s27, s24
	s_mul_i32 s1, s1, s25
	s_add_i32 s24, s24, s1
	s_mul_i32 s0, s0, s25
	s_mul_hi_u32 s27, s17, s0
	s_mul_i32 s28, s17, s0
	s_mul_i32 s30, s25, s24
	s_mul_hi_u32 s0, s25, s0
	s_mul_hi_u32 s29, s25, s24
	s_add_u32 s0, s0, s30
	s_addc_u32 s25, 0, s29
	s_add_u32 s0, s0, s28
	s_mul_hi_u32 s1, s17, s24
	s_addc_u32 s0, s25, s27
	s_addc_u32 s1, s1, 0
	s_mul_i32 s24, s17, s24
	s_add_u32 s0, s0, s24
	s_addc_u32 s1, 0, s1
	v_add_co_u32_e32 v1, vcc, s0, v1
	s_cmp_lg_u64 vcc, 0
	s_addc_u32 s0, s17, s1
	v_readfirstlane_b32 s24, v1
	s_mul_i32 s17, s20, s0
	s_mul_hi_u32 s25, s20, s24
	s_mul_hi_u32 s1, s20, s0
	s_add_u32 s17, s25, s17
	s_addc_u32 s1, 0, s1
	s_mul_hi_u32 s27, s21, s24
	s_mul_i32 s24, s21, s24
	s_add_u32 s17, s17, s24
	s_mul_hi_u32 s25, s21, s0
	s_addc_u32 s1, s1, s27
	s_addc_u32 s17, s25, 0
	s_mul_i32 s0, s21, s0
	s_add_u32 s24, s1, s0
	s_addc_u32 s17, 0, s17
	s_mul_i32 s0, s22, s17
	s_mul_hi_u32 s1, s22, s24
	s_add_i32 s0, s1, s0
	s_mul_i32 s1, s23, s24
	s_add_i32 s25, s0, s1
	s_mul_i32 s1, s22, s24
	v_mov_b32_e32 v1, s1
	s_sub_i32 s0, s21, s25
	v_sub_co_u32_e32 v1, vcc, s20, v1
	s_cmp_lg_u64 vcc, 0
	s_subb_u32 s27, s0, s23
	v_subrev_co_u32_e64 v2, s[0:1], s22, v1
	s_cmp_lg_u64 s[0:1], 0
	s_subb_u32 s0, s27, 0
	s_cmp_ge_u32 s0, s23
	v_readfirstlane_b32 s27, v2
	s_cselect_b32 s1, -1, 0
	s_cmp_ge_u32 s27, s22
	s_cselect_b32 s27, -1, 0
	s_cmp_eq_u32 s0, s23
	s_cselect_b32 s0, s27, s1
	s_add_u32 s1, s24, 1
	s_addc_u32 s27, s17, 0
	s_add_u32 s28, s24, 2
	s_addc_u32 s29, s17, 0
	s_cmp_lg_u32 s0, 0
	s_cselect_b32 s0, s28, s1
	s_cselect_b32 s1, s29, s27
	s_cmp_lg_u64 vcc, 0
	s_subb_u32 s25, s21, s25
	s_cmp_ge_u32 s25, s23
	v_readfirstlane_b32 s28, v1
	s_cselect_b32 s27, -1, 0
	s_cmp_ge_u32 s28, s22
	s_cselect_b32 s28, -1, 0
	s_cmp_eq_u32 s25, s23
	s_cselect_b32 s25, s28, s27
	s_cmp_lg_u32 s25, 0
	s_cselect_b32 s1, s1, s17
	s_cselect_b32 s0, s0, s24
	s_cbranch_execnz .LBB211_6
.LBB211_5:                              ;   in Loop: Header=BB211_3 Depth=1
	v_cvt_f32_u32_e32 v1, s22
	s_sub_i32 s0, 0, s22
	v_rcp_iflag_f32_e32 v1, v1
	v_mul_f32_e32 v1, 0x4f7ffffe, v1
	v_cvt_u32_f32_e32 v1, v1
	v_readfirstlane_b32 s1, v1
	s_mul_i32 s0, s0, s1
	s_mul_hi_u32 s0, s1, s0
	s_add_i32 s1, s1, s0
	s_mul_hi_u32 s0, s20, s1
	s_mul_i32 s17, s0, s22
	s_sub_i32 s17, s20, s17
	s_add_i32 s1, s0, 1
	s_sub_i32 s24, s17, s22
	s_cmp_ge_u32 s17, s22
	s_cselect_b32 s0, s1, s0
	s_cselect_b32 s17, s24, s17
	s_add_i32 s1, s0, 1
	s_cmp_ge_u32 s17, s22
	s_cselect_b32 s0, s1, s0
	s_mov_b32 s1, s16
.LBB211_6:                              ;   in Loop: Header=BB211_3 Depth=1
	s_mul_i32 s17, s0, s23
	s_mul_hi_u32 s23, s0, s22
	s_load_dwordx2 s[24:25], s[18:19], 0xc8
	s_add_i32 s17, s23, s17
	s_mul_i32 s23, s1, s22
	s_add_i32 s17, s17, s23
	s_mul_i32 s22, s0, s22
	s_sub_u32 s20, s20, s22
	s_subb_u32 s17, s21, s17
	s_waitcnt lgkmcnt(0)
	s_mul_i32 s17, s24, s17
	s_mul_hi_u32 s21, s24, s20
	s_add_i32 s17, s21, s17
	s_mul_i32 s21, s25, s20
	s_add_i32 s17, s17, s21
	s_mul_i32 s20, s24, s20
	s_add_u32 s6, s20, s6
	s_addc_u32 s7, s17, s7
	s_add_i32 s9, s9, -1
	s_add_u32 s18, s18, -8
	s_addc_u32 s19, s19, -1
	s_cmp_gt_u32 s9, 2
	s_cbranch_scc0 .LBB211_10
; %bb.7:                                ;   in Loop: Header=BB211_3 Depth=1
	s_mov_b64 s[20:21], s[0:1]
	s_branch .LBB211_3
.LBB211_8:                              ;   in Loop: Header=BB211_3 Depth=1
                                        ; implicit-def: $sgpr0_sgpr1
	s_branch .LBB211_5
.LBB211_9:
	s_mov_b64 s[0:1], s[20:21]
.LBB211_10:
	s_load_dword s16, s[10:11], 0x0
	s_movk_i32 s9, 0x100
	v_cmp_gt_u32_e32 vcc, s9, v0
	v_lshlrev_b32_e32 v1, 2, v0
	s_and_saveexec_b64 s[10:11], vcc
	s_cbranch_execz .LBB211_12
; %bb.11:
	v_mov_b32_e32 v2, 0
	ds_write_b32 v1, v2
.LBB211_12:
	s_or_b64 exec, exec, s[10:11]
	s_load_dword s10, s[4:5], 0x1a0
	s_mul_i32 s8, s8, s14
	s_sub_i32 s8, s26, s8
	s_add_i32 s9, s8, 1
	s_mul_i32 s8, s13, s8
	s_lshl_b32 s17, s8, 8
	s_waitcnt lgkmcnt(0)
	s_sub_i32 s8, s10, s17
	s_add_u32 s8, s8, 0xff
	s_addc_u32 s11, 0, 0
	v_mov_b32_e32 v2, s8
	v_alignbit_b32 v2, s11, v2, 8
	s_cmp_lt_u32 s9, s14
	v_readfirstlane_b32 s8, v2
	s_cselect_b32 s11, s13, s8
	s_cmp_lt_i32 s11, 1
	s_mov_b32 s14, 0
	s_barrier
	s_cbranch_scc1 .LBB211_28
; %bb.13:
	s_load_dwordx2 s[18:19], s[4:5], 0xd0
	s_load_dwordx2 s[8:9], s[4:5], 0x1b8
	;; [unrolled: 1-line block ×3, first 2 shown]
	v_add_u32_e32 v2, s17, v0
	s_waitcnt lgkmcnt(0)
	s_mul_i32 s1, s18, s1
	s_mul_hi_u32 s4, s18, s0
	s_mul_i32 s5, s19, s0
	s_add_i32 s1, s4, s1
	s_add_i32 s1, s1, s5
	s_mul_i32 s0, s18, s0
	s_lshl_b64 s[0:1], s[0:1], 1
	s_add_u32 s4, s20, s0
	s_addc_u32 s5, s21, s1
	s_lshl_b64 s[0:1], s[6:7], 1
	s_add_u32 s7, s4, s0
	s_addc_u32 s13, s5, s1
	s_and_b32 s6, s12, 0xff
	s_cmp_eq_u32 s11, 1
	s_cbranch_scc1 .LBB211_23
; %bb.14:
	s_and_b32 s12, s11, 0x7ffffffe
	v_mov_b32_e32 v3, 1
	v_mov_b32_e32 v4, 0xffff
	v_mov_b32_e32 v5, 0x8000
	v_mov_b32_e32 v6, v2
	s_branch .LBB211_16
.LBB211_15:                             ;   in Loop: Header=BB211_16 Depth=1
	s_or_b64 exec, exec, s[4:5]
	s_add_i32 s14, s14, 2
	s_cmp_eq_u32 s12, s14
	v_add_u32_e32 v6, 0x200, v6
	s_cbranch_scc1 .LBB211_22
.LBB211_16:                             ; =>This Inner Loop Header: Depth=1
	v_cmp_gt_u32_e64 s[0:1], s10, v6
	s_and_saveexec_b64 s[4:5], s[0:1]
	s_cbranch_execz .LBB211_19
; %bb.17:                               ;   in Loop: Header=BB211_16 Depth=1
	v_mad_u64_u32 v[8:9], s[0:1], v6, s8, 0
	v_mov_b32_e32 v10, v9
	v_mad_u64_u32 v[10:11], s[0:1], v6, s9, v[10:11]
	v_mov_b32_e32 v9, v10
	v_lshlrev_b64 v[8:9], 1, v[8:9]
	v_mov_b32_e32 v7, s13
	v_add_co_u32_e64 v8, s[0:1], s7, v8
	v_addc_co_u32_e64 v9, s[0:1], v7, v9, s[0:1]
	global_load_ushort v7, v[8:9], off
	s_waitcnt vmcnt(0)
	v_cmp_lt_i16_e64 s[0:1], -1, v7
	v_cndmask_b32_e64 v8, v4, v5, s[0:1]
	v_xor_b32_sdwa v8, v8, v7 dst_sel:DWORD dst_unused:UNUSED_PAD src0_sel:DWORD src1_sel:WORD_0
	v_cmp_o_f16_e64 s[0:1], v7, v7
	v_cndmask_b32_e64 v7, v4, v8, s[0:1]
	v_xor_b32_e32 v8, s16, v7
	v_and_b32_e32 v8, s15, v8
	v_cmp_eq_u32_e64 s[0:1], 0, v8
	s_and_b64 exec, exec, s[0:1]
	s_cbranch_execz .LBB211_19
; %bb.18:                               ;   in Loop: Header=BB211_16 Depth=1
	v_bfe_u32 v7, v7, s6, 8
	v_lshlrev_b32_e32 v7, 2, v7
	ds_add_u32 v7, v3
.LBB211_19:                             ;   in Loop: Header=BB211_16 Depth=1
	s_or_b64 exec, exec, s[4:5]
	v_add_u32_e32 v7, 0x100, v6
	v_cmp_gt_u32_e64 s[0:1], s10, v7
	s_and_saveexec_b64 s[4:5], s[0:1]
	s_cbranch_execz .LBB211_15
; %bb.20:                               ;   in Loop: Header=BB211_16 Depth=1
	v_mad_u64_u32 v[8:9], s[0:1], v7, s8, 0
	v_mov_b32_e32 v10, v9
	v_mad_u64_u32 v[10:11], s[0:1], v7, s9, v[10:11]
	v_mov_b32_e32 v9, v10
	v_lshlrev_b64 v[8:9], 1, v[8:9]
	v_mov_b32_e32 v7, s13
	v_add_co_u32_e64 v8, s[0:1], s7, v8
	v_addc_co_u32_e64 v9, s[0:1], v7, v9, s[0:1]
	global_load_ushort v7, v[8:9], off
	s_waitcnt vmcnt(0)
	v_cmp_lt_i16_e64 s[0:1], -1, v7
	v_cndmask_b32_e64 v8, v4, v5, s[0:1]
	v_xor_b32_sdwa v8, v8, v7 dst_sel:DWORD dst_unused:UNUSED_PAD src0_sel:DWORD src1_sel:WORD_0
	v_cmp_o_f16_e64 s[0:1], v7, v7
	v_cndmask_b32_e64 v7, v4, v8, s[0:1]
	v_xor_b32_e32 v8, s16, v7
	v_and_b32_e32 v8, s15, v8
	v_cmp_eq_u32_e64 s[0:1], 0, v8
	s_and_b64 exec, exec, s[0:1]
	s_cbranch_execz .LBB211_15
; %bb.21:                               ;   in Loop: Header=BB211_16 Depth=1
	v_bfe_u32 v7, v7, s6, 8
	v_lshlrev_b32_e32 v7, 2, v7
	ds_add_u32 v7, v3
	s_branch .LBB211_15
.LBB211_22:
	s_lshl_b32 s14, s12, 8
.LBB211_23:
	s_bitcmp0_b32 s11, 0
	s_cbranch_scc1 .LBB211_28
; %bb.24:
	v_add_u32_e32 v2, s14, v2
	v_cmp_gt_u32_e64 s[0:1], s10, v2
	s_and_saveexec_b64 s[4:5], s[0:1]
	s_cbranch_execz .LBB211_27
; %bb.25:
	v_mad_u64_u32 v[4:5], s[0:1], v2, s8, 0
	v_mov_b32_e32 v6, v5
	v_mad_u64_u32 v[2:3], s[0:1], v2, s9, v[6:7]
	v_mov_b32_e32 v5, v2
	v_lshlrev_b64 v[2:3], 1, v[4:5]
	v_mov_b32_e32 v4, s13
	v_add_co_u32_e64 v2, s[0:1], s7, v2
	v_addc_co_u32_e64 v3, s[0:1], v4, v3, s[0:1]
	global_load_ushort v2, v[2:3], off
	v_mov_b32_e32 v3, 0xffff
	v_mov_b32_e32 v4, 0x8000
	s_waitcnt vmcnt(0)
	v_cmp_lt_i16_e64 s[0:1], -1, v2
	v_cndmask_b32_e64 v4, v3, v4, s[0:1]
	v_xor_b32_sdwa v4, v4, v2 dst_sel:DWORD dst_unused:UNUSED_PAD src0_sel:DWORD src1_sel:WORD_0
	v_cmp_o_f16_e64 s[0:1], v2, v2
	v_cndmask_b32_e64 v2, v3, v4, s[0:1]
	v_xor_b32_e32 v3, s16, v2
	v_and_b32_e32 v3, s15, v3
	v_cmp_eq_u32_e64 s[0:1], 0, v3
	s_and_b64 exec, exec, s[0:1]
	s_cbranch_execz .LBB211_27
; %bb.26:
	v_bfe_u32 v2, v2, s6, 8
	v_lshlrev_b32_e32 v2, 2, v2
	v_mov_b32_e32 v3, 1
	ds_add_u32 v2, v3
.LBB211_27:
	s_or_b64 exec, exec, s[4:5]
.LBB211_28:
	v_mov_b32_e32 v2, 0
	s_waitcnt lgkmcnt(0)
	s_barrier
	s_and_saveexec_b64 s[0:1], vcc
	s_cbranch_execz .LBB211_30
; %bb.29:
	ds_read_b32 v2, v1
.LBB211_30:
	s_or_b64 exec, exec, s[0:1]
	s_and_saveexec_b64 s[0:1], vcc
	s_cbranch_execz .LBB211_32
; %bb.31:
	v_lshl_or_b32 v0, s26, 8, v0
	v_mov_b32_e32 v1, 0
	v_lshlrev_b64 v[0:1], 1, v[0:1]
	v_mov_b32_e32 v3, s3
	v_add_co_u32_e32 v0, vcc, s2, v0
	v_addc_co_u32_e32 v1, vcc, v3, v1, vcc
	s_waitcnt lgkmcnt(0)
	global_store_short v[0:1], v2, off
.LBB211_32:
	s_endpgm
	.section	.rodata,"a",@progbits
	.p2align	6, 0x0
	.amdhsa_kernel _ZN2at6native6mbtopk23computeBlockDigitCountsIN3c104HalfEmjLin1EEEvNS_4cuda6detail10TensorInfoIKT_T0_EEjPjjSA_iijT1_PSD_Ps
		.amdhsa_group_segment_fixed_size 1024
		.amdhsa_private_segment_fixed_size 0
		.amdhsa_kernarg_size 736
		.amdhsa_user_sgpr_count 6
		.amdhsa_user_sgpr_private_segment_buffer 1
		.amdhsa_user_sgpr_dispatch_ptr 0
		.amdhsa_user_sgpr_queue_ptr 0
		.amdhsa_user_sgpr_kernarg_segment_ptr 1
		.amdhsa_user_sgpr_dispatch_id 0
		.amdhsa_user_sgpr_flat_scratch_init 0
		.amdhsa_user_sgpr_kernarg_preload_length 0
		.amdhsa_user_sgpr_kernarg_preload_offset 0
		.amdhsa_user_sgpr_private_segment_size 0
		.amdhsa_uses_dynamic_stack 0
		.amdhsa_system_sgpr_private_segment_wavefront_offset 0
		.amdhsa_system_sgpr_workgroup_id_x 1
		.amdhsa_system_sgpr_workgroup_id_y 1
		.amdhsa_system_sgpr_workgroup_id_z 1
		.amdhsa_system_sgpr_workgroup_info 0
		.amdhsa_system_vgpr_workitem_id 0
		.amdhsa_next_free_vgpr 12
		.amdhsa_next_free_sgpr 31
		.amdhsa_accum_offset 12
		.amdhsa_reserve_vcc 1
		.amdhsa_reserve_flat_scratch 0
		.amdhsa_float_round_mode_32 0
		.amdhsa_float_round_mode_16_64 0
		.amdhsa_float_denorm_mode_32 3
		.amdhsa_float_denorm_mode_16_64 3
		.amdhsa_dx10_clamp 1
		.amdhsa_ieee_mode 1
		.amdhsa_fp16_overflow 0
		.amdhsa_tg_split 0
		.amdhsa_exception_fp_ieee_invalid_op 0
		.amdhsa_exception_fp_denorm_src 0
		.amdhsa_exception_fp_ieee_div_zero 0
		.amdhsa_exception_fp_ieee_overflow 0
		.amdhsa_exception_fp_ieee_underflow 0
		.amdhsa_exception_fp_ieee_inexact 0
		.amdhsa_exception_int_div_zero 0
	.end_amdhsa_kernel
	.section	.text._ZN2at6native6mbtopk23computeBlockDigitCountsIN3c104HalfEmjLin1EEEvNS_4cuda6detail10TensorInfoIKT_T0_EEjPjjSA_iijT1_PSD_Ps,"axG",@progbits,_ZN2at6native6mbtopk23computeBlockDigitCountsIN3c104HalfEmjLin1EEEvNS_4cuda6detail10TensorInfoIKT_T0_EEjPjjSA_iijT1_PSD_Ps,comdat
.Lfunc_end211:
	.size	_ZN2at6native6mbtopk23computeBlockDigitCountsIN3c104HalfEmjLin1EEEvNS_4cuda6detail10TensorInfoIKT_T0_EEjPjjSA_iijT1_PSD_Ps, .Lfunc_end211-_ZN2at6native6mbtopk23computeBlockDigitCountsIN3c104HalfEmjLin1EEEvNS_4cuda6detail10TensorInfoIKT_T0_EEjPjjSA_iijT1_PSD_Ps
                                        ; -- End function
	.section	.AMDGPU.csdata,"",@progbits
; Kernel info:
; codeLenInByte = 1864
; NumSgprs: 35
; NumVgprs: 12
; NumAgprs: 0
; TotalNumVgprs: 12
; ScratchSize: 0
; MemoryBound: 0
; FloatMode: 240
; IeeeMode: 1
; LDSByteSize: 1024 bytes/workgroup (compile time only)
; SGPRBlocks: 4
; VGPRBlocks: 1
; NumSGPRsForWavesPerEU: 35
; NumVGPRsForWavesPerEU: 12
; AccumOffset: 12
; Occupancy: 8
; WaveLimiterHint : 0
; COMPUTE_PGM_RSRC2:SCRATCH_EN: 0
; COMPUTE_PGM_RSRC2:USER_SGPR: 6
; COMPUTE_PGM_RSRC2:TRAP_HANDLER: 0
; COMPUTE_PGM_RSRC2:TGID_X_EN: 1
; COMPUTE_PGM_RSRC2:TGID_Y_EN: 1
; COMPUTE_PGM_RSRC2:TGID_Z_EN: 1
; COMPUTE_PGM_RSRC2:TIDIG_COMP_CNT: 0
; COMPUTE_PGM_RSRC3_GFX90A:ACCUM_OFFSET: 2
; COMPUTE_PGM_RSRC3_GFX90A:TG_SPLIT: 0
	.section	.text._ZN2at6native6mbtopk10gatherTopKIN3c104HalfEmLin1EEEvNS_4cuda6detail10TensorInfoIKT_T0_EESA_SA_bjSA_NS7_IS8_SA_EESA_NS7_IlSA_EESA_jjPS8_PjSF_j,"axG",@progbits,_ZN2at6native6mbtopk10gatherTopKIN3c104HalfEmLin1EEEvNS_4cuda6detail10TensorInfoIKT_T0_EESA_SA_bjSA_NS7_IS8_SA_EESA_NS7_IlSA_EESA_jjPS8_PjSF_j,comdat
	.protected	_ZN2at6native6mbtopk10gatherTopKIN3c104HalfEmLin1EEEvNS_4cuda6detail10TensorInfoIKT_T0_EESA_SA_bjSA_NS7_IS8_SA_EESA_NS7_IlSA_EESA_jjPS8_PjSF_j ; -- Begin function _ZN2at6native6mbtopk10gatherTopKIN3c104HalfEmLin1EEEvNS_4cuda6detail10TensorInfoIKT_T0_EESA_SA_bjSA_NS7_IS8_SA_EESA_NS7_IlSA_EESA_jjPS8_PjSF_j
	.globl	_ZN2at6native6mbtopk10gatherTopKIN3c104HalfEmLin1EEEvNS_4cuda6detail10TensorInfoIKT_T0_EESA_SA_bjSA_NS7_IS8_SA_EESA_NS7_IlSA_EESA_jjPS8_PjSF_j
	.p2align	8
	.type	_ZN2at6native6mbtopk10gatherTopKIN3c104HalfEmLin1EEEvNS_4cuda6detail10TensorInfoIKT_T0_EESA_SA_bjSA_NS7_IS8_SA_EESA_NS7_IlSA_EESA_jjPS8_PjSF_j,@function
_ZN2at6native6mbtopk10gatherTopKIN3c104HalfEmLin1EEEvNS_4cuda6detail10TensorInfoIKT_T0_EESA_SA_bjSA_NS7_IS8_SA_EESA_NS7_IlSA_EESA_jjPS8_PjSF_j: ; @_ZN2at6native6mbtopk10gatherTopKIN3c104HalfEmLin1EEEvNS_4cuda6detail10TensorInfoIKT_T0_EESA_SA_bjSA_NS7_IS8_SA_EESA_NS7_IlSA_EESA_jjPS8_PjSF_j
; %bb.0:
	s_load_dwordx2 s[0:1], s[4:5], 0x538
	s_load_dword s2, s[4:5], 0x530
	s_waitcnt lgkmcnt(0)
	s_mul_i32 s1, s1, s8
	s_add_i32 s1, s1, s7
	s_mul_i32 s0, s1, s0
	s_add_i32 s0, s0, s6
	s_cmp_ge_u32 s0, s2
	s_cbranch_scc1 .LBB212_67
; %bb.1:
	s_load_dwordx2 s[20:21], s[4:5], 0x510
	s_load_dwordx4 s[8:11], s[4:5], 0x1a0
	s_mov_b32 s3, 0
	s_waitcnt lgkmcnt(0)
	v_cvt_f32_u32_e32 v1, s21
	s_sub_i32 s2, 0, s21
	s_lshl_b32 s1, s20, 8
	v_rcp_iflag_f32_e32 v1, v1
	v_mul_f32_e32 v1, 0x4f7ffffe, v1
	v_cvt_u32_f32_e32 v1, v1
	v_readfirstlane_b32 s6, v1
	s_mul_i32 s2, s2, s6
	s_mul_hi_u32 s2, s6, s2
	s_add_i32 s6, s6, s2
	s_mul_hi_u32 s2, s0, s6
	s_mul_i32 s6, s2, s21
	s_sub_i32 s6, s0, s6
	s_add_i32 s7, s2, 1
	s_sub_i32 s12, s6, s21
	s_cmp_ge_u32 s6, s21
	s_cselect_b32 s2, s7, s2
	s_cselect_b32 s6, s12, s6
	s_add_i32 s7, s2, 1
	s_cmp_ge_u32 s6, s21
	s_cselect_b32 s2, s7, s2
	s_mul_i32 s22, s2, s21
	s_sub_i32 s54, s0, s22
	s_add_i32 s0, s54, 1
	s_cmp_lt_u32 s0, s21
	s_mul_i32 s33, s54, s1
	s_cbranch_scc1 .LBB212_3
; %bb.2:
	s_sub_u32 s0, s8, s33
	s_subb_u32 s1, s9, 0
	s_add_u32 s0, s0, 0xff
	s_addc_u32 s1, s1, 0
	s_ashr_i32 s6, s1, 31
	s_lshr_b32 s6, s6, 24
	s_add_u32 s0, s0, s6
	s_addc_u32 s1, s1, 0
	v_mov_b32_e32 v1, s0
	v_alignbit_b32 v1, s1, v1, 8
	v_readfirstlane_b32 s20, v1
.LBB212_3:
	s_load_dword s0, s[4:5], 0x198
	s_mov_b64 s[6:7], 0
	s_mov_b64 s[24:25], s[2:3]
	s_waitcnt lgkmcnt(0)
	s_cmp_lt_i32 s0, 2
	s_cbranch_scc1 .LBB212_11
; %bb.4:
	s_mov_b32 s12, 0
	s_add_i32 s23, s0, 1
	s_add_i32 s0, s0, -1
	s_mov_b32 s1, s12
	s_lshl_b64 s[0:1], s[0:1], 3
	s_add_u32 s0, s0, s4
	s_addc_u32 s1, s1, s5
	s_add_u32 s14, s0, 8
	s_addc_u32 s15, s1, 0
	s_mov_b64 s[16:17], s[2:3]
.LBB212_5:                              ; =>This Inner Loop Header: Depth=1
	s_load_dwordx2 s[18:19], s[14:15], 0x0
	s_waitcnt lgkmcnt(0)
	s_or_b64 s[0:1], s[16:17], s[18:19]
	s_mov_b32 s13, s1
	s_cmp_lg_u64 s[12:13], 0
	s_cbranch_scc0 .LBB212_10
; %bb.6:                                ;   in Loop: Header=BB212_5 Depth=1
	v_cvt_f32_u32_e32 v1, s18
	v_cvt_f32_u32_e32 v2, s19
	s_sub_u32 s0, 0, s18
	s_subb_u32 s1, 0, s19
	v_mac_f32_e32 v1, 0x4f800000, v2
	v_rcp_f32_e32 v1, v1
	v_mul_f32_e32 v1, 0x5f7ffffc, v1
	v_mul_f32_e32 v2, 0x2f800000, v1
	v_trunc_f32_e32 v2, v2
	v_mac_f32_e32 v1, 0xcf800000, v2
	v_cvt_u32_f32_e32 v2, v2
	v_cvt_u32_f32_e32 v1, v1
	v_readfirstlane_b32 s13, v2
	v_readfirstlane_b32 s24, v1
	s_mul_i32 s25, s0, s13
	s_mul_hi_u32 s27, s0, s24
	s_mul_i32 s26, s1, s24
	s_add_i32 s25, s27, s25
	s_mul_i32 s28, s0, s24
	s_add_i32 s25, s25, s26
	s_mul_hi_u32 s26, s24, s25
	s_mul_i32 s27, s24, s25
	s_mul_hi_u32 s24, s24, s28
	s_add_u32 s24, s24, s27
	s_addc_u32 s26, 0, s26
	s_mul_hi_u32 s29, s13, s28
	s_mul_i32 s28, s13, s28
	s_add_u32 s24, s24, s28
	s_mul_hi_u32 s27, s13, s25
	s_addc_u32 s24, s26, s29
	s_addc_u32 s26, s27, 0
	s_mul_i32 s25, s13, s25
	s_add_u32 s24, s24, s25
	s_addc_u32 s25, 0, s26
	v_add_co_u32_e32 v1, vcc, s24, v1
	s_cmp_lg_u64 vcc, 0
	s_addc_u32 s13, s13, s25
	v_readfirstlane_b32 s25, v1
	s_mul_i32 s24, s0, s13
	s_mul_hi_u32 s26, s0, s25
	s_add_i32 s24, s26, s24
	s_mul_i32 s1, s1, s25
	s_add_i32 s24, s24, s1
	s_mul_i32 s0, s0, s25
	s_mul_hi_u32 s26, s13, s0
	s_mul_i32 s27, s13, s0
	s_mul_i32 s29, s25, s24
	s_mul_hi_u32 s0, s25, s0
	s_mul_hi_u32 s28, s25, s24
	s_add_u32 s0, s0, s29
	s_addc_u32 s25, 0, s28
	s_add_u32 s0, s0, s27
	s_mul_hi_u32 s1, s13, s24
	s_addc_u32 s0, s25, s26
	s_addc_u32 s1, s1, 0
	s_mul_i32 s24, s13, s24
	s_add_u32 s0, s0, s24
	s_addc_u32 s1, 0, s1
	v_add_co_u32_e32 v1, vcc, s0, v1
	s_cmp_lg_u64 vcc, 0
	s_addc_u32 s0, s13, s1
	v_readfirstlane_b32 s24, v1
	s_mul_i32 s13, s16, s0
	s_mul_hi_u32 s25, s16, s24
	s_mul_hi_u32 s1, s16, s0
	s_add_u32 s13, s25, s13
	s_addc_u32 s1, 0, s1
	s_mul_hi_u32 s26, s17, s24
	s_mul_i32 s24, s17, s24
	s_add_u32 s13, s13, s24
	s_mul_hi_u32 s25, s17, s0
	s_addc_u32 s1, s1, s26
	s_addc_u32 s13, s25, 0
	s_mul_i32 s0, s17, s0
	s_add_u32 s24, s1, s0
	s_addc_u32 s13, 0, s13
	s_mul_i32 s0, s18, s13
	s_mul_hi_u32 s1, s18, s24
	s_add_i32 s0, s1, s0
	s_mul_i32 s1, s19, s24
	s_add_i32 s25, s0, s1
	s_mul_i32 s1, s18, s24
	v_mov_b32_e32 v1, s1
	s_sub_i32 s0, s17, s25
	v_sub_co_u32_e32 v1, vcc, s16, v1
	s_cmp_lg_u64 vcc, 0
	s_subb_u32 s26, s0, s19
	v_subrev_co_u32_e64 v2, s[0:1], s18, v1
	s_cmp_lg_u64 s[0:1], 0
	s_subb_u32 s0, s26, 0
	s_cmp_ge_u32 s0, s19
	v_readfirstlane_b32 s26, v2
	s_cselect_b32 s1, -1, 0
	s_cmp_ge_u32 s26, s18
	s_cselect_b32 s26, -1, 0
	s_cmp_eq_u32 s0, s19
	s_cselect_b32 s0, s26, s1
	s_add_u32 s1, s24, 1
	s_addc_u32 s26, s13, 0
	s_add_u32 s27, s24, 2
	s_addc_u32 s28, s13, 0
	s_cmp_lg_u32 s0, 0
	s_cselect_b32 s0, s27, s1
	s_cselect_b32 s1, s28, s26
	s_cmp_lg_u64 vcc, 0
	s_subb_u32 s25, s17, s25
	s_cmp_ge_u32 s25, s19
	v_readfirstlane_b32 s27, v1
	s_cselect_b32 s26, -1, 0
	s_cmp_ge_u32 s27, s18
	s_cselect_b32 s27, -1, 0
	s_cmp_eq_u32 s25, s19
	s_cselect_b32 s25, s27, s26
	s_cmp_lg_u32 s25, 0
	s_cselect_b32 s25, s1, s13
	s_cselect_b32 s24, s0, s24
	s_cbranch_execnz .LBB212_8
.LBB212_7:                              ;   in Loop: Header=BB212_5 Depth=1
	v_cvt_f32_u32_e32 v1, s18
	s_sub_i32 s0, 0, s18
	s_mov_b32 s25, s12
	v_rcp_iflag_f32_e32 v1, v1
	v_mul_f32_e32 v1, 0x4f7ffffe, v1
	v_cvt_u32_f32_e32 v1, v1
	v_readfirstlane_b32 s1, v1
	s_mul_i32 s0, s0, s1
	s_mul_hi_u32 s0, s1, s0
	s_add_i32 s1, s1, s0
	s_mul_hi_u32 s0, s16, s1
	s_mul_i32 s13, s0, s18
	s_sub_i32 s13, s16, s13
	s_add_i32 s1, s0, 1
	s_sub_i32 s24, s13, s18
	s_cmp_ge_u32 s13, s18
	s_cselect_b32 s0, s1, s0
	s_cselect_b32 s13, s24, s13
	s_add_i32 s1, s0, 1
	s_cmp_ge_u32 s13, s18
	s_cselect_b32 s24, s1, s0
.LBB212_8:                              ;   in Loop: Header=BB212_5 Depth=1
	s_mul_i32 s0, s24, s19
	s_mul_hi_u32 s1, s24, s18
	s_add_i32 s13, s1, s0
	s_load_dwordx2 s[0:1], s[14:15], 0xc8
	s_mul_i32 s19, s25, s18
	s_add_i32 s13, s13, s19
	s_mul_i32 s18, s24, s18
	s_sub_u32 s16, s16, s18
	s_subb_u32 s13, s17, s13
	s_waitcnt lgkmcnt(0)
	s_mul_i32 s13, s0, s13
	s_mul_hi_u32 s17, s0, s16
	s_add_i32 s13, s17, s13
	s_mul_i32 s1, s1, s16
	s_add_i32 s13, s13, s1
	s_mul_i32 s0, s0, s16
	s_add_u32 s6, s0, s6
	s_addc_u32 s7, s13, s7
	s_add_i32 s23, s23, -1
	s_add_u32 s14, s14, -8
	s_addc_u32 s15, s15, -1
	s_cmp_gt_u32 s23, 2
	s_cbranch_scc0 .LBB212_11
; %bb.9:                                ;   in Loop: Header=BB212_5 Depth=1
	s_mov_b64 s[16:17], s[24:25]
	s_branch .LBB212_5
.LBB212_10:                             ;   in Loop: Header=BB212_5 Depth=1
                                        ; implicit-def: $sgpr24_sgpr25
	s_branch .LBB212_7
.LBB212_11:
	s_load_dword s0, s[4:5], 0x358
	s_load_dwordx2 s[28:29], s[4:5], 0xd0
	s_add_u32 s12, s4, 0x1c0
	s_addc_u32 s13, s5, 0
	s_mov_b64 s[26:27], 0
	s_waitcnt lgkmcnt(0)
	s_cmp_lt_i32 s0, 2
	s_mov_b64 s[30:31], s[2:3]
	s_cbranch_scc1 .LBB212_19
; %bb.12:
	s_mov_b32 s14, 0
	s_add_i32 s23, s0, 1
	s_add_i32 s0, s0, -1
	s_mov_b32 s1, s14
	s_lshl_b64 s[0:1], s[0:1], 3
	s_add_u32 s0, s0, s12
	s_addc_u32 s1, s1, s13
	s_add_u32 s16, s0, 8
	s_addc_u32 s17, s1, 0
	s_mov_b64 s[18:19], s[2:3]
.LBB212_13:                             ; =>This Inner Loop Header: Depth=1
	s_load_dwordx2 s[34:35], s[16:17], 0x0
	s_waitcnt lgkmcnt(0)
	s_or_b64 s[0:1], s[18:19], s[34:35]
	s_mov_b32 s15, s1
	s_cmp_lg_u64 s[14:15], 0
	s_cbranch_scc0 .LBB212_18
; %bb.14:                               ;   in Loop: Header=BB212_13 Depth=1
	v_cvt_f32_u32_e32 v1, s34
	v_cvt_f32_u32_e32 v2, s35
	s_sub_u32 s0, 0, s34
	s_subb_u32 s1, 0, s35
	v_mac_f32_e32 v1, 0x4f800000, v2
	v_rcp_f32_e32 v1, v1
	v_mul_f32_e32 v1, 0x5f7ffffc, v1
	v_mul_f32_e32 v2, 0x2f800000, v1
	v_trunc_f32_e32 v2, v2
	v_mac_f32_e32 v1, 0xcf800000, v2
	v_cvt_u32_f32_e32 v2, v2
	v_cvt_u32_f32_e32 v1, v1
	v_readfirstlane_b32 s15, v2
	v_readfirstlane_b32 s30, v1
	s_mul_i32 s31, s0, s15
	s_mul_hi_u32 s37, s0, s30
	s_mul_i32 s36, s1, s30
	s_add_i32 s31, s37, s31
	s_mul_i32 s38, s0, s30
	s_add_i32 s31, s31, s36
	s_mul_hi_u32 s36, s30, s31
	s_mul_i32 s37, s30, s31
	s_mul_hi_u32 s30, s30, s38
	s_add_u32 s30, s30, s37
	s_addc_u32 s36, 0, s36
	s_mul_hi_u32 s39, s15, s38
	s_mul_i32 s38, s15, s38
	s_add_u32 s30, s30, s38
	s_mul_hi_u32 s37, s15, s31
	s_addc_u32 s30, s36, s39
	s_addc_u32 s36, s37, 0
	s_mul_i32 s31, s15, s31
	s_add_u32 s30, s30, s31
	s_addc_u32 s31, 0, s36
	v_add_co_u32_e32 v1, vcc, s30, v1
	s_cmp_lg_u64 vcc, 0
	s_addc_u32 s15, s15, s31
	v_readfirstlane_b32 s31, v1
	s_mul_i32 s30, s0, s15
	s_mul_hi_u32 s36, s0, s31
	s_add_i32 s30, s36, s30
	s_mul_i32 s1, s1, s31
	s_add_i32 s30, s30, s1
	s_mul_i32 s0, s0, s31
	s_mul_hi_u32 s36, s15, s0
	s_mul_i32 s37, s15, s0
	s_mul_i32 s39, s31, s30
	s_mul_hi_u32 s0, s31, s0
	s_mul_hi_u32 s38, s31, s30
	s_add_u32 s0, s0, s39
	s_addc_u32 s31, 0, s38
	s_add_u32 s0, s0, s37
	s_mul_hi_u32 s1, s15, s30
	s_addc_u32 s0, s31, s36
	s_addc_u32 s1, s1, 0
	s_mul_i32 s30, s15, s30
	s_add_u32 s0, s0, s30
	s_addc_u32 s1, 0, s1
	v_add_co_u32_e32 v1, vcc, s0, v1
	s_cmp_lg_u64 vcc, 0
	s_addc_u32 s0, s15, s1
	v_readfirstlane_b32 s30, v1
	s_mul_i32 s15, s18, s0
	s_mul_hi_u32 s31, s18, s30
	s_mul_hi_u32 s1, s18, s0
	s_add_u32 s15, s31, s15
	s_addc_u32 s1, 0, s1
	s_mul_hi_u32 s36, s19, s30
	s_mul_i32 s30, s19, s30
	s_add_u32 s15, s15, s30
	s_mul_hi_u32 s31, s19, s0
	s_addc_u32 s1, s1, s36
	s_addc_u32 s15, s31, 0
	s_mul_i32 s0, s19, s0
	s_add_u32 s30, s1, s0
	s_addc_u32 s15, 0, s15
	s_mul_i32 s0, s34, s15
	s_mul_hi_u32 s1, s34, s30
	s_add_i32 s0, s1, s0
	s_mul_i32 s1, s35, s30
	s_add_i32 s31, s0, s1
	s_mul_i32 s1, s34, s30
	v_mov_b32_e32 v1, s1
	s_sub_i32 s0, s19, s31
	v_sub_co_u32_e32 v1, vcc, s18, v1
	s_cmp_lg_u64 vcc, 0
	s_subb_u32 s36, s0, s35
	v_subrev_co_u32_e64 v2, s[0:1], s34, v1
	s_cmp_lg_u64 s[0:1], 0
	s_subb_u32 s0, s36, 0
	s_cmp_ge_u32 s0, s35
	v_readfirstlane_b32 s36, v2
	s_cselect_b32 s1, -1, 0
	s_cmp_ge_u32 s36, s34
	s_cselect_b32 s36, -1, 0
	s_cmp_eq_u32 s0, s35
	s_cselect_b32 s0, s36, s1
	s_add_u32 s1, s30, 1
	s_addc_u32 s36, s15, 0
	s_add_u32 s37, s30, 2
	s_addc_u32 s38, s15, 0
	s_cmp_lg_u32 s0, 0
	s_cselect_b32 s0, s37, s1
	s_cselect_b32 s1, s38, s36
	s_cmp_lg_u64 vcc, 0
	s_subb_u32 s31, s19, s31
	s_cmp_ge_u32 s31, s35
	v_readfirstlane_b32 s37, v1
	s_cselect_b32 s36, -1, 0
	s_cmp_ge_u32 s37, s34
	s_cselect_b32 s37, -1, 0
	s_cmp_eq_u32 s31, s35
	s_cselect_b32 s31, s37, s36
	s_cmp_lg_u32 s31, 0
	s_cselect_b32 s31, s1, s15
	s_cselect_b32 s30, s0, s30
	s_cbranch_execnz .LBB212_16
.LBB212_15:                             ;   in Loop: Header=BB212_13 Depth=1
	v_cvt_f32_u32_e32 v1, s34
	s_sub_i32 s0, 0, s34
	s_mov_b32 s31, s14
	v_rcp_iflag_f32_e32 v1, v1
	v_mul_f32_e32 v1, 0x4f7ffffe, v1
	v_cvt_u32_f32_e32 v1, v1
	v_readfirstlane_b32 s1, v1
	s_mul_i32 s0, s0, s1
	s_mul_hi_u32 s0, s1, s0
	s_add_i32 s1, s1, s0
	s_mul_hi_u32 s0, s18, s1
	s_mul_i32 s15, s0, s34
	s_sub_i32 s15, s18, s15
	s_add_i32 s1, s0, 1
	s_sub_i32 s30, s15, s34
	s_cmp_ge_u32 s15, s34
	s_cselect_b32 s0, s1, s0
	s_cselect_b32 s15, s30, s15
	s_add_i32 s1, s0, 1
	s_cmp_ge_u32 s15, s34
	s_cselect_b32 s30, s1, s0
.LBB212_16:                             ;   in Loop: Header=BB212_13 Depth=1
	s_mul_i32 s0, s30, s35
	s_mul_hi_u32 s1, s30, s34
	s_add_i32 s15, s1, s0
	s_load_dwordx2 s[0:1], s[16:17], 0xc8
	s_mul_i32 s35, s31, s34
	s_add_i32 s15, s15, s35
	s_mul_i32 s34, s30, s34
	s_sub_u32 s18, s18, s34
	s_subb_u32 s15, s19, s15
	s_waitcnt lgkmcnt(0)
	s_mul_i32 s15, s0, s15
	s_mul_hi_u32 s19, s0, s18
	s_add_i32 s15, s19, s15
	s_mul_i32 s1, s1, s18
	s_add_i32 s15, s15, s1
	s_mul_i32 s0, s0, s18
	s_add_u32 s26, s0, s26
	s_addc_u32 s27, s15, s27
	s_add_i32 s23, s23, -1
	s_add_u32 s16, s16, -8
	s_addc_u32 s17, s17, -1
	s_cmp_gt_u32 s23, 2
	s_cbranch_scc0 .LBB212_19
; %bb.17:                               ;   in Loop: Header=BB212_13 Depth=1
	s_mov_b64 s[18:19], s[30:31]
	s_branch .LBB212_13
.LBB212_18:                             ;   in Loop: Header=BB212_13 Depth=1
                                        ; implicit-def: $sgpr30_sgpr31
	s_branch .LBB212_15
.LBB212_19:
	s_load_dword s14, s[4:5], 0x500
	s_load_dwordx2 s[36:37], s[12:13], 0xd0
	s_add_u32 s0, s4, 0x368
	s_addc_u32 s1, s5, 0
	s_mov_b64 s[34:35], 0
	s_waitcnt lgkmcnt(0)
	s_cmp_lt_i32 s14, 2
	s_cbranch_scc1 .LBB212_27
; %bb.20:
	s_mov_b32 s12, 0
	s_add_i32 s23, s14, 1
	s_add_i32 s14, s14, -1
	s_mov_b32 s15, s12
	s_lshl_b64 s[14:15], s[14:15], 3
	s_add_u32 s0, s14, s0
	s_addc_u32 s1, s15, s1
	s_add_u32 s14, s0, 8
	s_addc_u32 s15, s1, 0
	s_mov_b64 s[16:17], s[2:3]
.LBB212_21:                             ; =>This Inner Loop Header: Depth=1
	s_load_dwordx2 s[18:19], s[14:15], 0x0
	s_waitcnt lgkmcnt(0)
	s_or_b64 s[0:1], s[16:17], s[18:19]
	s_mov_b32 s13, s1
	s_cmp_lg_u64 s[12:13], 0
	s_cbranch_scc0 .LBB212_26
; %bb.22:                               ;   in Loop: Header=BB212_21 Depth=1
	v_cvt_f32_u32_e32 v1, s18
	v_cvt_f32_u32_e32 v2, s19
	s_sub_u32 s0, 0, s18
	s_subb_u32 s1, 0, s19
	v_mac_f32_e32 v1, 0x4f800000, v2
	v_rcp_f32_e32 v1, v1
	v_mul_f32_e32 v1, 0x5f7ffffc, v1
	v_mul_f32_e32 v2, 0x2f800000, v1
	v_trunc_f32_e32 v2, v2
	v_mac_f32_e32 v1, 0xcf800000, v2
	v_cvt_u32_f32_e32 v2, v2
	v_cvt_u32_f32_e32 v1, v1
	v_readfirstlane_b32 s13, v2
	v_readfirstlane_b32 s38, v1
	s_mul_i32 s39, s0, s13
	s_mul_hi_u32 s41, s0, s38
	s_mul_i32 s40, s1, s38
	s_add_i32 s39, s41, s39
	s_mul_i32 s42, s0, s38
	s_add_i32 s39, s39, s40
	s_mul_hi_u32 s40, s38, s39
	s_mul_i32 s41, s38, s39
	s_mul_hi_u32 s38, s38, s42
	s_add_u32 s38, s38, s41
	s_addc_u32 s40, 0, s40
	s_mul_hi_u32 s43, s13, s42
	s_mul_i32 s42, s13, s42
	s_add_u32 s38, s38, s42
	s_mul_hi_u32 s41, s13, s39
	s_addc_u32 s38, s40, s43
	s_addc_u32 s40, s41, 0
	s_mul_i32 s39, s13, s39
	s_add_u32 s38, s38, s39
	s_addc_u32 s39, 0, s40
	v_add_co_u32_e32 v1, vcc, s38, v1
	s_cmp_lg_u64 vcc, 0
	s_addc_u32 s13, s13, s39
	v_readfirstlane_b32 s39, v1
	s_mul_i32 s38, s0, s13
	s_mul_hi_u32 s40, s0, s39
	s_add_i32 s38, s40, s38
	s_mul_i32 s1, s1, s39
	s_add_i32 s38, s38, s1
	s_mul_i32 s0, s0, s39
	s_mul_hi_u32 s40, s13, s0
	s_mul_i32 s41, s13, s0
	s_mul_i32 s43, s39, s38
	s_mul_hi_u32 s0, s39, s0
	s_mul_hi_u32 s42, s39, s38
	s_add_u32 s0, s0, s43
	s_addc_u32 s39, 0, s42
	s_add_u32 s0, s0, s41
	s_mul_hi_u32 s1, s13, s38
	s_addc_u32 s0, s39, s40
	s_addc_u32 s1, s1, 0
	s_mul_i32 s38, s13, s38
	s_add_u32 s0, s0, s38
	s_addc_u32 s1, 0, s1
	v_add_co_u32_e32 v1, vcc, s0, v1
	s_cmp_lg_u64 vcc, 0
	s_addc_u32 s0, s13, s1
	v_readfirstlane_b32 s38, v1
	s_mul_i32 s13, s16, s0
	s_mul_hi_u32 s39, s16, s38
	s_mul_hi_u32 s1, s16, s0
	s_add_u32 s13, s39, s13
	s_addc_u32 s1, 0, s1
	s_mul_hi_u32 s40, s17, s38
	s_mul_i32 s38, s17, s38
	s_add_u32 s13, s13, s38
	s_mul_hi_u32 s39, s17, s0
	s_addc_u32 s1, s1, s40
	s_addc_u32 s13, s39, 0
	s_mul_i32 s0, s17, s0
	s_add_u32 s38, s1, s0
	s_addc_u32 s13, 0, s13
	s_mul_i32 s0, s18, s13
	s_mul_hi_u32 s1, s18, s38
	s_add_i32 s0, s1, s0
	s_mul_i32 s1, s19, s38
	s_add_i32 s39, s0, s1
	s_mul_i32 s1, s18, s38
	v_mov_b32_e32 v1, s1
	s_sub_i32 s0, s17, s39
	v_sub_co_u32_e32 v1, vcc, s16, v1
	s_cmp_lg_u64 vcc, 0
	s_subb_u32 s40, s0, s19
	v_subrev_co_u32_e64 v2, s[0:1], s18, v1
	s_cmp_lg_u64 s[0:1], 0
	s_subb_u32 s0, s40, 0
	s_cmp_ge_u32 s0, s19
	v_readfirstlane_b32 s40, v2
	s_cselect_b32 s1, -1, 0
	s_cmp_ge_u32 s40, s18
	s_cselect_b32 s40, -1, 0
	s_cmp_eq_u32 s0, s19
	s_cselect_b32 s0, s40, s1
	s_add_u32 s1, s38, 1
	s_addc_u32 s40, s13, 0
	s_add_u32 s41, s38, 2
	s_addc_u32 s42, s13, 0
	s_cmp_lg_u32 s0, 0
	s_cselect_b32 s0, s41, s1
	s_cselect_b32 s1, s42, s40
	s_cmp_lg_u64 vcc, 0
	s_subb_u32 s39, s17, s39
	s_cmp_ge_u32 s39, s19
	v_readfirstlane_b32 s41, v1
	s_cselect_b32 s40, -1, 0
	s_cmp_ge_u32 s41, s18
	s_cselect_b32 s41, -1, 0
	s_cmp_eq_u32 s39, s19
	s_cselect_b32 s39, s41, s40
	s_cmp_lg_u32 s39, 0
	s_cselect_b32 s39, s1, s13
	s_cselect_b32 s38, s0, s38
	s_cbranch_execnz .LBB212_24
.LBB212_23:                             ;   in Loop: Header=BB212_21 Depth=1
	v_cvt_f32_u32_e32 v1, s18
	s_sub_i32 s0, 0, s18
	s_mov_b32 s39, s12
	v_rcp_iflag_f32_e32 v1, v1
	v_mul_f32_e32 v1, 0x4f7ffffe, v1
	v_cvt_u32_f32_e32 v1, v1
	v_readfirstlane_b32 s1, v1
	s_mul_i32 s0, s0, s1
	s_mul_hi_u32 s0, s1, s0
	s_add_i32 s1, s1, s0
	s_mul_hi_u32 s0, s16, s1
	s_mul_i32 s13, s0, s18
	s_sub_i32 s13, s16, s13
	s_add_i32 s1, s0, 1
	s_sub_i32 s38, s13, s18
	s_cmp_ge_u32 s13, s18
	s_cselect_b32 s0, s1, s0
	s_cselect_b32 s13, s38, s13
	s_add_i32 s1, s0, 1
	s_cmp_ge_u32 s13, s18
	s_cselect_b32 s38, s1, s0
.LBB212_24:                             ;   in Loop: Header=BB212_21 Depth=1
	s_mul_i32 s0, s38, s19
	s_mul_hi_u32 s1, s38, s18
	s_add_i32 s13, s1, s0
	s_load_dwordx2 s[0:1], s[14:15], 0xc8
	s_mul_i32 s19, s39, s18
	s_add_i32 s13, s13, s19
	s_mul_i32 s18, s38, s18
	s_sub_u32 s16, s16, s18
	s_subb_u32 s13, s17, s13
	s_waitcnt lgkmcnt(0)
	s_mul_i32 s13, s0, s13
	s_mul_hi_u32 s17, s0, s16
	s_add_i32 s13, s17, s13
	s_mul_i32 s1, s1, s16
	s_add_i32 s13, s13, s1
	s_mul_i32 s0, s0, s16
	s_add_u32 s34, s0, s34
	s_addc_u32 s35, s13, s35
	s_add_i32 s23, s23, -1
	s_add_u32 s14, s14, -8
	s_addc_u32 s15, s15, -1
	s_cmp_gt_u32 s23, 2
	s_cbranch_scc0 .LBB212_28
; %bb.25:                               ;   in Loop: Header=BB212_21 Depth=1
	s_mov_b64 s[16:17], s[38:39]
	s_branch .LBB212_21
.LBB212_26:                             ;   in Loop: Header=BB212_21 Depth=1
                                        ; implicit-def: $sgpr38_sgpr39
	s_branch .LBB212_23
.LBB212_27:
	s_mov_b64 s[38:39], s[2:3]
.LBB212_28:
	s_load_dwordx4 s[12:15], s[4:5], 0x518
	s_lshl_b64 s[0:1], s[2:3], 1
	v_mov_b32_e32 v1, 0
	s_mov_b32 s23, 0
	v_cmp_eq_u32_e64 s[2:3], 0, v0
	s_waitcnt lgkmcnt(0)
	s_add_u32 s0, s12, s0
	s_addc_u32 s1, s13, s1
	global_load_ushort v1, v1, s[0:1]
	s_load_dwordx2 s[42:43], s[4:5], 0x0
	s_load_dwordx2 s[40:41], s[4:5], 0x1c0
	;; [unrolled: 1-line block ×4, first 2 shown]
	v_cmp_ne_u32_e64 s[0:1], 0, v0
	s_waitcnt vmcnt(0)
	v_readfirstlane_b32 s55, v1
	s_and_saveexec_b64 s[46:47], s[2:3]
	s_cbranch_execz .LBB212_44
; %bb.29:
	s_load_dwordx2 s[48:49], s[4:5], 0x528
	s_lshl_b64 s[50:51], s[22:23], 2
	s_add_u32 s16, s14, s50
	s_addc_u32 s17, s15, s51
	s_mov_b32 s22, 0
	s_waitcnt lgkmcnt(0)
	s_add_u32 s18, s48, s50
	s_addc_u32 s19, s49, s51
	s_mov_b32 s56, 0
	s_cmp_lt_u32 s21, 4
	s_cbranch_scc1 .LBB212_41
; %bb.30:
	s_mov_b32 s57, 0
.LBB212_31:                             ; =>This Inner Loop Header: Depth=1
	s_add_u32 s16, s14, s50
	s_addc_u32 s17, s15, s51
	s_load_dwordx4 s[16:19], s[16:17], 0x0
	s_add_u32 s52, s48, s50
	s_addc_u32 s53, s49, s51
	s_cmp_ge_u32 s57, s54
	s_cbranch_scc0 .LBB212_38
; %bb.32:                               ;   in Loop: Header=BB212_31 Depth=1
	s_add_i32 s58, s57, 1
	s_cmp_ge_u32 s58, s54
	s_cbranch_scc0 .LBB212_39
.LBB212_33:                             ;   in Loop: Header=BB212_31 Depth=1
	s_add_i32 s58, s58, 1
	s_cmp_ge_u32 s58, s54
	s_cbranch_scc0 .LBB212_40
.LBB212_34:                             ;   in Loop: Header=BB212_31 Depth=1
	s_add_i32 s58, s58, 1
	s_cmp_ge_u32 s58, s54
	s_cbranch_scc1 .LBB212_36
.LBB212_35:                             ;   in Loop: Header=BB212_31 Depth=1
	s_load_dword s52, s[52:53], 0xc
	s_waitcnt lgkmcnt(0)
	s_add_i32 s23, s23, s19
	s_add_i32 s22, s52, s22
.LBB212_36:                             ;   in Loop: Header=BB212_31 Depth=1
	s_waitcnt lgkmcnt(0)
	s_add_i32 s16, s16, s56
	s_add_i32 s16, s16, s17
	;; [unrolled: 1-line block ×4, first 2 shown]
	s_add_u32 s14, s14, 16
	s_addc_u32 s15, s15, 0
	s_add_u32 s48, s48, 16
	s_addc_u32 s49, s49, 0
	s_add_i32 s53, s58, 4
	s_add_u32 s18, s48, s50
	s_addc_u32 s19, s49, s51
	s_add_u32 s16, s14, s50
	s_addc_u32 s17, s15, s51
	s_add_i32 s52, s58, 1
	s_cmp_ge_u32 s53, s21
	s_cbranch_scc1 .LBB212_42
; %bb.37:                               ;   in Loop: Header=BB212_31 Depth=1
	s_mov_b32 s57, s52
	s_branch .LBB212_31
.LBB212_38:                             ;   in Loop: Header=BB212_31 Depth=1
	s_load_dword s58, s[52:53], 0x0
	s_waitcnt lgkmcnt(0)
	s_add_i32 s23, s16, s23
	s_add_i32 s22, s58, s22
	;; [unrolled: 1-line block ×3, first 2 shown]
	s_cmp_ge_u32 s58, s54
	s_cbranch_scc1 .LBB212_33
.LBB212_39:                             ;   in Loop: Header=BB212_31 Depth=1
	s_load_dword s59, s[52:53], 0x4
	s_waitcnt lgkmcnt(0)
	s_add_i32 s23, s23, s17
	s_add_i32 s22, s59, s22
	s_add_i32 s58, s58, 1
	s_cmp_ge_u32 s58, s54
	s_cbranch_scc1 .LBB212_34
.LBB212_40:                             ;   in Loop: Header=BB212_31 Depth=1
	s_load_dword s59, s[52:53], 0x8
	s_waitcnt lgkmcnt(0)
	s_add_i32 s23, s23, s18
	s_add_i32 s22, s59, s22
	;; [unrolled: 1-line block ×3, first 2 shown]
	s_cmp_ge_u32 s58, s54
	s_cbranch_scc0 .LBB212_35
	s_branch .LBB212_36
.LBB212_41:
	s_mov_b32 s14, 0
	s_cmp_ge_u32 s14, s21
	s_cbranch_scc0 .LBB212_65
	s_branch .LBB212_43
.LBB212_42:
	s_add_i32 s14, s57, 4
	s_cmp_ge_u32 s14, s21
	s_cbranch_scc0 .LBB212_65
.LBB212_43:
	v_mov_b32_e32 v2, s22
	v_mov_b32_e32 v3, s56
	;; [unrolled: 1-line block ×4, first 2 shown]
	ds_write_b96 v1, v[2:4] offset:1056
.LBB212_44:
	s_or_b64 exec, exec, s[46:47]
	s_cmp_eq_u32 s20, 0
	s_waitcnt lgkmcnt(0)
	s_barrier
	s_cbranch_scc1 .LBB212_67
; %bb.45:
	s_mul_i32 s16, s28, s25
	s_mul_hi_u32 s17, s28, s24
	s_mul_i32 s14, s36, s31
	s_mul_hi_u32 s15, s36, s30
	s_add_i32 s16, s17, s16
	s_mul_i32 s17, s29, s24
	s_mul_i32 s18, s44, s39
	s_mul_hi_u32 s19, s44, s38
	s_add_i32 s14, s15, s14
	s_mul_i32 s15, s37, s30
	s_add_i32 s17, s16, s17
	s_mul_i32 s16, s28, s24
	;; [unrolled: 2-line block ×3, first 2 shown]
	s_add_i32 s15, s14, s15
	s_add_i32 s19, s18, s19
	s_lshl_b64 s[16:17], s[16:17], 1
	s_add_u32 s16, s42, s16
	s_addc_u32 s17, s43, s17
	s_lshl_b64 s[6:7], s[6:7], 1
	s_mul_i32 s14, s36, s30
	s_add_u32 s21, s16, s6
	s_addc_u32 s22, s17, s7
	s_lshl_b64 s[6:7], s[14:15], 1
	s_add_u32 s14, s40, s6
	s_addc_u32 s15, s41, s7
	s_lshl_b64 s[6:7], s[26:27], 1
	s_mul_i32 s18, s44, s38
	s_add_u32 s23, s14, s6
	s_addc_u32 s24, s15, s7
	s_lshl_b64 s[6:7], s[18:19], 3
	s_add_u32 s12, s12, s6
	s_addc_u32 s13, s13, s7
	s_lshl_b64 s[6:7], s[34:35], 3
	s_add_u32 s25, s12, s6
	v_mov_b32_e32 v1, 0
	s_addc_u32 s26, s13, s7
	s_and_b32 s12, 0xffff, s55
	s_sext_i32_i16 s6, s55
	ds_read_b96 v[2:4], v1 offset:1056
	s_cmp_gt_i32 s6, -1
	s_mov_b32 s6, 0x8000
	s_cselect_b32 s13, s6, 0xffff
	v_cmp_o_f16_e64 s[6:7], s55, s55
	s_xor_b32 s12, s13, s12
	s_and_b64 s[6:7], s[6:7], exec
	s_load_dword s6, s[4:5], 0x1b0
	s_waitcnt lgkmcnt(0)
	v_add_u32_e32 v2, v2, v3
	v_lshrrev_b32_e32 v3, 5, v0
	s_cselect_b32 s27, s12, 0xffff
	s_load_dwordx2 s[12:13], s[4:5], 0x1b8
	s_load_dwordx2 s[14:15], s[4:5], 0x360
	;; [unrolled: 1-line block ×3, first 2 shown]
	v_add_lshl_u32 v5, v3, v0, 2
	v_lshlrev_b32_e32 v3, 2, v0
	v_lshrrev_b32_e32 v6, 3, v0
	v_add_lshl_u32 v8, v6, v3, 2
	v_add_u32_e32 v3, -1, v0
	v_lshrrev_b32_e32 v6, 5, v3
	v_add_lshl_u32 v9, v6, v3, 2
	v_mbcnt_lo_u32_b32 v3, -1, 0
	s_bitcmp1_b32 s6, 0
	v_mbcnt_hi_u32_b32 v12, -1, v3
	s_cselect_b64 s[4:5], -1, 0
	v_cmp_gt_u32_e64 s[6:7], 64, v0
	v_add_u32_e32 v0, s33, v0
	v_mov_b32_e32 v10, 0xffff
	v_mov_b32_e32 v11, 0x8000
	v_and_b32_e32 v13, 15, v12
	v_bfe_i32 v14, v12, 4, 1
	v_add_u32_e32 v15, -1, v12
	v_and_b32_e32 v16, 64, v12
                                        ; implicit-def: $vgpr17
	s_branch .LBB212_48
.LBB212_46:                             ;   in Loop: Header=BB212_48 Depth=1
	s_or_b64 exec, exec, s[18:19]
	v_add_u32_e32 v2, v3, v2
.LBB212_47:                             ;   in Loop: Header=BB212_48 Depth=1
	s_add_i32 s20, s20, -1
	v_add_u32_e32 v4, v18, v4
	s_cmp_lg_u32 s20, 0
	v_add_u32_e32 v0, 0x100, v0
	s_cbranch_scc0 .LBB212_67
.LBB212_48:                             ; =>This Inner Loop Header: Depth=1
	v_cmp_gt_u64_e32 vcc, s[8:9], v[0:1]
	v_mov_b32_e32 v3, v1
	v_mov_b32_e32 v6, v1
	s_and_saveexec_b64 s[18:19], vcc
	s_cbranch_execz .LBB212_50
; %bb.49:                               ;   in Loop: Header=BB212_48 Depth=1
	s_waitcnt lgkmcnt(0)
	v_mad_u64_u32 v[6:7], s[28:29], v0, s12, 0
	v_mov_b32_e32 v18, v7
	v_mad_u64_u32 v[18:19], s[28:29], v0, s13, v[18:19]
	v_mov_b32_e32 v7, v18
	v_lshlrev_b64 v[6:7], 1, v[6:7]
	v_mov_b32_e32 v3, s22
	v_add_co_u32_e32 v6, vcc, s21, v6
	v_addc_co_u32_e32 v7, vcc, v3, v7, vcc
	global_load_ushort v17, v[6:7], off
	s_waitcnt vmcnt(0)
	v_cmp_lt_i16_e32 vcc, -1, v17
	v_cndmask_b32_e32 v3, v10, v11, vcc
	v_xor_b32_sdwa v3, v3, v17 dst_sel:DWORD dst_unused:UNUSED_PAD src0_sel:DWORD src1_sel:WORD_0
	v_cmp_o_f16_e32 vcc, v17, v17
	v_cndmask_b32_e32 v6, v10, v3, vcc
	v_cmp_lt_u32_e32 vcc, s27, v6
	v_cndmask_b32_e64 v3, 0, 1, vcc
	v_cmp_gt_u32_e32 vcc, s27, v6
	v_cndmask_b32_e64 v7, 0, 1, vcc
	v_cndmask_b32_e64 v3, v7, v3, s[4:5]
	v_cmp_eq_u32_e32 vcc, s27, v6
	v_and_b32_e32 v3, 1, v3
	v_cndmask_b32_e64 v6, 0, 1, vcc
.LBB212_50:                             ;   in Loop: Header=BB212_48 Depth=1
	s_or_b64 exec, exec, s[18:19]
	ds_write_b32 v5, v3
	s_waitcnt lgkmcnt(0)
	s_barrier
	s_and_saveexec_b64 s[18:19], s[6:7]
	s_cbranch_execz .LBB212_52
; %bb.51:                               ;   in Loop: Header=BB212_48 Depth=1
	ds_read2_b32 v[18:19], v8 offset1:1
	ds_read2_b32 v[20:21], v8 offset0:2 offset1:3
	v_cmp_ne_u32_e32 vcc, 0, v13
	; wave barrier
	s_waitcnt lgkmcnt(1)
	v_add_u32_e32 v7, v19, v18
	s_waitcnt lgkmcnt(0)
	v_add3_u32 v7, v7, v20, v21
	s_nop 1
	v_mov_b32_dpp v19, v7 row_shr:1 row_mask:0xf bank_mask:0xf
	v_cndmask_b32_e32 v19, 0, v19, vcc
	v_add_u32_e32 v7, v19, v7
	v_cmp_lt_u32_e32 vcc, 1, v13
	s_nop 0
	v_mov_b32_dpp v19, v7 row_shr:2 row_mask:0xf bank_mask:0xf
	v_cndmask_b32_e32 v19, 0, v19, vcc
	v_add_u32_e32 v7, v7, v19
	v_cmp_lt_u32_e32 vcc, 3, v13
	;; [unrolled: 5-line block ×4, first 2 shown]
	s_nop 0
	v_mov_b32_dpp v19, v7 row_bcast:15 row_mask:0xf bank_mask:0xf
	v_and_b32_e32 v19, v14, v19
	v_add_u32_e32 v7, v7, v19
	s_nop 1
	v_mov_b32_dpp v19, v7 row_bcast:31 row_mask:0xf bank_mask:0xf
	v_cndmask_b32_e32 v19, 0, v19, vcc
	v_cmp_lt_i32_e32 vcc, v15, v16
	v_add_u32_e32 v7, v7, v19
	v_cndmask_b32_e32 v19, v15, v12, vcc
	v_lshlrev_b32_e32 v19, 2, v19
	ds_bpermute_b32 v7, v19, v7
	s_waitcnt lgkmcnt(0)
	v_add_u32_e32 v7, v7, v18
	v_cndmask_b32_e64 v7, v7, v3, s[2:3]
	ds_write_b32 v8, v7
	; wave barrier
	ds_read2_b32 v[18:19], v8 offset0:1 offset1:2
	ds_read_b32 v20, v8 offset:12
	s_waitcnt lgkmcnt(1)
	v_add_u32_e32 v7, v18, v7
	v_add_u32_e32 v18, v19, v7
	ds_write2_b32 v8, v7, v18 offset0:1 offset1:2
	s_waitcnt lgkmcnt(1)
	v_add_u32_e32 v7, v20, v18
	ds_write_b32 v8, v7 offset:12
.LBB212_52:                             ;   in Loop: Header=BB212_48 Depth=1
	s_or_b64 exec, exec, s[18:19]
	v_mov_b32_e32 v7, 0
	s_waitcnt lgkmcnt(0)
	s_barrier
	s_and_saveexec_b64 s[18:19], s[0:1]
	s_cbranch_execz .LBB212_54
; %bb.53:                               ;   in Loop: Header=BB212_48 Depth=1
	ds_read_b32 v7, v9
.LBB212_54:                             ;   in Loop: Header=BB212_48 Depth=1
	s_or_b64 exec, exec, s[18:19]
	ds_read_b32 v18, v1 offset:1048
	v_cmp_ne_u32_e32 vcc, 0, v3
	s_waitcnt lgkmcnt(0)
	s_barrier
	s_and_saveexec_b64 s[18:19], vcc
	s_cbranch_execz .LBB212_56
; %bb.55:                               ;   in Loop: Header=BB212_48 Depth=1
	v_add_u32_e32 v3, v7, v4
	v_mad_u64_u32 v[20:21], s[28:29], v3, s14, 0
	v_mov_b32_e32 v22, v21
	v_mad_u64_u32 v[22:23], s[28:29], v3, s15, v[22:23]
	v_mov_b32_e32 v21, v22
	v_lshlrev_b64 v[20:21], 1, v[20:21]
	v_mov_b32_e32 v7, s24
	v_add_co_u32_e32 v20, vcc, s23, v20
	v_addc_co_u32_e32 v21, vcc, v7, v21, vcc
	global_store_short v[20:21], v17, off
	v_mad_u64_u32 v[20:21], s[28:29], v3, s16, 0
	v_mov_b32_e32 v22, v21
	v_mad_u64_u32 v[22:23], s[28:29], v3, s17, v[22:23]
	v_mov_b32_e32 v21, v22
	v_lshlrev_b64 v[20:21], 3, v[20:21]
	v_mov_b32_e32 v3, s26
	v_add_co_u32_e32 v20, vcc, s25, v20
	v_addc_co_u32_e32 v21, vcc, v3, v21, vcc
	global_store_dwordx2 v[20:21], v[0:1], off
.LBB212_56:                             ;   in Loop: Header=BB212_48 Depth=1
	s_or_b64 exec, exec, s[18:19]
	v_mov_b32_e32 v3, v1
	v_cmp_le_u64_e32 vcc, s[10:11], v[2:3]
	s_cbranch_vccnz .LBB212_47
; %bb.57:                               ;   in Loop: Header=BB212_48 Depth=1
	ds_write_b32 v5, v6
	s_waitcnt lgkmcnt(0)
	s_barrier
	s_and_saveexec_b64 s[18:19], s[6:7]
	s_cbranch_execz .LBB212_59
; %bb.58:                               ;   in Loop: Header=BB212_48 Depth=1
	ds_read2_b32 v[20:21], v8 offset1:1
	ds_read2_b32 v[22:23], v8 offset0:2 offset1:3
	v_cmp_ne_u32_e32 vcc, 0, v13
	; wave barrier
	s_waitcnt lgkmcnt(1)
	v_add_u32_e32 v3, v21, v20
	s_waitcnt lgkmcnt(0)
	v_add3_u32 v3, v3, v22, v23
	s_nop 1
	v_mov_b32_dpp v7, v3 row_shr:1 row_mask:0xf bank_mask:0xf
	v_cndmask_b32_e32 v7, 0, v7, vcc
	v_add_u32_e32 v3, v7, v3
	v_cmp_lt_u32_e32 vcc, 1, v13
	s_nop 0
	v_mov_b32_dpp v7, v3 row_shr:2 row_mask:0xf bank_mask:0xf
	v_cndmask_b32_e32 v7, 0, v7, vcc
	v_add_u32_e32 v3, v3, v7
	v_cmp_lt_u32_e32 vcc, 3, v13
	;; [unrolled: 5-line block ×4, first 2 shown]
	s_nop 0
	v_mov_b32_dpp v7, v3 row_bcast:15 row_mask:0xf bank_mask:0xf
	v_and_b32_e32 v7, v14, v7
	v_add_u32_e32 v3, v3, v7
	s_nop 1
	v_mov_b32_dpp v7, v3 row_bcast:31 row_mask:0xf bank_mask:0xf
	v_cndmask_b32_e32 v7, 0, v7, vcc
	v_cmp_lt_i32_e32 vcc, v15, v16
	v_add_u32_e32 v3, v3, v7
	v_cndmask_b32_e32 v7, v15, v12, vcc
	v_lshlrev_b32_e32 v7, 2, v7
	ds_bpermute_b32 v3, v7, v3
	s_waitcnt lgkmcnt(0)
	v_add_u32_e32 v3, v3, v20
	v_cndmask_b32_e64 v3, v3, v6, s[2:3]
	ds_write_b32 v8, v3
	; wave barrier
	ds_read2_b32 v[20:21], v8 offset0:1 offset1:2
	ds_read_b32 v7, v8 offset:12
	s_waitcnt lgkmcnt(1)
	v_add_u32_e32 v3, v20, v3
	v_add_u32_e32 v19, v21, v3
	ds_write2_b32 v8, v3, v19 offset0:1 offset1:2
	s_waitcnt lgkmcnt(1)
	v_add_u32_e32 v3, v7, v19
	ds_write_b32 v8, v3 offset:12
.LBB212_59:                             ;   in Loop: Header=BB212_48 Depth=1
	s_or_b64 exec, exec, s[18:19]
	v_mov_b32_e32 v7, 0
	s_waitcnt lgkmcnt(0)
	s_barrier
	s_and_saveexec_b64 s[18:19], s[0:1]
	s_cbranch_execz .LBB212_61
; %bb.60:                               ;   in Loop: Header=BB212_48 Depth=1
	ds_read_b32 v7, v9
.LBB212_61:                             ;   in Loop: Header=BB212_48 Depth=1
	s_or_b64 exec, exec, s[18:19]
	ds_read_b32 v3, v1 offset:1048
	v_cmp_ne_u32_e32 vcc, 0, v6
	s_waitcnt lgkmcnt(0)
	s_barrier
	s_and_saveexec_b64 s[18:19], vcc
	s_cbranch_execz .LBB212_46
; %bb.62:                               ;   in Loop: Header=BB212_48 Depth=1
	v_add_u32_e32 v6, v7, v2
	v_mov_b32_e32 v7, v1
	v_cmp_gt_u64_e32 vcc, s[10:11], v[6:7]
	s_and_b64 exec, exec, vcc
	s_cbranch_execz .LBB212_46
; %bb.63:                               ;   in Loop: Header=BB212_48 Depth=1
	v_mad_u64_u32 v[20:21], s[28:29], v6, s14, 0
	v_mov_b32_e32 v22, v21
	v_mad_u64_u32 v[22:23], s[28:29], v6, s15, v[22:23]
	v_mov_b32_e32 v21, v22
	v_lshlrev_b64 v[20:21], 1, v[20:21]
	v_mov_b32_e32 v7, s24
	v_add_co_u32_e32 v20, vcc, s23, v20
	v_addc_co_u32_e32 v21, vcc, v7, v21, vcc
	global_store_short v[20:21], v17, off
	v_mad_u64_u32 v[20:21], s[28:29], v6, s16, 0
	v_mov_b32_e32 v22, v21
	v_mad_u64_u32 v[6:7], s[28:29], v6, s17, v[22:23]
	v_mov_b32_e32 v21, v6
	v_lshlrev_b64 v[6:7], 3, v[20:21]
	v_mov_b32_e32 v19, s26
	v_add_co_u32_e32 v6, vcc, s25, v6
	v_addc_co_u32_e32 v7, vcc, v19, v7, vcc
	global_store_dwordx2 v[6:7], v[0:1], off
	s_branch .LBB212_46
.LBB212_64:                             ;   in Loop: Header=BB212_65 Depth=1
	s_add_u32 s16, s16, 4
	s_addc_u32 s17, s17, 0
	s_waitcnt lgkmcnt(0)
	s_add_i32 s56, s15, s56
	s_add_u32 s18, s18, 4
	s_addc_u32 s19, s19, 0
	s_add_i32 s14, s14, 1
	s_cmp_lt_u32 s14, s21
	s_cbranch_scc0 .LBB212_43
.LBB212_65:                             ; =>This Inner Loop Header: Depth=1
	s_load_dword s15, s[16:17], 0x0
	s_cmp_ge_u32 s14, s54
	s_cbranch_scc1 .LBB212_64
; %bb.66:                               ;   in Loop: Header=BB212_65 Depth=1
	s_load_dword s48, s[18:19], 0x0
	s_waitcnt lgkmcnt(0)
	s_add_i32 s23, s15, s23
	s_add_i32 s22, s48, s22
	s_branch .LBB212_64
.LBB212_67:
	s_endpgm
	.section	.rodata,"a",@progbits
	.p2align	6, 0x0
	.amdhsa_kernel _ZN2at6native6mbtopk10gatherTopKIN3c104HalfEmLin1EEEvNS_4cuda6detail10TensorInfoIKT_T0_EESA_SA_bjSA_NS7_IS8_SA_EESA_NS7_IlSA_EESA_jjPS8_PjSF_j
		.amdhsa_group_segment_fixed_size 1068
		.amdhsa_private_segment_fixed_size 0
		.amdhsa_kernarg_size 1592
		.amdhsa_user_sgpr_count 6
		.amdhsa_user_sgpr_private_segment_buffer 1
		.amdhsa_user_sgpr_dispatch_ptr 0
		.amdhsa_user_sgpr_queue_ptr 0
		.amdhsa_user_sgpr_kernarg_segment_ptr 1
		.amdhsa_user_sgpr_dispatch_id 0
		.amdhsa_user_sgpr_flat_scratch_init 0
		.amdhsa_user_sgpr_kernarg_preload_length 0
		.amdhsa_user_sgpr_kernarg_preload_offset 0
		.amdhsa_user_sgpr_private_segment_size 0
		.amdhsa_uses_dynamic_stack 0
		.amdhsa_system_sgpr_private_segment_wavefront_offset 0
		.amdhsa_system_sgpr_workgroup_id_x 1
		.amdhsa_system_sgpr_workgroup_id_y 1
		.amdhsa_system_sgpr_workgroup_id_z 1
		.amdhsa_system_sgpr_workgroup_info 0
		.amdhsa_system_vgpr_workitem_id 0
		.amdhsa_next_free_vgpr 24
		.amdhsa_next_free_sgpr 60
		.amdhsa_accum_offset 24
		.amdhsa_reserve_vcc 1
		.amdhsa_reserve_flat_scratch 0
		.amdhsa_float_round_mode_32 0
		.amdhsa_float_round_mode_16_64 0
		.amdhsa_float_denorm_mode_32 3
		.amdhsa_float_denorm_mode_16_64 3
		.amdhsa_dx10_clamp 1
		.amdhsa_ieee_mode 1
		.amdhsa_fp16_overflow 0
		.amdhsa_tg_split 0
		.amdhsa_exception_fp_ieee_invalid_op 0
		.amdhsa_exception_fp_denorm_src 0
		.amdhsa_exception_fp_ieee_div_zero 0
		.amdhsa_exception_fp_ieee_overflow 0
		.amdhsa_exception_fp_ieee_underflow 0
		.amdhsa_exception_fp_ieee_inexact 0
		.amdhsa_exception_int_div_zero 0
	.end_amdhsa_kernel
	.section	.text._ZN2at6native6mbtopk10gatherTopKIN3c104HalfEmLin1EEEvNS_4cuda6detail10TensorInfoIKT_T0_EESA_SA_bjSA_NS7_IS8_SA_EESA_NS7_IlSA_EESA_jjPS8_PjSF_j,"axG",@progbits,_ZN2at6native6mbtopk10gatherTopKIN3c104HalfEmLin1EEEvNS_4cuda6detail10TensorInfoIKT_T0_EESA_SA_bjSA_NS7_IS8_SA_EESA_NS7_IlSA_EESA_jjPS8_PjSF_j,comdat
.Lfunc_end212:
	.size	_ZN2at6native6mbtopk10gatherTopKIN3c104HalfEmLin1EEEvNS_4cuda6detail10TensorInfoIKT_T0_EESA_SA_bjSA_NS7_IS8_SA_EESA_NS7_IlSA_EESA_jjPS8_PjSF_j, .Lfunc_end212-_ZN2at6native6mbtopk10gatherTopKIN3c104HalfEmLin1EEEvNS_4cuda6detail10TensorInfoIKT_T0_EESA_SA_bjSA_NS7_IS8_SA_EESA_NS7_IlSA_EESA_jjPS8_PjSF_j
                                        ; -- End function
	.section	.AMDGPU.csdata,"",@progbits
; Kernel info:
; codeLenInByte = 4716
; NumSgprs: 64
; NumVgprs: 24
; NumAgprs: 0
; TotalNumVgprs: 24
; ScratchSize: 0
; MemoryBound: 0
; FloatMode: 240
; IeeeMode: 1
; LDSByteSize: 1068 bytes/workgroup (compile time only)
; SGPRBlocks: 7
; VGPRBlocks: 2
; NumSGPRsForWavesPerEU: 64
; NumVGPRsForWavesPerEU: 24
; AccumOffset: 24
; Occupancy: 8
; WaveLimiterHint : 1
; COMPUTE_PGM_RSRC2:SCRATCH_EN: 0
; COMPUTE_PGM_RSRC2:USER_SGPR: 6
; COMPUTE_PGM_RSRC2:TRAP_HANDLER: 0
; COMPUTE_PGM_RSRC2:TGID_X_EN: 1
; COMPUTE_PGM_RSRC2:TGID_Y_EN: 1
; COMPUTE_PGM_RSRC2:TGID_Z_EN: 1
; COMPUTE_PGM_RSRC2:TIDIG_COMP_CNT: 0
; COMPUTE_PGM_RSRC3_GFX90A:ACCUM_OFFSET: 5
; COMPUTE_PGM_RSRC3_GFX90A:TG_SPLIT: 0
	.section	.text._ZN2at6native6sbtopk10gatherTopKIN3c104HalfEmLin1ELb0EEEvNS_4cuda6detail10TensorInfoIKT_T0_EESA_SA_bSA_SA_NS7_IS8_SA_EESA_NS7_IlSA_EESA_PS8_,"axG",@progbits,_ZN2at6native6sbtopk10gatherTopKIN3c104HalfEmLin1ELb0EEEvNS_4cuda6detail10TensorInfoIKT_T0_EESA_SA_bSA_SA_NS7_IS8_SA_EESA_NS7_IlSA_EESA_PS8_,comdat
	.protected	_ZN2at6native6sbtopk10gatherTopKIN3c104HalfEmLin1ELb0EEEvNS_4cuda6detail10TensorInfoIKT_T0_EESA_SA_bSA_SA_NS7_IS8_SA_EESA_NS7_IlSA_EESA_PS8_ ; -- Begin function _ZN2at6native6sbtopk10gatherTopKIN3c104HalfEmLin1ELb0EEEvNS_4cuda6detail10TensorInfoIKT_T0_EESA_SA_bSA_SA_NS7_IS8_SA_EESA_NS7_IlSA_EESA_PS8_
	.globl	_ZN2at6native6sbtopk10gatherTopKIN3c104HalfEmLin1ELb0EEEvNS_4cuda6detail10TensorInfoIKT_T0_EESA_SA_bSA_SA_NS7_IS8_SA_EESA_NS7_IlSA_EESA_PS8_
	.p2align	8
	.type	_ZN2at6native6sbtopk10gatherTopKIN3c104HalfEmLin1ELb0EEEvNS_4cuda6detail10TensorInfoIKT_T0_EESA_SA_bSA_SA_NS7_IS8_SA_EESA_NS7_IlSA_EESA_PS8_,@function
_ZN2at6native6sbtopk10gatherTopKIN3c104HalfEmLin1ELb0EEEvNS_4cuda6detail10TensorInfoIKT_T0_EESA_SA_bSA_SA_NS7_IS8_SA_EESA_NS7_IlSA_EESA_PS8_: ; @_ZN2at6native6sbtopk10gatherTopKIN3c104HalfEmLin1ELb0EEEvNS_4cuda6detail10TensorInfoIKT_T0_EESA_SA_bSA_SA_NS7_IS8_SA_EESA_NS7_IlSA_EESA_PS8_
; %bb.0:
	s_load_dwordx4 s[56:59], s[4:5], 0x1b8
	s_load_dwordx2 s[34:35], s[4:5], 0x520
	s_add_u32 s2, s4, 0x520
	s_addc_u32 s3, s5, 0
	s_mov_b32 s11, 0
	s_waitcnt lgkmcnt(0)
	v_mov_b32_e32 v2, s56
	s_mul_i32 s0, s35, s8
	s_add_i32 s0, s0, s7
	s_mul_i32 s0, s0, s34
	v_mov_b32_e32 v3, s57
	s_add_i32 s10, s0, s6
	v_cmp_ge_u64_e32 vcc, s[10:11], v[2:3]
	s_cbranch_vccnz .LBB213_505
; %bb.1:
	s_load_dword s0, s[4:5], 0x198
	s_mov_b64 s[8:9], 0
	s_mov_b64 s[12:13], s[10:11]
	s_waitcnt lgkmcnt(0)
	s_cmp_lt_i32 s0, 2
	s_cbranch_scc1 .LBB213_9
; %bb.2:
	s_mov_b32 s14, 0
	s_add_i32 s25, s0, 1
	s_add_i32 s0, s0, -1
	s_mov_b32 s1, s14
	s_lshl_b64 s[0:1], s[0:1], 3
	s_add_u32 s0, s0, s4
	s_addc_u32 s1, s1, s5
	s_add_u32 s16, s0, 8
	s_addc_u32 s17, s1, 0
	s_mov_b64 s[18:19], s[10:11]
.LBB213_3:                              ; =>This Inner Loop Header: Depth=1
	s_load_dwordx2 s[20:21], s[16:17], 0x0
	s_waitcnt lgkmcnt(0)
	s_or_b64 s[0:1], s[18:19], s[20:21]
	s_mov_b32 s15, s1
	s_cmp_lg_u64 s[14:15], 0
	s_cbranch_scc0 .LBB213_8
; %bb.4:                                ;   in Loop: Header=BB213_3 Depth=1
	v_cvt_f32_u32_e32 v1, s20
	v_cvt_f32_u32_e32 v2, s21
	s_sub_u32 s0, 0, s20
	s_subb_u32 s1, 0, s21
	v_mac_f32_e32 v1, 0x4f800000, v2
	v_rcp_f32_e32 v1, v1
	v_mul_f32_e32 v1, 0x5f7ffffc, v1
	v_mul_f32_e32 v2, 0x2f800000, v1
	v_trunc_f32_e32 v2, v2
	v_mac_f32_e32 v1, 0xcf800000, v2
	v_cvt_u32_f32_e32 v2, v2
	v_cvt_u32_f32_e32 v1, v1
	v_readfirstlane_b32 s7, v2
	v_readfirstlane_b32 s12, v1
	s_mul_i32 s13, s0, s7
	s_mul_hi_u32 s22, s0, s12
	s_mul_i32 s15, s1, s12
	s_add_i32 s13, s22, s13
	s_mul_i32 s23, s0, s12
	s_add_i32 s13, s13, s15
	s_mul_hi_u32 s15, s12, s13
	s_mul_i32 s22, s12, s13
	s_mul_hi_u32 s12, s12, s23
	s_add_u32 s12, s12, s22
	s_addc_u32 s15, 0, s15
	s_mul_hi_u32 s24, s7, s23
	s_mul_i32 s23, s7, s23
	s_add_u32 s12, s12, s23
	s_mul_hi_u32 s22, s7, s13
	s_addc_u32 s12, s15, s24
	s_addc_u32 s15, s22, 0
	s_mul_i32 s13, s7, s13
	s_add_u32 s12, s12, s13
	s_addc_u32 s13, 0, s15
	v_add_co_u32_e32 v1, vcc, s12, v1
	s_cmp_lg_u64 vcc, 0
	s_addc_u32 s7, s7, s13
	v_readfirstlane_b32 s13, v1
	s_mul_i32 s12, s0, s7
	s_mul_hi_u32 s15, s0, s13
	s_add_i32 s12, s15, s12
	s_mul_i32 s1, s1, s13
	s_add_i32 s12, s12, s1
	s_mul_i32 s0, s0, s13
	s_mul_hi_u32 s15, s7, s0
	s_mul_i32 s22, s7, s0
	s_mul_i32 s24, s13, s12
	s_mul_hi_u32 s0, s13, s0
	s_mul_hi_u32 s23, s13, s12
	s_add_u32 s0, s0, s24
	s_addc_u32 s13, 0, s23
	s_add_u32 s0, s0, s22
	s_mul_hi_u32 s1, s7, s12
	s_addc_u32 s0, s13, s15
	s_addc_u32 s1, s1, 0
	s_mul_i32 s12, s7, s12
	s_add_u32 s0, s0, s12
	s_addc_u32 s1, 0, s1
	v_add_co_u32_e32 v1, vcc, s0, v1
	s_cmp_lg_u64 vcc, 0
	s_addc_u32 s0, s7, s1
	v_readfirstlane_b32 s12, v1
	s_mul_i32 s7, s18, s0
	s_mul_hi_u32 s13, s18, s12
	s_mul_hi_u32 s1, s18, s0
	s_add_u32 s7, s13, s7
	s_addc_u32 s1, 0, s1
	s_mul_hi_u32 s15, s19, s12
	s_mul_i32 s12, s19, s12
	s_add_u32 s7, s7, s12
	s_mul_hi_u32 s13, s19, s0
	s_addc_u32 s1, s1, s15
	s_addc_u32 s7, s13, 0
	s_mul_i32 s0, s19, s0
	s_add_u32 s12, s1, s0
	s_addc_u32 s7, 0, s7
	s_mul_i32 s0, s20, s7
	s_mul_hi_u32 s1, s20, s12
	s_add_i32 s0, s1, s0
	s_mul_i32 s1, s21, s12
	s_add_i32 s13, s0, s1
	s_mul_i32 s1, s20, s12
	v_mov_b32_e32 v1, s1
	s_sub_i32 s0, s19, s13
	v_sub_co_u32_e32 v1, vcc, s18, v1
	s_cmp_lg_u64 vcc, 0
	s_subb_u32 s15, s0, s21
	v_subrev_co_u32_e64 v2, s[0:1], s20, v1
	s_cmp_lg_u64 s[0:1], 0
	s_subb_u32 s0, s15, 0
	s_cmp_ge_u32 s0, s21
	v_readfirstlane_b32 s15, v2
	s_cselect_b32 s1, -1, 0
	s_cmp_ge_u32 s15, s20
	s_cselect_b32 s15, -1, 0
	s_cmp_eq_u32 s0, s21
	s_cselect_b32 s0, s15, s1
	s_add_u32 s1, s12, 1
	s_addc_u32 s15, s7, 0
	s_add_u32 s22, s12, 2
	s_addc_u32 s23, s7, 0
	s_cmp_lg_u32 s0, 0
	s_cselect_b32 s0, s22, s1
	s_cselect_b32 s1, s23, s15
	s_cmp_lg_u64 vcc, 0
	s_subb_u32 s13, s19, s13
	s_cmp_ge_u32 s13, s21
	v_readfirstlane_b32 s22, v1
	s_cselect_b32 s15, -1, 0
	s_cmp_ge_u32 s22, s20
	s_cselect_b32 s22, -1, 0
	s_cmp_eq_u32 s13, s21
	s_cselect_b32 s13, s22, s15
	s_cmp_lg_u32 s13, 0
	s_cselect_b32 s13, s1, s7
	s_cselect_b32 s12, s0, s12
	s_cbranch_execnz .LBB213_6
.LBB213_5:                              ;   in Loop: Header=BB213_3 Depth=1
	v_cvt_f32_u32_e32 v1, s20
	s_sub_i32 s0, 0, s20
	s_mov_b32 s13, s14
	v_rcp_iflag_f32_e32 v1, v1
	v_mul_f32_e32 v1, 0x4f7ffffe, v1
	v_cvt_u32_f32_e32 v1, v1
	v_readfirstlane_b32 s1, v1
	s_mul_i32 s0, s0, s1
	s_mul_hi_u32 s0, s1, s0
	s_add_i32 s1, s1, s0
	s_mul_hi_u32 s0, s18, s1
	s_mul_i32 s7, s0, s20
	s_sub_i32 s7, s18, s7
	s_add_i32 s1, s0, 1
	s_sub_i32 s12, s7, s20
	s_cmp_ge_u32 s7, s20
	s_cselect_b32 s0, s1, s0
	s_cselect_b32 s7, s12, s7
	s_add_i32 s1, s0, 1
	s_cmp_ge_u32 s7, s20
	s_cselect_b32 s12, s1, s0
.LBB213_6:                              ;   in Loop: Header=BB213_3 Depth=1
	s_mul_i32 s0, s12, s21
	s_mul_hi_u32 s1, s12, s20
	s_add_i32 s7, s1, s0
	s_load_dwordx2 s[0:1], s[16:17], 0xc8
	s_mul_i32 s15, s13, s20
	s_add_i32 s7, s7, s15
	s_mul_i32 s15, s12, s20
	s_sub_u32 s15, s18, s15
	s_subb_u32 s7, s19, s7
	s_waitcnt lgkmcnt(0)
	s_mul_i32 s7, s0, s7
	s_mul_hi_u32 s18, s0, s15
	s_add_i32 s7, s18, s7
	s_mul_i32 s1, s1, s15
	s_add_i32 s7, s7, s1
	s_mul_i32 s0, s0, s15
	s_add_u32 s8, s0, s8
	s_addc_u32 s9, s7, s9
	s_add_i32 s25, s25, -1
	s_add_u32 s16, s16, -8
	s_addc_u32 s17, s17, -1
	s_cmp_gt_u32 s25, 2
	s_cbranch_scc0 .LBB213_9
; %bb.7:                                ;   in Loop: Header=BB213_3 Depth=1
	s_mov_b64 s[18:19], s[12:13]
	s_branch .LBB213_3
.LBB213_8:                              ;   in Loop: Header=BB213_3 Depth=1
                                        ; implicit-def: $sgpr12_sgpr13
	s_branch .LBB213_5
.LBB213_9:
	s_load_dword s0, s[4:5], 0x360
	s_load_dwordx2 s[14:15], s[4:5], 0xd0
	s_add_u32 s16, s4, 0x1c8
	s_addc_u32 s17, s5, 0
	s_mov_b64 s[56:57], 0
	s_waitcnt lgkmcnt(0)
	s_cmp_lt_i32 s0, 2
	s_mov_b64 s[28:29], s[10:11]
	s_cbranch_scc1 .LBB213_17
; %bb.10:
	s_mov_b32 s18, 0
	s_add_i32 s31, s0, 1
	s_add_i32 s0, s0, -1
	s_mov_b32 s1, s18
	s_lshl_b64 s[0:1], s[0:1], 3
	s_add_u32 s0, s0, s16
	s_addc_u32 s1, s1, s17
	s_add_u32 s20, s0, 8
	s_addc_u32 s21, s1, 0
	s_mov_b64 s[22:23], s[10:11]
.LBB213_11:                             ; =>This Inner Loop Header: Depth=1
	s_load_dwordx2 s[24:25], s[20:21], 0x0
	s_waitcnt lgkmcnt(0)
	s_or_b64 s[0:1], s[22:23], s[24:25]
	s_mov_b32 s19, s1
	s_cmp_lg_u64 s[18:19], 0
	s_cbranch_scc0 .LBB213_16
; %bb.12:                               ;   in Loop: Header=BB213_11 Depth=1
	v_cvt_f32_u32_e32 v1, s24
	v_cvt_f32_u32_e32 v2, s25
	s_sub_u32 s0, 0, s24
	s_subb_u32 s1, 0, s25
	v_mac_f32_e32 v1, 0x4f800000, v2
	v_rcp_f32_e32 v1, v1
	v_mul_f32_e32 v1, 0x5f7ffffc, v1
	v_mul_f32_e32 v2, 0x2f800000, v1
	v_trunc_f32_e32 v2, v2
	v_mac_f32_e32 v1, 0xcf800000, v2
	v_cvt_u32_f32_e32 v2, v2
	v_cvt_u32_f32_e32 v1, v1
	v_readfirstlane_b32 s7, v2
	v_readfirstlane_b32 s19, v1
	s_mul_i32 s26, s0, s7
	s_mul_hi_u32 s28, s0, s19
	s_mul_i32 s27, s1, s19
	s_add_i32 s26, s28, s26
	s_mul_i32 s29, s0, s19
	s_add_i32 s26, s26, s27
	s_mul_hi_u32 s27, s19, s26
	s_mul_i32 s28, s19, s26
	s_mul_hi_u32 s19, s19, s29
	s_add_u32 s19, s19, s28
	s_addc_u32 s27, 0, s27
	s_mul_hi_u32 s30, s7, s29
	s_mul_i32 s29, s7, s29
	s_add_u32 s19, s19, s29
	s_mul_hi_u32 s28, s7, s26
	s_addc_u32 s19, s27, s30
	s_addc_u32 s27, s28, 0
	s_mul_i32 s26, s7, s26
	s_add_u32 s19, s19, s26
	s_addc_u32 s26, 0, s27
	v_add_co_u32_e32 v1, vcc, s19, v1
	s_cmp_lg_u64 vcc, 0
	s_addc_u32 s7, s7, s26
	v_readfirstlane_b32 s26, v1
	s_mul_i32 s19, s0, s7
	s_mul_hi_u32 s27, s0, s26
	s_add_i32 s19, s27, s19
	s_mul_i32 s1, s1, s26
	s_add_i32 s19, s19, s1
	s_mul_i32 s0, s0, s26
	s_mul_hi_u32 s27, s7, s0
	s_mul_i32 s28, s7, s0
	s_mul_i32 s30, s26, s19
	s_mul_hi_u32 s0, s26, s0
	s_mul_hi_u32 s29, s26, s19
	s_add_u32 s0, s0, s30
	s_addc_u32 s26, 0, s29
	s_add_u32 s0, s0, s28
	s_mul_hi_u32 s1, s7, s19
	s_addc_u32 s0, s26, s27
	s_addc_u32 s1, s1, 0
	s_mul_i32 s19, s7, s19
	s_add_u32 s0, s0, s19
	s_addc_u32 s1, 0, s1
	v_add_co_u32_e32 v1, vcc, s0, v1
	s_cmp_lg_u64 vcc, 0
	s_addc_u32 s0, s7, s1
	v_readfirstlane_b32 s19, v1
	s_mul_i32 s7, s22, s0
	s_mul_hi_u32 s26, s22, s19
	s_mul_hi_u32 s1, s22, s0
	s_add_u32 s7, s26, s7
	s_addc_u32 s1, 0, s1
	s_mul_hi_u32 s27, s23, s19
	s_mul_i32 s19, s23, s19
	s_add_u32 s7, s7, s19
	s_mul_hi_u32 s26, s23, s0
	s_addc_u32 s1, s1, s27
	s_addc_u32 s7, s26, 0
	s_mul_i32 s0, s23, s0
	s_add_u32 s19, s1, s0
	s_addc_u32 s7, 0, s7
	s_mul_i32 s0, s24, s7
	s_mul_hi_u32 s1, s24, s19
	s_add_i32 s0, s1, s0
	s_mul_i32 s1, s25, s19
	s_add_i32 s26, s0, s1
	s_mul_i32 s1, s24, s19
	v_mov_b32_e32 v1, s1
	s_sub_i32 s0, s23, s26
	v_sub_co_u32_e32 v1, vcc, s22, v1
	s_cmp_lg_u64 vcc, 0
	s_subb_u32 s27, s0, s25
	v_subrev_co_u32_e64 v2, s[0:1], s24, v1
	s_cmp_lg_u64 s[0:1], 0
	s_subb_u32 s0, s27, 0
	s_cmp_ge_u32 s0, s25
	v_readfirstlane_b32 s27, v2
	s_cselect_b32 s1, -1, 0
	s_cmp_ge_u32 s27, s24
	s_cselect_b32 s27, -1, 0
	s_cmp_eq_u32 s0, s25
	s_cselect_b32 s0, s27, s1
	s_add_u32 s1, s19, 1
	s_addc_u32 s27, s7, 0
	s_add_u32 s28, s19, 2
	s_addc_u32 s29, s7, 0
	s_cmp_lg_u32 s0, 0
	s_cselect_b32 s0, s28, s1
	s_cselect_b32 s1, s29, s27
	s_cmp_lg_u64 vcc, 0
	s_subb_u32 s26, s23, s26
	s_cmp_ge_u32 s26, s25
	v_readfirstlane_b32 s28, v1
	s_cselect_b32 s27, -1, 0
	s_cmp_ge_u32 s28, s24
	s_cselect_b32 s28, -1, 0
	s_cmp_eq_u32 s26, s25
	s_cselect_b32 s26, s28, s27
	s_cmp_lg_u32 s26, 0
	s_cselect_b32 s29, s1, s7
	s_cselect_b32 s28, s0, s19
	s_cbranch_execnz .LBB213_14
.LBB213_13:                             ;   in Loop: Header=BB213_11 Depth=1
	v_cvt_f32_u32_e32 v1, s24
	s_sub_i32 s0, 0, s24
	s_mov_b32 s29, s18
	v_rcp_iflag_f32_e32 v1, v1
	v_mul_f32_e32 v1, 0x4f7ffffe, v1
	v_cvt_u32_f32_e32 v1, v1
	v_readfirstlane_b32 s1, v1
	s_mul_i32 s0, s0, s1
	s_mul_hi_u32 s0, s1, s0
	s_add_i32 s1, s1, s0
	s_mul_hi_u32 s0, s22, s1
	s_mul_i32 s7, s0, s24
	s_sub_i32 s7, s22, s7
	s_add_i32 s1, s0, 1
	s_sub_i32 s19, s7, s24
	s_cmp_ge_u32 s7, s24
	s_cselect_b32 s0, s1, s0
	s_cselect_b32 s7, s19, s7
	s_add_i32 s1, s0, 1
	s_cmp_ge_u32 s7, s24
	s_cselect_b32 s28, s1, s0
.LBB213_14:                             ;   in Loop: Header=BB213_11 Depth=1
	s_mul_i32 s0, s28, s25
	s_mul_hi_u32 s1, s28, s24
	s_add_i32 s7, s1, s0
	s_load_dwordx2 s[0:1], s[20:21], 0xc8
	s_mul_i32 s19, s29, s24
	s_add_i32 s7, s7, s19
	s_mul_i32 s19, s28, s24
	s_sub_u32 s19, s22, s19
	s_subb_u32 s7, s23, s7
	s_waitcnt lgkmcnt(0)
	s_mul_i32 s7, s0, s7
	s_mul_hi_u32 s22, s0, s19
	s_add_i32 s7, s22, s7
	s_mul_i32 s1, s1, s19
	s_add_i32 s7, s7, s1
	s_mul_i32 s0, s0, s19
	s_add_u32 s56, s0, s56
	s_addc_u32 s57, s7, s57
	s_add_i32 s31, s31, -1
	s_add_u32 s20, s20, -8
	s_addc_u32 s21, s21, -1
	s_cmp_gt_u32 s31, 2
	s_cbranch_scc0 .LBB213_17
; %bb.15:                               ;   in Loop: Header=BB213_11 Depth=1
	s_mov_b64 s[22:23], s[28:29]
	s_branch .LBB213_11
.LBB213_16:                             ;   in Loop: Header=BB213_11 Depth=1
                                        ; implicit-def: $sgpr28_sgpr29
	s_branch .LBB213_13
.LBB213_17:
	s_load_dword s7, s[4:5], 0x508
	s_load_dwordx2 s[0:1], s[16:17], 0xd0
                                        ; implicit-def: $vgpr59 : SGPR spill to VGPR lane
	s_mov_b64 s[74:75], 0
                                        ; kill: killed $sgpr16 killed $sgpr17
	s_waitcnt lgkmcnt(0)
	v_writelane_b32 v59, s0, 0
	v_writelane_b32 v59, s1, 1
	s_add_u32 s0, s4, 0x370
	s_addc_u32 s1, s5, 0
	s_cmp_lt_i32 s7, 2
	s_cbranch_scc1 .LBB213_25
; %bb.18:
	s_mov_b32 s16, 0
	s_add_i32 s18, s7, -1
	s_mov_b32 s19, s16
	s_add_i32 s27, s7, 1
	s_lshl_b64 s[18:19], s[18:19], 3
	s_add_u32 s0, s18, s0
	s_addc_u32 s1, s19, s1
	s_add_u32 s18, s0, 8
	s_addc_u32 s19, s1, 0
.LBB213_19:                             ; =>This Inner Loop Header: Depth=1
	s_load_dwordx2 s[20:21], s[18:19], 0x0
	s_waitcnt lgkmcnt(0)
	s_or_b64 s[0:1], s[10:11], s[20:21]
	s_mov_b32 s17, s1
	s_cmp_lg_u64 s[16:17], 0
	s_cbranch_scc0 .LBB213_24
; %bb.20:                               ;   in Loop: Header=BB213_19 Depth=1
	v_cvt_f32_u32_e32 v1, s20
	v_cvt_f32_u32_e32 v2, s21
	s_sub_u32 s0, 0, s20
	s_subb_u32 s1, 0, s21
	v_mac_f32_e32 v1, 0x4f800000, v2
	v_rcp_f32_e32 v1, v1
	v_mul_f32_e32 v1, 0x5f7ffffc, v1
	v_mul_f32_e32 v2, 0x2f800000, v1
	v_trunc_f32_e32 v2, v2
	v_mac_f32_e32 v1, 0xcf800000, v2
	v_cvt_u32_f32_e32 v2, v2
	v_cvt_u32_f32_e32 v1, v1
	v_readfirstlane_b32 s7, v2
	v_readfirstlane_b32 s17, v1
	s_mul_i32 s22, s0, s7
	s_mul_hi_u32 s24, s0, s17
	s_mul_i32 s23, s1, s17
	s_add_i32 s22, s24, s22
	s_mul_i32 s25, s0, s17
	s_add_i32 s22, s22, s23
	s_mul_hi_u32 s23, s17, s22
	s_mul_i32 s24, s17, s22
	s_mul_hi_u32 s17, s17, s25
	s_add_u32 s17, s17, s24
	s_addc_u32 s23, 0, s23
	s_mul_hi_u32 s26, s7, s25
	s_mul_i32 s25, s7, s25
	s_add_u32 s17, s17, s25
	s_mul_hi_u32 s24, s7, s22
	s_addc_u32 s17, s23, s26
	s_addc_u32 s23, s24, 0
	s_mul_i32 s22, s7, s22
	s_add_u32 s17, s17, s22
	s_addc_u32 s22, 0, s23
	v_add_co_u32_e32 v1, vcc, s17, v1
	s_cmp_lg_u64 vcc, 0
	s_addc_u32 s7, s7, s22
	v_readfirstlane_b32 s22, v1
	s_mul_i32 s17, s0, s7
	s_mul_hi_u32 s23, s0, s22
	s_add_i32 s17, s23, s17
	s_mul_i32 s1, s1, s22
	s_add_i32 s17, s17, s1
	s_mul_i32 s0, s0, s22
	s_mul_hi_u32 s23, s7, s0
	s_mul_i32 s24, s7, s0
	s_mul_i32 s26, s22, s17
	s_mul_hi_u32 s0, s22, s0
	s_mul_hi_u32 s25, s22, s17
	s_add_u32 s0, s0, s26
	s_addc_u32 s22, 0, s25
	s_add_u32 s0, s0, s24
	s_mul_hi_u32 s1, s7, s17
	s_addc_u32 s0, s22, s23
	s_addc_u32 s1, s1, 0
	s_mul_i32 s17, s7, s17
	s_add_u32 s0, s0, s17
	s_addc_u32 s1, 0, s1
	v_add_co_u32_e32 v1, vcc, s0, v1
	s_cmp_lg_u64 vcc, 0
	s_addc_u32 s0, s7, s1
	v_readfirstlane_b32 s17, v1
	s_mul_i32 s7, s10, s0
	s_mul_hi_u32 s22, s10, s17
	s_mul_hi_u32 s1, s10, s0
	s_add_u32 s7, s22, s7
	s_addc_u32 s1, 0, s1
	s_mul_hi_u32 s23, s11, s17
	s_mul_i32 s17, s11, s17
	s_add_u32 s7, s7, s17
	s_mul_hi_u32 s22, s11, s0
	s_addc_u32 s1, s1, s23
	s_addc_u32 s7, s22, 0
	s_mul_i32 s0, s11, s0
	s_add_u32 s17, s1, s0
	s_addc_u32 s7, 0, s7
	s_mul_i32 s0, s20, s7
	s_mul_hi_u32 s1, s20, s17
	s_add_i32 s0, s1, s0
	s_mul_i32 s1, s21, s17
	s_add_i32 s22, s0, s1
	s_mul_i32 s1, s20, s17
	v_mov_b32_e32 v1, s1
	s_sub_i32 s0, s11, s22
	v_sub_co_u32_e32 v1, vcc, s10, v1
	s_cmp_lg_u64 vcc, 0
	s_subb_u32 s23, s0, s21
	v_subrev_co_u32_e64 v2, s[0:1], s20, v1
	s_cmp_lg_u64 s[0:1], 0
	s_subb_u32 s0, s23, 0
	s_cmp_ge_u32 s0, s21
	v_readfirstlane_b32 s23, v2
	s_cselect_b32 s1, -1, 0
	s_cmp_ge_u32 s23, s20
	s_cselect_b32 s23, -1, 0
	s_cmp_eq_u32 s0, s21
	s_cselect_b32 s0, s23, s1
	s_add_u32 s1, s17, 1
	s_addc_u32 s23, s7, 0
	s_add_u32 s24, s17, 2
	s_addc_u32 s25, s7, 0
	s_cmp_lg_u32 s0, 0
	s_cselect_b32 s0, s24, s1
	s_cselect_b32 s1, s25, s23
	s_cmp_lg_u64 vcc, 0
	s_subb_u32 s22, s11, s22
	s_cmp_ge_u32 s22, s21
	v_readfirstlane_b32 s24, v1
	s_cselect_b32 s23, -1, 0
	s_cmp_ge_u32 s24, s20
	s_cselect_b32 s24, -1, 0
	s_cmp_eq_u32 s22, s21
	s_cselect_b32 s22, s24, s23
	s_cmp_lg_u32 s22, 0
	s_cselect_b32 s79, s1, s7
	s_cselect_b32 s78, s0, s17
	s_cbranch_execnz .LBB213_22
.LBB213_21:                             ;   in Loop: Header=BB213_19 Depth=1
	v_cvt_f32_u32_e32 v1, s20
	s_sub_i32 s0, 0, s20
	s_mov_b32 s79, s16
	v_rcp_iflag_f32_e32 v1, v1
	v_mul_f32_e32 v1, 0x4f7ffffe, v1
	v_cvt_u32_f32_e32 v1, v1
	v_readfirstlane_b32 s1, v1
	s_mul_i32 s0, s0, s1
	s_mul_hi_u32 s0, s1, s0
	s_add_i32 s1, s1, s0
	s_mul_hi_u32 s0, s10, s1
	s_mul_i32 s7, s0, s20
	s_sub_i32 s7, s10, s7
	s_add_i32 s1, s0, 1
	s_sub_i32 s17, s7, s20
	s_cmp_ge_u32 s7, s20
	s_cselect_b32 s0, s1, s0
	s_cselect_b32 s7, s17, s7
	s_add_i32 s1, s0, 1
	s_cmp_ge_u32 s7, s20
	s_cselect_b32 s78, s1, s0
.LBB213_22:                             ;   in Loop: Header=BB213_19 Depth=1
	s_mul_i32 s0, s78, s21
	s_mul_hi_u32 s1, s78, s20
	s_add_i32 s7, s1, s0
	s_load_dwordx2 s[0:1], s[18:19], 0xc8
	s_mul_i32 s17, s79, s20
	s_add_i32 s7, s7, s17
	s_mul_i32 s17, s78, s20
	s_sub_u32 s10, s10, s17
	s_subb_u32 s7, s11, s7
	s_waitcnt lgkmcnt(0)
	s_mul_i32 s7, s0, s7
	s_mul_hi_u32 s11, s0, s10
	s_add_i32 s7, s11, s7
	s_mul_i32 s1, s1, s10
	s_add_i32 s7, s7, s1
	s_mul_i32 s0, s0, s10
	s_add_u32 s74, s0, s74
	s_addc_u32 s75, s7, s75
	s_add_i32 s27, s27, -1
	s_add_u32 s18, s18, -8
	s_addc_u32 s19, s19, -1
	s_cmp_gt_u32 s27, 2
	s_cbranch_scc0 .LBB213_26
; %bb.23:                               ;   in Loop: Header=BB213_19 Depth=1
	s_mov_b64 s[10:11], s[78:79]
	s_branch .LBB213_19
.LBB213_24:                             ;   in Loop: Header=BB213_19 Depth=1
                                        ; implicit-def: $sgpr78_sgpr79
	s_branch .LBB213_21
.LBB213_25:
	s_mov_b64 s[78:79], s[10:11]
.LBB213_26:
	s_load_dwordx4 s[60:63], s[4:5], 0x1a0
	s_load_dwordx2 s[16:17], s[4:5], 0x0
	s_load_dwordx2 s[0:1], s[4:5], 0x1c8
	v_writelane_b32 v59, s28, 2
	v_writelane_b32 v59, s29, 3
	s_mov_b32 s87, 0
	v_cmp_eq_u32_e64 s[10:11], 0, v0
	s_waitcnt lgkmcnt(0)
	v_writelane_b32 v59, s0, 4
	v_writelane_b32 v59, s1, 5
	s_load_dwordx2 s[0:1], s[4:5], 0x440
	s_waitcnt lgkmcnt(0)
	v_writelane_b32 v59, s0, 6
	v_writelane_b32 v59, s1, 7
	s_load_dwordx2 s[0:1], s[4:5], 0x370
	s_waitcnt lgkmcnt(0)
	v_writelane_b32 v59, s0, 8
	v_writelane_b32 v59, s1, 9
	s_mov_b64 s[0:1], exec
	v_writelane_b32 v59, s10, 10
	v_writelane_b32 v59, s11, 11
	s_and_b64 s[10:11], s[0:1], s[10:11]
	s_mov_b64 exec, s[10:11]
	s_cbranch_execz .LBB213_28
; %bb.27:
	v_mov_b32_e32 v2, 0
	v_mov_b32_e32 v4, s60
	;; [unrolled: 1-line block ×4, first 2 shown]
	ds_write_b32 v2, v2 offset:5144
	ds_write_b128 v2, v[2:5] offset:5120
.LBB213_28:
	s_or_b64 exec, exec, s[0:1]
	s_mul_i32 s0, s14, s13
	s_mul_hi_u32 s1, s14, s12
	s_add_i32 s0, s1, s0
	s_mul_i32 s1, s15, s12
	s_add_i32 s1, s0, s1
	s_mul_i32 s0, s14, s12
	v_writelane_b32 v59, s4, 12
	s_lshl_b64 s[14:15], s[0:1], 1
	s_lshl_b64 s[72:73], s[8:9], 1
	v_writelane_b32 v59, s5, 13
	s_load_dword s5, s[4:5], 0x1b0
	s_add_u32 s0, s16, s14
	s_addc_u32 s1, s17, s15
	s_add_u32 s93, s0, s72
	s_addc_u32 s12, s1, s73
	s_waitcnt lgkmcnt(0)
	s_bitcmp1_b32 s5, 0
	s_cselect_b64 s[4:5], -1, 0
	v_writelane_b32 v59, s4, 14
	v_mbcnt_lo_u32_b32 v1, -1, 0
	v_writelane_b32 v59, s5, 15
	s_xor_b64 s[4:5], s[4:5], -1
	v_mbcnt_hi_u32_b32 v43, -1, v1
	v_writelane_b32 v59, s4, 16
	v_cmp_gt_u32_e32 vcc, 64, v0
	v_cmp_gt_i32_e64 s[10:11], 4, v43
	v_writelane_b32 v59, s5, 17
	s_and_b64 s[4:5], vcc, s[10:11]
	v_mov_b32_e32 v2, 0x600
	v_writelane_b32 v59, s4, 18
	v_mov_b32_e32 v3, 0
	v_mov_b32_e32 v15, 0
	v_writelane_b32 v59, s5, 19
	v_cmp_gt_u64_e64 s[4:5], s[60:61], v[2:3]
	v_writelane_b32 v59, s4, 20
	v_mov_b32_e32 v1, v15
	v_writelane_b32 v59, s5, 21
	v_cmp_gt_u64_e64 s[4:5], s[60:61], v[0:1]
	v_writelane_b32 v59, s4, 22
	v_writelane_b32 v59, s5, 23
	v_cmp_gt_u32_e64 s[4:5], 2, v0
	v_writelane_b32 v59, s4, 24
	s_barrier
	v_writelane_b32 v59, s5, 25
	s_load_dword s5, s[2:3], 0xc
	v_mad_u64_u32 v[4:5], s[8:9], v0, s58, 0
	v_mov_b32_e32 v2, v5
	v_mad_u64_u32 v[2:3], s[8:9], v0, s59, v[2:3]
	s_waitcnt lgkmcnt(0)
	s_and_b32 s33, s5, 0xffff
	s_bfe_u32 s7, s5, 0xa0006
	v_cmp_gt_u16_e64 s[4:5], s5, 63
	v_writelane_b32 v59, s4, 26
	v_writelane_b32 v59, s5, 27
	s_add_u32 s4, s33, -1
	s_addc_u32 s5, 0, -1
	v_writelane_b32 v59, s4, 28
	s_add_u32 s4, s4, s60
	v_writelane_b32 v59, s4, 29
	v_writelane_b32 v59, s5, 30
	s_addc_u32 s5, s5, s61
	v_writelane_b32 v59, s4, 31
	s_cmp_lt_u32 s6, s34
	v_writelane_b32 v59, s5, 32
	s_cselect_b32 s4, 12, 18
	s_add_u32 s2, s2, s4
	s_addc_u32 s3, s3, 0
	v_writelane_b32 v59, s2, 33
	v_writelane_b32 v59, s3, 34
	s_add_i32 s2, s7, -1
	s_bfe_u32 s3, s33, 0x30006
	s_cmp_gt_u32 s2, 6
	s_cselect_b64 s[4:5], -1, 0
	v_writelane_b32 v59, s4, 35
	s_and_b32 s13, s7, 0x3f8
	v_writelane_b32 v59, s5, 36
	s_cmp_lg_u32 s3, 0
	v_writelane_b32 v59, s3, 37
	s_cselect_b64 s[2:3], -1, 0
	v_writelane_b32 v59, s2, 38
	v_mov_b32_e32 v5, v2
	v_writelane_b32 v59, s3, 39
	s_add_u32 s2, s14, s72
	v_lshlrev_b64 v[2:3], 1, v[4:5]
	s_addc_u32 s3, s15, s73
	v_mov_b32_e32 v6, s12
	v_add_co_u32_e32 v12, vcc, s93, v2
	s_add_u32 s2, s16, s2
	v_addc_co_u32_e32 v13, vcc, v6, v3, vcc
	v_lshrrev_b32_e32 v6, 4, v0
	s_addc_u32 s3, s17, s3
	v_and_b32_e32 v44, 60, v6
	v_lshlrev_b32_e32 v6, 2, v43
	v_writelane_b32 v59, s2, 40
	v_and_b32_e32 v42, 0x100, v6
	v_lshlrev_b64 v[6:7], v43, -1
	v_writelane_b32 v59, s3, 41
	s_lshl_b64 s[2:3], s[58:59], 1
	v_lshlrev_b32_e32 v47, 3, v0
	v_not_b32_e32 v11, v7
	v_not_b32_e32 v10, v6
	v_writelane_b32 v59, s2, 42
	v_or_b32_e32 v9, 6, v47
	v_pk_mov_b32 v[6:7], s[0:1], s[0:1] op_sel:[0,1]
	v_writelane_b32 v59, s3, 43
	v_mad_u64_u32 v[18:19], s[2:3], s58, v9, v[6:7]
	v_mov_b32_e32 v8, v19
	v_mad_u64_u32 v[8:9], s[2:3], s59, v9, v[8:9]
	s_lshl_b64 s[2:3], s[58:59], 3
	v_writelane_b32 v59, s2, 44
	v_or_b32_e32 v9, 4, v47
	v_writelane_b32 v59, s3, 45
	v_mad_u64_u32 v[20:21], s[2:3], s58, v9, v[6:7]
	v_mov_b32_e32 v19, v8
	v_mov_b32_e32 v8, v21
	v_mad_u64_u32 v[8:9], s[2:3], s59, v9, v[8:9]
	v_mov_b32_e32 v21, v8
	v_or_b32_e32 v8, 2, v47
	v_mad_u64_u32 v[22:23], s[2:3], s58, v8, v[6:7]
	v_mov_b32_e32 v6, v23
	v_lshlrev_b64 v[4:5], 3, v[4:5]
	s_lshl_b32 s10, s33, 1
	v_mad_u64_u32 v[6:7], s[2:3], s59, v8, v[6:7]
	v_add_co_u32_e32 v24, vcc, s0, v4
	s_add_u32 s0, s16, s72
	v_mov_b32_e32 v23, v6
	v_mov_b32_e32 v6, s1
	v_writelane_b32 v59, s16, 46
	s_addc_u32 s1, s17, s73
	v_writelane_b32 v59, s17, 47
	s_add_u32 s0, s0, s14
	v_addc_co_u32_e32 v25, vcc, v6, v5, vcc
	v_mov_b32_e32 v4, 0xc00
	v_writelane_b32 v59, s14, 48
	s_addc_u32 s1, s1, s15
	v_lshl_or_b32 v48, v43, 3, v4
	v_mov_b32_e32 v4, s1
	v_add_co_u32_e32 v26, vcc, s0, v2
	s_mul_i32 s0, s59, s33
	s_mul_hi_u32 s1, s58, s33
	s_add_i32 s1, s1, s0
	s_mul_i32 s0, s58, s33
	v_writelane_b32 v59, s15, 49
	s_lshl_b64 s[64:65], s[0:1], 1
	s_mov_b32 s0, 14
	v_writelane_b32 v59, s0, 50
	s_mov_b32 s0, 0
	v_cmp_eq_u32_e64 s[90:91], 0, v43
	v_lshlrev_b32_e32 v45, 1, v0
	v_writelane_b32 v59, s0, 51
	v_lshlrev_b32_e32 v16, 2, v0
	v_mov_b32_e32 v17, v15
	v_add_u32_e32 v46, 0xc00, v45
	s_mov_b32 s92, s87
	v_addc_co_u32_e32 v27, vcc, v4, v3, vcc
	s_mov_b64 s[70:71], 0
	v_pk_mov_b32 v[28:29], s[62:63], s[62:63] op_sel:[0,1]
	v_mov_b32_e32 v49, 0xffff
	v_mov_b32_e32 v50, 0x8000
	v_mov_b32_e32 v51, 0x4f800000
	v_mov_b32_e32 v52, -1
	v_mov_b32_e32 v53, 0x5040100
	v_mov_b32_e32 v56, 0
	;; [unrolled: 1-line block ×4, first 2 shown]
	v_writelane_b32 v59, s90, 52
                                        ; implicit-def: $sgpr82_sgpr83
                                        ; implicit-def: $sgpr76_sgpr77
                                        ; implicit-def: $sgpr30_sgpr31
                                        ; implicit-def: $sgpr8_sgpr9
                                        ; implicit-def: $sgpr84_sgpr85
                                        ; implicit-def: $sgpr24_sgpr25
                                        ; implicit-def: $sgpr28_sgpr29
                                        ; implicit-def: $sgpr26_sgpr27
                                        ; implicit-def: $sgpr34_sgpr35
                                        ; implicit-def: $sgpr4_sgpr5
	v_writelane_b32 v59, s91, 53
	s_branch .LBB213_31
.LBB213_29:                             ;   in Loop: Header=BB213_31 Depth=1
	s_or_b64 exec, exec, s[14:15]
	s_andn2_b64 s[4:5], s[4:5], exec
	s_and_b64 s[6:7], s[6:7], exec
	s_or_b64 s[4:5], s[4:5], s[6:7]
	s_andn2_b64 s[34:35], s[34:35], exec
	s_andn2_b64 s[26:27], s[26:27], exec
	s_andn2_b64 s[28:29], s[28:29], exec
	s_andn2_b64 s[24:25], s[24:25], exec
	s_orn2_b64 s[2:3], s[2:3], exec
	v_mov_b32_e32 v54, v31
	v_mov_b32_e32 v55, v30
	v_pk_mov_b32 v[28:29], v[2:3], v[2:3] op_sel:[0,1]
	v_mov_b32_e32 v56, v6
.LBB213_30:                             ;   in Loop: Header=BB213_31 Depth=1
	s_or_b64 exec, exec, s[0:1]
	s_and_b64 s[0:1], exec, s[2:3]
	s_or_b64 s[70:71], s[0:1], s[70:71]
	s_andn2_b64 s[0:1], s[84:85], exec
	s_and_b64 s[2:3], s[4:5], exec
	s_or_b64 s[84:85], s[0:1], s[2:3]
	s_andn2_b64 s[0:1], s[8:9], exec
	s_and_b64 s[2:3], s[34:35], exec
	;; [unrolled: 3-line block ×5, first 2 shown]
	s_or_b64 s[82:83], s[0:1], s[2:3]
	s_andn2_b64 exec, exec, s[70:71]
	s_cbranch_execz .LBB213_501
.LBB213_31:                             ; =>This Loop Header: Depth=1
                                        ;     Child Loop BB213_36 Depth 2
                                        ;     Child Loop BB213_51 Depth 2
	;; [unrolled: 1-line block ×24, first 2 shown]
	ds_read_b128 v[2:5], v15 offset:5120
	s_waitcnt lgkmcnt(0)
	v_readfirstlane_b32 s3, v3
	v_readfirstlane_b32 s2, v2
	s_cmp_lg_u64 s[2:3], 0
	s_cbranch_scc1 .LBB213_58
; %bb.32:                               ;   in Loop: Header=BB213_31 Depth=1
	v_readlane_b32 s0, v59, 20
	v_readlane_b32 s1, v59, 21
	s_and_b64 vcc, exec, s[0:1]
	s_cbranch_vccz .LBB213_44
; %bb.33:                               ;   in Loop: Header=BB213_31 Depth=1
	s_mov_b64 s[0:1], 0x601
	v_cmp_gt_u64_e32 vcc, s[0:1], v[4:5]
	s_mov_b64 s[2:3], 0
	s_mov_b64 s[0:1], 0
	s_cbranch_vccz .LBB213_45
; %bb.34:                               ;   in Loop: Header=BB213_31 Depth=1
	v_readlane_b32 s0, v59, 33
	v_readlane_b32 s1, v59, 34
	s_nop 4
	global_load_ushort v6, v15, s[0:1]
	global_load_ushort v7, v[12:13], off
	v_readlane_b32 s0, v59, 40
	v_readlane_b32 s1, v59, 41
	;; [unrolled: 1-line block ×3, first 2 shown]
	v_pk_mov_b32 v[2:3], s[0:1], s[0:1] op_sel:[0,1]
	v_readlane_b32 s17, v59, 43
	s_mov_b64 s[0:1], 0
	s_waitcnt vmcnt(1)
	v_readfirstlane_b32 s6, v6
	s_and_b32 s6, 0xffff, s6
	v_add_u32_e32 v5, s6, v0
	s_mul_i32 s14, s17, s6
	s_mul_hi_u32 s15, s16, s6
	s_mul_i32 s11, s16, s6
	v_mad_u64_u32 v[2:3], s[6:7], s16, v5, v[2:3]
	v_mov_b32_e32 v4, v3
	v_mad_u64_u32 v[4:5], s[6:7], s17, v5, v[4:5]
	s_add_i32 s22, s15, s14
	v_mov_b32_e32 v3, v4
	v_pk_mov_b32 v[4:5], v[0:1], v[0:1] op_sel:[0,1]
	s_branch .LBB213_36
.LBB213_35:                             ;   in Loop: Header=BB213_36 Depth=2
	s_or_b64 exec, exec, s[6:7]
	v_mov_b32_e32 v7, s22
	v_add_co_u32_e32 v2, vcc, s11, v2
	v_addc_co_u32_e32 v3, vcc, v3, v7, vcc
	v_mov_b32_e32 v7, v8
	s_andn2_b64 exec, exec, s[0:1]
	s_cbranch_execz .LBB213_117
.LBB213_36:                             ;   Parent Loop BB213_31 Depth=1
                                        ; =>  This Inner Loop Header: Depth=2
	v_add_co_u32_sdwa v4, vcc, v4, v6 dst_sel:DWORD dst_unused:UNUSED_PAD src0_sel:DWORD src1_sel:WORD_0
	v_addc_co_u32_e32 v5, vcc, 0, v5, vcc
	v_cmp_gt_u64_e64 s[6:7], s[60:61], v[4:5]
	v_cmp_le_u64_e32 vcc, s[60:61], v[4:5]
	s_waitcnt lgkmcnt(0)
	v_mov_b32_e32 v9, 0
	v_mov_b32_e32 v8, 0
	s_and_saveexec_b64 s[14:15], s[6:7]
	s_cbranch_execz .LBB213_38
; %bb.37:                               ;   in Loop: Header=BB213_36 Depth=2
	global_load_ushort v8, v[2:3], off
.LBB213_38:                             ;   in Loop: Header=BB213_36 Depth=2
	s_or_b64 exec, exec, s[14:15]
	s_waitcnt vmcnt(0)
	v_cmp_lt_i16_e64 s[6:7], -1, v7
	v_cndmask_b32_e64 v14, v49, v50, s[6:7]
	v_xor_b32_sdwa v14, v14, v7 dst_sel:DWORD dst_unused:UNUSED_PAD src0_sel:DWORD src1_sel:WORD_0
	v_cmp_o_f16_e64 s[6:7], v7, v7
	v_cndmask_b32_e64 v14, v49, v14, s[6:7]
	v_and_b32_e32 v14, v14, v54
	v_cmp_eq_u32_e64 s[14:15], v14, v55
	s_cmp_lg_u64 s[14:15], 0
	s_cselect_b64 s[6:7], -1, 0
	s_and_b64 s[6:7], s[90:91], s[6:7]
	s_and_saveexec_b64 s[16:17], s[6:7]
	s_cbranch_execz .LBB213_42
; %bb.39:                               ;   in Loop: Header=BB213_36 Depth=2
	s_mov_b64 s[20:21], exec
	v_mbcnt_lo_u32_b32 v9, s20, 0
	v_mbcnt_hi_u32_b32 v9, s21, v9
	s_bcnt1_i32_b64 s23, s[14:15]
	v_cmp_eq_u32_e64 s[6:7], 0, v9
                                        ; implicit-def: $vgpr14
	s_and_saveexec_b64 s[18:19], s[6:7]
	s_cbranch_execz .LBB213_41
; %bb.40:                               ;   in Loop: Header=BB213_36 Depth=2
	s_bcnt1_i32_b64 s6, s[20:21]
	s_mul_i32 s6, s23, s6
	v_mov_b32_e32 v14, s6
	ds_add_rtn_u32 v14, v15, v14 offset:5144
.LBB213_41:                             ;   in Loop: Header=BB213_36 Depth=2
	s_or_b64 exec, exec, s[18:19]
	s_waitcnt lgkmcnt(0)
	v_readfirstlane_b32 s6, v14
	v_mov_b32_e32 v14, s6
	v_mad_u32_u24 v9, s23, v9, v14
.LBB213_42:                             ;   in Loop: Header=BB213_36 Depth=2
	s_or_b64 exec, exec, s[16:17]
	ds_bpermute_b32 v9, v42, v9
	s_and_b64 s[6:7], exec, vcc
	s_or_b64 s[0:1], s[6:7], s[0:1]
	s_and_saveexec_b64 s[6:7], s[14:15]
	s_cbranch_execz .LBB213_35
; %bb.43:                               ;   in Loop: Header=BB213_36 Depth=2
	v_and_b32_e32 v30, s14, v10
	v_and_b32_e32 v14, s15, v11
	v_bcnt_u32_b32 v30, v30, 0
	v_bcnt_u32_b32 v14, v14, v30
	v_lshlrev_b32_e32 v14, 1, v14
	s_waitcnt lgkmcnt(0)
	v_lshl_add_u32 v9, v9, 1, v14
	ds_write_b16 v9, v7
	s_branch .LBB213_35
.LBB213_44:                             ;   in Loop: Header=BB213_31 Depth=1
	s_mov_b64 s[2:3], -1
	s_mov_b64 s[0:1], 0
.LBB213_45:                             ;   in Loop: Header=BB213_31 Depth=1
	s_and_b64 vcc, exec, s[2:3]
	s_cbranch_vccz .LBB213_56
.LBB213_46:                             ;   in Loop: Header=BB213_31 Depth=1
	v_mov_b32_e32 v6, 0
	s_mov_b64 s[0:1], exec
	v_readlane_b32 s2, v59, 22
	v_readlane_b32 s3, v59, 23
	s_and_b64 s[2:3], s[0:1], s[2:3]
	s_mov_b64 exec, s[2:3]
	s_cbranch_execz .LBB213_48
; %bb.47:                               ;   in Loop: Header=BB213_31 Depth=1
	global_load_ushort v6, v[12:13], off
.LBB213_48:                             ;   in Loop: Header=BB213_31 Depth=1
	s_or_b64 exec, exec, s[0:1]
	s_mov_b64 s[0:1], exec
	v_readlane_b32 s2, v59, 22
	v_readlane_b32 s3, v59, 23
	s_and_b64 s[2:3], s[0:1], s[2:3]
	s_mov_b64 exec, s[2:3]
	s_cbranch_execz .LBB213_53
; %bb.49:                               ;   in Loop: Header=BB213_31 Depth=1
	v_readlane_b32 s2, v59, 33
	v_readlane_b32 s3, v59, 34
	;; [unrolled: 1-line block ×4, first 2 shown]
	v_mov_b32_e32 v8, v45
	s_nop 1
	global_load_ushort v7, v15, s[2:3]
	v_readlane_b32 s2, v59, 40
	v_readlane_b32 s3, v59, 41
	v_pk_mov_b32 v[2:3], s[2:3], s[2:3] op_sel:[0,1]
	s_mov_b64 s[2:3], 0
	s_waitcnt vmcnt(0)
	v_readfirstlane_b32 s6, v7
	s_and_b32 s6, 0xffff, s6
	v_add_u32_e32 v5, s6, v0
	s_lshl_b32 s11, s6, 1
	s_mul_i32 s14, s19, s6
	s_mul_hi_u32 s15, s18, s6
	s_mul_i32 s16, s18, s6
	v_mad_u64_u32 v[2:3], s[6:7], s18, v5, v[2:3]
	v_mov_b32_e32 v4, v3
	v_mad_u64_u32 v[4:5], s[6:7], s19, v5, v[4:5]
	s_add_i32 s17, s15, s14
	v_mov_b32_e32 v3, v4
	v_pk_mov_b32 v[4:5], v[0:1], v[0:1] op_sel:[0,1]
	s_branch .LBB213_51
.LBB213_50:                             ;   in Loop: Header=BB213_51 Depth=2
	s_or_b64 exec, exec, s[14:15]
	s_and_b64 s[6:7], exec, vcc
	ds_write_b16 v8, v6
	v_mov_b32_e32 v6, s17
	v_add_co_u32_e32 v2, vcc, s16, v2
	s_or_b64 s[2:3], s[6:7], s[2:3]
	v_add_u32_e32 v8, s11, v8
	v_addc_co_u32_e32 v3, vcc, v3, v6, vcc
	s_waitcnt vmcnt(0)
	v_mov_b32_e32 v6, v9
	s_andn2_b64 exec, exec, s[2:3]
	s_cbranch_execz .LBB213_53
.LBB213_51:                             ;   Parent Loop BB213_31 Depth=1
                                        ; =>  This Inner Loop Header: Depth=2
	v_add_co_u32_sdwa v4, vcc, v4, v7 dst_sel:DWORD dst_unused:UNUSED_PAD src0_sel:DWORD src1_sel:WORD_0
	v_addc_co_u32_e32 v5, vcc, 0, v5, vcc
	v_cmp_gt_u64_e64 s[6:7], s[60:61], v[4:5]
	v_cmp_le_u64_e32 vcc, s[60:61], v[4:5]
	v_mov_b32_e32 v9, 0
	s_and_saveexec_b64 s[14:15], s[6:7]
	s_cbranch_execz .LBB213_50
; %bb.52:                               ;   in Loop: Header=BB213_51 Depth=2
	global_load_ushort v9, v[2:3], off
	s_branch .LBB213_50
.LBB213_53:                             ;   in Loop: Header=BB213_31 Depth=1
	s_or_b64 exec, exec, s[0:1]
	s_waitcnt lgkmcnt(0)
	s_barrier
	s_mov_b64 s[0:1], exec
	v_readlane_b32 s2, v59, 10
	v_readlane_b32 s3, v59, 11
	s_and_b64 s[2:3], s[0:1], s[2:3]
	s_mov_b64 exec, s[2:3]
	s_cbranch_execz .LBB213_55
; %bb.54:                               ;   in Loop: Header=BB213_31 Depth=1
	v_pk_mov_b32 v[2:3], s[60:61], s[60:61] op_sel:[0,1]
	ds_write_b64 v15, v[2:3] offset:5120
.LBB213_55:                             ;   in Loop: Header=BB213_31 Depth=1
	s_or_b64 exec, exec, s[0:1]
	s_mov_b64 s[0:1], -1
	s_waitcnt lgkmcnt(0)
	s_barrier
                                        ; implicit-def: $sgpr2_sgpr3
.LBB213_56:                             ;   in Loop: Header=BB213_31 Depth=1
	s_and_b64 vcc, exec, s[0:1]
	s_cbranch_vccz .LBB213_58
; %bb.57:                               ;   in Loop: Header=BB213_31 Depth=1
	ds_read_b64 v[2:3], v15 offset:5120
	s_waitcnt lgkmcnt(0)
	v_readfirstlane_b32 s2, v2
.LBB213_58:                             ;   in Loop: Header=BB213_31 Depth=1
	v_writelane_b32 v59, s24, 54
	v_writelane_b32 v59, s25, 55
	;; [unrolled: 1-line block ×6, first 2 shown]
	s_cmp_lt_i32 s2, 1
	v_writelane_b32 v59, s34, 60
	v_writelane_b32 v59, s35, 61
	s_cbranch_scc0 .LBB213_73
; %bb.59:                               ;   in Loop: Header=BB213_31 Depth=1
	v_readlane_b32 s0, v59, 33
	v_readlane_b32 s1, v59, 34
	s_nop 4
	global_load_ushort v2, v15, s[0:1]
	s_mov_b32 s0, s87
	s_waitcnt vmcnt(0)
	v_readfirstlane_b32 s1, v2
	s_and_b32 s3, s1, 0xffff
	s_lshl_b32 s86, s3, 2
	s_mov_b32 s1, s61
	s_cmp_lg_u64 s[0:1], 0
	s_cbranch_scc0 .LBB213_93
; %bb.60:                               ;   in Loop: Header=BB213_31 Depth=1
	v_cvt_f32_u32_e32 v2, s86
	s_sub_u32 s0, 0, s86
	s_subb_u32 s1, 0, 0
	v_mac_f32_e32 v2, 0, v51
	v_rcp_f32_e32 v2, v2
	v_mul_f32_e32 v2, 0x5f7ffffc, v2
	v_mul_f32_e32 v3, 0x2f800000, v2
	v_trunc_f32_e32 v3, v3
	v_mac_f32_e32 v2, 0xcf800000, v3
	v_cvt_u32_f32_e32 v3, v3
	v_cvt_u32_f32_e32 v2, v2
	v_readfirstlane_b32 s6, v3
	v_readfirstlane_b32 s7, v2
	s_mul_i32 s11, s0, s6
	s_mul_hi_u32 s15, s0, s7
	s_mul_i32 s14, s1, s7
	s_add_i32 s11, s15, s11
	s_mul_i32 s16, s0, s7
	s_add_i32 s11, s11, s14
	s_mul_hi_u32 s15, s7, s16
	s_mul_hi_u32 s14, s7, s11
	s_mul_i32 s7, s7, s11
	s_add_u32 s7, s15, s7
	s_addc_u32 s14, 0, s14
	s_mul_hi_u32 s17, s6, s16
	s_mul_i32 s16, s6, s16
	s_add_u32 s7, s7, s16
	s_mul_hi_u32 s15, s6, s11
	s_addc_u32 s7, s14, s17
	s_addc_u32 s14, s15, 0
	s_mul_i32 s11, s6, s11
	s_add_u32 s7, s7, s11
	s_addc_u32 s11, 0, s14
	v_add_co_u32_e32 v2, vcc, s7, v2
	s_cmp_lg_u64 vcc, 0
	s_addc_u32 s6, s6, s11
	v_readfirstlane_b32 s11, v2
	s_mul_i32 s7, s0, s6
	s_mul_hi_u32 s14, s0, s11
	s_add_i32 s7, s14, s7
	s_mul_i32 s1, s1, s11
	s_add_i32 s7, s7, s1
	s_mul_i32 s0, s0, s11
	s_mul_hi_u32 s14, s6, s0
	s_mul_i32 s15, s6, s0
	s_mul_i32 s17, s11, s7
	s_mul_hi_u32 s0, s11, s0
	s_mul_hi_u32 s16, s11, s7
	s_add_u32 s0, s0, s17
	s_addc_u32 s11, 0, s16
	s_add_u32 s0, s0, s15
	s_mul_hi_u32 s1, s6, s7
	s_addc_u32 s0, s11, s14
	s_addc_u32 s1, s1, 0
	s_mul_i32 s7, s6, s7
	s_add_u32 s0, s0, s7
	s_addc_u32 s1, 0, s1
	v_add_co_u32_e32 v2, vcc, s0, v2
	s_cmp_lg_u64 vcc, 0
	s_addc_u32 s0, s6, s1
	v_readfirstlane_b32 s7, v2
	s_mul_i32 s6, s60, s0
	s_mul_hi_u32 s11, s60, s7
	s_mul_hi_u32 s1, s60, s0
	s_add_u32 s6, s11, s6
	s_addc_u32 s1, 0, s1
	s_mul_hi_u32 s14, s61, s7
	s_mul_i32 s7, s61, s7
	s_add_u32 s6, s6, s7
	s_mul_hi_u32 s11, s61, s0
	s_addc_u32 s1, s1, s14
	s_addc_u32 s6, s11, 0
	s_mul_i32 s0, s61, s0
	s_add_u32 s0, s1, s0
	s_addc_u32 s1, 0, s6
	s_mul_hi_u32 s6, s86, s0
	s_mul_i32 s0, s86, s0
	s_mul_i32 s1, s86, s1
	v_mov_b32_e32 v2, s0
	s_add_i32 s6, s6, s1
	v_sub_co_u32_e32 v2, vcc, s60, v2
	s_cmp_lg_u64 vcc, 0
	s_subb_u32 s0, s61, s6
	v_subrev_co_u32_e32 v3, vcc, s86, v2
	s_cmp_lg_u64 vcc, 0
	s_subb_u32 s1, s0, 0
	v_subrev_co_u32_e32 v4, vcc, s86, v3
	s_cmp_lg_u64 vcc, 0
	s_subb_u32 s6, s1, 0
	v_cmp_le_u32_e32 vcc, s86, v3
	s_cmp_eq_u32 s1, 0
	v_cndmask_b32_e64 v5, 0, -1, vcc
	s_cselect_b64 vcc, -1, 0
	v_cndmask_b32_e32 v5, -1, v5, vcc
	v_mov_b32_e32 v6, s1
	v_mov_b32_e32 v7, s6
	v_cmp_ne_u32_e32 vcc, 0, v5
	v_cndmask_b32_e32 v5, v6, v7, vcc
	v_cndmask_b32_e32 v4, v3, v4, vcc
	v_cmp_le_u32_e32 vcc, s86, v2
	s_cmp_eq_u32 s0, 0
	v_cndmask_b32_e64 v3, 0, -1, vcc
	s_cselect_b64 vcc, -1, 0
	v_cndmask_b32_e32 v3, -1, v3, vcc
	v_mov_b32_e32 v6, s0
	v_cmp_ne_u32_e32 vcc, 0, v3
	v_cndmask_b32_e32 v3, v6, v5, vcc
	v_cndmask_b32_e32 v2, v2, v4, vcc
	s_cbranch_execnz .LBB213_62
.LBB213_61:                             ;   in Loop: Header=BB213_31 Depth=1
	v_cvt_f32_u32_e32 v2, s86
	s_sub_i32 s0, 0, s86
	v_rcp_iflag_f32_e32 v2, v2
	v_mul_f32_e32 v2, 0x4f7ffffe, v2
	v_cvt_u32_f32_e32 v2, v2
	v_mul_lo_u32 v3, s0, v2
	v_mul_hi_u32 v3, v2, v3
	v_add_u32_e32 v2, v2, v3
	v_mul_hi_u32 v2, s60, v2
	v_mul_lo_u32 v2, v2, s86
	v_sub_u32_e32 v2, s60, v2
	v_subrev_u32_e32 v3, s86, v2
	v_cmp_le_u32_e32 vcc, s86, v2
	v_cndmask_b32_e32 v2, v2, v3, vcc
	v_subrev_u32_e32 v3, s86, v2
	v_cmp_le_u32_e32 vcc, s86, v2
	v_cndmask_b32_e32 v14, v2, v3, vcc
	v_pk_mov_b32 v[2:3], v[14:15], v[14:15] op_sel:[0,1]
.LBB213_62:                             ;   in Loop: Header=BB213_31 Depth=1
	v_mov_b32_e32 v4, s61
	v_sub_co_u32_e32 v30, vcc, s60, v2
	v_subb_co_u32_e32 v31, vcc, v4, v3, vcc
	v_pk_mov_b32 v[2:3], 0, 0
	v_cmp_gt_u64_e32 vcc, v[30:31], v[16:17]
	s_mov_b64 s[90:91], 0
	v_pk_mov_b32 v[4:5], v[2:3], v[2:3] op_sel:[0,1]
	v_pk_mov_b32 v[6:7], v[2:3], v[2:3] op_sel:[0,1]
	;; [unrolled: 1-line block ×3, first 2 shown]
	s_and_saveexec_b64 s[88:89], vcc
	s_cbranch_execz .LBB213_66
; %bb.63:                               ;   in Loop: Header=BB213_31 Depth=1
	v_readlane_b32 s6, v59, 44
	v_readlane_b32 s0, v59, 50
	;; [unrolled: 1-line block ×3, first 2 shown]
	s_and_b32 s11, s0, 0xfe
	s_mul_i32 s0, s7, s3
	s_mul_hi_u32 s1, s6, s3
	s_add_i32 s68, s1, s0
	s_mul_i32 s69, s6, s3
	v_pk_mov_b32 v[32:33], v[24:25], v[24:25] op_sel:[0,1]
	v_pk_mov_b32 v[34:35], v[22:23], v[22:23] op_sel:[0,1]
	;; [unrolled: 1-line block ×4, first 2 shown]
	s_mov_b64 s[80:81], 0
	s_mov_b64 s[94:95], 0
	;; [unrolled: 1-line block ×4, first 2 shown]
	v_pk_mov_b32 v[40:41], v[16:17], v[16:17] op_sel:[0,1]
.LBB213_64:                             ;   Parent Loop BB213_31 Depth=1
                                        ; =>  This Inner Loop Header: Depth=2
	v_mov_b32_e32 v7, s73
	v_add_co_u32_e32 v2, vcc, s72, v34
	v_add_co_u32_e64 v8, s[22:23], s72, v32
	v_add_co_u32_e64 v4, s[14:15], s72, v36
	;; [unrolled: 1-line block ×3, first 2 shown]
	v_addc_co_u32_e64 v9, s[22:23], v33, v7, s[22:23]
	v_addc_co_u32_e32 v3, vcc, v35, v7, vcc
	v_addc_co_u32_e64 v5, vcc, v37, v7, s[14:15]
	v_addc_co_u32_e64 v7, vcc, v39, v7, s[16:17]
	global_load_ushort v8, v[8:9], off
	s_nop 0
	global_load_ushort v2, v[2:3], off
	s_nop 0
	;; [unrolled: 2-line block ×3, first 2 shown]
	global_load_ushort v4, v[6:7], off
	v_mov_b32_e32 v14, s68
	v_add_co_u32_e64 v38, s[6:7], s69, v38
	v_addc_co_u32_e64 v39, vcc, v39, v14, s[6:7]
	v_add_co_u32_e64 v36, s[18:19], s69, v36
	v_addc_co_u32_e64 v37, vcc, v37, v14, s[18:19]
	;; [unrolled: 2-line block ×4, first 2 shown]
	v_add_co_u32_e64 v40, s[26:27], s86, v40
	v_addc_co_u32_e64 v41, s[26:27], 0, v41, s[26:27]
	v_cmp_ge_u64_e32 vcc, v[40:41], v[30:31]
	s_waitcnt vmcnt(3)
	v_cmp_lt_i16_e64 s[6:7], -1, v8
	v_cndmask_b32_e64 v5, v49, v50, s[6:7]
	s_waitcnt vmcnt(2)
	v_cmp_lt_i16_e64 s[6:7], -1, v2
	v_cndmask_b32_e64 v6, v49, v50, s[6:7]
	;; [unrolled: 3-line block ×4, first 2 shown]
	v_xor_b32_sdwa v6, v6, v2 dst_sel:DWORD dst_unused:UNUSED_PAD src0_sel:DWORD src1_sel:WORD_0
	v_cmp_o_f16_e64 s[6:7], v2, v2
	v_xor_b32_sdwa v2, v7, v3 dst_sel:DWORD dst_unused:UNUSED_PAD src0_sel:DWORD src1_sel:WORD_0
	v_cmp_o_f16_e64 s[14:15], v3, v3
	;; [unrolled: 2-line block ×4, first 2 shown]
	v_cndmask_b32_e64 v4, v49, v4, s[18:19]
	v_cndmask_b32_e64 v5, v49, v6, s[6:7]
	v_and_b32_e32 v6, v4, v54
	v_bfe_u32 v4, v4, s11, 2
	v_cndmask_b32_e64 v2, v49, v2, s[14:15]
	v_and_b32_e32 v7, v5, v54
	v_bfe_u32 v5, v5, s11, 2
	v_cmp_eq_u32_e64 s[20:21], v6, v55
	v_cmp_eq_u32_e64 s[6:7], 0, v4
	v_cndmask_b32_e64 v3, v49, v3, s[16:17]
	v_and_b32_e32 v8, v2, v54
	v_bfe_u32 v2, v2, s11, 2
	v_cmp_eq_u32_e64 s[18:19], v7, v55
	v_cmp_eq_u32_e64 s[34:35], 0, v5
	s_and_b64 s[6:7], s[20:21], s[6:7]
	v_and_b32_e32 v9, v3, v54
	v_bfe_u32 v3, v3, s11, 2
	v_cmp_eq_u32_e64 s[16:17], v8, v55
	v_cmp_eq_u32_e64 s[36:37], 0, v2
	;; [unrolled: 1-line block ×5, first 2 shown]
	v_cndmask_b32_e64 v2, 0, 1, s[6:7]
	s_and_b64 s[6:7], s[18:19], s[34:35]
	v_cmp_eq_u32_e64 s[14:15], v9, v55
	v_cmp_eq_u32_e64 s[38:39], 0, v3
	;; [unrolled: 1-line block ×5, first 2 shown]
	v_cndmask_b32_e64 v3, 0, 1, s[6:7]
	s_and_b64 s[6:7], s[16:17], s[36:37]
	v_cmp_eq_u32_e64 s[40:41], 1, v4
	v_cmp_eq_u32_e64 s[48:49], 2, v4
	;; [unrolled: 1-line block ×3, first 2 shown]
	v_cndmask_b32_e64 v4, 0, 1, s[6:7]
	s_and_b64 s[6:7], s[14:15], s[38:39]
	v_cmp_eq_u32_e64 s[42:43], 1, v5
	v_cmp_eq_u32_e64 s[50:51], 2, v5
	;; [unrolled: 1-line block ×3, first 2 shown]
	v_cndmask_b32_e64 v5, 0, 1, s[6:7]
	v_cmp_ne_u32_e64 s[6:7], 0, v2
	v_cmp_ne_u32_e64 s[34:35], 0, v3
	v_cmp_ne_u32_e64 s[36:37], 0, v4
	v_cmp_ne_u32_e64 s[38:39], 0, v5
	s_bcnt1_i32_b64 s6, s[6:7]
	s_bcnt1_i32_b64 s7, s[34:35]
	s_bcnt1_i32_b64 s34, s[36:37]
	s_bcnt1_i32_b64 s35, s[38:39]
	s_add_u32 s6, s6, s66
	s_addc_u32 s36, 0, s67
	s_add_u32 s6, s6, s7
	s_addc_u32 s7, s36, 0
	s_add_u32 s6, s6, s34
	s_addc_u32 s7, s7, 0
	s_add_u32 s66, s6, s35
	s_addc_u32 s67, s7, 0
	s_and_b64 s[6:7], s[20:21], s[40:41]
	v_cndmask_b32_e64 v4, 0, 1, s[6:7]
	s_and_b64 s[6:7], s[18:19], s[42:43]
	v_cndmask_b32_e64 v5, 0, 1, s[6:7]
	s_and_b64 s[6:7], s[16:17], s[44:45]
	v_cndmask_b32_e64 v6, 0, 1, s[6:7]
	s_and_b64 s[6:7], s[14:15], s[46:47]
	v_cndmask_b32_e64 v7, 0, 1, s[6:7]
	v_cmp_ne_u32_e64 s[6:7], 0, v4
	v_cmp_ne_u32_e64 s[34:35], 0, v5
	v_cmp_ne_u32_e64 s[36:37], 0, v6
	v_cmp_ne_u32_e64 s[38:39], 0, v7
	s_bcnt1_i32_b64 s6, s[6:7]
	s_bcnt1_i32_b64 s7, s[34:35]
	s_bcnt1_i32_b64 s34, s[36:37]
	s_bcnt1_i32_b64 s35, s[38:39]
	s_add_u32 s0, s6, s0
	s_addc_u32 s1, 0, s1
	s_add_u32 s0, s0, s7
	s_addc_u32 s1, s1, 0
	s_add_u32 s0, s0, s34
	s_addc_u32 s1, s1, 0
	s_add_u32 s0, s0, s35
	s_addc_u32 s1, s1, 0
	s_and_b64 s[6:7], s[20:21], s[48:49]
	v_cndmask_b32_e64 v6, 0, 1, s[6:7]
	s_and_b64 s[6:7], s[18:19], s[50:51]
	v_cndmask_b32_e64 v7, 0, 1, s[6:7]
	s_and_b64 s[6:7], s[16:17], s[52:53]
	v_cndmask_b32_e64 v8, 0, 1, s[6:7]
	s_and_b64 s[6:7], s[14:15], s[54:55]
	;; [unrolled: 24-line block ×3, first 2 shown]
	v_cndmask_b32_e64 v57, 0, 1, s[6:7]
	v_cmp_ne_u32_e64 s[6:7], 0, v8
	v_cmp_ne_u32_e64 s[14:15], 0, v9
	;; [unrolled: 1-line block ×4, first 2 shown]
	s_bcnt1_i32_b64 s6, s[6:7]
	s_bcnt1_i32_b64 s7, s[14:15]
	;; [unrolled: 1-line block ×4, first 2 shown]
	s_add_u32 s6, s6, s80
	s_addc_u32 s16, 0, s81
	s_add_u32 s6, s6, s7
	s_addc_u32 s7, s16, 0
	;; [unrolled: 2-line block ×4, first 2 shown]
	v_pk_mov_b32 v[2:3], s[66:67], s[66:67] op_sel:[0,1]
	v_pk_mov_b32 v[4:5], s[0:1], s[0:1] op_sel:[0,1]
	;; [unrolled: 1-line block ×3, first 2 shown]
	s_or_b64 s[90:91], vcc, s[90:91]
	v_pk_mov_b32 v[8:9], s[80:81], s[80:81] op_sel:[0,1]
	s_andn2_b64 exec, exec, s[90:91]
	s_cbranch_execnz .LBB213_64
; %bb.65:                               ;   in Loop: Header=BB213_31 Depth=1
	s_or_b64 exec, exec, s[90:91]
.LBB213_66:                             ;   in Loop: Header=BB213_31 Depth=1
	s_or_b64 exec, exec, s[88:89]
	v_add_co_u32_e32 v30, vcc, v30, v0
	v_readlane_b32 s90, v59, 52
	v_addc_co_u32_e32 v31, vcc, 0, v31, vcc
	v_readlane_b32 s91, v59, 53
	v_cmp_gt_u64_e32 vcc, s[60:61], v[30:31]
	v_mov_b32_e32 v14, 0
	s_and_saveexec_b64 s[0:1], vcc
	s_cbranch_execz .LBB213_68
; %bb.67:                               ;   in Loop: Header=BB213_31 Depth=1
	v_mul_lo_u32 v14, v31, s58
	v_mul_lo_u32 v34, v30, s59
	v_mad_u64_u32 v[32:33], s[6:7], v30, s58, 0
	v_add3_u32 v33, v33, v34, v14
	v_lshlrev_b64 v[32:33], 1, v[32:33]
	v_mov_b32_e32 v14, s12
	v_add_co_u32_e64 v32, s[6:7], s93, v32
	v_addc_co_u32_e64 v33, s[6:7], v14, v33, s[6:7]
	global_load_ushort v14, v[32:33], off
.LBB213_68:                             ;   in Loop: Header=BB213_31 Depth=1
	s_or_b64 exec, exec, s[0:1]
	s_and_saveexec_b64 s[0:1], vcc
	s_cbranch_execz .LBB213_75
; %bb.69:                               ;   in Loop: Header=BB213_31 Depth=1
	v_readlane_b32 s6, v59, 50
	s_and_b32 s11, s6, 0xfe
	s_mov_b64 s[14:15], 0
	s_branch .LBB213_71
.LBB213_70:                             ;   in Loop: Header=BB213_71 Depth=2
	s_or_b64 exec, exec, s[16:17]
	s_and_b64 s[6:7], exec, vcc
	s_waitcnt vmcnt(0)
	v_cmp_lt_i16_e32 vcc, -1, v14
	v_cndmask_b32_e32 v33, v49, v50, vcc
	v_xor_b32_sdwa v33, v33, v14 dst_sel:DWORD dst_unused:UNUSED_PAD src0_sel:DWORD src1_sel:WORD_0
	v_cmp_o_f16_e32 vcc, v14, v14
	v_cndmask_b32_e32 v14, v49, v33, vcc
	v_and_b32_e32 v33, v14, v54
	v_bfe_u32 v14, v14, s11, 2
	s_or_b64 s[14:15], s[6:7], s[14:15]
	v_cmp_eq_u32_e32 vcc, v33, v55
	v_cmp_eq_u32_e64 s[6:7], 0, v14
	s_and_b64 s[6:7], vcc, s[6:7]
	v_cndmask_b32_e64 v33, 0, 1, s[6:7]
	v_cmp_ne_u32_e64 s[6:7], 0, v33
	s_bcnt1_i32_b64 s6, s[6:7]
	v_add_co_u32_e64 v2, s[6:7], s6, v2
	v_addc_co_u32_e64 v3, s[6:7], 0, v3, s[6:7]
	v_cmp_eq_u32_e64 s[6:7], 1, v14
	s_and_b64 s[6:7], vcc, s[6:7]
	v_cndmask_b32_e64 v33, 0, 1, s[6:7]
	v_cmp_ne_u32_e64 s[6:7], 0, v33
	s_bcnt1_i32_b64 s6, s[6:7]
	v_add_co_u32_e64 v4, s[6:7], s6, v4
	v_addc_co_u32_e64 v5, s[6:7], 0, v5, s[6:7]
	;; [unrolled: 7-line block ×3, first 2 shown]
	v_cmp_eq_u32_e64 s[6:7], 3, v14
	s_and_b64 s[6:7], vcc, s[6:7]
	v_cndmask_b32_e64 v14, 0, 1, s[6:7]
	v_cmp_ne_u32_e32 vcc, 0, v14
	s_bcnt1_i32_b64 s6, vcc
	v_add_co_u32_e32 v8, vcc, s6, v8
	v_addc_co_u32_e32 v9, vcc, 0, v9, vcc
	v_mov_b32_e32 v14, v32
	s_andn2_b64 exec, exec, s[14:15]
	s_cbranch_execz .LBB213_74
.LBB213_71:                             ;   Parent Loop BB213_31 Depth=1
                                        ; =>  This Inner Loop Header: Depth=2
	v_mov_b32_e32 v32, s87
	v_add_co_u32_e32 v30, vcc, s3, v30
	v_addc_co_u32_e32 v31, vcc, v31, v32, vcc
	v_cmp_gt_u64_e64 s[6:7], s[60:61], v[30:31]
	v_cmp_le_u64_e32 vcc, s[60:61], v[30:31]
	v_mov_b32_e32 v32, 0
	s_and_saveexec_b64 s[16:17], s[6:7]
	s_cbranch_execz .LBB213_70
; %bb.72:                               ;   in Loop: Header=BB213_71 Depth=2
	v_mul_lo_u32 v34, v31, s58
	v_mul_lo_u32 v35, v30, s59
	v_mad_u64_u32 v[32:33], s[6:7], v30, s58, 0
	v_add3_u32 v33, v33, v35, v34
	v_lshlrev_b64 v[32:33], 1, v[32:33]
	v_mov_b32_e32 v34, s12
	v_add_co_u32_e64 v32, s[6:7], s93, v32
	v_addc_co_u32_e64 v33, s[6:7], v34, v33, s[6:7]
	global_load_ushort v32, v[32:33], off
	s_branch .LBB213_70
.LBB213_73:                             ;   in Loop: Header=BB213_31 Depth=1
                                        ; implicit-def: $vgpr8_vgpr9
                                        ; implicit-def: $vgpr4_vgpr5
	s_cbranch_execnz .LBB213_76
	s_branch .LBB213_85
.LBB213_74:                             ;   in Loop: Header=BB213_31 Depth=1
	s_or_b64 exec, exec, s[14:15]
.LBB213_75:                             ;   in Loop: Header=BB213_31 Depth=1
	s_or_b64 exec, exec, s[0:1]
	s_branch .LBB213_85
.LBB213_76:                             ;   in Loop: Header=BB213_31 Depth=1
	v_readlane_b32 s0, v59, 33
	v_readlane_b32 s1, v59, 34
	s_nop 4
	global_load_ushort v8, v15, s[0:1]
	s_waitcnt vmcnt(0)
	v_readfirstlane_b32 s0, v8
	s_and_b32 s0, 0xffff, s0
	s_lshl_b32 s3, s0, 2
	v_cvt_f32_u32_e32 v2, s3
	s_sub_i32 s6, 0, s3
	s_mov_b64 s[0:1], 0
	v_and_b32_e32 v32, 0xffff, v8
	v_rcp_iflag_f32_e32 v6, v2
	v_pk_mov_b32 v[2:3], 0, 0
	v_pk_mov_b32 v[4:5], v[2:3], v[2:3] op_sel:[0,1]
	v_mul_f32_e32 v6, 0x4f7ffffe, v6
	v_cvt_u32_f32_e32 v9, v6
	v_pk_mov_b32 v[6:7], v[2:3], v[2:3] op_sel:[0,1]
	v_readfirstlane_b32 s7, v9
	s_mul_i32 s6, s6, s7
	s_mul_hi_u32 s6, s7, s6
	s_add_i32 s7, s7, s6
	s_mul_hi_u32 s6, s2, s7
	s_mul_i32 s6, s6, s3
	s_sub_i32 s6, s2, s6
	s_sub_i32 s7, s6, s3
	s_cmp_ge_u32 s6, s3
	s_cselect_b32 s6, s7, s6
	s_sub_i32 s7, s6, s3
	s_cmp_ge_u32 s6, s3
	s_cselect_b32 s6, s7, s6
	s_sub_i32 s86, s2, s6
	v_cmp_gt_u32_e32 vcc, s86, v16
	v_pk_mov_b32 v[8:9], v[2:3], v[2:3] op_sel:[0,1]
	s_and_saveexec_b64 s[66:67], vcc
	s_cbranch_execz .LBB213_80
; %bb.77:                               ;   in Loop: Header=BB213_31 Depth=1
	v_readlane_b32 s6, v59, 50
	s_and_b32 s11, s6, 0xfe
	v_lshlrev_b32_e32 v14, 3, v32
	v_mov_b32_e32 v33, v47
	s_mov_b64 s[80:81], 0
	s_mov_b64 s[88:89], 0
	;; [unrolled: 1-line block ×4, first 2 shown]
	v_pk_mov_b32 v[30:31], v[16:17], v[16:17] op_sel:[0,1]
.LBB213_78:                             ;   Parent Loop BB213_31 Depth=1
                                        ; =>  This Inner Loop Header: Depth=2
	ds_read_b64 v[2:3], v33
	v_add_co_u32_e32 v30, vcc, s3, v30
	v_addc_co_u32_e32 v31, vcc, 0, v31, vcc
	s_waitcnt lgkmcnt(0)
	v_cmp_lt_i16_e64 s[6:7], -1, v2
	v_cndmask_b32_e64 v4, v49, v50, s[6:7]
	v_cmp_gt_i16_sdwa s[6:7], v2, v52 src0_sel:WORD_1 src1_sel:DWORD
	v_cndmask_b32_e64 v5, v49, v50, s[6:7]
	v_cmp_lt_i16_e64 s[6:7], -1, v3
	v_cndmask_b32_e64 v6, v49, v50, s[6:7]
	v_cmp_gt_i16_sdwa s[6:7], v3, v52 src0_sel:WORD_1 src1_sel:DWORD
	v_cndmask_b32_e64 v7, v49, v50, s[6:7]
	v_xor_b32_sdwa v6, v6, v3 dst_sel:DWORD dst_unused:UNUSED_PAD src0_sel:DWORD src1_sel:WORD_0
	v_cmp_o_f16_e64 s[14:15], v3, v3
	v_xor_b32_sdwa v7, v7, v3 dst_sel:DWORD dst_unused:UNUSED_PAD src0_sel:DWORD src1_sel:WORD_1
	v_cmp_o_f16_sdwa s[16:17], v3, v3 src0_sel:WORD_1 src1_sel:WORD_1
	v_xor_b32_sdwa v3, v4, v2 dst_sel:DWORD dst_unused:UNUSED_PAD src0_sel:DWORD src1_sel:WORD_0
	v_cmp_o_f16_e64 s[18:19], v2, v2
	v_xor_b32_sdwa v5, v5, v2 dst_sel:DWORD dst_unused:UNUSED_PAD src0_sel:DWORD src1_sel:WORD_1
	v_cmp_o_f16_sdwa s[6:7], v2, v2 src0_sel:WORD_1 src1_sel:WORD_1
	v_cndmask_b32_e64 v2, v49, v3, s[18:19]
	v_cndmask_b32_e64 v3, v49, v5, s[6:7]
	;; [unrolled: 1-line block ×3, first 2 shown]
	v_and_b32_e32 v6, v2, v54
	v_bfe_u32 v2, v2, s11, 2
	v_cndmask_b32_e64 v5, v49, v7, s[16:17]
	v_and_b32_e32 v7, v3, v54
	v_bfe_u32 v3, v3, s11, 2
	v_cmp_eq_u32_e64 s[20:21], v6, v55
	v_cmp_eq_u32_e64 s[6:7], 0, v2
	v_and_b32_e32 v8, v4, v54
	v_bfe_u32 v4, v4, s11, 2
	v_cmp_eq_u32_e64 s[18:19], v7, v55
	v_cmp_eq_u32_e64 s[34:35], 0, v3
	s_and_b64 s[6:7], s[20:21], s[6:7]
	v_and_b32_e32 v9, v5, v54
	v_bfe_u32 v5, v5, s11, 2
	v_cmp_eq_u32_e64 s[16:17], v8, v55
	v_cmp_eq_u32_e64 s[36:37], 0, v4
	;; [unrolled: 1-line block ×5, first 2 shown]
	v_cndmask_b32_e64 v2, 0, 1, s[6:7]
	s_and_b64 s[6:7], s[18:19], s[34:35]
	v_cmp_eq_u32_e64 s[14:15], v9, v55
	v_cmp_eq_u32_e64 s[38:39], 0, v5
	v_cmp_eq_u32_e64 s[42:43], 1, v3
	v_cmp_eq_u32_e64 s[50:51], 2, v3
	v_cmp_eq_u32_e64 s[26:27], 3, v3
	v_cndmask_b32_e64 v3, 0, 1, s[6:7]
	s_and_b64 s[6:7], s[16:17], s[36:37]
	v_cmp_eq_u32_e64 s[44:45], 1, v4
	v_cmp_eq_u32_e64 s[52:53], 2, v4
	;; [unrolled: 1-line block ×3, first 2 shown]
	v_cndmask_b32_e64 v4, 0, 1, s[6:7]
	s_and_b64 s[6:7], s[14:15], s[38:39]
	v_cmp_eq_u32_e64 s[46:47], 1, v5
	v_cmp_eq_u32_e64 s[54:55], 2, v5
	;; [unrolled: 1-line block ×3, first 2 shown]
	v_cndmask_b32_e64 v5, 0, 1, s[6:7]
	v_cmp_ne_u32_e64 s[6:7], 0, v2
	v_cmp_ne_u32_e64 s[34:35], 0, v3
	v_cmp_ne_u32_e64 s[36:37], 0, v4
	v_cmp_ne_u32_e64 s[38:39], 0, v5
	s_bcnt1_i32_b64 s6, s[6:7]
	s_bcnt1_i32_b64 s7, s[34:35]
	s_bcnt1_i32_b64 s34, s[36:37]
	s_bcnt1_i32_b64 s35, s[38:39]
	s_add_u32 s6, s6, s94
	s_addc_u32 s36, 0, s95
	s_add_u32 s6, s6, s7
	s_addc_u32 s7, s36, 0
	s_add_u32 s6, s6, s34
	s_addc_u32 s7, s7, 0
	s_add_u32 s94, s6, s35
	s_addc_u32 s95, s7, 0
	s_and_b64 s[6:7], s[20:21], s[40:41]
	v_cndmask_b32_e64 v4, 0, 1, s[6:7]
	s_and_b64 s[6:7], s[18:19], s[42:43]
	v_cndmask_b32_e64 v5, 0, 1, s[6:7]
	s_and_b64 s[6:7], s[16:17], s[44:45]
	v_cndmask_b32_e64 v6, 0, 1, s[6:7]
	s_and_b64 s[6:7], s[14:15], s[46:47]
	v_cndmask_b32_e64 v7, 0, 1, s[6:7]
	v_cmp_ne_u32_e64 s[6:7], 0, v4
	v_cmp_ne_u32_e64 s[34:35], 0, v5
	v_cmp_ne_u32_e64 s[36:37], 0, v6
	v_cmp_ne_u32_e64 s[38:39], 0, v7
	s_bcnt1_i32_b64 s6, s[6:7]
	s_bcnt1_i32_b64 s7, s[34:35]
	s_bcnt1_i32_b64 s34, s[36:37]
	s_bcnt1_i32_b64 s35, s[38:39]
	s_add_u32 s6, s6, s90
	s_addc_u32 s36, 0, s91
	s_add_u32 s6, s6, s7
	s_addc_u32 s7, s36, 0
	s_add_u32 s6, s6, s34
	s_addc_u32 s7, s7, 0
	s_add_u32 s90, s6, s35
	s_addc_u32 s91, s7, 0
	s_and_b64 s[6:7], s[20:21], s[48:49]
	v_cndmask_b32_e64 v6, 0, 1, s[6:7]
	s_and_b64 s[6:7], s[18:19], s[50:51]
	v_cndmask_b32_e64 v7, 0, 1, s[6:7]
	s_and_b64 s[6:7], s[16:17], s[52:53]
	v_cndmask_b32_e64 v8, 0, 1, s[6:7]
	s_and_b64 s[6:7], s[14:15], s[54:55]
	;; [unrolled: 24-line block ×3, first 2 shown]
	v_cndmask_b32_e64 v35, 0, 1, s[6:7]
	v_cmp_ne_u32_e64 s[6:7], 0, v8
	v_cmp_ne_u32_e64 s[14:15], 0, v9
	;; [unrolled: 1-line block ×4, first 2 shown]
	s_bcnt1_i32_b64 s6, s[6:7]
	s_bcnt1_i32_b64 s7, s[14:15]
	;; [unrolled: 1-line block ×4, first 2 shown]
	s_add_u32 s6, s6, s80
	s_addc_u32 s16, 0, s81
	s_add_u32 s6, s6, s7
	s_addc_u32 s7, s16, 0
	;; [unrolled: 2-line block ×3, first 2 shown]
	s_add_u32 s80, s6, s15
	v_cmp_le_u64_e32 vcc, s[86:87], v[30:31]
	s_addc_u32 s81, s7, 0
	v_add_u32_e32 v33, v33, v14
	v_pk_mov_b32 v[2:3], s[94:95], s[94:95] op_sel:[0,1]
	v_pk_mov_b32 v[4:5], s[90:91], s[90:91] op_sel:[0,1]
	;; [unrolled: 1-line block ×3, first 2 shown]
	s_or_b64 s[0:1], vcc, s[0:1]
	v_pk_mov_b32 v[8:9], s[80:81], s[80:81] op_sel:[0,1]
	s_andn2_b64 exec, exec, s[0:1]
	s_cbranch_execnz .LBB213_78
; %bb.79:                               ;   in Loop: Header=BB213_31 Depth=1
	s_or_b64 exec, exec, s[0:1]
	v_readlane_b32 s90, v59, 52
	v_readlane_b32 s91, v59, 53
.LBB213_80:                             ;   in Loop: Header=BB213_31 Depth=1
	s_or_b64 exec, exec, s[66:67]
	v_add_u32_e32 v14, s86, v0
	v_cmp_gt_u32_e32 vcc, s2, v14
	s_and_saveexec_b64 s[0:1], vcc
	s_cbranch_execz .LBB213_84
; %bb.81:                               ;   in Loop: Header=BB213_31 Depth=1
	s_and_b32 s86, s2, 0x7fffffff
	v_readlane_b32 s2, v59, 50
	s_and_b32 s11, s2, 0xfe
	v_lshlrev_b32_e32 v33, 1, v14
	v_lshlrev_b32_e32 v34, 1, v32
	s_mov_b64 s[2:3], 0
	v_pk_mov_b32 v[30:31], v[14:15], v[14:15] op_sel:[0,1]
.LBB213_82:                             ;   Parent Loop BB213_31 Depth=1
                                        ; =>  This Inner Loop Header: Depth=2
	ds_read_u16 v14, v33
	v_add_co_u32_e32 v30, vcc, v30, v32
	v_addc_co_u32_e32 v31, vcc, 0, v31, vcc
	s_waitcnt lgkmcnt(0)
	v_cmp_lt_i16_e64 s[6:7], -1, v14
	v_cndmask_b32_e64 v35, v49, v50, s[6:7]
	v_xor_b32_sdwa v35, v35, v14 dst_sel:DWORD dst_unused:UNUSED_PAD src0_sel:DWORD src1_sel:WORD_0
	v_cmp_o_f16_e64 s[6:7], v14, v14
	v_cndmask_b32_e64 v14, v49, v35, s[6:7]
	v_and_b32_e32 v35, v14, v54
	v_bfe_u32 v14, v14, s11, 2
	v_cmp_eq_u32_e64 s[6:7], v35, v55
	v_cmp_eq_u32_e64 s[14:15], 0, v14
	;; [unrolled: 1-line block ×3, first 2 shown]
	s_and_b64 s[14:15], s[6:7], s[14:15]
	v_cmp_eq_u32_e64 s[18:19], 2, v14
	v_cmp_eq_u32_e64 s[20:21], 3, v14
	v_cndmask_b32_e64 v14, 0, 1, s[14:15]
	s_and_b64 s[14:15], s[6:7], s[16:17]
	v_cndmask_b32_e64 v35, 0, 1, s[14:15]
	s_and_b64 s[14:15], s[6:7], s[18:19]
	s_and_b64 s[6:7], s[6:7], s[20:21]
	v_cndmask_b32_e64 v36, 0, 1, s[14:15]
	v_cndmask_b32_e64 v37, 0, 1, s[6:7]
	v_cmp_ne_u32_e64 s[6:7], 0, v14
	v_cmp_ne_u32_e64 s[14:15], 0, v35
	;; [unrolled: 1-line block ×4, first 2 shown]
	v_cmp_le_u64_e32 vcc, s[86:87], v[30:31]
	s_bcnt1_i32_b64 s6, s[6:7]
	s_bcnt1_i32_b64 s7, s[14:15]
	;; [unrolled: 1-line block ×4, first 2 shown]
	s_or_b64 s[2:3], vcc, s[2:3]
	v_add_co_u32_e32 v2, vcc, s6, v2
	v_addc_co_u32_e32 v3, vcc, 0, v3, vcc
	v_add_co_u32_e32 v4, vcc, s7, v4
	v_addc_co_u32_e32 v5, vcc, 0, v5, vcc
	;; [unrolled: 2-line block ×3, first 2 shown]
	v_add_co_u32_e32 v8, vcc, s15, v8
	v_add_u32_e32 v33, v33, v34
	v_addc_co_u32_e32 v9, vcc, 0, v9, vcc
	s_andn2_b64 exec, exec, s[2:3]
	s_cbranch_execnz .LBB213_82
; %bb.83:                               ;   in Loop: Header=BB213_31 Depth=1
	s_or_b64 exec, exec, s[2:3]
.LBB213_84:                             ;   in Loop: Header=BB213_31 Depth=1
	s_or_b64 exec, exec, s[0:1]
.LBB213_85:                             ;   in Loop: Header=BB213_31 Depth=1
	v_readlane_b32 s0, v59, 51
	s_lshl_b32 s2, s0, 6
	s_and_saveexec_b64 s[0:1], s[90:91]
	s_cbranch_execz .LBB213_87
; %bb.86:                               ;   in Loop: Header=BB213_31 Depth=1
	s_waitcnt vmcnt(0)
	v_or_b32_e32 v14, s2, v44
	v_lshlrev_b32_e32 v14, 3, v14
	ds_write_b128 v14, v[2:5] offset:3072
	ds_write_b128 v14, v[6:9] offset:3088
.LBB213_87:                             ;   in Loop: Header=BB213_31 Depth=1
	s_or_b64 exec, exec, s[0:1]
	s_waitcnt lgkmcnt(0)
	s_barrier
	s_mov_b64 s[0:1], exec
	v_readlane_b32 s6, v59, 18
	v_readlane_b32 s7, v59, 19
	s_and_b64 s[6:7], s[0:1], s[6:7]
	s_mov_b64 exec, s[6:7]
	s_cbranch_execz .LBB213_99
; %bb.88:                               ;   in Loop: Header=BB213_31 Depth=1
	v_readlane_b32 s6, v59, 26
	v_readlane_b32 s7, v59, 27
	s_andn2_b64 vcc, exec, s[6:7]
	v_pk_mov_b32 v[2:3], 0, 0
	s_cbranch_vccnz .LBB213_98
; %bb.89:                               ;   in Loop: Header=BB213_31 Depth=1
	v_readlane_b32 s6, v59, 35
	v_readlane_b32 s7, v59, 36
	s_andn2_b64 vcc, exec, s[6:7]
	s_cbranch_vccnz .LBB213_94
; %bb.90:                               ;   in Loop: Header=BB213_31 Depth=1
	v_readlane_b32 s3, v59, 51
	v_lshl_add_u32 v4, s3, 9, v48
	s_mov_b32 s3, 0
	v_pk_mov_b32 v[2:3], 0, 0
.LBB213_91:                             ;   Parent Loop BB213_31 Depth=1
                                        ; =>  This Inner Loop Header: Depth=2
	s_waitcnt vmcnt(0)
	ds_read2_b64 v[6:9], v4 offset1:4
	ds_read2_b64 v[30:33], v4 offset0:8 offset1:12
	ds_read2_b64 v[34:37], v4 offset0:16 offset1:20
	;; [unrolled: 1-line block ×3, first 2 shown]
	s_add_i32 s3, s3, 8
	s_waitcnt lgkmcnt(3)
	v_add_co_u32_e32 v2, vcc, v6, v2
	v_addc_co_u32_e32 v3, vcc, v7, v3, vcc
	v_add_co_u32_e32 v2, vcc, v8, v2
	v_addc_co_u32_e32 v3, vcc, v9, v3, vcc
	s_waitcnt lgkmcnt(2)
	v_add_co_u32_e32 v2, vcc, v30, v2
	v_addc_co_u32_e32 v3, vcc, v31, v3, vcc
	v_add_co_u32_e32 v2, vcc, v32, v2
	v_addc_co_u32_e32 v3, vcc, v33, v3, vcc
	s_waitcnt lgkmcnt(1)
	v_add_co_u32_e32 v2, vcc, v34, v2
	v_addc_co_u32_e32 v3, vcc, v35, v3, vcc
	v_add_co_u32_e32 v2, vcc, v36, v2
	v_addc_co_u32_e32 v3, vcc, v37, v3, vcc
	s_waitcnt lgkmcnt(0)
	v_add_co_u32_e32 v2, vcc, v38, v2
	v_addc_co_u32_e32 v3, vcc, v39, v3, vcc
	v_add_co_u32_e32 v2, vcc, v40, v2
	v_add_u32_e32 v4, 0x100, v4
	s_cmp_eq_u32 s13, s3
	v_addc_co_u32_e32 v3, vcc, v41, v3, vcc
	s_cbranch_scc0 .LBB213_91
; %bb.92:                               ;   in Loop: Header=BB213_31 Depth=1
	s_mov_b32 s3, s13
	s_branch .LBB213_95
.LBB213_93:                             ;   in Loop: Header=BB213_31 Depth=1
                                        ; implicit-def: $vgpr2_vgpr3
	s_branch .LBB213_61
.LBB213_94:                             ;   in Loop: Header=BB213_31 Depth=1
	s_mov_b32 s3, 0
	v_pk_mov_b32 v[2:3], 0, 0
.LBB213_95:                             ;   in Loop: Header=BB213_31 Depth=1
	v_readlane_b32 s6, v59, 38
	v_readlane_b32 s7, v59, 39
	s_andn2_b64 vcc, exec, s[6:7]
	s_cbranch_vccnz .LBB213_98
; %bb.96:                               ;   in Loop: Header=BB213_31 Depth=1
	v_readlane_b32 s6, v59, 51
	s_lshl_b32 s6, s6, 9
	s_lshl_b32 s3, s3, 5
	s_add_i32 s6, s6, s3
	v_add_u32_e32 v4, s6, v48
	v_readlane_b32 s3, v59, 37
.LBB213_97:                             ;   Parent Loop BB213_31 Depth=1
                                        ; =>  This Inner Loop Header: Depth=2
	s_waitcnt vmcnt(0)
	ds_read_b64 v[6:7], v4
	s_add_i32 s3, s3, -1
	v_add_u32_e32 v4, 32, v4
	s_cmp_lg_u32 s3, 0
	s_waitcnt lgkmcnt(0)
	v_add_co_u32_e32 v2, vcc, v6, v2
	v_addc_co_u32_e32 v3, vcc, v7, v3, vcc
	s_cbranch_scc1 .LBB213_97
.LBB213_98:                             ;   in Loop: Header=BB213_31 Depth=1
	v_add_lshl_u32 v4, s2, v43, 3
	ds_write_b64 v4, v[2:3] offset:3072
.LBB213_99:                             ;   in Loop: Header=BB213_31 Depth=1
	s_or_b64 exec, exec, s[0:1]
	s_lshl_b32 s0, s2, 3
	s_waitcnt vmcnt(0)
	v_mov_b32_e32 v6, s0
	s_waitcnt lgkmcnt(0)
	s_barrier
	ds_read_b128 v[2:5], v6 offset:3072
	ds_read_b128 v[6:9], v6 offset:3088
	v_readlane_b32 s0, v59, 50
	s_and_b32 s95, s0, 0xfe
	v_readlane_b32 s0, v59, 16
	s_lshl_b32 s86, 3, s95
	v_readlane_b32 s1, v59, 17
	s_waitcnt lgkmcnt(1)
	v_readfirstlane_b32 s17, v3
	v_readfirstlane_b32 s16, v2
	;; [unrolled: 1-line block ×4, first 2 shown]
	s_waitcnt lgkmcnt(0)
	v_readfirstlane_b32 s23, v7
	v_readfirstlane_b32 s22, v6
	;; [unrolled: 1-line block ×4, first 2 shown]
	s_not_b32 s94, s86
	s_andn2_b64 vcc, exec, s[0:1]
	v_cmp_eq_u64_e64 s[14:15], 1, v[28:29]
	s_cbranch_vccnz .LBB213_115
; %bb.100:                              ;   in Loop: Header=BB213_31 Depth=1
	s_cmp_eq_u64 s[16:17], 1
	s_cselect_b64 s[0:1], -1, 0
	s_and_b64 s[2:3], s[0:1], s[14:15]
	s_mov_b64 s[0:1], -1
	v_mov_b32_e32 v30, v55
	v_mov_b32_e32 v31, v54
	;; [unrolled: 1-line block ×3, first 2 shown]
                                        ; implicit-def: $sgpr20_sgpr21
                                        ; implicit-def: $sgpr36_sgpr37
                                        ; implicit-def: $sgpr34_sgpr35
	s_and_saveexec_b64 s[26:27], s[2:3]
	s_cbranch_execz .LBB213_137
; %bb.101:                              ;   in Loop: Header=BB213_31 Depth=1
	ds_read_b64 v[2:3], v15 offset:5120
	s_waitcnt lgkmcnt(0)
	s_barrier
	v_readfirstlane_b32 s0, v2
	v_readfirstlane_b32 s1, v3
	s_mov_b64 s[6:7], exec
	v_readlane_b32 s20, v59, 24
	v_readlane_b32 s21, v59, 25
	s_and_b64 s[20:21], s[6:7], s[20:21]
	s_mov_b64 exec, s[20:21]
	s_cbranch_execz .LBB213_103
; %bb.102:                              ;   in Loop: Header=BB213_31 Depth=1
	ds_write_b16 v46, v15
.LBB213_103:                            ;   in Loop: Header=BB213_31 Depth=1
	s_or_b64 exec, exec, s[6:7]
	v_and_b32_e32 v30, s94, v55
	v_or_b32_e32 v31, s86, v54
	s_cmp_eq_u64 s[0:1], 0
	s_waitcnt lgkmcnt(0)
	s_barrier
	s_cbranch_scc1 .LBB213_120
; %bb.104:                              ;   in Loop: Header=BB213_31 Depth=1
	v_readlane_b32 s6, v59, 28
	s_add_u32 s11, s6, s0
	v_readlane_b32 s6, v59, 30
	s_addc_u32 s7, s6, s1
	s_mov_b32 s6, s87
	s_cmp_lg_u64 s[6:7], 0
	s_cbranch_scc0 .LBB213_164
; %bb.105:                              ;   in Loop: Header=BB213_31 Depth=1
	v_cvt_f32_u32_e32 v2, s33
	s_sub_u32 s6, 0, s33
	s_subb_u32 s20, 0, 0
	v_mac_f32_e32 v2, 0, v51
	v_rcp_f32_e32 v2, v2
	v_mul_f32_e32 v2, 0x5f7ffffc, v2
	v_mul_f32_e32 v3, 0x2f800000, v2
	v_trunc_f32_e32 v3, v3
	v_mac_f32_e32 v2, 0xcf800000, v3
	v_cvt_u32_f32_e32 v3, v3
	v_cvt_u32_f32_e32 v2, v2
	v_readfirstlane_b32 s21, v3
	v_readfirstlane_b32 s28, v2
	s_mul_i32 s29, s6, s21
	s_mul_hi_u32 s35, s6, s28
	s_mul_i32 s34, s20, s28
	s_add_i32 s29, s35, s29
	s_mul_i32 s36, s6, s28
	s_add_i32 s29, s29, s34
	s_mul_hi_u32 s35, s28, s36
	s_mul_hi_u32 s34, s28, s29
	s_mul_i32 s28, s28, s29
	s_add_u32 s28, s35, s28
	s_addc_u32 s34, 0, s34
	s_mul_hi_u32 s37, s21, s36
	s_mul_i32 s36, s21, s36
	s_add_u32 s28, s28, s36
	s_mul_hi_u32 s35, s21, s29
	s_addc_u32 s28, s34, s37
	s_addc_u32 s34, s35, 0
	s_mul_i32 s29, s21, s29
	s_add_u32 s28, s28, s29
	s_addc_u32 s29, 0, s34
	v_add_co_u32_e32 v2, vcc, s28, v2
	s_cmp_lg_u64 vcc, 0
	s_addc_u32 s21, s21, s29
	v_readfirstlane_b32 s29, v2
	s_mul_i32 s28, s6, s21
	s_mul_hi_u32 s34, s6, s29
	s_add_i32 s28, s34, s28
	s_mul_i32 s20, s20, s29
	s_add_i32 s28, s28, s20
	s_mul_i32 s6, s6, s29
	s_mul_hi_u32 s34, s21, s6
	s_mul_i32 s35, s21, s6
	s_mul_i32 s37, s29, s28
	s_mul_hi_u32 s6, s29, s6
	s_mul_hi_u32 s36, s29, s28
	s_add_u32 s6, s6, s37
	s_addc_u32 s29, 0, s36
	s_add_u32 s6, s6, s35
	s_mul_hi_u32 s20, s21, s28
	s_addc_u32 s6, s29, s34
	s_addc_u32 s20, s20, 0
	s_mul_i32 s28, s21, s28
	s_add_u32 s6, s6, s28
	s_addc_u32 s20, 0, s20
	v_add_co_u32_e32 v2, vcc, s6, v2
	s_cmp_lg_u64 vcc, 0
	s_addc_u32 s6, s21, s20
	v_readfirstlane_b32 s28, v2
	s_mul_i32 s21, s11, s6
	s_mul_hi_u32 s29, s11, s28
	s_mul_hi_u32 s20, s11, s6
	s_add_u32 s21, s29, s21
	s_addc_u32 s20, 0, s20
	s_mul_hi_u32 s34, s7, s28
	s_mul_i32 s28, s7, s28
	s_add_u32 s21, s21, s28
	s_mul_hi_u32 s29, s7, s6
	s_addc_u32 s20, s20, s34
	s_addc_u32 s21, s29, 0
	s_mul_i32 s6, s7, s6
	s_add_u32 s6, s20, s6
	s_addc_u32 s20, 0, s21
	s_mul_hi_u32 s21, s33, s6
	s_mul_i32 s6, s33, s6
	s_mul_i32 s20, s33, s20
	v_mov_b32_e32 v2, s6
	s_add_i32 s21, s21, s20
	v_sub_co_u32_e32 v2, vcc, s11, v2
	s_cmp_lg_u64 vcc, 0
	s_subb_u32 s6, s7, s21
	v_subrev_co_u32_e32 v3, vcc, s33, v2
	s_cmp_lg_u64 vcc, 0
	s_subb_u32 s20, s6, 0
	v_subrev_co_u32_e32 v4, vcc, s33, v3
	s_cmp_lg_u64 vcc, 0
	s_subb_u32 s21, s20, 0
	v_cmp_le_u32_e32 vcc, s33, v3
	s_cmp_eq_u32 s20, 0
	v_cndmask_b32_e64 v5, 0, -1, vcc
	s_cselect_b64 vcc, -1, 0
	v_cndmask_b32_e32 v5, -1, v5, vcc
	v_mov_b32_e32 v6, s20
	v_mov_b32_e32 v7, s21
	v_cmp_ne_u32_e32 vcc, 0, v5
	v_cndmask_b32_e32 v5, v6, v7, vcc
	v_cndmask_b32_e32 v4, v3, v4, vcc
	v_cmp_le_u32_e32 vcc, s33, v2
	s_cmp_eq_u32 s6, 0
	v_cndmask_b32_e64 v3, 0, -1, vcc
	s_cselect_b64 vcc, -1, 0
	v_cndmask_b32_e32 v3, -1, v3, vcc
	v_mov_b32_e32 v6, s6
	v_cmp_ne_u32_e32 vcc, 0, v3
	v_cndmask_b32_e32 v3, v6, v5, vcc
	v_cndmask_b32_e32 v2, v2, v4, vcc
	s_cbranch_execnz .LBB213_107
.LBB213_106:                            ;   in Loop: Header=BB213_31 Depth=1
	v_cvt_f32_u32_e32 v2, s33
	s_sub_i32 s6, 0, s33
	v_rcp_iflag_f32_e32 v2, v2
	v_mul_f32_e32 v2, 0x4f7ffffe, v2
	v_cvt_u32_f32_e32 v2, v2
	v_mul_lo_u32 v3, s6, v2
	v_mul_hi_u32 v3, v2, v3
	v_add_u32_e32 v2, v2, v3
	v_mul_hi_u32 v2, s11, v2
	v_mul_lo_u32 v2, v2, s33
	v_sub_u32_e32 v2, s11, v2
	v_subrev_u32_e32 v3, s33, v2
	v_cmp_le_u32_e32 vcc, s33, v2
	v_cndmask_b32_e32 v2, v2, v3, vcc
	v_subrev_u32_e32 v3, s33, v2
	v_cmp_le_u32_e32 vcc, s33, v2
	v_cndmask_b32_e32 v14, v2, v3, vcc
	v_pk_mov_b32 v[2:3], v[14:15], v[14:15] op_sel:[0,1]
.LBB213_107:                            ;   in Loop: Header=BB213_31 Depth=1
	v_mov_b32_e32 v4, s7
	v_sub_co_u32_e32 v2, vcc, s11, v2
	v_subb_co_u32_e32 v3, vcc, v4, v3, vcc
	v_cmp_gt_u64_e32 vcc, v[2:3], v[0:1]
	s_mov_b64 s[6:7], 0
                                        ; implicit-def: $vgpr6
	s_and_saveexec_b64 s[20:21], vcc
	s_cbranch_execz .LBB213_122
; %bb.108:                              ;   in Loop: Header=BB213_31 Depth=1
	s_mov_b64 s[28:29], 0
	v_mov_b32_e32 v6, v45
	v_pk_mov_b32 v[4:5], v[0:1], v[0:1] op_sel:[0,1]
                                        ; implicit-def: $sgpr34_sgpr35
	s_branch .LBB213_110
.LBB213_109:                            ;   in Loop: Header=BB213_110 Depth=2
	s_or_b64 exec, exec, s[6:7]
	s_waitcnt lgkmcnt(0)
	s_barrier
	ds_read_b32 v7, v15 offset:3072
	v_mov_b32_e32 v8, s92
	v_add_co_u32_e64 v4, s[6:7], s33, v4
	v_addc_co_u32_e64 v5, s[6:7], v5, v8, s[6:7]
	s_waitcnt lgkmcnt(0)
	v_cmp_neq_f16_e32 vcc, 0, v7
	v_cmp_ge_u64_e64 s[6:7], v[4:5], v[2:3]
	s_or_b64 s[6:7], s[6:7], vcc
	s_and_b64 s[6:7], exec, s[6:7]
	s_or_b64 s[28:29], s[6:7], s[28:29]
	s_andn2_b64 s[6:7], s[34:35], exec
	s_and_b64 s[34:35], vcc, exec
	v_add_u32_e32 v6, s10, v6
	s_or_b64 s[34:35], s[6:7], s[34:35]
	s_barrier
	s_andn2_b64 exec, exec, s[28:29]
	s_cbranch_execz .LBB213_121
.LBB213_110:                            ;   Parent Loop BB213_31 Depth=1
                                        ; =>  This Inner Loop Header: Depth=2
	v_cmp_gt_u64_e32 vcc, s[0:1], v[4:5]
	v_mov_b32_e32 v7, 0
	s_and_saveexec_b64 s[6:7], vcc
	s_cbranch_execz .LBB213_112
; %bb.111:                              ;   in Loop: Header=BB213_110 Depth=2
	ds_read_u16 v7, v6
.LBB213_112:                            ;   in Loop: Header=BB213_110 Depth=2
	s_or_b64 exec, exec, s[6:7]
	s_and_saveexec_b64 s[6:7], vcc
	s_cbranch_execz .LBB213_109
; %bb.113:                              ;   in Loop: Header=BB213_110 Depth=2
	s_waitcnt lgkmcnt(0)
	v_cmp_lt_i16_e32 vcc, -1, v7
	v_cndmask_b32_e32 v8, v49, v50, vcc
	v_xor_b32_sdwa v8, v8, v7 dst_sel:DWORD dst_unused:UNUSED_PAD src0_sel:DWORD src1_sel:WORD_0
	v_cmp_o_f16_e32 vcc, v7, v7
	v_cndmask_b32_e32 v8, v49, v8, vcc
	v_and_b32_e32 v8, v8, v31
	v_cmp_eq_u32_e32 vcc, v8, v30
	s_and_b64 exec, exec, vcc
	s_cbranch_execz .LBB213_109
; %bb.114:                              ;   in Loop: Header=BB213_110 Depth=2
	s_movk_i32 s11, 0x3c00
	v_perm_b32 v7, v7, s11, v53
	ds_write_b32 v15, v7 offset:3072
	s_branch .LBB213_109
.LBB213_115:                            ;   in Loop: Header=BB213_31 Depth=1
	s_mov_b64 s[28:29], 0
	s_mov_b64 s[26:27], 0
                                        ; implicit-def: $sgpr34_sgpr35
                                        ; implicit-def: $sgpr36_sgpr37
                                        ; implicit-def: $sgpr20_sgpr21
                                        ; implicit-def: $vgpr7
                                        ; implicit-def: $vgpr2_vgpr3
                                        ; implicit-def: $vgpr30
                                        ; implicit-def: $vgpr31
                                        ; implicit-def: $vgpr6
	s_cbranch_execnz .LBB213_301
.LBB213_116:                            ;   in Loop: Header=BB213_31 Depth=1
	s_mov_b64 s[14:15], s[20:21]
	s_mov_b64 s[38:39], s[20:21]
	s_and_saveexec_b64 s[0:1], s[28:29]
	s_cbranch_execnz .LBB213_497
	s_branch .LBB213_498
.LBB213_117:                            ;   in Loop: Header=BB213_31 Depth=1
	s_or_b64 exec, exec, s[0:1]
	s_waitcnt lgkmcnt(0)
	s_barrier
	s_mov_b64 s[0:1], exec
	v_readlane_b32 s6, v59, 10
	v_readlane_b32 s7, v59, 11
	s_and_b64 s[6:7], s[0:1], s[6:7]
	s_mov_b64 exec, s[6:7]
	s_cbranch_execz .LBB213_119
; %bb.118:                              ;   in Loop: Header=BB213_31 Depth=1
	ds_read_b32 v2, v15 offset:5144
	s_waitcnt lgkmcnt(0)
	v_ashrrev_i32_e32 v3, 31, v2
	ds_write_b64 v15, v[2:3] offset:5120
.LBB213_119:                            ;   in Loop: Header=BB213_31 Depth=1
	s_or_b64 exec, exec, s[0:1]
	s_waitcnt lgkmcnt(0)
	s_barrier
	s_mov_b64 s[0:1], -1
	s_and_b64 vcc, exec, s[2:3]
	s_cbranch_vccnz .LBB213_46
	s_branch .LBB213_56
.LBB213_120:                            ;   in Loop: Header=BB213_31 Depth=1
	s_mov_b64 s[20:21], -1
	s_mov_b64 s[6:7], 0
                                        ; implicit-def: $sgpr34_sgpr35
                                        ; implicit-def: $vgpr6
	s_mov_b64 s[36:37], s[20:21]
	s_cbranch_execnz .LBB213_123
	s_branch .LBB213_136
.LBB213_121:                            ;   in Loop: Header=BB213_31 Depth=1
	s_or_b64 exec, exec, s[28:29]
	v_lshrrev_b32_e32 v6, 16, v7
	s_and_b64 s[6:7], s[34:35], exec
.LBB213_122:                            ;   in Loop: Header=BB213_31 Depth=1
	s_or_b64 exec, exec, s[20:21]
	s_mov_b64 s[34:35], -1
	s_mov_b64 s[20:21], 0
	s_mov_b64 s[36:37], s[20:21]
	s_branch .LBB213_136
.LBB213_123:                            ;   in Loop: Header=BB213_31 Depth=1
	v_readlane_b32 s34, v59, 31
	v_readlane_b32 s35, v59, 32
	s_mov_b32 s34, s87
	s_cmp_lg_u64 s[34:35], 0
	v_writelane_b32 v59, s34, 31
	v_writelane_b32 v59, s35, 32
	s_cbranch_scc0 .LBB213_165
; %bb.124:                              ;   in Loop: Header=BB213_31 Depth=1
	v_cvt_f32_u32_e32 v2, s33
	s_sub_u32 s0, 0, s33
	s_subb_u32 s1, 0, 0
	v_mac_f32_e32 v2, 0, v51
	v_rcp_f32_e32 v2, v2
	v_mul_f32_e32 v2, 0x5f7ffffc, v2
	v_mul_f32_e32 v3, 0x2f800000, v2
	v_trunc_f32_e32 v3, v3
	v_mac_f32_e32 v2, 0xcf800000, v3
	v_cvt_u32_f32_e32 v3, v3
	v_cvt_u32_f32_e32 v2, v2
	v_readfirstlane_b32 s6, v3
	v_readfirstlane_b32 s7, v2
	s_mul_i32 s11, s0, s6
	s_mul_hi_u32 s21, s0, s7
	s_mul_i32 s20, s1, s7
	s_add_i32 s11, s21, s11
	s_mul_i32 s28, s0, s7
	s_add_i32 s11, s11, s20
	s_mul_hi_u32 s21, s7, s28
	s_mul_hi_u32 s20, s7, s11
	s_mul_i32 s7, s7, s11
	s_add_u32 s7, s21, s7
	s_addc_u32 s20, 0, s20
	s_mul_hi_u32 s29, s6, s28
	s_mul_i32 s28, s6, s28
	s_add_u32 s7, s7, s28
	s_mul_hi_u32 s21, s6, s11
	s_addc_u32 s7, s20, s29
	s_addc_u32 s20, s21, 0
	s_mul_i32 s11, s6, s11
	s_add_u32 s7, s7, s11
	s_addc_u32 s11, 0, s20
	v_add_co_u32_e32 v2, vcc, s7, v2
	s_cmp_lg_u64 vcc, 0
	s_addc_u32 s6, s6, s11
	v_readfirstlane_b32 s11, v2
	s_mul_i32 s7, s0, s6
	s_mul_hi_u32 s20, s0, s11
	s_add_i32 s7, s20, s7
	s_mul_i32 s1, s1, s11
	s_add_i32 s7, s7, s1
	s_mul_i32 s0, s0, s11
	s_mul_hi_u32 s20, s6, s0
	s_mul_i32 s21, s6, s0
	s_mul_i32 s29, s11, s7
	s_mul_hi_u32 s0, s11, s0
	s_mul_hi_u32 s28, s11, s7
	s_add_u32 s0, s0, s29
	s_addc_u32 s11, 0, s28
	s_add_u32 s0, s0, s21
	s_mul_hi_u32 s1, s6, s7
	s_addc_u32 s0, s11, s20
	s_addc_u32 s1, s1, 0
	s_mul_i32 s7, s6, s7
	s_add_u32 s0, s0, s7
	s_addc_u32 s1, 0, s1
	v_add_co_u32_e32 v2, vcc, s0, v2
	s_cmp_lg_u64 vcc, 0
	s_addc_u32 s0, s6, s1
	v_readlane_b32 s21, v59, 29
	v_readfirstlane_b32 s7, v2
	s_mul_i32 s6, s21, s0
	s_mul_hi_u32 s11, s21, s7
	s_mul_hi_u32 s1, s21, s0
	s_add_u32 s6, s11, s6
	s_addc_u32 s1, 0, s1
	s_mul_hi_u32 s20, s35, s7
	s_mul_i32 s7, s35, s7
	s_add_u32 s6, s6, s7
	s_mul_hi_u32 s11, s35, s0
	s_addc_u32 s1, s1, s20
	s_addc_u32 s6, s11, 0
	s_mul_i32 s0, s35, s0
	s_add_u32 s0, s1, s0
	s_addc_u32 s1, 0, s6
	s_mul_hi_u32 s6, s33, s0
	s_mul_i32 s0, s33, s0
	s_mul_i32 s1, s33, s1
	v_mov_b32_e32 v2, s0
	s_add_i32 s6, s6, s1
	v_sub_co_u32_e32 v2, vcc, s21, v2
	s_cmp_lg_u64 vcc, 0
	s_subb_u32 s0, s35, s6
	v_subrev_co_u32_e32 v3, vcc, s33, v2
	s_cmp_lg_u64 vcc, 0
	s_subb_u32 s1, s0, 0
	v_subrev_co_u32_e32 v4, vcc, s33, v3
	s_cmp_lg_u64 vcc, 0
	s_subb_u32 s6, s1, 0
	v_cmp_le_u32_e32 vcc, s33, v3
	s_cmp_eq_u32 s1, 0
	v_cndmask_b32_e64 v5, 0, -1, vcc
	s_cselect_b64 vcc, -1, 0
	v_cndmask_b32_e32 v5, -1, v5, vcc
	v_mov_b32_e32 v6, s1
	v_mov_b32_e32 v7, s6
	v_cmp_ne_u32_e32 vcc, 0, v5
	v_cndmask_b32_e32 v5, v6, v7, vcc
	v_cndmask_b32_e32 v4, v3, v4, vcc
	v_cmp_le_u32_e32 vcc, s33, v2
	s_cmp_eq_u32 s0, 0
	v_cndmask_b32_e64 v3, 0, -1, vcc
	s_cselect_b64 vcc, -1, 0
	v_cndmask_b32_e32 v3, -1, v3, vcc
	v_mov_b32_e32 v6, s0
	v_cmp_ne_u32_e32 vcc, 0, v3
	v_cndmask_b32_e32 v3, v6, v5, vcc
	v_cndmask_b32_e32 v2, v2, v4, vcc
	s_cbranch_execnz .LBB213_126
.LBB213_125:                            ;   in Loop: Header=BB213_31 Depth=1
	v_cvt_f32_u32_e32 v2, s33
	s_sub_i32 s0, 0, s33
	v_rcp_iflag_f32_e32 v2, v2
	v_mul_f32_e32 v2, 0x4f7ffffe, v2
	v_cvt_u32_f32_e32 v2, v2
	v_mul_lo_u32 v3, s0, v2
	v_mul_hi_u32 v3, v2, v3
	v_add_u32_e32 v2, v2, v3
	v_readlane_b32 s0, v59, 29
	v_mul_hi_u32 v2, s0, v2
	v_mul_lo_u32 v2, v2, s33
	v_sub_u32_e32 v2, s0, v2
	v_subrev_u32_e32 v3, s33, v2
	v_cmp_le_u32_e32 vcc, s33, v2
	v_cndmask_b32_e32 v2, v2, v3, vcc
	v_subrev_u32_e32 v3, s33, v2
	v_cmp_le_u32_e32 vcc, s33, v2
	v_cndmask_b32_e32 v14, v2, v3, vcc
	v_pk_mov_b32 v[2:3], v[14:15], v[14:15] op_sel:[0,1]
.LBB213_126:                            ;   in Loop: Header=BB213_31 Depth=1
	v_readlane_b32 s0, v59, 31
	v_readlane_b32 s1, v59, 32
	;; [unrolled: 1-line block ×3, first 2 shown]
	v_mov_b32_e32 v4, s1
	v_sub_co_u32_e32 v2, vcc, s0, v2
	v_subb_co_u32_e32 v3, vcc, v4, v3, vcc
	v_cmp_gt_u64_e32 vcc, v[2:3], v[0:1]
	s_mov_b64 s[6:7], 0
                                        ; implicit-def: $vgpr6
	s_and_saveexec_b64 s[0:1], vcc
	s_cbranch_execz .LBB213_135
; %bb.127:                              ;   in Loop: Header=BB213_31 Depth=1
	s_mov_b64 s[20:21], 0
	v_pk_mov_b32 v[4:5], v[26:27], v[26:27] op_sel:[0,1]
	v_pk_mov_b32 v[6:7], v[0:1], v[0:1] op_sel:[0,1]
                                        ; implicit-def: $sgpr28_sgpr29
	s_branch .LBB213_129
.LBB213_128:                            ;   in Loop: Header=BB213_129 Depth=2
	s_or_b64 exec, exec, s[6:7]
	s_waitcnt lgkmcnt(0)
	s_barrier
	s_waitcnt vmcnt(0)
	ds_read_b32 v8, v15 offset:3072
	v_mov_b32_e32 v9, s92
	v_add_co_u32_e64 v6, s[6:7], s33, v6
	v_addc_co_u32_e64 v7, s[6:7], v7, v9, s[6:7]
	s_waitcnt lgkmcnt(0)
	v_cmp_neq_f16_e32 vcc, 0, v8
	v_cmp_ge_u64_e64 s[6:7], v[6:7], v[2:3]
	s_or_b64 s[34:35], s[6:7], vcc
	v_mov_b32_e32 v9, s65
	v_add_co_u32_e64 v4, s[6:7], s64, v4
	v_addc_co_u32_e64 v5, s[6:7], v5, v9, s[6:7]
	s_and_b64 s[6:7], exec, s[34:35]
	s_or_b64 s[20:21], s[6:7], s[20:21]
	s_andn2_b64 s[6:7], s[28:29], exec
	s_and_b64 s[28:29], vcc, exec
	s_or_b64 s[28:29], s[6:7], s[28:29]
	s_barrier
	s_andn2_b64 exec, exec, s[20:21]
	s_cbranch_execz .LBB213_134
.LBB213_129:                            ;   Parent Loop BB213_31 Depth=1
                                        ; =>  This Inner Loop Header: Depth=2
	v_cmp_gt_u64_e32 vcc, s[60:61], v[6:7]
	v_mov_b32_e32 v8, 0
	s_and_saveexec_b64 s[6:7], vcc
	s_cbranch_execz .LBB213_131
; %bb.130:                              ;   in Loop: Header=BB213_129 Depth=2
	global_load_ushort v8, v[4:5], off
.LBB213_131:                            ;   in Loop: Header=BB213_129 Depth=2
	s_or_b64 exec, exec, s[6:7]
	s_and_saveexec_b64 s[6:7], vcc
	s_cbranch_execz .LBB213_128
; %bb.132:                              ;   in Loop: Header=BB213_129 Depth=2
	s_waitcnt vmcnt(0)
	v_cmp_lt_i16_e32 vcc, -1, v8
	v_cndmask_b32_e32 v9, v49, v50, vcc
	v_xor_b32_sdwa v9, v9, v8 dst_sel:DWORD dst_unused:UNUSED_PAD src0_sel:DWORD src1_sel:WORD_0
	v_cmp_o_f16_e32 vcc, v8, v8
	v_cndmask_b32_e32 v9, v49, v9, vcc
	v_and_b32_e32 v9, v9, v31
	v_cmp_eq_u32_e32 vcc, v9, v30
	s_and_b64 exec, exec, vcc
	s_cbranch_execz .LBB213_128
; %bb.133:                              ;   in Loop: Header=BB213_129 Depth=2
	s_movk_i32 s11, 0x3c00
	v_perm_b32 v8, v8, s11, v53
	ds_write_b32 v15, v8 offset:3072
	s_branch .LBB213_128
.LBB213_134:                            ;   in Loop: Header=BB213_31 Depth=1
	s_or_b64 exec, exec, s[20:21]
	v_lshrrev_b32_e32 v6, 16, v8
	s_and_b64 s[6:7], s[28:29], exec
.LBB213_135:                            ;   in Loop: Header=BB213_31 Depth=1
	s_or_b64 exec, exec, s[0:1]
	s_mov_b64 s[36:37], -1
	s_mov_b64 s[20:21], 0
	s_mov_b64 s[34:35], 0
.LBB213_136:                            ;   in Loop: Header=BB213_31 Depth=1
	s_orn2_b64 s[0:1], s[6:7], exec
.LBB213_137:                            ;   in Loop: Header=BB213_31 Depth=1
	s_or_b64 exec, exec, s[26:27]
	s_mov_b64 s[38:39], 0
	s_mov_b64 s[28:29], 0
	;; [unrolled: 1-line block ×3, first 2 shown]
                                        ; implicit-def: $vgpr7
                                        ; implicit-def: $vgpr2_vgpr3
	s_and_saveexec_b64 s[40:41], s[0:1]
	s_cbranch_execz .LBB213_300
; %bb.138:                              ;   in Loop: Header=BB213_31 Depth=1
	v_mov_b32_e32 v2, 1
	s_xor_b64 s[2:3], s[2:3], -1
	s_mov_b64 s[6:7], 0
	v_mov_b32_e32 v3, 0
	v_mov_b32_e32 v7, 1
	s_and_saveexec_b64 s[0:1], s[2:3]
	s_cbranch_execz .LBB213_148
; %bb.139:                              ;   in Loop: Header=BB213_31 Depth=1
	v_cmp_ge_u64_e32 vcc, s[16:17], v[28:29]
                                        ; implicit-def: $sgpr11
                                        ; implicit-def: $sgpr2_sgpr3
	s_and_saveexec_b64 s[6:7], vcc
	s_xor_b64 s[6:7], exec, s[6:7]
	s_cbranch_execz .LBB213_145
; %bb.140:                              ;   in Loop: Header=BB213_31 Depth=1
	ds_read_b64 v[2:3], v15 offset:5120
	s_waitcnt lgkmcnt(0)
	v_cmp_ne_u64_e32 vcc, 0, v[2:3]
	s_cbranch_vccnz .LBB213_144
; %bb.141:                              ;   in Loop: Header=BB213_31 Depth=1
	s_mov_b64 s[2:3], exec
	v_readlane_b32 s26, v59, 10
	v_readlane_b32 s27, v59, 11
	s_and_b64 s[26:27], s[2:3], s[26:27]
	s_mov_b64 exec, s[26:27]
	s_cbranch_execz .LBB213_143
; %bb.142:                              ;   in Loop: Header=BB213_31 Depth=1
	v_pk_mov_b32 v[2:3], s[16:17], s[16:17] op_sel:[0,1]
	ds_write_b64 v15, v[2:3] offset:5128
.LBB213_143:                            ;   in Loop: Header=BB213_31 Depth=1
	s_or_b64 exec, exec, s[2:3]
	s_waitcnt lgkmcnt(0)
	s_barrier
.LBB213_144:                            ;   in Loop: Header=BB213_31 Depth=1
	v_and_b32_e32 v30, s94, v30
	v_or_b32_e32 v31, s86, v31
	s_mov_b64 s[2:3], 0
	s_mov_b32 s11, 8
.LBB213_145:                            ;   in Loop: Header=BB213_31 Depth=1
	s_or_saveexec_b64 s[6:7], s[6:7]
	v_mov_b32_e32 v7, s11
	v_pk_mov_b32 v[2:3], v[28:29], v[28:29] op_sel:[0,1]
	s_xor_b64 exec, exec, s[6:7]
; %bb.146:                              ;   in Loop: Header=BB213_31 Depth=1
	v_mov_b32_e32 v3, s17
	v_subrev_co_u32_e32 v2, vcc, s16, v28
	v_subb_co_u32_e32 v3, vcc, v29, v3, vcc
	v_mov_b32_e32 v7, 0
	s_or_b64 s[2:3], s[2:3], exec
; %bb.147:                              ;   in Loop: Header=BB213_31 Depth=1
	s_or_b64 exec, exec, s[6:7]
	s_and_b64 s[6:7], s[2:3], exec
.LBB213_148:                            ;   in Loop: Header=BB213_31 Depth=1
	s_or_b64 exec, exec, s[0:1]
	s_mov_b64 s[42:43], -1
                                        ; implicit-def: $sgpr0_sgpr1
                                        ; implicit-def: $sgpr2_sgpr3
                                        ; implicit-def: $sgpr28_sgpr29
	s_and_saveexec_b64 s[26:27], s[6:7]
	s_xor_b64 s[26:27], exec, s[26:27]
	s_cbranch_execz .LBB213_297
; %bb.149:                              ;   in Loop: Header=BB213_31 Depth=1
	s_cmp_eq_u64 s[18:19], 1
	s_cselect_b64 s[0:1], -1, 0
	v_cmp_eq_u64_e32 vcc, 1, v[2:3]
	s_and_b64 s[2:3], s[0:1], vcc
	s_mov_b64 s[0:1], -1
                                        ; implicit-def: $sgpr28_sgpr29
                                        ; implicit-def: $sgpr44_sgpr45
                                        ; implicit-def: $sgpr42_sgpr43
	s_and_saveexec_b64 s[46:47], s[2:3]
	s_cbranch_execz .LBB213_183
; %bb.150:                              ;   in Loop: Header=BB213_31 Depth=1
	ds_read_b64 v[4:5], v15 offset:5120
	s_waitcnt lgkmcnt(0)
	s_barrier
	v_readfirstlane_b32 s0, v4
	v_readfirstlane_b32 s1, v5
	s_mov_b64 s[6:7], exec
	v_readlane_b32 s28, v59, 24
	v_readlane_b32 s29, v59, 25
	s_and_b64 s[28:29], s[6:7], s[28:29]
	s_mov_b64 exec, s[28:29]
	s_cbranch_execz .LBB213_152
; %bb.151:                              ;   in Loop: Header=BB213_31 Depth=1
	ds_write_b16 v46, v15
.LBB213_152:                            ;   in Loop: Header=BB213_31 Depth=1
	s_or_b64 exec, exec, s[6:7]
	v_and_b32_e32 v4, s94, v30
	v_lshl_or_b32 v30, 1, s95, v4
	v_or_b32_e32 v31, s86, v31
	s_cmp_eq_u64 s[0:1], 0
	s_waitcnt lgkmcnt(0)
	s_barrier
	s_cbranch_scc1 .LBB213_166
; %bb.153:                              ;   in Loop: Header=BB213_31 Depth=1
	v_readlane_b32 s6, v59, 28
	s_add_u32 s11, s6, s0
	v_readlane_b32 s6, v59, 30
	s_addc_u32 s7, s6, s1
	s_mov_b32 s6, s87
	s_cmp_lg_u64 s[6:7], 0
	s_cbranch_scc0 .LBB213_210
; %bb.154:                              ;   in Loop: Header=BB213_31 Depth=1
	v_cvt_f32_u32_e32 v4, s33
	s_sub_u32 s6, 0, s33
	s_subb_u32 s28, 0, 0
	v_mac_f32_e32 v4, 0, v51
	v_rcp_f32_e32 v4, v4
	v_mul_f32_e32 v4, 0x5f7ffffc, v4
	v_mul_f32_e32 v5, 0x2f800000, v4
	v_trunc_f32_e32 v5, v5
	v_mac_f32_e32 v4, 0xcf800000, v5
	v_cvt_u32_f32_e32 v5, v5
	v_cvt_u32_f32_e32 v4, v4
	v_readfirstlane_b32 s29, v5
	v_readfirstlane_b32 s42, v4
	s_mul_i32 s43, s6, s29
	s_mul_hi_u32 s45, s6, s42
	s_mul_i32 s44, s28, s42
	s_add_i32 s43, s45, s43
	s_mul_i32 s48, s6, s42
	s_add_i32 s43, s43, s44
	s_mul_hi_u32 s45, s42, s48
	s_mul_hi_u32 s44, s42, s43
	s_mul_i32 s42, s42, s43
	s_add_u32 s42, s45, s42
	s_addc_u32 s44, 0, s44
	s_mul_hi_u32 s49, s29, s48
	s_mul_i32 s48, s29, s48
	s_add_u32 s42, s42, s48
	s_mul_hi_u32 s45, s29, s43
	s_addc_u32 s42, s44, s49
	s_addc_u32 s44, s45, 0
	s_mul_i32 s43, s29, s43
	s_add_u32 s42, s42, s43
	s_addc_u32 s43, 0, s44
	v_add_co_u32_e32 v4, vcc, s42, v4
	s_cmp_lg_u64 vcc, 0
	s_addc_u32 s29, s29, s43
	v_readfirstlane_b32 s43, v4
	s_mul_i32 s42, s6, s29
	s_mul_hi_u32 s44, s6, s43
	s_add_i32 s42, s44, s42
	s_mul_i32 s28, s28, s43
	s_add_i32 s42, s42, s28
	s_mul_i32 s6, s6, s43
	s_mul_hi_u32 s44, s29, s6
	s_mul_i32 s45, s29, s6
	s_mul_i32 s49, s43, s42
	s_mul_hi_u32 s6, s43, s6
	s_mul_hi_u32 s48, s43, s42
	s_add_u32 s6, s6, s49
	s_addc_u32 s43, 0, s48
	s_add_u32 s6, s6, s45
	s_mul_hi_u32 s28, s29, s42
	s_addc_u32 s6, s43, s44
	s_addc_u32 s28, s28, 0
	s_mul_i32 s42, s29, s42
	s_add_u32 s6, s6, s42
	s_addc_u32 s28, 0, s28
	v_add_co_u32_e32 v4, vcc, s6, v4
	s_cmp_lg_u64 vcc, 0
	s_addc_u32 s6, s29, s28
	v_readfirstlane_b32 s42, v4
	s_mul_i32 s29, s11, s6
	s_mul_hi_u32 s43, s11, s42
	s_mul_hi_u32 s28, s11, s6
	s_add_u32 s29, s43, s29
	s_addc_u32 s28, 0, s28
	s_mul_hi_u32 s44, s7, s42
	s_mul_i32 s42, s7, s42
	s_add_u32 s29, s29, s42
	s_mul_hi_u32 s43, s7, s6
	s_addc_u32 s28, s28, s44
	s_addc_u32 s29, s43, 0
	s_mul_i32 s6, s7, s6
	s_add_u32 s6, s28, s6
	s_addc_u32 s28, 0, s29
	s_mul_hi_u32 s29, s33, s6
	s_mul_i32 s6, s33, s6
	s_mul_i32 s28, s33, s28
	v_mov_b32_e32 v4, s6
	s_add_i32 s29, s29, s28
	v_sub_co_u32_e32 v4, vcc, s11, v4
	s_cmp_lg_u64 vcc, 0
	s_subb_u32 s6, s7, s29
	v_subrev_co_u32_e32 v5, vcc, s33, v4
	s_cmp_lg_u64 vcc, 0
	s_subb_u32 s28, s6, 0
	v_subrev_co_u32_e32 v6, vcc, s33, v5
	s_cmp_lg_u64 vcc, 0
	s_subb_u32 s29, s28, 0
	v_cmp_le_u32_e32 vcc, s33, v5
	s_cmp_eq_u32 s28, 0
	v_cndmask_b32_e64 v7, 0, -1, vcc
	s_cselect_b64 vcc, -1, 0
	v_cndmask_b32_e32 v7, -1, v7, vcc
	v_mov_b32_e32 v8, s28
	v_mov_b32_e32 v9, s29
	v_cmp_ne_u32_e32 vcc, 0, v7
	v_cndmask_b32_e32 v7, v8, v9, vcc
	v_cndmask_b32_e32 v6, v5, v6, vcc
	v_cmp_le_u32_e32 vcc, s33, v4
	s_cmp_eq_u32 s6, 0
	v_cndmask_b32_e64 v5, 0, -1, vcc
	s_cselect_b64 vcc, -1, 0
	v_cndmask_b32_e32 v5, -1, v5, vcc
	v_mov_b32_e32 v8, s6
	v_cmp_ne_u32_e32 vcc, 0, v5
	v_cndmask_b32_e32 v5, v8, v7, vcc
	v_cndmask_b32_e32 v4, v4, v6, vcc
	s_cbranch_execnz .LBB213_156
.LBB213_155:                            ;   in Loop: Header=BB213_31 Depth=1
	v_cvt_f32_u32_e32 v4, s33
	s_sub_i32 s6, 0, s33
	v_rcp_iflag_f32_e32 v4, v4
	v_mul_f32_e32 v4, 0x4f7ffffe, v4
	v_cvt_u32_f32_e32 v4, v4
	v_mul_lo_u32 v5, s6, v4
	v_mul_hi_u32 v5, v4, v5
	v_add_u32_e32 v4, v4, v5
	v_mul_hi_u32 v4, s11, v4
	v_mul_lo_u32 v4, v4, s33
	v_sub_u32_e32 v4, s11, v4
	v_subrev_u32_e32 v5, s33, v4
	v_cmp_le_u32_e32 vcc, s33, v4
	v_cndmask_b32_e32 v4, v4, v5, vcc
	v_subrev_u32_e32 v5, s33, v4
	v_cmp_le_u32_e32 vcc, s33, v4
	v_cndmask_b32_e32 v14, v4, v5, vcc
	v_pk_mov_b32 v[4:5], v[14:15], v[14:15] op_sel:[0,1]
.LBB213_156:                            ;   in Loop: Header=BB213_31 Depth=1
	v_mov_b32_e32 v6, s7
	v_sub_co_u32_e32 v4, vcc, s11, v4
	v_subb_co_u32_e32 v5, vcc, v6, v5, vcc
	v_cmp_gt_u64_e32 vcc, v[4:5], v[0:1]
	s_mov_b64 s[6:7], 0
                                        ; implicit-def: $vgpr6
	s_and_saveexec_b64 s[28:29], vcc
	s_cbranch_execz .LBB213_168
; %bb.157:                              ;   in Loop: Header=BB213_31 Depth=1
	s_mov_b64 s[42:43], 0
	v_mov_b32_e32 v8, v45
	v_pk_mov_b32 v[6:7], v[0:1], v[0:1] op_sel:[0,1]
                                        ; implicit-def: $sgpr44_sgpr45
	s_branch .LBB213_159
.LBB213_158:                            ;   in Loop: Header=BB213_159 Depth=2
	s_or_b64 exec, exec, s[6:7]
	s_waitcnt lgkmcnt(0)
	s_barrier
	ds_read_b32 v9, v15 offset:3072
	v_mov_b32_e32 v14, s92
	v_add_co_u32_e64 v6, s[6:7], s33, v6
	v_addc_co_u32_e64 v7, s[6:7], v7, v14, s[6:7]
	s_waitcnt lgkmcnt(0)
	v_cmp_neq_f16_e32 vcc, 0, v9
	v_cmp_ge_u64_e64 s[6:7], v[6:7], v[4:5]
	s_or_b64 s[6:7], s[6:7], vcc
	s_and_b64 s[6:7], exec, s[6:7]
	s_or_b64 s[42:43], s[6:7], s[42:43]
	s_andn2_b64 s[6:7], s[44:45], exec
	s_and_b64 s[44:45], vcc, exec
	v_add_u32_e32 v8, s10, v8
	s_or_b64 s[44:45], s[6:7], s[44:45]
	s_barrier
	s_andn2_b64 exec, exec, s[42:43]
	s_cbranch_execz .LBB213_167
.LBB213_159:                            ;   Parent Loop BB213_31 Depth=1
                                        ; =>  This Inner Loop Header: Depth=2
	v_cmp_gt_u64_e32 vcc, s[0:1], v[6:7]
	v_mov_b32_e32 v9, 0
	s_and_saveexec_b64 s[6:7], vcc
	s_cbranch_execz .LBB213_161
; %bb.160:                              ;   in Loop: Header=BB213_159 Depth=2
	ds_read_u16 v9, v8
.LBB213_161:                            ;   in Loop: Header=BB213_159 Depth=2
	s_or_b64 exec, exec, s[6:7]
	s_and_saveexec_b64 s[6:7], vcc
	s_cbranch_execz .LBB213_158
; %bb.162:                              ;   in Loop: Header=BB213_159 Depth=2
	s_waitcnt lgkmcnt(0)
	v_cmp_lt_i16_e32 vcc, -1, v9
	v_cndmask_b32_e32 v14, v49, v50, vcc
	v_xor_b32_sdwa v14, v14, v9 dst_sel:DWORD dst_unused:UNUSED_PAD src0_sel:DWORD src1_sel:WORD_0
	v_cmp_o_f16_e32 vcc, v9, v9
	v_cndmask_b32_e32 v14, v49, v14, vcc
	v_and_b32_e32 v14, v14, v31
	v_cmp_eq_u32_e32 vcc, v14, v30
	s_and_b64 exec, exec, vcc
	s_cbranch_execz .LBB213_158
; %bb.163:                              ;   in Loop: Header=BB213_159 Depth=2
	s_movk_i32 s11, 0x3c00
	v_perm_b32 v9, v9, s11, v53
	ds_write_b32 v15, v9 offset:3072
	s_branch .LBB213_158
.LBB213_164:                            ;   in Loop: Header=BB213_31 Depth=1
                                        ; implicit-def: $vgpr2_vgpr3
	s_branch .LBB213_106
.LBB213_165:                            ;   in Loop: Header=BB213_31 Depth=1
                                        ; implicit-def: $vgpr2_vgpr3
	s_branch .LBB213_125
.LBB213_166:                            ;   in Loop: Header=BB213_31 Depth=1
	s_mov_b64 s[28:29], -1
	s_mov_b64 s[6:7], 0
                                        ; implicit-def: $sgpr42_sgpr43
                                        ; implicit-def: $vgpr6
	s_mov_b64 s[44:45], s[28:29]
	s_cbranch_execnz .LBB213_169
	s_branch .LBB213_182
.LBB213_167:                            ;   in Loop: Header=BB213_31 Depth=1
	s_or_b64 exec, exec, s[42:43]
	v_lshrrev_b32_e32 v6, 16, v9
	s_and_b64 s[6:7], s[44:45], exec
.LBB213_168:                            ;   in Loop: Header=BB213_31 Depth=1
	s_or_b64 exec, exec, s[28:29]
	s_mov_b64 s[42:43], -1
	s_mov_b64 s[28:29], 0
	s_mov_b64 s[44:45], s[28:29]
	s_branch .LBB213_182
.LBB213_169:                            ;   in Loop: Header=BB213_31 Depth=1
	v_readlane_b32 s44, v59, 31
	v_readlane_b32 s45, v59, 32
	s_mov_b32 s44, s87
	s_cmp_lg_u64 s[44:45], 0
	v_writelane_b32 v59, s44, 31
	v_writelane_b32 v59, s45, 32
	s_cbranch_scc0 .LBB213_211
; %bb.170:                              ;   in Loop: Header=BB213_31 Depth=1
	v_cvt_f32_u32_e32 v4, s33
	s_sub_u32 s0, 0, s33
	s_subb_u32 s1, 0, 0
	v_mac_f32_e32 v4, 0, v51
	v_rcp_f32_e32 v4, v4
	v_mul_f32_e32 v4, 0x5f7ffffc, v4
	v_mul_f32_e32 v5, 0x2f800000, v4
	v_trunc_f32_e32 v5, v5
	v_mac_f32_e32 v4, 0xcf800000, v5
	v_cvt_u32_f32_e32 v5, v5
	v_cvt_u32_f32_e32 v4, v4
	v_readfirstlane_b32 s6, v5
	v_readfirstlane_b32 s7, v4
	s_mul_i32 s11, s0, s6
	s_mul_hi_u32 s29, s0, s7
	s_mul_i32 s28, s1, s7
	s_add_i32 s11, s29, s11
	s_mul_i32 s42, s0, s7
	s_add_i32 s11, s11, s28
	s_mul_hi_u32 s29, s7, s42
	s_mul_hi_u32 s28, s7, s11
	s_mul_i32 s7, s7, s11
	s_add_u32 s7, s29, s7
	s_addc_u32 s28, 0, s28
	s_mul_hi_u32 s43, s6, s42
	s_mul_i32 s42, s6, s42
	s_add_u32 s7, s7, s42
	s_mul_hi_u32 s29, s6, s11
	s_addc_u32 s7, s28, s43
	s_addc_u32 s28, s29, 0
	s_mul_i32 s11, s6, s11
	s_add_u32 s7, s7, s11
	s_addc_u32 s11, 0, s28
	v_add_co_u32_e32 v4, vcc, s7, v4
	s_cmp_lg_u64 vcc, 0
	s_addc_u32 s6, s6, s11
	v_readfirstlane_b32 s11, v4
	s_mul_i32 s7, s0, s6
	s_mul_hi_u32 s28, s0, s11
	s_add_i32 s7, s28, s7
	s_mul_i32 s1, s1, s11
	s_add_i32 s7, s7, s1
	s_mul_i32 s0, s0, s11
	s_mul_hi_u32 s28, s6, s0
	s_mul_i32 s29, s6, s0
	s_mul_i32 s43, s11, s7
	s_mul_hi_u32 s0, s11, s0
	s_mul_hi_u32 s42, s11, s7
	s_add_u32 s0, s0, s43
	s_addc_u32 s11, 0, s42
	s_add_u32 s0, s0, s29
	s_mul_hi_u32 s1, s6, s7
	s_addc_u32 s0, s11, s28
	s_addc_u32 s1, s1, 0
	s_mul_i32 s7, s6, s7
	s_add_u32 s0, s0, s7
	s_addc_u32 s1, 0, s1
	v_add_co_u32_e32 v4, vcc, s0, v4
	s_cmp_lg_u64 vcc, 0
	s_addc_u32 s0, s6, s1
	v_readlane_b32 s29, v59, 29
	v_readfirstlane_b32 s7, v4
	s_mul_i32 s6, s29, s0
	s_mul_hi_u32 s11, s29, s7
	s_mul_hi_u32 s1, s29, s0
	s_add_u32 s6, s11, s6
	s_addc_u32 s1, 0, s1
	s_mul_hi_u32 s28, s45, s7
	s_mul_i32 s7, s45, s7
	s_add_u32 s6, s6, s7
	s_mul_hi_u32 s11, s45, s0
	s_addc_u32 s1, s1, s28
	s_addc_u32 s6, s11, 0
	s_mul_i32 s0, s45, s0
	s_add_u32 s0, s1, s0
	s_addc_u32 s1, 0, s6
	s_mul_hi_u32 s6, s33, s0
	s_mul_i32 s0, s33, s0
	s_mul_i32 s1, s33, s1
	v_mov_b32_e32 v4, s0
	s_add_i32 s6, s6, s1
	v_sub_co_u32_e32 v4, vcc, s29, v4
	s_cmp_lg_u64 vcc, 0
	s_subb_u32 s0, s45, s6
	v_subrev_co_u32_e32 v5, vcc, s33, v4
	s_cmp_lg_u64 vcc, 0
	s_subb_u32 s1, s0, 0
	v_subrev_co_u32_e32 v6, vcc, s33, v5
	s_cmp_lg_u64 vcc, 0
	s_subb_u32 s6, s1, 0
	v_cmp_le_u32_e32 vcc, s33, v5
	s_cmp_eq_u32 s1, 0
	v_cndmask_b32_e64 v7, 0, -1, vcc
	s_cselect_b64 vcc, -1, 0
	v_cndmask_b32_e32 v7, -1, v7, vcc
	v_mov_b32_e32 v8, s1
	v_mov_b32_e32 v9, s6
	v_cmp_ne_u32_e32 vcc, 0, v7
	v_cndmask_b32_e32 v7, v8, v9, vcc
	v_cndmask_b32_e32 v6, v5, v6, vcc
	v_cmp_le_u32_e32 vcc, s33, v4
	s_cmp_eq_u32 s0, 0
	v_cndmask_b32_e64 v5, 0, -1, vcc
	s_cselect_b64 vcc, -1, 0
	v_cndmask_b32_e32 v5, -1, v5, vcc
	v_mov_b32_e32 v8, s0
	v_cmp_ne_u32_e32 vcc, 0, v5
	v_cndmask_b32_e32 v5, v8, v7, vcc
	v_cndmask_b32_e32 v4, v4, v6, vcc
	s_cbranch_execnz .LBB213_172
.LBB213_171:                            ;   in Loop: Header=BB213_31 Depth=1
	v_cvt_f32_u32_e32 v4, s33
	s_sub_i32 s0, 0, s33
	v_rcp_iflag_f32_e32 v4, v4
	v_mul_f32_e32 v4, 0x4f7ffffe, v4
	v_cvt_u32_f32_e32 v4, v4
	v_mul_lo_u32 v5, s0, v4
	v_mul_hi_u32 v5, v4, v5
	v_add_u32_e32 v4, v4, v5
	v_readlane_b32 s0, v59, 29
	v_mul_hi_u32 v4, s0, v4
	v_mul_lo_u32 v4, v4, s33
	v_sub_u32_e32 v4, s0, v4
	v_subrev_u32_e32 v5, s33, v4
	v_cmp_le_u32_e32 vcc, s33, v4
	v_cndmask_b32_e32 v4, v4, v5, vcc
	v_subrev_u32_e32 v5, s33, v4
	v_cmp_le_u32_e32 vcc, s33, v4
	v_cndmask_b32_e32 v14, v4, v5, vcc
	v_pk_mov_b32 v[4:5], v[14:15], v[14:15] op_sel:[0,1]
.LBB213_172:                            ;   in Loop: Header=BB213_31 Depth=1
	v_readlane_b32 s0, v59, 31
	v_readlane_b32 s1, v59, 32
	;; [unrolled: 1-line block ×3, first 2 shown]
	v_mov_b32_e32 v6, s1
	v_sub_co_u32_e32 v4, vcc, s0, v4
	v_subb_co_u32_e32 v5, vcc, v6, v5, vcc
	v_cmp_gt_u64_e32 vcc, v[4:5], v[0:1]
	s_mov_b64 s[6:7], 0
                                        ; implicit-def: $vgpr6
	s_and_saveexec_b64 s[0:1], vcc
	s_cbranch_execz .LBB213_181
; %bb.173:                              ;   in Loop: Header=BB213_31 Depth=1
	s_mov_b64 s[28:29], 0
	v_pk_mov_b32 v[6:7], v[26:27], v[26:27] op_sel:[0,1]
	v_pk_mov_b32 v[8:9], v[0:1], v[0:1] op_sel:[0,1]
                                        ; implicit-def: $sgpr42_sgpr43
	s_branch .LBB213_175
.LBB213_174:                            ;   in Loop: Header=BB213_175 Depth=2
	s_or_b64 exec, exec, s[6:7]
	s_waitcnt lgkmcnt(0)
	s_barrier
	s_waitcnt vmcnt(0)
	ds_read_b32 v14, v15 offset:3072
	v_mov_b32_e32 v32, s92
	v_add_co_u32_e64 v8, s[6:7], s33, v8
	v_addc_co_u32_e64 v9, s[6:7], v9, v32, s[6:7]
	s_waitcnt lgkmcnt(0)
	v_cmp_neq_f16_e32 vcc, 0, v14
	v_cmp_ge_u64_e64 s[6:7], v[8:9], v[4:5]
	s_or_b64 s[44:45], s[6:7], vcc
	v_mov_b32_e32 v32, s65
	v_add_co_u32_e64 v6, s[6:7], s64, v6
	v_addc_co_u32_e64 v7, s[6:7], v7, v32, s[6:7]
	s_and_b64 s[6:7], exec, s[44:45]
	s_or_b64 s[28:29], s[6:7], s[28:29]
	s_andn2_b64 s[6:7], s[42:43], exec
	s_and_b64 s[42:43], vcc, exec
	s_or_b64 s[42:43], s[6:7], s[42:43]
	s_barrier
	s_andn2_b64 exec, exec, s[28:29]
	s_cbranch_execz .LBB213_180
.LBB213_175:                            ;   Parent Loop BB213_31 Depth=1
                                        ; =>  This Inner Loop Header: Depth=2
	v_cmp_gt_u64_e32 vcc, s[60:61], v[8:9]
	v_mov_b32_e32 v14, 0
	s_and_saveexec_b64 s[6:7], vcc
	s_cbranch_execz .LBB213_177
; %bb.176:                              ;   in Loop: Header=BB213_175 Depth=2
	global_load_ushort v14, v[6:7], off
.LBB213_177:                            ;   in Loop: Header=BB213_175 Depth=2
	s_or_b64 exec, exec, s[6:7]
	s_and_saveexec_b64 s[6:7], vcc
	s_cbranch_execz .LBB213_174
; %bb.178:                              ;   in Loop: Header=BB213_175 Depth=2
	s_waitcnt vmcnt(0)
	v_cmp_lt_i16_e32 vcc, -1, v14
	v_cndmask_b32_e32 v32, v49, v50, vcc
	v_xor_b32_sdwa v32, v32, v14 dst_sel:DWORD dst_unused:UNUSED_PAD src0_sel:DWORD src1_sel:WORD_0
	v_cmp_o_f16_e32 vcc, v14, v14
	v_cndmask_b32_e32 v32, v49, v32, vcc
	v_and_b32_e32 v32, v32, v31
	v_cmp_eq_u32_e32 vcc, v32, v30
	s_and_b64 exec, exec, vcc
	s_cbranch_execz .LBB213_174
; %bb.179:                              ;   in Loop: Header=BB213_175 Depth=2
	s_movk_i32 s11, 0x3c00
	v_perm_b32 v14, v14, s11, v53
	ds_write_b32 v15, v14 offset:3072
	s_branch .LBB213_174
.LBB213_180:                            ;   in Loop: Header=BB213_31 Depth=1
	s_or_b64 exec, exec, s[28:29]
	v_lshrrev_b32_e32 v6, 16, v14
	s_and_b64 s[6:7], s[42:43], exec
.LBB213_181:                            ;   in Loop: Header=BB213_31 Depth=1
	s_or_b64 exec, exec, s[0:1]
	s_mov_b64 s[44:45], -1
	s_mov_b64 s[28:29], 0
	s_mov_b64 s[42:43], 0
.LBB213_182:                            ;   in Loop: Header=BB213_31 Depth=1
	s_orn2_b64 s[0:1], s[6:7], exec
.LBB213_183:                            ;   in Loop: Header=BB213_31 Depth=1
	s_or_b64 exec, exec, s[46:47]
	s_mov_b64 s[6:7], 0
                                        ; implicit-def: $vgpr7
	s_and_saveexec_b64 s[46:47], s[0:1]
	s_cbranch_execz .LBB213_296
; %bb.184:                              ;   in Loop: Header=BB213_31 Depth=1
	v_mov_b32_e32 v4, 1
	s_xor_b64 s[2:3], s[2:3], -1
	s_mov_b64 s[52:53], 0
	v_mov_b32_e32 v5, 0
	v_mov_b32_e32 v7, 1
	s_and_saveexec_b64 s[0:1], s[2:3]
	s_cbranch_execz .LBB213_194
; %bb.185:                              ;   in Loop: Header=BB213_31 Depth=1
	v_cmp_ge_u64_e32 vcc, s[18:19], v[2:3]
                                        ; implicit-def: $sgpr11
                                        ; implicit-def: $sgpr2_sgpr3
	s_and_saveexec_b64 s[6:7], vcc
	s_xor_b64 s[6:7], exec, s[6:7]
	s_cbranch_execz .LBB213_191
; %bb.186:                              ;   in Loop: Header=BB213_31 Depth=1
	ds_read_b64 v[4:5], v15 offset:5120
	s_waitcnt lgkmcnt(0)
	v_cmp_ne_u64_e32 vcc, 0, v[4:5]
	s_cbranch_vccnz .LBB213_190
; %bb.187:                              ;   in Loop: Header=BB213_31 Depth=1
	s_mov_b64 s[2:3], exec
	v_readlane_b32 s48, v59, 10
	v_readlane_b32 s49, v59, 11
	s_and_b64 s[48:49], s[2:3], s[48:49]
	s_mov_b64 exec, s[48:49]
	s_cbranch_execz .LBB213_189
; %bb.188:                              ;   in Loop: Header=BB213_31 Depth=1
	v_pk_mov_b32 v[4:5], s[18:19], s[18:19] op_sel:[0,1]
	ds_write_b64 v15, v[4:5] offset:5128
.LBB213_189:                            ;   in Loop: Header=BB213_31 Depth=1
	s_or_b64 exec, exec, s[2:3]
	s_waitcnt lgkmcnt(0)
	s_barrier
.LBB213_190:                            ;   in Loop: Header=BB213_31 Depth=1
	v_and_b32_e32 v4, s94, v30
	v_lshl_or_b32 v30, 1, s95, v4
	v_or_b32_e32 v31, s86, v31
	s_mov_b64 s[2:3], 0
	s_mov_b32 s11, 8
.LBB213_191:                            ;   in Loop: Header=BB213_31 Depth=1
	s_or_saveexec_b64 s[6:7], s[6:7]
	v_mov_b32_e32 v7, s11
	s_xor_b64 exec, exec, s[6:7]
; %bb.192:                              ;   in Loop: Header=BB213_31 Depth=1
	v_mov_b32_e32 v4, s19
	v_subrev_co_u32_e32 v2, vcc, s18, v2
	v_subb_co_u32_e32 v3, vcc, v3, v4, vcc
	v_mov_b32_e32 v7, 0
	s_or_b64 s[2:3], s[2:3], exec
; %bb.193:                              ;   in Loop: Header=BB213_31 Depth=1
	s_or_b64 exec, exec, s[6:7]
	s_and_b64 s[52:53], s[2:3], exec
	v_pk_mov_b32 v[4:5], v[2:3], v[2:3] op_sel:[0,1]
.LBB213_194:                            ;   in Loop: Header=BB213_31 Depth=1
	s_or_b64 exec, exec, s[0:1]
	s_mov_b64 s[0:1], -1
                                        ; implicit-def: $sgpr2_sgpr3
                                        ; implicit-def: $sgpr6_sgpr7
                                        ; implicit-def: $sgpr50_sgpr51
	s_and_saveexec_b64 s[48:49], s[52:53]
	s_cbranch_execz .LBB213_295
; %bb.195:                              ;   in Loop: Header=BB213_31 Depth=1
	s_cmp_eq_u64 s[22:23], 1
	s_cselect_b64 s[0:1], -1, 0
	v_cmp_eq_u64_e32 vcc, 1, v[4:5]
	s_and_b64 s[50:51], s[0:1], vcc
	s_mov_b64 s[6:7], -1
                                        ; implicit-def: $sgpr2_sgpr3
                                        ; implicit-def: $sgpr52_sgpr53
                                        ; implicit-def: $vcc
	s_and_saveexec_b64 s[54:55], s[50:51]
	s_cbranch_execz .LBB213_229
; %bb.196:                              ;   in Loop: Header=BB213_31 Depth=1
	ds_read_b64 v[2:3], v15 offset:5120
	s_waitcnt lgkmcnt(0)
	s_barrier
	v_readfirstlane_b32 s0, v2
	v_readfirstlane_b32 s1, v3
	s_mov_b64 s[2:3], exec
	v_readlane_b32 s6, v59, 24
	v_readlane_b32 s7, v59, 25
	s_and_b64 s[6:7], s[2:3], s[6:7]
	s_mov_b64 exec, s[6:7]
	s_cbranch_execz .LBB213_198
; %bb.197:                              ;   in Loop: Header=BB213_31 Depth=1
	ds_write_b16 v46, v15
.LBB213_198:                            ;   in Loop: Header=BB213_31 Depth=1
	s_or_b64 exec, exec, s[2:3]
	v_and_b32_e32 v2, s94, v30
	v_lshl_or_b32 v30, 2, s95, v2
	v_or_b32_e32 v31, s86, v31
	s_cmp_eq_u64 s[0:1], 0
	s_waitcnt lgkmcnt(0)
	s_barrier
	s_cbranch_scc1 .LBB213_212
; %bb.199:                              ;   in Loop: Header=BB213_31 Depth=1
	v_readlane_b32 s2, v59, 28
	s_add_u32 s11, s2, s0
	v_readlane_b32 s2, v59, 30
	s_addc_u32 s3, s2, s1
	s_mov_b32 s2, s87
	s_cmp_lg_u64 s[2:3], 0
	s_cbranch_scc0 .LBB213_247
; %bb.200:                              ;   in Loop: Header=BB213_31 Depth=1
	v_cvt_f32_u32_e32 v2, s33
	s_sub_u32 s2, 0, s33
	s_subb_u32 s6, 0, 0
	v_mac_f32_e32 v2, 0, v51
	v_rcp_f32_e32 v2, v2
	v_mul_f32_e32 v2, 0x5f7ffffc, v2
	v_mul_f32_e32 v3, 0x2f800000, v2
	v_trunc_f32_e32 v3, v3
	v_mac_f32_e32 v2, 0xcf800000, v3
	v_cvt_u32_f32_e32 v3, v3
	v_cvt_u32_f32_e32 v2, v2
	v_readfirstlane_b32 s7, v3
	v_readfirstlane_b32 s52, v2
	s_mul_i32 s53, s2, s7
	s_mul_hi_u32 s67, s2, s52
	s_mul_i32 s66, s6, s52
	s_add_i32 s53, s67, s53
	s_mul_i32 s68, s2, s52
	s_add_i32 s53, s53, s66
	s_mul_hi_u32 s67, s52, s68
	s_mul_hi_u32 s66, s52, s53
	s_mul_i32 s52, s52, s53
	s_add_u32 s52, s67, s52
	s_addc_u32 s66, 0, s66
	s_mul_hi_u32 s69, s7, s68
	s_mul_i32 s68, s7, s68
	s_add_u32 s52, s52, s68
	s_mul_hi_u32 s67, s7, s53
	s_addc_u32 s52, s66, s69
	s_addc_u32 s66, s67, 0
	s_mul_i32 s53, s7, s53
	s_add_u32 s52, s52, s53
	s_addc_u32 s53, 0, s66
	v_add_co_u32_e32 v2, vcc, s52, v2
	s_cmp_lg_u64 vcc, 0
	s_addc_u32 s7, s7, s53
	v_readfirstlane_b32 s53, v2
	s_mul_i32 s52, s2, s7
	s_mul_hi_u32 s66, s2, s53
	s_add_i32 s52, s66, s52
	s_mul_i32 s6, s6, s53
	s_add_i32 s52, s52, s6
	s_mul_i32 s2, s2, s53
	s_mul_hi_u32 s66, s7, s2
	s_mul_i32 s67, s7, s2
	s_mul_i32 s69, s53, s52
	s_mul_hi_u32 s2, s53, s2
	s_mul_hi_u32 s68, s53, s52
	s_add_u32 s2, s2, s69
	s_addc_u32 s53, 0, s68
	s_add_u32 s2, s2, s67
	s_mul_hi_u32 s6, s7, s52
	s_addc_u32 s2, s53, s66
	s_addc_u32 s6, s6, 0
	s_mul_i32 s52, s7, s52
	s_add_u32 s2, s2, s52
	s_addc_u32 s6, 0, s6
	v_add_co_u32_e32 v2, vcc, s2, v2
	s_cmp_lg_u64 vcc, 0
	s_addc_u32 s2, s7, s6
	v_readfirstlane_b32 s52, v2
	s_mul_i32 s7, s11, s2
	s_mul_hi_u32 s53, s11, s52
	s_mul_hi_u32 s6, s11, s2
	s_add_u32 s7, s53, s7
	s_addc_u32 s6, 0, s6
	s_mul_hi_u32 s66, s3, s52
	s_mul_i32 s52, s3, s52
	s_add_u32 s7, s7, s52
	s_mul_hi_u32 s53, s3, s2
	s_addc_u32 s6, s6, s66
	s_addc_u32 s7, s53, 0
	s_mul_i32 s2, s3, s2
	s_add_u32 s2, s6, s2
	s_addc_u32 s6, 0, s7
	s_mul_hi_u32 s7, s33, s2
	s_mul_i32 s2, s33, s2
	s_mul_i32 s6, s33, s6
	v_mov_b32_e32 v2, s2
	s_add_i32 s7, s7, s6
	v_sub_co_u32_e32 v2, vcc, s11, v2
	s_cmp_lg_u64 vcc, 0
	s_subb_u32 s2, s3, s7
	v_subrev_co_u32_e32 v3, vcc, s33, v2
	s_cmp_lg_u64 vcc, 0
	s_subb_u32 s6, s2, 0
	v_subrev_co_u32_e32 v6, vcc, s33, v3
	s_cmp_lg_u64 vcc, 0
	s_subb_u32 s7, s6, 0
	v_cmp_le_u32_e32 vcc, s33, v3
	s_cmp_eq_u32 s6, 0
	v_cndmask_b32_e64 v7, 0, -1, vcc
	s_cselect_b64 vcc, -1, 0
	v_cndmask_b32_e32 v7, -1, v7, vcc
	v_mov_b32_e32 v8, s6
	v_mov_b32_e32 v9, s7
	v_cmp_ne_u32_e32 vcc, 0, v7
	v_cndmask_b32_e32 v7, v8, v9, vcc
	v_cndmask_b32_e32 v6, v3, v6, vcc
	v_cmp_le_u32_e32 vcc, s33, v2
	s_cmp_eq_u32 s2, 0
	v_cndmask_b32_e64 v3, 0, -1, vcc
	s_cselect_b64 vcc, -1, 0
	v_cndmask_b32_e32 v3, -1, v3, vcc
	v_mov_b32_e32 v8, s2
	v_cmp_ne_u32_e32 vcc, 0, v3
	v_cndmask_b32_e32 v3, v8, v7, vcc
	v_cndmask_b32_e32 v2, v2, v6, vcc
	s_cbranch_execnz .LBB213_202
.LBB213_201:                            ;   in Loop: Header=BB213_31 Depth=1
	v_cvt_f32_u32_e32 v2, s33
	s_sub_i32 s2, 0, s33
	v_rcp_iflag_f32_e32 v2, v2
	v_mul_f32_e32 v2, 0x4f7ffffe, v2
	v_cvt_u32_f32_e32 v2, v2
	v_mul_lo_u32 v3, s2, v2
	v_mul_hi_u32 v3, v2, v3
	v_add_u32_e32 v2, v2, v3
	v_mul_hi_u32 v2, s11, v2
	v_mul_lo_u32 v2, v2, s33
	v_sub_u32_e32 v2, s11, v2
	v_subrev_u32_e32 v3, s33, v2
	v_cmp_le_u32_e32 vcc, s33, v2
	v_cndmask_b32_e32 v2, v2, v3, vcc
	v_subrev_u32_e32 v3, s33, v2
	v_cmp_le_u32_e32 vcc, s33, v2
	v_cndmask_b32_e32 v14, v2, v3, vcc
	v_pk_mov_b32 v[2:3], v[14:15], v[14:15] op_sel:[0,1]
.LBB213_202:                            ;   in Loop: Header=BB213_31 Depth=1
	v_mov_b32_e32 v6, s3
	v_sub_co_u32_e32 v2, vcc, s11, v2
	v_subb_co_u32_e32 v3, vcc, v6, v3, vcc
	v_cmp_gt_u64_e32 vcc, v[2:3], v[0:1]
	s_mov_b64 s[6:7], 0
                                        ; implicit-def: $vgpr6
	s_and_saveexec_b64 s[2:3], vcc
	s_cbranch_execz .LBB213_214
; %bb.203:                              ;   in Loop: Header=BB213_31 Depth=1
	s_mov_b64 s[52:53], 0
	v_mov_b32_e32 v8, v45
	v_pk_mov_b32 v[6:7], v[0:1], v[0:1] op_sel:[0,1]
                                        ; implicit-def: $sgpr66_sgpr67
	s_branch .LBB213_205
.LBB213_204:                            ;   in Loop: Header=BB213_205 Depth=2
	s_or_b64 exec, exec, s[6:7]
	s_waitcnt lgkmcnt(0)
	s_barrier
	ds_read_b32 v9, v15 offset:3072
	v_mov_b32_e32 v14, s92
	v_add_co_u32_e64 v6, s[6:7], s33, v6
	v_addc_co_u32_e64 v7, s[6:7], v7, v14, s[6:7]
	s_waitcnt lgkmcnt(0)
	v_cmp_neq_f16_e32 vcc, 0, v9
	v_cmp_ge_u64_e64 s[6:7], v[6:7], v[2:3]
	s_or_b64 s[6:7], s[6:7], vcc
	s_and_b64 s[6:7], exec, s[6:7]
	s_or_b64 s[52:53], s[6:7], s[52:53]
	s_andn2_b64 s[6:7], s[66:67], exec
	s_and_b64 s[66:67], vcc, exec
	v_add_u32_e32 v8, s10, v8
	s_or_b64 s[66:67], s[6:7], s[66:67]
	s_barrier
	s_andn2_b64 exec, exec, s[52:53]
	s_cbranch_execz .LBB213_213
.LBB213_205:                            ;   Parent Loop BB213_31 Depth=1
                                        ; =>  This Inner Loop Header: Depth=2
	v_cmp_gt_u64_e32 vcc, s[0:1], v[6:7]
	v_mov_b32_e32 v9, 0
	s_and_saveexec_b64 s[6:7], vcc
	s_cbranch_execz .LBB213_207
; %bb.206:                              ;   in Loop: Header=BB213_205 Depth=2
	ds_read_u16 v9, v8
.LBB213_207:                            ;   in Loop: Header=BB213_205 Depth=2
	s_or_b64 exec, exec, s[6:7]
	s_and_saveexec_b64 s[6:7], vcc
	s_cbranch_execz .LBB213_204
; %bb.208:                              ;   in Loop: Header=BB213_205 Depth=2
	s_waitcnt lgkmcnt(0)
	v_cmp_lt_i16_e32 vcc, -1, v9
	v_cndmask_b32_e32 v14, v49, v50, vcc
	v_xor_b32_sdwa v14, v14, v9 dst_sel:DWORD dst_unused:UNUSED_PAD src0_sel:DWORD src1_sel:WORD_0
	v_cmp_o_f16_e32 vcc, v9, v9
	v_cndmask_b32_e32 v14, v49, v14, vcc
	v_and_b32_e32 v14, v14, v31
	v_cmp_eq_u32_e32 vcc, v14, v30
	s_and_b64 exec, exec, vcc
	s_cbranch_execz .LBB213_204
; %bb.209:                              ;   in Loop: Header=BB213_205 Depth=2
	s_movk_i32 s11, 0x3c00
	v_perm_b32 v9, v9, s11, v53
	ds_write_b32 v15, v9 offset:3072
	s_branch .LBB213_204
.LBB213_210:                            ;   in Loop: Header=BB213_31 Depth=1
                                        ; implicit-def: $vgpr4_vgpr5
	s_branch .LBB213_155
.LBB213_211:                            ;   in Loop: Header=BB213_31 Depth=1
                                        ; implicit-def: $vgpr4_vgpr5
	s_branch .LBB213_171
.LBB213_212:                            ;   in Loop: Header=BB213_31 Depth=1
	s_mov_b64 s[2:3], -1
	s_mov_b64 s[6:7], 0
                                        ; implicit-def: $sgpr0_sgpr1
                                        ; implicit-def: $vgpr6
	s_mov_b64 s[52:53], s[2:3]
	s_cbranch_execnz .LBB213_215
	s_branch .LBB213_228
.LBB213_213:                            ;   in Loop: Header=BB213_31 Depth=1
	s_or_b64 exec, exec, s[52:53]
	v_lshrrev_b32_e32 v6, 16, v9
	s_and_b64 s[6:7], s[66:67], exec
.LBB213_214:                            ;   in Loop: Header=BB213_31 Depth=1
	s_or_b64 exec, exec, s[2:3]
	s_mov_b64 s[0:1], -1
	s_mov_b64 s[2:3], 0
	s_mov_b64 s[52:53], s[2:3]
	s_branch .LBB213_228
.LBB213_215:                            ;   in Loop: Header=BB213_31 Depth=1
	v_readlane_b32 s66, v59, 31
	v_readlane_b32 s67, v59, 32
	s_mov_b32 s66, s87
	s_cmp_lg_u64 s[66:67], 0
	v_writelane_b32 v59, s66, 31
	v_writelane_b32 v59, s67, 32
	s_cbranch_scc0 .LBB213_248
; %bb.216:                              ;   in Loop: Header=BB213_31 Depth=1
	v_cvt_f32_u32_e32 v2, s33
	s_sub_u32 s0, 0, s33
	s_subb_u32 s1, 0, 0
	v_mac_f32_e32 v2, 0, v51
	v_rcp_f32_e32 v2, v2
	v_mul_f32_e32 v2, 0x5f7ffffc, v2
	v_mul_f32_e32 v3, 0x2f800000, v2
	v_trunc_f32_e32 v3, v3
	v_mac_f32_e32 v2, 0xcf800000, v3
	v_cvt_u32_f32_e32 v3, v3
	v_cvt_u32_f32_e32 v2, v2
	v_readfirstlane_b32 s2, v3
	v_readfirstlane_b32 s3, v2
	s_mul_i32 s6, s0, s2
	s_mul_hi_u32 s11, s0, s3
	s_mul_i32 s7, s1, s3
	s_add_i32 s6, s11, s6
	s_mul_i32 s52, s0, s3
	s_add_i32 s6, s6, s7
	s_mul_hi_u32 s11, s3, s52
	s_mul_hi_u32 s7, s3, s6
	s_mul_i32 s3, s3, s6
	s_add_u32 s3, s11, s3
	s_addc_u32 s7, 0, s7
	s_mul_hi_u32 s53, s2, s52
	s_mul_i32 s52, s2, s52
	s_add_u32 s3, s3, s52
	s_mul_hi_u32 s11, s2, s6
	s_addc_u32 s3, s7, s53
	s_addc_u32 s7, s11, 0
	s_mul_i32 s6, s2, s6
	s_add_u32 s3, s3, s6
	s_addc_u32 s6, 0, s7
	v_add_co_u32_e32 v2, vcc, s3, v2
	s_cmp_lg_u64 vcc, 0
	s_addc_u32 s2, s2, s6
	v_readfirstlane_b32 s6, v2
	s_mul_i32 s3, s0, s2
	s_mul_hi_u32 s7, s0, s6
	s_add_i32 s3, s7, s3
	s_mul_i32 s1, s1, s6
	s_add_i32 s3, s3, s1
	s_mul_i32 s0, s0, s6
	s_mul_hi_u32 s7, s2, s0
	s_mul_i32 s11, s2, s0
	s_mul_i32 s53, s6, s3
	s_mul_hi_u32 s0, s6, s0
	s_mul_hi_u32 s52, s6, s3
	s_add_u32 s0, s0, s53
	s_addc_u32 s6, 0, s52
	s_add_u32 s0, s0, s11
	s_mul_hi_u32 s1, s2, s3
	s_addc_u32 s0, s6, s7
	s_addc_u32 s1, s1, 0
	s_mul_i32 s3, s2, s3
	s_add_u32 s0, s0, s3
	s_addc_u32 s1, 0, s1
	v_add_co_u32_e32 v2, vcc, s0, v2
	s_cmp_lg_u64 vcc, 0
	s_addc_u32 s0, s2, s1
	v_readlane_b32 s11, v59, 29
	v_readfirstlane_b32 s3, v2
	s_mul_i32 s2, s11, s0
	s_mul_hi_u32 s6, s11, s3
	s_mul_hi_u32 s1, s11, s0
	s_add_u32 s2, s6, s2
	s_addc_u32 s1, 0, s1
	s_mul_hi_u32 s7, s67, s3
	s_mul_i32 s3, s67, s3
	s_add_u32 s2, s2, s3
	s_mul_hi_u32 s6, s67, s0
	s_addc_u32 s1, s1, s7
	s_addc_u32 s2, s6, 0
	s_mul_i32 s0, s67, s0
	s_add_u32 s0, s1, s0
	s_addc_u32 s1, 0, s2
	s_mul_hi_u32 s2, s33, s0
	s_mul_i32 s0, s33, s0
	s_mul_i32 s1, s33, s1
	v_mov_b32_e32 v2, s0
	s_add_i32 s2, s2, s1
	v_sub_co_u32_e32 v2, vcc, s11, v2
	s_cmp_lg_u64 vcc, 0
	s_subb_u32 s0, s67, s2
	v_subrev_co_u32_e32 v3, vcc, s33, v2
	s_cmp_lg_u64 vcc, 0
	s_subb_u32 s1, s0, 0
	v_subrev_co_u32_e32 v6, vcc, s33, v3
	s_cmp_lg_u64 vcc, 0
	s_subb_u32 s2, s1, 0
	v_cmp_le_u32_e32 vcc, s33, v3
	s_cmp_eq_u32 s1, 0
	v_cndmask_b32_e64 v7, 0, -1, vcc
	s_cselect_b64 vcc, -1, 0
	v_cndmask_b32_e32 v7, -1, v7, vcc
	v_mov_b32_e32 v8, s1
	v_mov_b32_e32 v9, s2
	v_cmp_ne_u32_e32 vcc, 0, v7
	v_cndmask_b32_e32 v7, v8, v9, vcc
	v_cndmask_b32_e32 v6, v3, v6, vcc
	v_cmp_le_u32_e32 vcc, s33, v2
	s_cmp_eq_u32 s0, 0
	v_cndmask_b32_e64 v3, 0, -1, vcc
	s_cselect_b64 vcc, -1, 0
	v_cndmask_b32_e32 v3, -1, v3, vcc
	v_mov_b32_e32 v8, s0
	v_cmp_ne_u32_e32 vcc, 0, v3
	v_cndmask_b32_e32 v3, v8, v7, vcc
	v_cndmask_b32_e32 v2, v2, v6, vcc
	s_cbranch_execnz .LBB213_218
.LBB213_217:                            ;   in Loop: Header=BB213_31 Depth=1
	v_cvt_f32_u32_e32 v2, s33
	s_sub_i32 s0, 0, s33
	v_rcp_iflag_f32_e32 v2, v2
	v_mul_f32_e32 v2, 0x4f7ffffe, v2
	v_cvt_u32_f32_e32 v2, v2
	v_mul_lo_u32 v3, s0, v2
	v_mul_hi_u32 v3, v2, v3
	v_add_u32_e32 v2, v2, v3
	v_readlane_b32 s0, v59, 29
	v_mul_hi_u32 v2, s0, v2
	v_mul_lo_u32 v2, v2, s33
	v_sub_u32_e32 v2, s0, v2
	v_subrev_u32_e32 v3, s33, v2
	v_cmp_le_u32_e32 vcc, s33, v2
	v_cndmask_b32_e32 v2, v2, v3, vcc
	v_subrev_u32_e32 v3, s33, v2
	v_cmp_le_u32_e32 vcc, s33, v2
	v_cndmask_b32_e32 v14, v2, v3, vcc
	v_pk_mov_b32 v[2:3], v[14:15], v[14:15] op_sel:[0,1]
.LBB213_218:                            ;   in Loop: Header=BB213_31 Depth=1
	v_readlane_b32 s0, v59, 31
	v_readlane_b32 s1, v59, 32
	;; [unrolled: 1-line block ×3, first 2 shown]
	v_mov_b32_e32 v6, s1
	v_sub_co_u32_e32 v2, vcc, s0, v2
	v_subb_co_u32_e32 v3, vcc, v6, v3, vcc
	v_cmp_gt_u64_e32 vcc, v[2:3], v[0:1]
	s_mov_b64 s[6:7], 0
                                        ; implicit-def: $vgpr6
	s_and_saveexec_b64 s[0:1], vcc
	s_cbranch_execz .LBB213_227
; %bb.219:                              ;   in Loop: Header=BB213_31 Depth=1
	s_mov_b64 s[2:3], 0
	v_pk_mov_b32 v[6:7], v[26:27], v[26:27] op_sel:[0,1]
	v_pk_mov_b32 v[8:9], v[0:1], v[0:1] op_sel:[0,1]
                                        ; implicit-def: $sgpr52_sgpr53
	s_branch .LBB213_221
.LBB213_220:                            ;   in Loop: Header=BB213_221 Depth=2
	s_or_b64 exec, exec, s[6:7]
	s_waitcnt lgkmcnt(0)
	s_barrier
	s_waitcnt vmcnt(0)
	ds_read_b32 v14, v15 offset:3072
	v_mov_b32_e32 v32, s92
	v_add_co_u32_e64 v8, s[6:7], s33, v8
	v_addc_co_u32_e64 v9, s[6:7], v9, v32, s[6:7]
	s_waitcnt lgkmcnt(0)
	v_cmp_neq_f16_e32 vcc, 0, v14
	v_cmp_ge_u64_e64 s[6:7], v[8:9], v[2:3]
	s_or_b64 s[66:67], s[6:7], vcc
	v_mov_b32_e32 v32, s65
	v_add_co_u32_e64 v6, s[6:7], s64, v6
	v_addc_co_u32_e64 v7, s[6:7], v7, v32, s[6:7]
	s_and_b64 s[6:7], exec, s[66:67]
	s_or_b64 s[2:3], s[6:7], s[2:3]
	s_andn2_b64 s[6:7], s[52:53], exec
	s_and_b64 s[52:53], vcc, exec
	s_or_b64 s[52:53], s[6:7], s[52:53]
	s_barrier
	s_andn2_b64 exec, exec, s[2:3]
	s_cbranch_execz .LBB213_226
.LBB213_221:                            ;   Parent Loop BB213_31 Depth=1
                                        ; =>  This Inner Loop Header: Depth=2
	v_cmp_gt_u64_e32 vcc, s[60:61], v[8:9]
	v_mov_b32_e32 v14, 0
	s_and_saveexec_b64 s[6:7], vcc
	s_cbranch_execz .LBB213_223
; %bb.222:                              ;   in Loop: Header=BB213_221 Depth=2
	global_load_ushort v14, v[6:7], off
.LBB213_223:                            ;   in Loop: Header=BB213_221 Depth=2
	s_or_b64 exec, exec, s[6:7]
	s_and_saveexec_b64 s[6:7], vcc
	s_cbranch_execz .LBB213_220
; %bb.224:                              ;   in Loop: Header=BB213_221 Depth=2
	s_waitcnt vmcnt(0)
	v_cmp_lt_i16_e32 vcc, -1, v14
	v_cndmask_b32_e32 v32, v49, v50, vcc
	v_xor_b32_sdwa v32, v32, v14 dst_sel:DWORD dst_unused:UNUSED_PAD src0_sel:DWORD src1_sel:WORD_0
	v_cmp_o_f16_e32 vcc, v14, v14
	v_cndmask_b32_e32 v32, v49, v32, vcc
	v_and_b32_e32 v32, v32, v31
	v_cmp_eq_u32_e32 vcc, v32, v30
	s_and_b64 exec, exec, vcc
	s_cbranch_execz .LBB213_220
; %bb.225:                              ;   in Loop: Header=BB213_221 Depth=2
	s_movk_i32 s11, 0x3c00
	v_perm_b32 v14, v14, s11, v53
	ds_write_b32 v15, v14 offset:3072
	s_branch .LBB213_220
.LBB213_226:                            ;   in Loop: Header=BB213_31 Depth=1
	s_or_b64 exec, exec, s[2:3]
	v_lshrrev_b32_e32 v6, 16, v14
	s_and_b64 s[6:7], s[52:53], exec
.LBB213_227:                            ;   in Loop: Header=BB213_31 Depth=1
	s_or_b64 exec, exec, s[0:1]
	s_mov_b64 s[52:53], -1
	s_mov_b64 s[2:3], 0
	s_mov_b64 s[0:1], 0
.LBB213_228:                            ;   in Loop: Header=BB213_31 Depth=1
	s_orn2_b64 s[6:7], s[6:7], exec
	s_mov_b64 vcc, s[0:1]
.LBB213_229:                            ;   in Loop: Header=BB213_31 Depth=1
	s_or_b64 exec, exec, s[54:55]
	s_mov_b64 s[0:1], 0
                                        ; implicit-def: $vgpr7
	s_and_saveexec_b64 s[54:55], s[6:7]
	s_cbranch_execz .LBB213_294
; %bb.230:                              ;   in Loop: Header=BB213_31 Depth=1
	v_mov_b32_e32 v2, 1
	s_xor_b64 s[6:7], s[50:51], -1
	s_mov_b64 s[80:81], 0
	v_mov_b32_e32 v3, 0
	v_mov_b32_e32 v7, 1
	s_and_saveexec_b64 s[0:1], s[6:7]
	s_cbranch_execz .LBB213_240
; %bb.231:                              ;   in Loop: Header=BB213_31 Depth=1
	s_mov_b64 s[68:69], vcc
	v_cmp_ge_u64_e32 vcc, s[22:23], v[4:5]
                                        ; implicit-def: $sgpr11
                                        ; implicit-def: $sgpr6_sgpr7
	s_and_saveexec_b64 s[50:51], vcc
	s_xor_b64 s[50:51], exec, s[50:51]
	s_cbranch_execz .LBB213_237
; %bb.232:                              ;   in Loop: Header=BB213_31 Depth=1
	ds_read_b64 v[2:3], v15 offset:5120
	s_waitcnt lgkmcnt(0)
	v_cmp_ne_u64_e32 vcc, 0, v[2:3]
	s_cbranch_vccnz .LBB213_236
; %bb.233:                              ;   in Loop: Header=BB213_31 Depth=1
	s_mov_b64 s[6:7], exec
	v_readlane_b32 s66, v59, 10
	v_readlane_b32 s67, v59, 11
	s_and_b64 s[66:67], s[6:7], s[66:67]
	s_mov_b64 exec, s[66:67]
	s_cbranch_execz .LBB213_235
; %bb.234:                              ;   in Loop: Header=BB213_31 Depth=1
	v_pk_mov_b32 v[2:3], s[22:23], s[22:23] op_sel:[0,1]
	ds_write_b64 v15, v[2:3] offset:5128
.LBB213_235:                            ;   in Loop: Header=BB213_31 Depth=1
	s_or_b64 exec, exec, s[6:7]
	s_waitcnt lgkmcnt(0)
	s_barrier
.LBB213_236:                            ;   in Loop: Header=BB213_31 Depth=1
	v_and_b32_e32 v2, s94, v30
	v_lshl_or_b32 v30, 2, s95, v2
	v_or_b32_e32 v31, s86, v31
	s_mov_b64 s[6:7], 0
	s_mov_b32 s11, 8
.LBB213_237:                            ;   in Loop: Header=BB213_31 Depth=1
	s_or_saveexec_b64 s[50:51], s[50:51]
	v_mov_b32_e32 v7, s11
	s_xor_b64 exec, exec, s[50:51]
; %bb.238:                              ;   in Loop: Header=BB213_31 Depth=1
	v_mov_b32_e32 v2, s23
	v_subrev_co_u32_e32 v4, vcc, s22, v4
	v_subb_co_u32_e32 v5, vcc, v5, v2, vcc
	v_mov_b32_e32 v7, 0
	s_or_b64 s[6:7], s[6:7], exec
; %bb.239:                              ;   in Loop: Header=BB213_31 Depth=1
	s_or_b64 exec, exec, s[50:51]
	s_and_b64 s[80:81], s[6:7], exec
	v_pk_mov_b32 v[2:3], v[4:5], v[4:5] op_sel:[0,1]
	s_mov_b64 vcc, s[68:69]
.LBB213_240:                            ;   in Loop: Header=BB213_31 Depth=1
	s_or_b64 exec, exec, s[0:1]
	s_mov_b64 s[50:51], -1
                                        ; implicit-def: $sgpr0_sgpr1
                                        ; implicit-def: $sgpr66_sgpr67
                                        ; implicit-def: $sgpr6_sgpr7
	s_mov_b64 s[68:69], exec
	v_writelane_b32 v59, s68, 62
	v_writelane_b32 v59, s69, 63
	s_and_b64 s[68:69], s[68:69], s[80:81]
	s_mov_b64 exec, s[68:69]
	s_cbranch_execz .LBB213_293
; %bb.241:                              ;   in Loop: Header=BB213_31 Depth=1
                                        ; implicit-def: $vgpr58 : SGPR spill to VGPR lane
	s_cmp_eq_u64 s[24:25], 1
	v_writelane_b32 v58, vcc_lo, 0
	v_writelane_b32 v58, vcc_hi, 1
	s_cselect_b64 s[0:1], -1, 0
	v_cmp_eq_u64_e32 vcc, 1, v[2:3]
	s_mov_b64 s[80:81], -1
	s_and_b64 s[68:69], s[0:1], vcc
                                        ; implicit-def: $sgpr0_sgpr1
                                        ; implicit-def: $sgpr66_sgpr67
                                        ; implicit-def: $sgpr6_sgpr7
	s_mov_b64 s[50:51], exec
	v_writelane_b32 v58, s68, 2
	v_writelane_b32 v58, s69, 3
	s_and_b64 s[68:69], s[50:51], s[68:69]
	s_mov_b64 exec, s[68:69]
	s_cbranch_execz .LBB213_280
; %bb.242:                              ;   in Loop: Header=BB213_31 Depth=1
	ds_read_b64 v[4:5], v15 offset:5120
	s_waitcnt lgkmcnt(0)
	s_barrier
	v_readfirstlane_b32 s0, v4
	v_readfirstlane_b32 s1, v5
	s_mov_b64 s[6:7], exec
	v_readlane_b32 s66, v59, 24
	v_readlane_b32 s67, v59, 25
	s_and_b64 s[66:67], s[6:7], s[66:67]
	s_mov_b64 exec, s[66:67]
	s_cbranch_execz .LBB213_244
; %bb.243:                              ;   in Loop: Header=BB213_31 Depth=1
	ds_write_b16 v46, v15
.LBB213_244:                            ;   in Loop: Header=BB213_31 Depth=1
	s_or_b64 exec, exec, s[6:7]
	v_or_b32_e32 v30, s86, v30
	v_or_b32_e32 v31, s86, v31
	s_cmp_eq_u64 s[0:1], 0
	s_waitcnt lgkmcnt(0)
	s_barrier
	s_cbranch_scc1 .LBB213_249
; %bb.245:                              ;   in Loop: Header=BB213_31 Depth=1
	v_readlane_b32 s6, v59, 28
	s_add_u32 s11, s6, s0
	v_readlane_b32 s6, v59, 30
	s_addc_u32 s7, s6, s1
	s_mov_b32 s6, s87
	s_cmp_lg_u64 s[6:7], 0
	s_cbranch_scc0 .LBB213_250
; %bb.246:                              ;   in Loop: Header=BB213_31 Depth=1
	v_cvt_f32_u32_e32 v4, s33
	s_sub_u32 s6, 0, s33
	s_subb_u32 s66, 0, 0
	v_mac_f32_e32 v4, 0, v51
	v_rcp_f32_e32 v4, v4
	v_mul_f32_e32 v4, 0x5f7ffffc, v4
	v_mul_f32_e32 v5, 0x2f800000, v4
	v_trunc_f32_e32 v5, v5
	v_mac_f32_e32 v4, 0xcf800000, v5
	v_cvt_u32_f32_e32 v5, v5
	v_cvt_u32_f32_e32 v4, v4
	v_readfirstlane_b32 s67, v5
	v_readfirstlane_b32 s68, v4
	s_mul_i32 s69, s6, s67
	s_mul_hi_u32 s81, s6, s68
	s_mul_i32 s80, s66, s68
	s_add_i32 s69, s81, s69
	s_mul_i32 s88, s6, s68
	s_add_i32 s69, s69, s80
	s_mul_hi_u32 s81, s68, s88
	s_mul_hi_u32 s80, s68, s69
	s_mul_i32 s68, s68, s69
	s_add_u32 s68, s81, s68
	s_addc_u32 s80, 0, s80
	s_mul_hi_u32 s89, s67, s88
	s_mul_i32 s88, s67, s88
	s_add_u32 s68, s68, s88
	s_mul_hi_u32 s81, s67, s69
	s_addc_u32 s68, s80, s89
	s_addc_u32 s80, s81, 0
	s_mul_i32 s69, s67, s69
	s_add_u32 s68, s68, s69
	s_addc_u32 s69, 0, s80
	v_add_co_u32_e32 v4, vcc, s68, v4
	s_cmp_lg_u64 vcc, 0
	s_addc_u32 s67, s67, s69
	v_readfirstlane_b32 s69, v4
	s_mul_i32 s68, s6, s67
	s_mul_hi_u32 s80, s6, s69
	s_add_i32 s68, s80, s68
	s_mul_i32 s66, s66, s69
	s_add_i32 s68, s68, s66
	s_mul_i32 s6, s6, s69
	s_mul_hi_u32 s80, s67, s6
	s_mul_i32 s81, s67, s6
	s_mul_i32 s89, s69, s68
	s_mul_hi_u32 s6, s69, s6
	s_mul_hi_u32 s88, s69, s68
	s_add_u32 s6, s6, s89
	s_addc_u32 s69, 0, s88
	s_add_u32 s6, s6, s81
	s_mul_hi_u32 s66, s67, s68
	s_addc_u32 s6, s69, s80
	s_addc_u32 s66, s66, 0
	s_mul_i32 s68, s67, s68
	s_add_u32 s6, s6, s68
	s_addc_u32 s66, 0, s66
	v_add_co_u32_e32 v4, vcc, s6, v4
	s_cmp_lg_u64 vcc, 0
	s_addc_u32 s6, s67, s66
	v_readfirstlane_b32 s68, v4
	s_mul_i32 s67, s11, s6
	s_mul_hi_u32 s69, s11, s68
	s_mul_hi_u32 s66, s11, s6
	s_add_u32 s67, s69, s67
	s_addc_u32 s66, 0, s66
	s_mul_hi_u32 s80, s7, s68
	s_mul_i32 s68, s7, s68
	s_add_u32 s67, s67, s68
	s_mul_hi_u32 s69, s7, s6
	s_addc_u32 s66, s66, s80
	s_addc_u32 s67, s69, 0
	s_mul_i32 s6, s7, s6
	s_add_u32 s6, s66, s6
	s_addc_u32 s66, 0, s67
	s_mul_hi_u32 s67, s33, s6
	s_mul_i32 s6, s33, s6
	s_mul_i32 s66, s33, s66
	v_mov_b32_e32 v4, s6
	s_add_i32 s67, s67, s66
	v_sub_co_u32_e32 v4, vcc, s11, v4
	s_cmp_lg_u64 vcc, 0
	s_subb_u32 s6, s7, s67
	v_subrev_co_u32_e32 v5, vcc, s33, v4
	s_cmp_lg_u64 vcc, 0
	s_subb_u32 s66, s6, 0
	v_subrev_co_u32_e32 v6, vcc, s33, v5
	s_cmp_lg_u64 vcc, 0
	s_subb_u32 s67, s66, 0
	v_cmp_le_u32_e32 vcc, s33, v5
	s_cmp_eq_u32 s66, 0
	v_cndmask_b32_e64 v7, 0, -1, vcc
	s_cselect_b64 vcc, -1, 0
	v_cndmask_b32_e32 v7, -1, v7, vcc
	v_mov_b32_e32 v8, s66
	v_mov_b32_e32 v9, s67
	v_cmp_ne_u32_e32 vcc, 0, v7
	v_cndmask_b32_e32 v7, v8, v9, vcc
	v_cndmask_b32_e32 v6, v5, v6, vcc
	v_cmp_le_u32_e32 vcc, s33, v4
	s_cmp_eq_u32 s6, 0
	v_cndmask_b32_e64 v5, 0, -1, vcc
	s_cselect_b64 vcc, -1, 0
	v_cndmask_b32_e32 v5, -1, v5, vcc
	v_mov_b32_e32 v8, s6
	v_cmp_ne_u32_e32 vcc, 0, v5
	v_cndmask_b32_e32 v5, v8, v7, vcc
	v_cndmask_b32_e32 v4, v4, v6, vcc
	s_mov_b64 s[66:67], 0
	s_branch .LBB213_251
.LBB213_247:                            ;   in Loop: Header=BB213_31 Depth=1
                                        ; implicit-def: $vgpr2_vgpr3
	s_branch .LBB213_201
.LBB213_248:                            ;   in Loop: Header=BB213_31 Depth=1
                                        ; implicit-def: $vgpr2_vgpr3
	s_branch .LBB213_217
.LBB213_249:                            ;   in Loop: Header=BB213_31 Depth=1
	s_mov_b64 s[0:1], -1
	s_mov_b64 s[80:81], 0
                                        ; implicit-def: $sgpr6_sgpr7
                                        ; implicit-def: $vgpr6
	s_branch .LBB213_263
.LBB213_250:                            ;   in Loop: Header=BB213_31 Depth=1
	s_mov_b64 s[66:67], -1
                                        ; implicit-def: $vgpr4_vgpr5
.LBB213_251:                            ;   in Loop: Header=BB213_31 Depth=1
	s_andn2_b64 vcc, exec, s[66:67]
	s_cbranch_vccnz .LBB213_253
; %bb.252:                              ;   in Loop: Header=BB213_31 Depth=1
	v_cvt_f32_u32_e32 v4, s33
	s_sub_i32 s6, 0, s33
	v_rcp_iflag_f32_e32 v4, v4
	v_mul_f32_e32 v4, 0x4f7ffffe, v4
	v_cvt_u32_f32_e32 v4, v4
	v_mul_lo_u32 v5, s6, v4
	v_mul_hi_u32 v5, v4, v5
	v_add_u32_e32 v4, v4, v5
	v_mul_hi_u32 v4, s11, v4
	v_mul_lo_u32 v4, v4, s33
	v_sub_u32_e32 v4, s11, v4
	v_subrev_u32_e32 v5, s33, v4
	v_cmp_le_u32_e32 vcc, s33, v4
	v_cndmask_b32_e32 v4, v4, v5, vcc
	v_subrev_u32_e32 v5, s33, v4
	v_cmp_le_u32_e32 vcc, s33, v4
	v_cndmask_b32_e32 v14, v4, v5, vcc
	v_pk_mov_b32 v[4:5], v[14:15], v[14:15] op_sel:[0,1]
.LBB213_253:                            ;   in Loop: Header=BB213_31 Depth=1
	v_mov_b32_e32 v6, s7
	v_sub_co_u32_e32 v4, vcc, s11, v4
	v_subb_co_u32_e32 v5, vcc, v6, v5, vcc
	v_cmp_gt_u64_e32 vcc, v[4:5], v[0:1]
	s_mov_b64 s[80:81], 0
                                        ; implicit-def: $vgpr6
	s_and_saveexec_b64 s[66:67], vcc
	s_cbranch_execz .LBB213_262
; %bb.254:                              ;   in Loop: Header=BB213_31 Depth=1
	v_mov_b32_e32 v8, v45
	v_pk_mov_b32 v[6:7], v[0:1], v[0:1] op_sel:[0,1]
                                        ; implicit-def: $sgpr88_sgpr89
	s_branch .LBB213_256
.LBB213_255:                            ;   in Loop: Header=BB213_256 Depth=2
	s_or_b64 exec, exec, s[6:7]
	s_waitcnt lgkmcnt(0)
	s_barrier
	ds_read_b32 v9, v15 offset:3072
	v_mov_b32_e32 v14, s92
	v_add_co_u32_e64 v6, s[6:7], s33, v6
	v_addc_co_u32_e64 v7, s[6:7], v7, v14, s[6:7]
	s_waitcnt lgkmcnt(0)
	v_cmp_neq_f16_e32 vcc, 0, v9
	v_cmp_ge_u64_e64 s[6:7], v[6:7], v[4:5]
	s_or_b64 s[6:7], s[6:7], vcc
	s_and_b64 s[6:7], exec, s[6:7]
	s_or_b64 s[80:81], s[6:7], s[80:81]
	s_andn2_b64 s[6:7], s[88:89], exec
	s_and_b64 s[68:69], vcc, exec
	v_add_u32_e32 v8, s10, v8
	s_or_b64 s[88:89], s[6:7], s[68:69]
	s_barrier
	s_andn2_b64 exec, exec, s[80:81]
	s_cbranch_execz .LBB213_261
.LBB213_256:                            ;   Parent Loop BB213_31 Depth=1
                                        ; =>  This Inner Loop Header: Depth=2
	v_cmp_gt_u64_e32 vcc, s[0:1], v[6:7]
	v_mov_b32_e32 v9, 0
	s_and_saveexec_b64 s[6:7], vcc
	s_cbranch_execz .LBB213_258
; %bb.257:                              ;   in Loop: Header=BB213_256 Depth=2
	ds_read_u16 v9, v8
.LBB213_258:                            ;   in Loop: Header=BB213_256 Depth=2
	s_or_b64 exec, exec, s[6:7]
	s_and_saveexec_b64 s[6:7], vcc
	s_cbranch_execz .LBB213_255
; %bb.259:                              ;   in Loop: Header=BB213_256 Depth=2
	s_waitcnt lgkmcnt(0)
	v_cmp_lt_i16_e32 vcc, -1, v9
	v_cndmask_b32_e32 v14, v49, v50, vcc
	v_xor_b32_sdwa v14, v14, v9 dst_sel:DWORD dst_unused:UNUSED_PAD src0_sel:DWORD src1_sel:WORD_0
	v_cmp_o_f16_e32 vcc, v9, v9
	v_cndmask_b32_e32 v14, v49, v14, vcc
	v_and_b32_e32 v14, v14, v31
	v_cmp_eq_u32_e32 vcc, v14, v30
	s_and_b64 exec, exec, vcc
	s_cbranch_execz .LBB213_255
; %bb.260:                              ;   in Loop: Header=BB213_256 Depth=2
	s_movk_i32 s11, 0x3c00
	v_perm_b32 v9, v9, s11, v53
	ds_write_b32 v15, v9 offset:3072
	s_branch .LBB213_255
.LBB213_261:                            ;   in Loop: Header=BB213_31 Depth=1
	s_or_b64 exec, exec, s[80:81]
	v_lshrrev_b32_e32 v6, 16, v9
	s_and_b64 s[80:81], s[88:89], exec
.LBB213_262:                            ;   in Loop: Header=BB213_31 Depth=1
	s_or_b64 exec, exec, s[66:67]
	s_mov_b64 s[6:7], -1
	s_mov_b64 s[0:1], 0
.LBB213_263:                            ;   in Loop: Header=BB213_31 Depth=1
	s_and_b64 vcc, exec, s[0:1]
	s_mov_b64 s[66:67], s[0:1]
	s_cbranch_vccz .LBB213_279
; %bb.264:                              ;   in Loop: Header=BB213_31 Depth=1
	v_readlane_b32 s80, v59, 31
	v_readlane_b32 s81, v59, 32
	s_mov_b32 s80, s87
	s_cmp_lg_u64 s[80:81], 0
	v_writelane_b32 v59, s80, 31
	v_writelane_b32 v59, s81, 32
	s_cbranch_scc0 .LBB213_266
; %bb.265:                              ;   in Loop: Header=BB213_31 Depth=1
	v_cvt_f32_u32_e32 v4, s33
	s_sub_u32 s0, 0, s33
	s_subb_u32 s1, 0, 0
	v_mac_f32_e32 v4, 0, v51
	v_rcp_f32_e32 v4, v4
	v_mul_f32_e32 v4, 0x5f7ffffc, v4
	v_mul_f32_e32 v5, 0x2f800000, v4
	v_trunc_f32_e32 v5, v5
	v_mac_f32_e32 v4, 0xcf800000, v5
	v_cvt_u32_f32_e32 v5, v5
	v_cvt_u32_f32_e32 v4, v4
	v_readfirstlane_b32 s6, v5
	v_readfirstlane_b32 s7, v4
	s_mul_i32 s11, s0, s6
	s_mul_hi_u32 s67, s0, s7
	s_mul_i32 s66, s1, s7
	s_add_i32 s11, s67, s11
	s_mul_i32 s68, s0, s7
	s_add_i32 s11, s11, s66
	s_mul_hi_u32 s67, s7, s68
	s_mul_hi_u32 s66, s7, s11
	s_mul_i32 s7, s7, s11
	s_add_u32 s7, s67, s7
	s_addc_u32 s66, 0, s66
	s_mul_hi_u32 s69, s6, s68
	s_mul_i32 s68, s6, s68
	s_add_u32 s7, s7, s68
	s_mul_hi_u32 s67, s6, s11
	s_addc_u32 s7, s66, s69
	s_addc_u32 s66, s67, 0
	s_mul_i32 s11, s6, s11
	s_add_u32 s7, s7, s11
	s_addc_u32 s11, 0, s66
	v_add_co_u32_e32 v4, vcc, s7, v4
	s_cmp_lg_u64 vcc, 0
	s_addc_u32 s6, s6, s11
	v_readfirstlane_b32 s11, v4
	s_mul_i32 s7, s0, s6
	s_mul_hi_u32 s66, s0, s11
	s_add_i32 s7, s66, s7
	s_mul_i32 s1, s1, s11
	s_add_i32 s7, s7, s1
	s_mul_i32 s0, s0, s11
	s_mul_hi_u32 s66, s6, s0
	s_mul_i32 s67, s6, s0
	s_mul_i32 s69, s11, s7
	s_mul_hi_u32 s0, s11, s0
	s_mul_hi_u32 s68, s11, s7
	s_add_u32 s0, s0, s69
	s_addc_u32 s11, 0, s68
	s_add_u32 s0, s0, s67
	s_mul_hi_u32 s1, s6, s7
	s_addc_u32 s0, s11, s66
	s_addc_u32 s1, s1, 0
	s_mul_i32 s7, s6, s7
	s_add_u32 s0, s0, s7
	s_addc_u32 s1, 0, s1
	v_add_co_u32_e32 v4, vcc, s0, v4
	s_cmp_lg_u64 vcc, 0
	s_addc_u32 s0, s6, s1
	v_readlane_b32 s67, v59, 29
	v_readfirstlane_b32 s7, v4
	s_mul_i32 s6, s67, s0
	s_mul_hi_u32 s11, s67, s7
	s_mul_hi_u32 s1, s67, s0
	s_add_u32 s6, s11, s6
	s_addc_u32 s1, 0, s1
	s_mul_hi_u32 s66, s81, s7
	s_mul_i32 s7, s81, s7
	s_add_u32 s6, s6, s7
	s_mul_hi_u32 s11, s81, s0
	s_addc_u32 s1, s1, s66
	s_addc_u32 s6, s11, 0
	s_mul_i32 s0, s81, s0
	s_add_u32 s0, s1, s0
	s_addc_u32 s1, 0, s6
	s_mul_hi_u32 s6, s33, s0
	s_mul_i32 s0, s33, s0
	s_mul_i32 s1, s33, s1
	v_mov_b32_e32 v4, s0
	s_add_i32 s6, s6, s1
	v_sub_co_u32_e32 v4, vcc, s67, v4
	s_cmp_lg_u64 vcc, 0
	s_subb_u32 s0, s81, s6
	v_subrev_co_u32_e32 v5, vcc, s33, v4
	s_cmp_lg_u64 vcc, 0
	s_subb_u32 s1, s0, 0
	v_subrev_co_u32_e32 v6, vcc, s33, v5
	s_cmp_lg_u64 vcc, 0
	s_subb_u32 s6, s1, 0
	v_cmp_le_u32_e32 vcc, s33, v5
	s_cmp_eq_u32 s1, 0
	v_cndmask_b32_e64 v7, 0, -1, vcc
	s_cselect_b64 vcc, -1, 0
	v_cndmask_b32_e32 v7, -1, v7, vcc
	v_mov_b32_e32 v8, s1
	v_mov_b32_e32 v9, s6
	v_cmp_ne_u32_e32 vcc, 0, v7
	v_cndmask_b32_e32 v7, v8, v9, vcc
	v_cndmask_b32_e32 v6, v5, v6, vcc
	v_cmp_le_u32_e32 vcc, s33, v4
	s_cmp_eq_u32 s0, 0
	v_cndmask_b32_e64 v5, 0, -1, vcc
	s_cselect_b64 vcc, -1, 0
	v_cndmask_b32_e32 v5, -1, v5, vcc
	v_mov_b32_e32 v8, s0
	v_cmp_ne_u32_e32 vcc, 0, v5
	v_cndmask_b32_e32 v5, v8, v7, vcc
	v_cndmask_b32_e32 v4, v4, v6, vcc
	s_mov_b64 s[0:1], 0
	s_branch .LBB213_267
.LBB213_266:                            ;   in Loop: Header=BB213_31 Depth=1
	s_mov_b64 s[0:1], -1
                                        ; implicit-def: $vgpr4_vgpr5
.LBB213_267:                            ;   in Loop: Header=BB213_31 Depth=1
	s_andn2_b64 vcc, exec, s[0:1]
	s_cbranch_vccnz .LBB213_269
; %bb.268:                              ;   in Loop: Header=BB213_31 Depth=1
	v_cvt_f32_u32_e32 v4, s33
	s_sub_i32 s0, 0, s33
	v_rcp_iflag_f32_e32 v4, v4
	v_mul_f32_e32 v4, 0x4f7ffffe, v4
	v_cvt_u32_f32_e32 v4, v4
	v_mul_lo_u32 v5, s0, v4
	v_mul_hi_u32 v5, v4, v5
	v_add_u32_e32 v4, v4, v5
	v_readlane_b32 s0, v59, 29
	v_mul_hi_u32 v4, s0, v4
	v_mul_lo_u32 v4, v4, s33
	v_sub_u32_e32 v4, s0, v4
	v_subrev_u32_e32 v5, s33, v4
	v_cmp_le_u32_e32 vcc, s33, v4
	v_cndmask_b32_e32 v4, v4, v5, vcc
	v_subrev_u32_e32 v5, s33, v4
	v_cmp_le_u32_e32 vcc, s33, v4
	v_cndmask_b32_e32 v14, v4, v5, vcc
	v_pk_mov_b32 v[4:5], v[14:15], v[14:15] op_sel:[0,1]
.LBB213_269:                            ;   in Loop: Header=BB213_31 Depth=1
	v_readlane_b32 s0, v59, 31
	v_readlane_b32 s1, v59, 32
	;; [unrolled: 1-line block ×3, first 2 shown]
	v_mov_b32_e32 v6, s1
	v_sub_co_u32_e32 v4, vcc, s0, v4
	v_subb_co_u32_e32 v5, vcc, v6, v5, vcc
	v_cmp_gt_u64_e32 vcc, v[4:5], v[0:1]
	s_mov_b64 s[80:81], 0
                                        ; implicit-def: $vgpr6
	s_and_saveexec_b64 s[0:1], vcc
	s_cbranch_execz .LBB213_278
; %bb.270:                              ;   in Loop: Header=BB213_31 Depth=1
	s_mov_b64 s[66:67], 0
	v_pk_mov_b32 v[6:7], v[26:27], v[26:27] op_sel:[0,1]
	v_pk_mov_b32 v[8:9], v[0:1], v[0:1] op_sel:[0,1]
                                        ; implicit-def: $sgpr80_sgpr81
	s_branch .LBB213_272
.LBB213_271:                            ;   in Loop: Header=BB213_272 Depth=2
	s_or_b64 exec, exec, s[6:7]
	s_waitcnt lgkmcnt(0)
	s_barrier
	s_waitcnt vmcnt(0)
	ds_read_b32 v14, v15 offset:3072
	v_mov_b32_e32 v32, s92
	v_add_co_u32_e64 v8, s[6:7], s33, v8
	v_addc_co_u32_e64 v9, s[6:7], v9, v32, s[6:7]
	s_waitcnt lgkmcnt(0)
	v_cmp_neq_f16_e32 vcc, 0, v14
	v_cmp_ge_u64_e64 s[6:7], v[8:9], v[4:5]
	s_or_b64 s[68:69], s[6:7], vcc
	v_mov_b32_e32 v32, s65
	v_add_co_u32_e64 v6, s[6:7], s64, v6
	v_addc_co_u32_e64 v7, s[6:7], v7, v32, s[6:7]
	s_and_b64 s[6:7], exec, s[68:69]
	s_or_b64 s[66:67], s[6:7], s[66:67]
	s_andn2_b64 s[6:7], s[80:81], exec
	s_and_b64 s[68:69], vcc, exec
	s_or_b64 s[80:81], s[6:7], s[68:69]
	s_barrier
	s_andn2_b64 exec, exec, s[66:67]
	s_cbranch_execz .LBB213_277
.LBB213_272:                            ;   Parent Loop BB213_31 Depth=1
                                        ; =>  This Inner Loop Header: Depth=2
	v_cmp_gt_u64_e32 vcc, s[60:61], v[8:9]
	v_mov_b32_e32 v14, 0
	s_and_saveexec_b64 s[6:7], vcc
	s_cbranch_execz .LBB213_274
; %bb.273:                              ;   in Loop: Header=BB213_272 Depth=2
	global_load_ushort v14, v[6:7], off
.LBB213_274:                            ;   in Loop: Header=BB213_272 Depth=2
	s_or_b64 exec, exec, s[6:7]
	s_and_saveexec_b64 s[6:7], vcc
	s_cbranch_execz .LBB213_271
; %bb.275:                              ;   in Loop: Header=BB213_272 Depth=2
	s_waitcnt vmcnt(0)
	v_cmp_lt_i16_e32 vcc, -1, v14
	v_cndmask_b32_e32 v32, v49, v50, vcc
	v_xor_b32_sdwa v32, v32, v14 dst_sel:DWORD dst_unused:UNUSED_PAD src0_sel:DWORD src1_sel:WORD_0
	v_cmp_o_f16_e32 vcc, v14, v14
	v_cndmask_b32_e32 v32, v49, v32, vcc
	v_and_b32_e32 v32, v32, v31
	v_cmp_eq_u32_e32 vcc, v32, v30
	s_and_b64 exec, exec, vcc
	s_cbranch_execz .LBB213_271
; %bb.276:                              ;   in Loop: Header=BB213_272 Depth=2
	s_movk_i32 s11, 0x3c00
	v_perm_b32 v14, v14, s11, v53
	ds_write_b32 v15, v14 offset:3072
	s_branch .LBB213_271
.LBB213_277:                            ;   in Loop: Header=BB213_31 Depth=1
	s_or_b64 exec, exec, s[66:67]
	v_lshrrev_b32_e32 v6, 16, v14
	s_and_b64 s[80:81], s[80:81], exec
.LBB213_278:                            ;   in Loop: Header=BB213_31 Depth=1
	s_or_b64 exec, exec, s[0:1]
	s_mov_b64 s[66:67], -1
	s_mov_b64 s[0:1], 0
	s_mov_b64 s[6:7], 0
.LBB213_279:                            ;   in Loop: Header=BB213_31 Depth=1
	s_orn2_b64 s[80:81], s[80:81], exec
.LBB213_280:                            ;   in Loop: Header=BB213_31 Depth=1
	s_or_b64 exec, exec, s[50:51]
	s_mov_b64 s[88:89], 0
                                        ; implicit-def: $vgpr7
                                        ; implicit-def: $vgpr4_vgpr5
	s_and_saveexec_b64 s[50:51], s[80:81]
	v_readlane_b32 vcc_lo, v58, 0
	v_readlane_b32 vcc_hi, v58, 1
	s_cbranch_execz .LBB213_292
; %bb.281:                              ;   in Loop: Header=BB213_31 Depth=1
	v_readlane_b32 s68, v58, 2
	v_readlane_b32 s69, v58, 3
	v_mov_b32_e32 v4, 1
	s_xor_b64 s[68:69], s[68:69], -1
	v_mov_b32_e32 v7, 1
	v_mov_b32_e32 v5, 0
	s_and_saveexec_b64 s[80:81], s[68:69]
	s_cbranch_execz .LBB213_291
; %bb.282:                              ;   in Loop: Header=BB213_31 Depth=1
	v_cmp_ge_u64_e32 vcc, s[24:25], v[2:3]
                                        ; implicit-def: $sgpr11
	s_and_saveexec_b64 s[68:69], vcc
	s_xor_b64 s[88:89], exec, s[68:69]
	s_cbranch_execz .LBB213_288
; %bb.283:                              ;   in Loop: Header=BB213_31 Depth=1
	ds_read_b64 v[4:5], v15 offset:5120
	s_waitcnt lgkmcnt(0)
	v_cmp_ne_u64_e32 vcc, 0, v[4:5]
	s_cbranch_vccnz .LBB213_287
; %bb.284:                              ;   in Loop: Header=BB213_31 Depth=1
	s_mov_b64 s[90:91], exec
	v_readlane_b32 s68, v59, 10
	v_readlane_b32 s69, v59, 11
	s_and_b64 s[68:69], s[90:91], s[68:69]
	s_mov_b64 exec, s[68:69]
	s_cbranch_execz .LBB213_286
; %bb.285:                              ;   in Loop: Header=BB213_31 Depth=1
	v_pk_mov_b32 v[4:5], s[24:25], s[24:25] op_sel:[0,1]
	ds_write_b64 v15, v[4:5] offset:5128
.LBB213_286:                            ;   in Loop: Header=BB213_31 Depth=1
	s_or_b64 exec, exec, s[90:91]
	s_waitcnt lgkmcnt(0)
	s_barrier
.LBB213_287:                            ;   in Loop: Header=BB213_31 Depth=1
	v_or_b32_e32 v30, s86, v30
	v_or_b32_e32 v31, s86, v31
	s_mov_b32 s11, 8
.LBB213_288:                            ;   in Loop: Header=BB213_31 Depth=1
	s_or_saveexec_b64 s[88:89], s[88:89]
	v_mov_b32_e32 v7, s11
	s_xor_b64 exec, exec, s[88:89]
; %bb.289:                              ;   in Loop: Header=BB213_31 Depth=1
	v_mov_b32_e32 v4, s25
	v_subrev_co_u32_e32 v2, vcc, s24, v2
	v_subb_co_u32_e32 v3, vcc, v3, v4, vcc
	v_mov_b32_e32 v7, 8
; %bb.290:                              ;   in Loop: Header=BB213_31 Depth=1
	s_or_b64 exec, exec, s[88:89]
	v_readlane_b32 s90, v59, 52
	v_readlane_b32 vcc_lo, v58, 0
	v_pk_mov_b32 v[4:5], v[2:3], v[2:3] op_sel:[0,1]
	v_readlane_b32 s91, v59, 53
	v_readlane_b32 vcc_hi, v58, 1
.LBB213_291:                            ;   in Loop: Header=BB213_31 Depth=1
	s_or_b64 exec, exec, s[80:81]
	s_mov_b64 s[88:89], exec
.LBB213_292:                            ;   in Loop: Header=BB213_31 Depth=1
	s_or_b64 exec, exec, s[50:51]
	s_orn2_b64 s[50:51], s[88:89], exec
	v_pk_mov_b32 v[2:3], v[4:5], v[4:5] op_sel:[0,1]
.LBB213_293:                            ;   in Loop: Header=BB213_31 Depth=1
	v_readlane_b32 s68, v59, 62
	v_readlane_b32 s69, v59, 63
	s_or_b64 exec, exec, s[68:69]
	s_andn2_b64 s[2:3], s[2:3], exec
	s_and_b64 s[0:1], s[0:1], exec
	s_or_b64 s[2:3], s[2:3], s[0:1]
	s_andn2_b64 s[0:1], s[52:53], exec
	s_and_b64 s[52:53], s[66:67], exec
	s_or_b64 s[52:53], s[0:1], s[52:53]
	s_andn2_b64 s[0:1], vcc, exec
	s_and_b64 s[6:7], s[6:7], exec
	s_or_b64 vcc, s[0:1], s[6:7]
	s_and_b64 s[0:1], s[50:51], exec
	v_pk_mov_b32 v[4:5], v[2:3], v[2:3] op_sel:[0,1]
.LBB213_294:                            ;   in Loop: Header=BB213_31 Depth=1
	s_or_b64 exec, exec, s[54:55]
	s_and_b64 s[50:51], s[2:3], exec
	s_and_b64 s[6:7], s[52:53], exec
	s_and_b64 s[2:3], vcc, exec
	s_orn2_b64 s[0:1], s[0:1], exec
.LBB213_295:                            ;   in Loop: Header=BB213_31 Depth=1
	s_or_b64 exec, exec, s[48:49]
	s_andn2_b64 s[44:45], s[44:45], exec
	s_and_b64 s[6:7], s[6:7], exec
	s_andn2_b64 s[28:29], s[28:29], exec
	s_and_b64 s[48:49], s[50:51], exec
	s_or_b64 s[44:45], s[44:45], s[6:7]
	s_andn2_b64 s[6:7], s[42:43], exec
	s_and_b64 s[2:3], s[2:3], exec
	s_or_b64 s[28:29], s[28:29], s[48:49]
	s_or_b64 s[42:43], s[6:7], s[2:3]
	s_and_b64 s[6:7], s[0:1], exec
	v_pk_mov_b32 v[2:3], v[4:5], v[4:5] op_sel:[0,1]
.LBB213_296:                            ;   in Loop: Header=BB213_31 Depth=1
	s_or_b64 exec, exec, s[46:47]
	s_and_b64 s[28:29], s[28:29], exec
	s_and_b64 s[2:3], s[44:45], exec
	;; [unrolled: 1-line block ×3, first 2 shown]
	s_orn2_b64 s[42:43], s[6:7], exec
.LBB213_297:                            ;   in Loop: Header=BB213_31 Depth=1
	s_or_b64 exec, exec, s[26:27]
	s_mov_b64 s[6:7], 0
	s_mov_b64 s[26:27], 0
	s_and_saveexec_b64 s[44:45], s[42:43]
	s_xor_b64 s[42:43], exec, s[44:45]
; %bb.298:                              ;   in Loop: Header=BB213_31 Depth=1
	v_cmp_eq_u32_e32 vcc, 8, v7
	v_cmp_ne_u32_e64 s[6:7], 8, v7
	s_andn2_b64 s[28:29], s[28:29], exec
	s_andn2_b64 s[2:3], s[2:3], exec
	;; [unrolled: 1-line block ×3, first 2 shown]
	s_and_b64 s[26:27], s[6:7], exec
	s_and_b64 s[6:7], vcc, exec
; %bb.299:                              ;   in Loop: Header=BB213_31 Depth=1
	s_or_b64 exec, exec, s[42:43]
	s_andn2_b64 s[20:21], s[20:21], exec
	s_and_b64 s[28:29], s[28:29], exec
	s_or_b64 s[20:21], s[20:21], s[28:29]
	s_andn2_b64 s[28:29], s[36:37], exec
	s_and_b64 s[2:3], s[2:3], exec
	s_or_b64 s[36:37], s[28:29], s[2:3]
	s_andn2_b64 s[2:3], s[34:35], exec
	s_and_b64 s[0:1], s[0:1], exec
	s_or_b64 s[34:35], s[2:3], s[0:1]
	s_and_b64 s[26:27], s[26:27], exec
	s_and_b64 s[28:29], s[6:7], exec
.LBB213_300:                            ;   in Loop: Header=BB213_31 Depth=1
	s_or_b64 exec, exec, s[40:41]
	s_and_b64 vcc, exec, s[38:39]
	s_cbranch_vccz .LBB213_116
.LBB213_301:                            ;   in Loop: Header=BB213_31 Depth=1
	s_cmp_eq_u64 s[24:25], 1
	s_cselect_b64 s[0:1], -1, 0
	s_and_b64 s[2:3], s[0:1], s[14:15]
	s_mov_b64 s[0:1], -1
                                        ; implicit-def: $sgpr14_sgpr15
                                        ; implicit-def: $sgpr38_sgpr39
                                        ; implicit-def: $sgpr20_sgpr21
	s_and_saveexec_b64 s[34:35], s[2:3]
	s_cbranch_execz .LBB213_333
; %bb.302:                              ;   in Loop: Header=BB213_31 Depth=1
	ds_read_b64 v[2:3], v15 offset:5120
	s_waitcnt lgkmcnt(0)
	s_barrier
	v_readfirstlane_b32 s0, v2
	v_readfirstlane_b32 s1, v3
	s_mov_b64 s[6:7], exec
	v_readlane_b32 s14, v59, 24
	v_readlane_b32 s15, v59, 25
	s_and_b64 s[14:15], s[6:7], s[14:15]
	s_mov_b64 exec, s[14:15]
	s_cbranch_execz .LBB213_304
; %bb.303:                              ;   in Loop: Header=BB213_31 Depth=1
	ds_write_b16 v46, v15
.LBB213_304:                            ;   in Loop: Header=BB213_31 Depth=1
	s_or_b64 exec, exec, s[6:7]
	v_or_b32_e32 v55, s86, v55
	v_or_b32_e32 v54, s86, v54
	s_cmp_eq_u64 s[0:1], 0
	s_waitcnt lgkmcnt(0)
	s_barrier
	s_cbranch_scc1 .LBB213_316
; %bb.305:                              ;   in Loop: Header=BB213_31 Depth=1
	v_readlane_b32 s6, v59, 28
	s_add_u32 s11, s6, s0
	v_readlane_b32 s6, v59, 30
	s_addc_u32 s7, s6, s1
	s_mov_b32 s6, s87
	s_cmp_lg_u64 s[6:7], 0
	s_cbranch_scc0 .LBB213_360
; %bb.306:                              ;   in Loop: Header=BB213_31 Depth=1
	v_cvt_f32_u32_e32 v2, s33
	s_sub_u32 s6, 0, s33
	s_subb_u32 s14, 0, 0
	v_mac_f32_e32 v2, 0, v51
	v_rcp_f32_e32 v2, v2
	v_mul_f32_e32 v2, 0x5f7ffffc, v2
	v_mul_f32_e32 v3, 0x2f800000, v2
	v_trunc_f32_e32 v3, v3
	v_mac_f32_e32 v2, 0xcf800000, v3
	v_cvt_u32_f32_e32 v3, v3
	v_cvt_u32_f32_e32 v2, v2
	v_readfirstlane_b32 s15, v3
	v_readfirstlane_b32 s20, v2
	s_mul_i32 s21, s6, s15
	s_mul_hi_u32 s37, s6, s20
	s_mul_i32 s36, s14, s20
	s_add_i32 s21, s37, s21
	s_mul_i32 s38, s6, s20
	s_add_i32 s21, s21, s36
	s_mul_hi_u32 s37, s20, s38
	s_mul_hi_u32 s36, s20, s21
	s_mul_i32 s20, s20, s21
	s_add_u32 s20, s37, s20
	s_addc_u32 s36, 0, s36
	s_mul_hi_u32 s39, s15, s38
	s_mul_i32 s38, s15, s38
	s_add_u32 s20, s20, s38
	s_mul_hi_u32 s37, s15, s21
	s_addc_u32 s20, s36, s39
	s_addc_u32 s36, s37, 0
	s_mul_i32 s21, s15, s21
	s_add_u32 s20, s20, s21
	s_addc_u32 s21, 0, s36
	v_add_co_u32_e32 v2, vcc, s20, v2
	s_cmp_lg_u64 vcc, 0
	s_addc_u32 s15, s15, s21
	v_readfirstlane_b32 s21, v2
	s_mul_i32 s20, s6, s15
	s_mul_hi_u32 s36, s6, s21
	s_add_i32 s20, s36, s20
	s_mul_i32 s14, s14, s21
	s_add_i32 s20, s20, s14
	s_mul_i32 s6, s6, s21
	s_mul_hi_u32 s36, s15, s6
	s_mul_i32 s37, s15, s6
	s_mul_i32 s39, s21, s20
	s_mul_hi_u32 s6, s21, s6
	s_mul_hi_u32 s38, s21, s20
	s_add_u32 s6, s6, s39
	s_addc_u32 s21, 0, s38
	s_add_u32 s6, s6, s37
	s_mul_hi_u32 s14, s15, s20
	s_addc_u32 s6, s21, s36
	s_addc_u32 s14, s14, 0
	s_mul_i32 s20, s15, s20
	s_add_u32 s6, s6, s20
	s_addc_u32 s14, 0, s14
	v_add_co_u32_e32 v2, vcc, s6, v2
	s_cmp_lg_u64 vcc, 0
	s_addc_u32 s6, s15, s14
	v_readfirstlane_b32 s20, v2
	s_mul_i32 s15, s11, s6
	s_mul_hi_u32 s21, s11, s20
	s_mul_hi_u32 s14, s11, s6
	s_add_u32 s15, s21, s15
	s_addc_u32 s14, 0, s14
	s_mul_hi_u32 s36, s7, s20
	s_mul_i32 s20, s7, s20
	s_add_u32 s15, s15, s20
	s_mul_hi_u32 s21, s7, s6
	s_addc_u32 s14, s14, s36
	s_addc_u32 s15, s21, 0
	s_mul_i32 s6, s7, s6
	s_add_u32 s6, s14, s6
	s_addc_u32 s14, 0, s15
	s_mul_hi_u32 s15, s33, s6
	s_mul_i32 s6, s33, s6
	s_mul_i32 s14, s33, s14
	v_mov_b32_e32 v2, s6
	s_add_i32 s15, s15, s14
	v_sub_co_u32_e32 v2, vcc, s11, v2
	s_cmp_lg_u64 vcc, 0
	s_subb_u32 s6, s7, s15
	v_subrev_co_u32_e32 v3, vcc, s33, v2
	s_cmp_lg_u64 vcc, 0
	s_subb_u32 s14, s6, 0
	v_subrev_co_u32_e32 v4, vcc, s33, v3
	s_cmp_lg_u64 vcc, 0
	s_subb_u32 s15, s14, 0
	v_cmp_le_u32_e32 vcc, s33, v3
	s_cmp_eq_u32 s14, 0
	v_cndmask_b32_e64 v5, 0, -1, vcc
	s_cselect_b64 vcc, -1, 0
	v_cndmask_b32_e32 v5, -1, v5, vcc
	v_mov_b32_e32 v6, s14
	v_mov_b32_e32 v7, s15
	v_cmp_ne_u32_e32 vcc, 0, v5
	v_cndmask_b32_e32 v5, v6, v7, vcc
	v_cndmask_b32_e32 v4, v3, v4, vcc
	v_cmp_le_u32_e32 vcc, s33, v2
	s_cmp_eq_u32 s6, 0
	v_cndmask_b32_e64 v3, 0, -1, vcc
	s_cselect_b64 vcc, -1, 0
	v_cndmask_b32_e32 v3, -1, v3, vcc
	v_mov_b32_e32 v6, s6
	v_cmp_ne_u32_e32 vcc, 0, v3
	v_cndmask_b32_e32 v3, v6, v5, vcc
	v_cndmask_b32_e32 v2, v2, v4, vcc
	s_cbranch_execnz .LBB213_308
.LBB213_307:                            ;   in Loop: Header=BB213_31 Depth=1
	v_cvt_f32_u32_e32 v2, s33
	s_sub_i32 s6, 0, s33
	v_rcp_iflag_f32_e32 v2, v2
	v_mul_f32_e32 v2, 0x4f7ffffe, v2
	v_cvt_u32_f32_e32 v2, v2
	v_mul_lo_u32 v3, s6, v2
	v_mul_hi_u32 v3, v2, v3
	v_add_u32_e32 v2, v2, v3
	v_mul_hi_u32 v2, s11, v2
	v_mul_lo_u32 v2, v2, s33
	v_sub_u32_e32 v2, s11, v2
	v_subrev_u32_e32 v3, s33, v2
	v_cmp_le_u32_e32 vcc, s33, v2
	v_cndmask_b32_e32 v2, v2, v3, vcc
	v_subrev_u32_e32 v3, s33, v2
	v_cmp_le_u32_e32 vcc, s33, v2
	v_cndmask_b32_e32 v14, v2, v3, vcc
	v_pk_mov_b32 v[2:3], v[14:15], v[14:15] op_sel:[0,1]
.LBB213_308:                            ;   in Loop: Header=BB213_31 Depth=1
	v_mov_b32_e32 v4, s7
	v_sub_co_u32_e32 v2, vcc, s11, v2
	v_subb_co_u32_e32 v3, vcc, v4, v3, vcc
	v_cmp_gt_u64_e32 vcc, v[2:3], v[0:1]
	s_mov_b64 s[6:7], 0
                                        ; implicit-def: $vgpr56
	s_and_saveexec_b64 s[14:15], vcc
	s_cbranch_execz .LBB213_318
; %bb.309:                              ;   in Loop: Header=BB213_31 Depth=1
	s_mov_b64 s[20:21], 0
	v_mov_b32_e32 v6, v45
	v_pk_mov_b32 v[4:5], v[0:1], v[0:1] op_sel:[0,1]
                                        ; implicit-def: $sgpr36_sgpr37
	s_branch .LBB213_311
.LBB213_310:                            ;   in Loop: Header=BB213_311 Depth=2
	s_or_b64 exec, exec, s[6:7]
	s_waitcnt lgkmcnt(0)
	s_barrier
	ds_read_b32 v7, v15 offset:3072
	v_mov_b32_e32 v8, s92
	v_add_co_u32_e64 v4, s[6:7], s33, v4
	v_addc_co_u32_e64 v5, s[6:7], v5, v8, s[6:7]
	s_waitcnt lgkmcnt(0)
	v_cmp_neq_f16_e32 vcc, 0, v7
	v_cmp_ge_u64_e64 s[6:7], v[4:5], v[2:3]
	s_or_b64 s[6:7], s[6:7], vcc
	s_and_b64 s[6:7], exec, s[6:7]
	s_or_b64 s[20:21], s[6:7], s[20:21]
	s_andn2_b64 s[6:7], s[36:37], exec
	s_and_b64 s[36:37], vcc, exec
	v_add_u32_e32 v6, s10, v6
	s_or_b64 s[36:37], s[6:7], s[36:37]
	s_barrier
	s_andn2_b64 exec, exec, s[20:21]
	s_cbranch_execz .LBB213_317
.LBB213_311:                            ;   Parent Loop BB213_31 Depth=1
                                        ; =>  This Inner Loop Header: Depth=2
	v_cmp_gt_u64_e32 vcc, s[0:1], v[4:5]
	v_mov_b32_e32 v7, 0
	s_and_saveexec_b64 s[6:7], vcc
	s_cbranch_execz .LBB213_313
; %bb.312:                              ;   in Loop: Header=BB213_311 Depth=2
	ds_read_u16 v7, v6
.LBB213_313:                            ;   in Loop: Header=BB213_311 Depth=2
	s_or_b64 exec, exec, s[6:7]
	s_and_saveexec_b64 s[6:7], vcc
	s_cbranch_execz .LBB213_310
; %bb.314:                              ;   in Loop: Header=BB213_311 Depth=2
	s_waitcnt lgkmcnt(0)
	v_cmp_lt_i16_e32 vcc, -1, v7
	v_cndmask_b32_e32 v8, v49, v50, vcc
	v_xor_b32_sdwa v8, v8, v7 dst_sel:DWORD dst_unused:UNUSED_PAD src0_sel:DWORD src1_sel:WORD_0
	v_cmp_o_f16_e32 vcc, v7, v7
	v_cndmask_b32_e32 v8, v49, v8, vcc
	v_and_b32_e32 v8, v8, v54
	v_cmp_eq_u32_e32 vcc, v8, v55
	s_and_b64 exec, exec, vcc
	s_cbranch_execz .LBB213_310
; %bb.315:                              ;   in Loop: Header=BB213_311 Depth=2
	s_movk_i32 s11, 0x3c00
	v_perm_b32 v7, v7, s11, v53
	ds_write_b32 v15, v7 offset:3072
	s_branch .LBB213_310
.LBB213_316:                            ;   in Loop: Header=BB213_31 Depth=1
	s_mov_b64 s[14:15], -1
	s_mov_b64 s[6:7], 0
                                        ; implicit-def: $sgpr38_sgpr39
                                        ; implicit-def: $vgpr56
	s_mov_b64 s[20:21], s[14:15]
	s_cbranch_execnz .LBB213_319
	s_branch .LBB213_332
.LBB213_317:                            ;   in Loop: Header=BB213_31 Depth=1
	s_or_b64 exec, exec, s[20:21]
	v_lshrrev_b32_e32 v56, 16, v7
	s_and_b64 s[6:7], s[36:37], exec
.LBB213_318:                            ;   in Loop: Header=BB213_31 Depth=1
	s_or_b64 exec, exec, s[14:15]
	s_mov_b64 s[14:15], 0
	s_mov_b64 s[38:39], -1
	s_mov_b64 s[20:21], s[14:15]
	s_branch .LBB213_332
.LBB213_319:                            ;   in Loop: Header=BB213_31 Depth=1
	v_readlane_b32 s6, v59, 31
	v_readlane_b32 s7, v59, 32
	s_mov_b32 s6, s87
	s_mov_b32 s1, s7
	s_cmp_lg_u64 s[6:7], 0
	v_writelane_b32 v59, s0, 31
	v_writelane_b32 v59, s1, 32
	s_cbranch_scc0 .LBB213_361
; %bb.320:                              ;   in Loop: Header=BB213_31 Depth=1
	v_cvt_f32_u32_e32 v2, s33
	s_sub_u32 s0, 0, s33
	s_subb_u32 s1, 0, 0
	v_mac_f32_e32 v2, 0, v51
	v_rcp_f32_e32 v2, v2
	v_mul_f32_e32 v2, 0x5f7ffffc, v2
	v_mul_f32_e32 v3, 0x2f800000, v2
	v_trunc_f32_e32 v3, v3
	v_mac_f32_e32 v2, 0xcf800000, v3
	v_cvt_u32_f32_e32 v3, v3
	v_cvt_u32_f32_e32 v2, v2
	v_readfirstlane_b32 s6, v3
	v_readfirstlane_b32 s7, v2
	s_mul_i32 s11, s0, s6
	s_mul_hi_u32 s15, s0, s7
	s_mul_i32 s14, s1, s7
	s_add_i32 s11, s15, s11
	s_mul_i32 s20, s0, s7
	s_add_i32 s11, s11, s14
	s_mul_hi_u32 s15, s7, s20
	s_mul_hi_u32 s14, s7, s11
	s_mul_i32 s7, s7, s11
	s_add_u32 s7, s15, s7
	s_addc_u32 s14, 0, s14
	s_mul_hi_u32 s21, s6, s20
	s_mul_i32 s20, s6, s20
	s_add_u32 s7, s7, s20
	s_mul_hi_u32 s15, s6, s11
	s_addc_u32 s7, s14, s21
	s_addc_u32 s14, s15, 0
	s_mul_i32 s11, s6, s11
	s_add_u32 s7, s7, s11
	s_addc_u32 s11, 0, s14
	v_add_co_u32_e32 v2, vcc, s7, v2
	s_cmp_lg_u64 vcc, 0
	s_addc_u32 s6, s6, s11
	v_readfirstlane_b32 s11, v2
	s_mul_i32 s7, s0, s6
	s_mul_hi_u32 s14, s0, s11
	s_add_i32 s7, s14, s7
	s_mul_i32 s1, s1, s11
	s_add_i32 s7, s7, s1
	s_mul_i32 s0, s0, s11
	s_mul_hi_u32 s14, s6, s0
	s_mul_i32 s15, s6, s0
	s_mul_i32 s21, s11, s7
	s_mul_hi_u32 s0, s11, s0
	s_mul_hi_u32 s20, s11, s7
	s_add_u32 s0, s0, s21
	s_addc_u32 s11, 0, s20
	s_add_u32 s0, s0, s15
	s_mul_hi_u32 s1, s6, s7
	s_addc_u32 s0, s11, s14
	s_addc_u32 s1, s1, 0
	s_mul_i32 s7, s6, s7
	s_add_u32 s0, s0, s7
	s_addc_u32 s1, 0, s1
	v_add_co_u32_e32 v2, vcc, s0, v2
	s_cmp_lg_u64 vcc, 0
	s_addc_u32 s0, s6, s1
	v_readlane_b32 s15, v59, 29
	v_readfirstlane_b32 s7, v2
	v_readlane_b32 s20, v59, 31
	s_mul_i32 s6, s15, s0
	s_mul_hi_u32 s11, s15, s7
	v_readlane_b32 s21, v59, 32
	s_add_u32 s6, s11, s6
	s_mul_hi_u32 s11, s21, s0
	v_readlane_b32 s20, v59, 31
	v_readlane_b32 s21, v59, 32
	s_mul_hi_u32 s14, s21, s7
	v_readlane_b32 s20, v59, 31
	s_mul_hi_u32 s1, s15, s0
	v_readlane_b32 s21, v59, 32
	s_addc_u32 s1, 0, s1
	s_mul_i32 s7, s21, s7
	s_add_u32 s6, s6, s7
	v_readlane_b32 s20, v59, 31
	s_addc_u32 s1, s1, s14
	v_readlane_b32 s21, v59, 32
	s_addc_u32 s6, s11, 0
	s_mul_i32 s0, s21, s0
	s_add_u32 s0, s1, s0
	s_addc_u32 s1, 0, s6
	s_mul_hi_u32 s6, s33, s0
	s_mul_i32 s0, s33, s0
	s_mul_i32 s1, s33, s1
	v_mov_b32_e32 v2, s0
	s_add_i32 s6, s6, s1
	v_sub_co_u32_e32 v2, vcc, s15, v2
	v_readlane_b32 s0, v59, 31
	v_readlane_b32 s1, v59, 32
	s_cmp_lg_u64 vcc, 0
	s_subb_u32 s0, s1, s6
	v_subrev_co_u32_e32 v3, vcc, s33, v2
	s_cmp_lg_u64 vcc, 0
	s_mov_b32 s7, s1
	s_subb_u32 s1, s0, 0
	v_subrev_co_u32_e32 v4, vcc, s33, v3
	s_cmp_lg_u64 vcc, 0
	s_subb_u32 s6, s1, 0
	v_cmp_le_u32_e32 vcc, s33, v3
	s_cmp_eq_u32 s1, 0
	v_cndmask_b32_e64 v5, 0, -1, vcc
	s_cselect_b64 vcc, -1, 0
	v_cndmask_b32_e32 v5, -1, v5, vcc
	v_mov_b32_e32 v6, s1
	v_mov_b32_e32 v7, s6
	v_cmp_ne_u32_e32 vcc, 0, v5
	v_cndmask_b32_e32 v5, v6, v7, vcc
	v_cndmask_b32_e32 v4, v3, v4, vcc
	v_cmp_le_u32_e32 vcc, s33, v2
	s_cmp_eq_u32 s0, 0
	v_cndmask_b32_e64 v3, 0, -1, vcc
	s_cselect_b64 vcc, -1, 0
	v_cndmask_b32_e32 v3, -1, v3, vcc
	v_mov_b32_e32 v6, s0
	v_cmp_ne_u32_e32 vcc, 0, v3
	v_cndmask_b32_e32 v3, v6, v5, vcc
	v_cndmask_b32_e32 v2, v2, v4, vcc
	s_cbranch_execnz .LBB213_322
.LBB213_321:                            ;   in Loop: Header=BB213_31 Depth=1
	v_cvt_f32_u32_e32 v2, s33
	s_sub_i32 s0, 0, s33
	v_rcp_iflag_f32_e32 v2, v2
	v_mul_f32_e32 v2, 0x4f7ffffe, v2
	v_cvt_u32_f32_e32 v2, v2
	v_mul_lo_u32 v3, s0, v2
	v_mul_hi_u32 v3, v2, v3
	v_add_u32_e32 v2, v2, v3
	v_readlane_b32 s0, v59, 29
	v_mul_hi_u32 v2, s0, v2
	v_mul_lo_u32 v2, v2, s33
	v_sub_u32_e32 v2, s0, v2
	v_subrev_u32_e32 v3, s33, v2
	v_cmp_le_u32_e32 vcc, s33, v2
	v_cndmask_b32_e32 v2, v2, v3, vcc
	v_subrev_u32_e32 v3, s33, v2
	v_cmp_le_u32_e32 vcc, s33, v2
	v_cndmask_b32_e32 v14, v2, v3, vcc
	v_pk_mov_b32 v[2:3], v[14:15], v[14:15] op_sel:[0,1]
.LBB213_322:                            ;   in Loop: Header=BB213_31 Depth=1
	v_readlane_b32 s0, v59, 29
	v_mov_b32_e32 v4, s7
	v_sub_co_u32_e32 v2, vcc, s0, v2
	v_subb_co_u32_e32 v3, vcc, v4, v3, vcc
	v_cmp_gt_u64_e32 vcc, v[2:3], v[0:1]
	s_mov_b64 s[6:7], 0
                                        ; implicit-def: $vgpr56
	s_and_saveexec_b64 s[0:1], vcc
	s_cbranch_execz .LBB213_331
; %bb.323:                              ;   in Loop: Header=BB213_31 Depth=1
	s_mov_b64 s[14:15], 0
	v_pk_mov_b32 v[4:5], v[26:27], v[26:27] op_sel:[0,1]
	v_pk_mov_b32 v[6:7], v[0:1], v[0:1] op_sel:[0,1]
                                        ; implicit-def: $sgpr20_sgpr21
	s_branch .LBB213_325
.LBB213_324:                            ;   in Loop: Header=BB213_325 Depth=2
	s_or_b64 exec, exec, s[6:7]
	s_waitcnt lgkmcnt(0)
	s_barrier
	s_waitcnt vmcnt(0)
	ds_read_b32 v8, v15 offset:3072
	v_mov_b32_e32 v9, s92
	v_add_co_u32_e64 v6, s[6:7], s33, v6
	v_addc_co_u32_e64 v7, s[6:7], v7, v9, s[6:7]
	s_waitcnt lgkmcnt(0)
	v_cmp_neq_f16_e32 vcc, 0, v8
	v_cmp_ge_u64_e64 s[6:7], v[6:7], v[2:3]
	s_or_b64 s[36:37], s[6:7], vcc
	v_mov_b32_e32 v9, s65
	v_add_co_u32_e64 v4, s[6:7], s64, v4
	v_addc_co_u32_e64 v5, s[6:7], v5, v9, s[6:7]
	s_and_b64 s[6:7], exec, s[36:37]
	s_or_b64 s[14:15], s[6:7], s[14:15]
	s_andn2_b64 s[6:7], s[20:21], exec
	s_and_b64 s[20:21], vcc, exec
	s_or_b64 s[20:21], s[6:7], s[20:21]
	s_barrier
	s_andn2_b64 exec, exec, s[14:15]
	s_cbranch_execz .LBB213_330
.LBB213_325:                            ;   Parent Loop BB213_31 Depth=1
                                        ; =>  This Inner Loop Header: Depth=2
	v_cmp_gt_u64_e32 vcc, s[60:61], v[6:7]
	v_mov_b32_e32 v8, 0
	s_and_saveexec_b64 s[6:7], vcc
	s_cbranch_execz .LBB213_327
; %bb.326:                              ;   in Loop: Header=BB213_325 Depth=2
	global_load_ushort v8, v[4:5], off
.LBB213_327:                            ;   in Loop: Header=BB213_325 Depth=2
	s_or_b64 exec, exec, s[6:7]
	s_and_saveexec_b64 s[6:7], vcc
	s_cbranch_execz .LBB213_324
; %bb.328:                              ;   in Loop: Header=BB213_325 Depth=2
	s_waitcnt vmcnt(0)
	v_cmp_lt_i16_e32 vcc, -1, v8
	v_cndmask_b32_e32 v9, v49, v50, vcc
	v_xor_b32_sdwa v9, v9, v8 dst_sel:DWORD dst_unused:UNUSED_PAD src0_sel:DWORD src1_sel:WORD_0
	v_cmp_o_f16_e32 vcc, v8, v8
	v_cndmask_b32_e32 v9, v49, v9, vcc
	v_and_b32_e32 v9, v9, v54
	v_cmp_eq_u32_e32 vcc, v9, v55
	s_and_b64 exec, exec, vcc
	s_cbranch_execz .LBB213_324
; %bb.329:                              ;   in Loop: Header=BB213_325 Depth=2
	s_movk_i32 s11, 0x3c00
	v_perm_b32 v8, v8, s11, v53
	ds_write_b32 v15, v8 offset:3072
	s_branch .LBB213_324
.LBB213_330:                            ;   in Loop: Header=BB213_31 Depth=1
	s_or_b64 exec, exec, s[14:15]
	v_lshrrev_b32_e32 v56, 16, v8
	s_and_b64 s[6:7], s[20:21], exec
.LBB213_331:                            ;   in Loop: Header=BB213_31 Depth=1
	s_or_b64 exec, exec, s[0:1]
	s_mov_b64 s[38:39], 0
	s_mov_b64 s[14:15], -1
	s_mov_b64 s[20:21], 0
.LBB213_332:                            ;   in Loop: Header=BB213_31 Depth=1
	s_orn2_b64 s[0:1], s[6:7], exec
.LBB213_333:                            ;   in Loop: Header=BB213_31 Depth=1
	s_or_b64 exec, exec, s[34:35]
                                        ; implicit-def: $vgpr7
                                        ; implicit-def: $vgpr2_vgpr3
                                        ; implicit-def: $vgpr30
                                        ; implicit-def: $vgpr31
                                        ; implicit-def: $vgpr6
	s_and_saveexec_b64 s[34:35], s[0:1]
	s_cbranch_execz .LBB213_496
; %bb.334:                              ;   in Loop: Header=BB213_31 Depth=1
	v_mov_b32_e32 v2, 1
	s_xor_b64 s[2:3], s[2:3], -1
	s_mov_b64 s[6:7], 0
	v_mov_b32_e32 v3, 0
	v_mov_b32_e32 v7, 1
	s_and_saveexec_b64 s[0:1], s[2:3]
	s_cbranch_execz .LBB213_344
; %bb.335:                              ;   in Loop: Header=BB213_31 Depth=1
	v_cmp_ge_u64_e32 vcc, s[24:25], v[28:29]
                                        ; implicit-def: $sgpr11
                                        ; implicit-def: $sgpr2_sgpr3
	s_and_saveexec_b64 s[6:7], vcc
	s_xor_b64 s[6:7], exec, s[6:7]
	s_cbranch_execz .LBB213_341
; %bb.336:                              ;   in Loop: Header=BB213_31 Depth=1
	ds_read_b64 v[2:3], v15 offset:5120
	s_waitcnt lgkmcnt(0)
	v_cmp_ne_u64_e32 vcc, 0, v[2:3]
	s_cbranch_vccnz .LBB213_340
; %bb.337:                              ;   in Loop: Header=BB213_31 Depth=1
	s_mov_b64 s[2:3], exec
	v_readlane_b32 s36, v59, 10
	v_readlane_b32 s37, v59, 11
	s_and_b64 s[36:37], s[2:3], s[36:37]
	s_mov_b64 exec, s[36:37]
	s_cbranch_execz .LBB213_339
; %bb.338:                              ;   in Loop: Header=BB213_31 Depth=1
	v_pk_mov_b32 v[2:3], s[24:25], s[24:25] op_sel:[0,1]
	ds_write_b64 v15, v[2:3] offset:5128
.LBB213_339:                            ;   in Loop: Header=BB213_31 Depth=1
	s_or_b64 exec, exec, s[2:3]
	s_waitcnt lgkmcnt(0)
	s_barrier
.LBB213_340:                            ;   in Loop: Header=BB213_31 Depth=1
	v_or_b32_e32 v55, s86, v55
	v_or_b32_e32 v54, s86, v54
	s_mov_b64 s[2:3], 0
	s_mov_b32 s11, 5
.LBB213_341:                            ;   in Loop: Header=BB213_31 Depth=1
	s_or_saveexec_b64 s[6:7], s[6:7]
	v_mov_b32_e32 v7, s11
	s_xor_b64 exec, exec, s[6:7]
; %bb.342:                              ;   in Loop: Header=BB213_31 Depth=1
	v_mov_b32_e32 v2, s25
	v_subrev_co_u32_e32 v28, vcc, s24, v28
	v_subb_co_u32_e32 v29, vcc, v29, v2, vcc
	v_mov_b32_e32 v7, 0
	s_or_b64 s[2:3], s[2:3], exec
; %bb.343:                              ;   in Loop: Header=BB213_31 Depth=1
	s_or_b64 exec, exec, s[6:7]
	s_and_b64 s[6:7], s[2:3], exec
	v_pk_mov_b32 v[2:3], v[28:29], v[28:29] op_sel:[0,1]
.LBB213_344:                            ;   in Loop: Header=BB213_31 Depth=1
	s_or_b64 exec, exec, s[0:1]
	s_mov_b64 s[40:41], -1
                                        ; implicit-def: $sgpr0_sgpr1
                                        ; implicit-def: $sgpr2_sgpr3
                                        ; implicit-def: $sgpr36_sgpr37
	s_and_saveexec_b64 s[24:25], s[6:7]
	s_xor_b64 s[24:25], exec, s[24:25]
	s_cbranch_execz .LBB213_493
; %bb.345:                              ;   in Loop: Header=BB213_31 Depth=1
	s_cmp_eq_u64 s[22:23], 1
	s_cselect_b64 s[0:1], -1, 0
	v_cmp_eq_u64_e32 vcc, 1, v[2:3]
	s_and_b64 s[2:3], s[0:1], vcc
	s_mov_b64 s[0:1], -1
                                        ; implicit-def: $sgpr36_sgpr37
                                        ; implicit-def: $sgpr40_sgpr41
                                        ; implicit-def: $sgpr42_sgpr43
	s_and_saveexec_b64 s[44:45], s[2:3]
	s_cbranch_execz .LBB213_379
; %bb.346:                              ;   in Loop: Header=BB213_31 Depth=1
	ds_read_b64 v[4:5], v15 offset:5120
	s_waitcnt lgkmcnt(0)
	s_barrier
	v_readfirstlane_b32 s0, v4
	v_readfirstlane_b32 s1, v5
	s_mov_b64 s[6:7], exec
	v_readlane_b32 s36, v59, 24
	v_readlane_b32 s37, v59, 25
	s_and_b64 s[36:37], s[6:7], s[36:37]
	s_mov_b64 exec, s[36:37]
	s_cbranch_execz .LBB213_348
; %bb.347:                              ;   in Loop: Header=BB213_31 Depth=1
	ds_write_b16 v46, v15
.LBB213_348:                            ;   in Loop: Header=BB213_31 Depth=1
	s_or_b64 exec, exec, s[6:7]
	v_and_b32_e32 v4, s94, v55
	v_lshl_or_b32 v55, 2, s95, v4
	v_or_b32_e32 v54, s86, v54
	s_cmp_eq_u64 s[0:1], 0
	s_waitcnt lgkmcnt(0)
	s_barrier
	s_cbranch_scc1 .LBB213_362
; %bb.349:                              ;   in Loop: Header=BB213_31 Depth=1
	v_readlane_b32 s6, v59, 28
	s_add_u32 s11, s6, s0
	v_readlane_b32 s6, v59, 30
	s_addc_u32 s7, s6, s1
	s_mov_b32 s6, s87
	s_cmp_lg_u64 s[6:7], 0
	s_cbranch_scc0 .LBB213_406
; %bb.350:                              ;   in Loop: Header=BB213_31 Depth=1
	v_cvt_f32_u32_e32 v4, s33
	s_sub_u32 s6, 0, s33
	s_subb_u32 s36, 0, 0
	v_mac_f32_e32 v4, 0, v51
	v_rcp_f32_e32 v4, v4
	v_mul_f32_e32 v4, 0x5f7ffffc, v4
	v_mul_f32_e32 v5, 0x2f800000, v4
	v_trunc_f32_e32 v5, v5
	v_mac_f32_e32 v4, 0xcf800000, v5
	v_cvt_u32_f32_e32 v5, v5
	v_cvt_u32_f32_e32 v4, v4
	v_readfirstlane_b32 s37, v5
	v_readfirstlane_b32 s40, v4
	s_mul_i32 s41, s6, s37
	s_mul_hi_u32 s43, s6, s40
	s_mul_i32 s42, s36, s40
	s_add_i32 s41, s43, s41
	s_mul_i32 s46, s6, s40
	s_add_i32 s41, s41, s42
	s_mul_hi_u32 s43, s40, s46
	s_mul_hi_u32 s42, s40, s41
	s_mul_i32 s40, s40, s41
	s_add_u32 s40, s43, s40
	s_addc_u32 s42, 0, s42
	s_mul_hi_u32 s47, s37, s46
	s_mul_i32 s46, s37, s46
	s_add_u32 s40, s40, s46
	s_mul_hi_u32 s43, s37, s41
	s_addc_u32 s40, s42, s47
	s_addc_u32 s42, s43, 0
	s_mul_i32 s41, s37, s41
	s_add_u32 s40, s40, s41
	s_addc_u32 s41, 0, s42
	v_add_co_u32_e32 v4, vcc, s40, v4
	s_cmp_lg_u64 vcc, 0
	s_addc_u32 s37, s37, s41
	v_readfirstlane_b32 s41, v4
	s_mul_i32 s40, s6, s37
	s_mul_hi_u32 s42, s6, s41
	s_add_i32 s40, s42, s40
	s_mul_i32 s36, s36, s41
	s_add_i32 s40, s40, s36
	s_mul_i32 s6, s6, s41
	s_mul_hi_u32 s42, s37, s6
	s_mul_i32 s43, s37, s6
	s_mul_i32 s47, s41, s40
	s_mul_hi_u32 s6, s41, s6
	s_mul_hi_u32 s46, s41, s40
	s_add_u32 s6, s6, s47
	s_addc_u32 s41, 0, s46
	s_add_u32 s6, s6, s43
	s_mul_hi_u32 s36, s37, s40
	s_addc_u32 s6, s41, s42
	s_addc_u32 s36, s36, 0
	s_mul_i32 s40, s37, s40
	s_add_u32 s6, s6, s40
	s_addc_u32 s36, 0, s36
	v_add_co_u32_e32 v4, vcc, s6, v4
	s_cmp_lg_u64 vcc, 0
	s_addc_u32 s6, s37, s36
	v_readfirstlane_b32 s40, v4
	s_mul_i32 s37, s11, s6
	s_mul_hi_u32 s41, s11, s40
	s_mul_hi_u32 s36, s11, s6
	s_add_u32 s37, s41, s37
	s_addc_u32 s36, 0, s36
	s_mul_hi_u32 s42, s7, s40
	s_mul_i32 s40, s7, s40
	s_add_u32 s37, s37, s40
	s_mul_hi_u32 s41, s7, s6
	s_addc_u32 s36, s36, s42
	s_addc_u32 s37, s41, 0
	s_mul_i32 s6, s7, s6
	s_add_u32 s6, s36, s6
	s_addc_u32 s36, 0, s37
	s_mul_hi_u32 s37, s33, s6
	s_mul_i32 s6, s33, s6
	s_mul_i32 s36, s33, s36
	v_mov_b32_e32 v4, s6
	s_add_i32 s37, s37, s36
	v_sub_co_u32_e32 v4, vcc, s11, v4
	s_cmp_lg_u64 vcc, 0
	s_subb_u32 s6, s7, s37
	v_subrev_co_u32_e32 v5, vcc, s33, v4
	s_cmp_lg_u64 vcc, 0
	s_subb_u32 s36, s6, 0
	v_subrev_co_u32_e32 v6, vcc, s33, v5
	s_cmp_lg_u64 vcc, 0
	s_subb_u32 s37, s36, 0
	v_cmp_le_u32_e32 vcc, s33, v5
	s_cmp_eq_u32 s36, 0
	v_cndmask_b32_e64 v7, 0, -1, vcc
	s_cselect_b64 vcc, -1, 0
	v_cndmask_b32_e32 v7, -1, v7, vcc
	v_mov_b32_e32 v8, s36
	v_mov_b32_e32 v9, s37
	v_cmp_ne_u32_e32 vcc, 0, v7
	v_cndmask_b32_e32 v7, v8, v9, vcc
	v_cndmask_b32_e32 v6, v5, v6, vcc
	v_cmp_le_u32_e32 vcc, s33, v4
	s_cmp_eq_u32 s6, 0
	v_cndmask_b32_e64 v5, 0, -1, vcc
	s_cselect_b64 vcc, -1, 0
	v_cndmask_b32_e32 v5, -1, v5, vcc
	v_mov_b32_e32 v8, s6
	v_cmp_ne_u32_e32 vcc, 0, v5
	v_cndmask_b32_e32 v5, v8, v7, vcc
	v_cndmask_b32_e32 v4, v4, v6, vcc
	s_cbranch_execnz .LBB213_352
.LBB213_351:                            ;   in Loop: Header=BB213_31 Depth=1
	v_cvt_f32_u32_e32 v4, s33
	s_sub_i32 s6, 0, s33
	v_rcp_iflag_f32_e32 v4, v4
	v_mul_f32_e32 v4, 0x4f7ffffe, v4
	v_cvt_u32_f32_e32 v4, v4
	v_mul_lo_u32 v5, s6, v4
	v_mul_hi_u32 v5, v4, v5
	v_add_u32_e32 v4, v4, v5
	v_mul_hi_u32 v4, s11, v4
	v_mul_lo_u32 v4, v4, s33
	v_sub_u32_e32 v4, s11, v4
	v_subrev_u32_e32 v5, s33, v4
	v_cmp_le_u32_e32 vcc, s33, v4
	v_cndmask_b32_e32 v4, v4, v5, vcc
	v_subrev_u32_e32 v5, s33, v4
	v_cmp_le_u32_e32 vcc, s33, v4
	v_cndmask_b32_e32 v14, v4, v5, vcc
	v_pk_mov_b32 v[4:5], v[14:15], v[14:15] op_sel:[0,1]
.LBB213_352:                            ;   in Loop: Header=BB213_31 Depth=1
	v_mov_b32_e32 v6, s7
	v_sub_co_u32_e32 v4, vcc, s11, v4
	v_subb_co_u32_e32 v5, vcc, v6, v5, vcc
	v_cmp_gt_u64_e32 vcc, v[4:5], v[0:1]
	s_mov_b64 s[6:7], 0
                                        ; implicit-def: $vgpr56
	s_and_saveexec_b64 s[36:37], vcc
	s_cbranch_execz .LBB213_364
; %bb.353:                              ;   in Loop: Header=BB213_31 Depth=1
	s_mov_b64 s[40:41], 0
	v_mov_b32_e32 v8, v45
	v_pk_mov_b32 v[6:7], v[0:1], v[0:1] op_sel:[0,1]
                                        ; implicit-def: $sgpr42_sgpr43
	s_branch .LBB213_355
.LBB213_354:                            ;   in Loop: Header=BB213_355 Depth=2
	s_or_b64 exec, exec, s[6:7]
	s_waitcnt lgkmcnt(0)
	s_barrier
	ds_read_b32 v9, v15 offset:3072
	v_mov_b32_e32 v14, s92
	v_add_co_u32_e64 v6, s[6:7], s33, v6
	v_addc_co_u32_e64 v7, s[6:7], v7, v14, s[6:7]
	s_waitcnt lgkmcnt(0)
	v_cmp_neq_f16_e32 vcc, 0, v9
	v_cmp_ge_u64_e64 s[6:7], v[6:7], v[4:5]
	s_or_b64 s[6:7], s[6:7], vcc
	s_and_b64 s[6:7], exec, s[6:7]
	s_or_b64 s[40:41], s[6:7], s[40:41]
	s_andn2_b64 s[6:7], s[42:43], exec
	s_and_b64 s[42:43], vcc, exec
	v_add_u32_e32 v8, s10, v8
	s_or_b64 s[42:43], s[6:7], s[42:43]
	s_barrier
	s_andn2_b64 exec, exec, s[40:41]
	s_cbranch_execz .LBB213_363
.LBB213_355:                            ;   Parent Loop BB213_31 Depth=1
                                        ; =>  This Inner Loop Header: Depth=2
	v_cmp_gt_u64_e32 vcc, s[0:1], v[6:7]
	v_mov_b32_e32 v9, 0
	s_and_saveexec_b64 s[6:7], vcc
	s_cbranch_execz .LBB213_357
; %bb.356:                              ;   in Loop: Header=BB213_355 Depth=2
	ds_read_u16 v9, v8
.LBB213_357:                            ;   in Loop: Header=BB213_355 Depth=2
	s_or_b64 exec, exec, s[6:7]
	s_and_saveexec_b64 s[6:7], vcc
	s_cbranch_execz .LBB213_354
; %bb.358:                              ;   in Loop: Header=BB213_355 Depth=2
	s_waitcnt lgkmcnt(0)
	v_cmp_lt_i16_e32 vcc, -1, v9
	v_cndmask_b32_e32 v14, v49, v50, vcc
	v_xor_b32_sdwa v14, v14, v9 dst_sel:DWORD dst_unused:UNUSED_PAD src0_sel:DWORD src1_sel:WORD_0
	v_cmp_o_f16_e32 vcc, v9, v9
	v_cndmask_b32_e32 v14, v49, v14, vcc
	v_and_b32_e32 v14, v14, v54
	v_cmp_eq_u32_e32 vcc, v14, v55
	s_and_b64 exec, exec, vcc
	s_cbranch_execz .LBB213_354
; %bb.359:                              ;   in Loop: Header=BB213_355 Depth=2
	s_movk_i32 s11, 0x3c00
	v_perm_b32 v9, v9, s11, v53
	ds_write_b32 v15, v9 offset:3072
	s_branch .LBB213_354
.LBB213_360:                            ;   in Loop: Header=BB213_31 Depth=1
                                        ; implicit-def: $vgpr2_vgpr3
	s_branch .LBB213_307
.LBB213_361:                            ;   in Loop: Header=BB213_31 Depth=1
                                        ; implicit-def: $vgpr2_vgpr3
	s_branch .LBB213_321
.LBB213_362:                            ;   in Loop: Header=BB213_31 Depth=1
	s_mov_b64 s[36:37], -1
	s_mov_b64 s[6:7], 0
                                        ; implicit-def: $sgpr40_sgpr41
                                        ; implicit-def: $vgpr56
	s_mov_b64 s[42:43], s[36:37]
	s_cbranch_execnz .LBB213_365
	s_branch .LBB213_378
.LBB213_363:                            ;   in Loop: Header=BB213_31 Depth=1
	s_or_b64 exec, exec, s[40:41]
	v_lshrrev_b32_e32 v56, 16, v9
	s_and_b64 s[6:7], s[42:43], exec
.LBB213_364:                            ;   in Loop: Header=BB213_31 Depth=1
	s_or_b64 exec, exec, s[36:37]
	s_mov_b64 s[36:37], 0
	s_mov_b64 s[40:41], -1
	s_mov_b64 s[42:43], s[36:37]
	s_branch .LBB213_378
.LBB213_365:                            ;   in Loop: Header=BB213_31 Depth=1
	v_readlane_b32 s42, v59, 31
	v_readlane_b32 s43, v59, 32
	s_mov_b32 s42, s87
	s_cmp_lg_u64 s[42:43], 0
	v_writelane_b32 v59, s42, 31
	v_writelane_b32 v59, s43, 32
	s_cbranch_scc0 .LBB213_407
; %bb.366:                              ;   in Loop: Header=BB213_31 Depth=1
	v_cvt_f32_u32_e32 v4, s33
	s_sub_u32 s0, 0, s33
	s_subb_u32 s1, 0, 0
	v_mac_f32_e32 v4, 0, v51
	v_rcp_f32_e32 v4, v4
	v_mul_f32_e32 v4, 0x5f7ffffc, v4
	v_mul_f32_e32 v5, 0x2f800000, v4
	v_trunc_f32_e32 v5, v5
	v_mac_f32_e32 v4, 0xcf800000, v5
	v_cvt_u32_f32_e32 v5, v5
	v_cvt_u32_f32_e32 v4, v4
	v_readfirstlane_b32 s6, v5
	v_readfirstlane_b32 s7, v4
	s_mul_i32 s11, s0, s6
	s_mul_hi_u32 s37, s0, s7
	s_mul_i32 s36, s1, s7
	s_add_i32 s11, s37, s11
	s_mul_i32 s40, s0, s7
	s_add_i32 s11, s11, s36
	s_mul_hi_u32 s37, s7, s40
	s_mul_hi_u32 s36, s7, s11
	s_mul_i32 s7, s7, s11
	s_add_u32 s7, s37, s7
	s_addc_u32 s36, 0, s36
	s_mul_hi_u32 s41, s6, s40
	s_mul_i32 s40, s6, s40
	s_add_u32 s7, s7, s40
	s_mul_hi_u32 s37, s6, s11
	s_addc_u32 s7, s36, s41
	s_addc_u32 s36, s37, 0
	s_mul_i32 s11, s6, s11
	s_add_u32 s7, s7, s11
	s_addc_u32 s11, 0, s36
	v_add_co_u32_e32 v4, vcc, s7, v4
	s_cmp_lg_u64 vcc, 0
	s_addc_u32 s6, s6, s11
	v_readfirstlane_b32 s11, v4
	s_mul_i32 s7, s0, s6
	s_mul_hi_u32 s36, s0, s11
	s_add_i32 s7, s36, s7
	s_mul_i32 s1, s1, s11
	s_add_i32 s7, s7, s1
	s_mul_i32 s0, s0, s11
	s_mul_hi_u32 s36, s6, s0
	s_mul_i32 s37, s6, s0
	s_mul_i32 s41, s11, s7
	s_mul_hi_u32 s0, s11, s0
	s_mul_hi_u32 s40, s11, s7
	s_add_u32 s0, s0, s41
	s_addc_u32 s11, 0, s40
	s_add_u32 s0, s0, s37
	s_mul_hi_u32 s1, s6, s7
	s_addc_u32 s0, s11, s36
	s_addc_u32 s1, s1, 0
	s_mul_i32 s7, s6, s7
	s_add_u32 s0, s0, s7
	s_addc_u32 s1, 0, s1
	v_add_co_u32_e32 v4, vcc, s0, v4
	s_cmp_lg_u64 vcc, 0
	s_addc_u32 s0, s6, s1
	v_readlane_b32 s37, v59, 29
	v_readfirstlane_b32 s7, v4
	s_mul_i32 s6, s37, s0
	s_mul_hi_u32 s11, s37, s7
	s_mul_hi_u32 s1, s37, s0
	s_add_u32 s6, s11, s6
	s_addc_u32 s1, 0, s1
	s_mul_hi_u32 s36, s43, s7
	s_mul_i32 s7, s43, s7
	s_add_u32 s6, s6, s7
	s_mul_hi_u32 s11, s43, s0
	s_addc_u32 s1, s1, s36
	s_addc_u32 s6, s11, 0
	s_mul_i32 s0, s43, s0
	s_add_u32 s0, s1, s0
	s_addc_u32 s1, 0, s6
	s_mul_hi_u32 s6, s33, s0
	s_mul_i32 s0, s33, s0
	s_mul_i32 s1, s33, s1
	v_mov_b32_e32 v4, s0
	s_add_i32 s6, s6, s1
	v_sub_co_u32_e32 v4, vcc, s37, v4
	s_cmp_lg_u64 vcc, 0
	s_subb_u32 s0, s43, s6
	v_subrev_co_u32_e32 v5, vcc, s33, v4
	s_cmp_lg_u64 vcc, 0
	s_subb_u32 s1, s0, 0
	v_subrev_co_u32_e32 v6, vcc, s33, v5
	s_cmp_lg_u64 vcc, 0
	s_subb_u32 s6, s1, 0
	v_cmp_le_u32_e32 vcc, s33, v5
	s_cmp_eq_u32 s1, 0
	v_cndmask_b32_e64 v7, 0, -1, vcc
	s_cselect_b64 vcc, -1, 0
	v_cndmask_b32_e32 v7, -1, v7, vcc
	v_mov_b32_e32 v8, s1
	v_mov_b32_e32 v9, s6
	v_cmp_ne_u32_e32 vcc, 0, v7
	v_cndmask_b32_e32 v7, v8, v9, vcc
	v_cndmask_b32_e32 v6, v5, v6, vcc
	v_cmp_le_u32_e32 vcc, s33, v4
	s_cmp_eq_u32 s0, 0
	v_cndmask_b32_e64 v5, 0, -1, vcc
	s_cselect_b64 vcc, -1, 0
	v_cndmask_b32_e32 v5, -1, v5, vcc
	v_mov_b32_e32 v8, s0
	v_cmp_ne_u32_e32 vcc, 0, v5
	v_cndmask_b32_e32 v5, v8, v7, vcc
	v_cndmask_b32_e32 v4, v4, v6, vcc
	s_cbranch_execnz .LBB213_368
.LBB213_367:                            ;   in Loop: Header=BB213_31 Depth=1
	v_cvt_f32_u32_e32 v4, s33
	s_sub_i32 s0, 0, s33
	v_rcp_iflag_f32_e32 v4, v4
	v_mul_f32_e32 v4, 0x4f7ffffe, v4
	v_cvt_u32_f32_e32 v4, v4
	v_mul_lo_u32 v5, s0, v4
	v_mul_hi_u32 v5, v4, v5
	v_add_u32_e32 v4, v4, v5
	v_readlane_b32 s0, v59, 29
	v_mul_hi_u32 v4, s0, v4
	v_mul_lo_u32 v4, v4, s33
	v_sub_u32_e32 v4, s0, v4
	v_subrev_u32_e32 v5, s33, v4
	v_cmp_le_u32_e32 vcc, s33, v4
	v_cndmask_b32_e32 v4, v4, v5, vcc
	v_subrev_u32_e32 v5, s33, v4
	v_cmp_le_u32_e32 vcc, s33, v4
	v_cndmask_b32_e32 v14, v4, v5, vcc
	v_pk_mov_b32 v[4:5], v[14:15], v[14:15] op_sel:[0,1]
.LBB213_368:                            ;   in Loop: Header=BB213_31 Depth=1
	v_readlane_b32 s0, v59, 31
	v_readlane_b32 s1, v59, 32
	;; [unrolled: 1-line block ×3, first 2 shown]
	v_mov_b32_e32 v6, s1
	v_sub_co_u32_e32 v4, vcc, s0, v4
	v_subb_co_u32_e32 v5, vcc, v6, v5, vcc
	v_cmp_gt_u64_e32 vcc, v[4:5], v[0:1]
	s_mov_b64 s[6:7], 0
                                        ; implicit-def: $vgpr56
	s_and_saveexec_b64 s[0:1], vcc
	s_cbranch_execz .LBB213_377
; %bb.369:                              ;   in Loop: Header=BB213_31 Depth=1
	s_mov_b64 s[36:37], 0
	v_pk_mov_b32 v[6:7], v[26:27], v[26:27] op_sel:[0,1]
	v_pk_mov_b32 v[8:9], v[0:1], v[0:1] op_sel:[0,1]
                                        ; implicit-def: $sgpr40_sgpr41
	s_branch .LBB213_371
.LBB213_370:                            ;   in Loop: Header=BB213_371 Depth=2
	s_or_b64 exec, exec, s[6:7]
	s_waitcnt lgkmcnt(0)
	s_barrier
	s_waitcnt vmcnt(0)
	ds_read_b32 v14, v15 offset:3072
	v_mov_b32_e32 v28, s92
	v_add_co_u32_e64 v8, s[6:7], s33, v8
	v_addc_co_u32_e64 v9, s[6:7], v9, v28, s[6:7]
	s_waitcnt lgkmcnt(0)
	v_cmp_neq_f16_e32 vcc, 0, v14
	v_cmp_ge_u64_e64 s[6:7], v[8:9], v[4:5]
	s_or_b64 s[42:43], s[6:7], vcc
	v_mov_b32_e32 v28, s65
	v_add_co_u32_e64 v6, s[6:7], s64, v6
	v_addc_co_u32_e64 v7, s[6:7], v7, v28, s[6:7]
	s_and_b64 s[6:7], exec, s[42:43]
	s_or_b64 s[36:37], s[6:7], s[36:37]
	s_andn2_b64 s[6:7], s[40:41], exec
	s_and_b64 s[40:41], vcc, exec
	s_or_b64 s[40:41], s[6:7], s[40:41]
	s_barrier
	s_andn2_b64 exec, exec, s[36:37]
	s_cbranch_execz .LBB213_376
.LBB213_371:                            ;   Parent Loop BB213_31 Depth=1
                                        ; =>  This Inner Loop Header: Depth=2
	v_cmp_gt_u64_e32 vcc, s[60:61], v[8:9]
	v_mov_b32_e32 v14, 0
	s_and_saveexec_b64 s[6:7], vcc
	s_cbranch_execz .LBB213_373
; %bb.372:                              ;   in Loop: Header=BB213_371 Depth=2
	global_load_ushort v14, v[6:7], off
.LBB213_373:                            ;   in Loop: Header=BB213_371 Depth=2
	s_or_b64 exec, exec, s[6:7]
	s_and_saveexec_b64 s[6:7], vcc
	s_cbranch_execz .LBB213_370
; %bb.374:                              ;   in Loop: Header=BB213_371 Depth=2
	s_waitcnt vmcnt(0)
	v_cmp_lt_i16_e32 vcc, -1, v14
	v_cndmask_b32_e32 v28, v49, v50, vcc
	v_xor_b32_sdwa v28, v28, v14 dst_sel:DWORD dst_unused:UNUSED_PAD src0_sel:DWORD src1_sel:WORD_0
	v_cmp_o_f16_e32 vcc, v14, v14
	v_cndmask_b32_e32 v28, v49, v28, vcc
	v_and_b32_e32 v28, v28, v54
	v_cmp_eq_u32_e32 vcc, v28, v55
	s_and_b64 exec, exec, vcc
	s_cbranch_execz .LBB213_370
; %bb.375:                              ;   in Loop: Header=BB213_371 Depth=2
	s_movk_i32 s11, 0x3c00
	v_perm_b32 v14, v14, s11, v53
	ds_write_b32 v15, v14 offset:3072
	s_branch .LBB213_370
.LBB213_376:                            ;   in Loop: Header=BB213_31 Depth=1
	s_or_b64 exec, exec, s[36:37]
	v_lshrrev_b32_e32 v56, 16, v14
	s_and_b64 s[6:7], s[40:41], exec
.LBB213_377:                            ;   in Loop: Header=BB213_31 Depth=1
	s_or_b64 exec, exec, s[0:1]
	s_mov_b64 s[40:41], 0
	s_mov_b64 s[36:37], -1
	s_mov_b64 s[42:43], 0
.LBB213_378:                            ;   in Loop: Header=BB213_31 Depth=1
	s_orn2_b64 s[0:1], s[6:7], exec
.LBB213_379:                            ;   in Loop: Header=BB213_31 Depth=1
	s_or_b64 exec, exec, s[44:45]
	s_mov_b64 s[6:7], 0
                                        ; implicit-def: $vgpr7
	s_and_saveexec_b64 s[44:45], s[0:1]
	s_cbranch_execz .LBB213_492
; %bb.380:                              ;   in Loop: Header=BB213_31 Depth=1
	v_mov_b32_e32 v4, 1
	s_xor_b64 s[2:3], s[2:3], -1
	s_mov_b64 s[46:47], 0
	v_mov_b32_e32 v5, 0
	v_mov_b32_e32 v7, 1
	s_and_saveexec_b64 s[0:1], s[2:3]
	s_cbranch_execz .LBB213_390
; %bb.381:                              ;   in Loop: Header=BB213_31 Depth=1
	v_cmp_ge_u64_e32 vcc, s[22:23], v[2:3]
                                        ; implicit-def: $sgpr11
                                        ; implicit-def: $sgpr2_sgpr3
	s_and_saveexec_b64 s[6:7], vcc
	s_xor_b64 s[6:7], exec, s[6:7]
	s_cbranch_execz .LBB213_387
; %bb.382:                              ;   in Loop: Header=BB213_31 Depth=1
	ds_read_b64 v[4:5], v15 offset:5120
	s_waitcnt lgkmcnt(0)
	v_cmp_ne_u64_e32 vcc, 0, v[4:5]
	s_cbranch_vccnz .LBB213_386
; %bb.383:                              ;   in Loop: Header=BB213_31 Depth=1
	s_mov_b64 s[2:3], exec
	v_readlane_b32 s46, v59, 10
	v_readlane_b32 s47, v59, 11
	s_and_b64 s[46:47], s[2:3], s[46:47]
	s_mov_b64 exec, s[46:47]
	s_cbranch_execz .LBB213_385
; %bb.384:                              ;   in Loop: Header=BB213_31 Depth=1
	v_pk_mov_b32 v[4:5], s[22:23], s[22:23] op_sel:[0,1]
	ds_write_b64 v15, v[4:5] offset:5128
.LBB213_385:                            ;   in Loop: Header=BB213_31 Depth=1
	s_or_b64 exec, exec, s[2:3]
	s_waitcnt lgkmcnt(0)
	s_barrier
.LBB213_386:                            ;   in Loop: Header=BB213_31 Depth=1
	v_and_b32_e32 v4, s94, v55
	v_lshl_or_b32 v55, 2, s95, v4
	v_or_b32_e32 v54, s86, v54
	s_mov_b64 s[2:3], 0
	s_mov_b32 s11, 5
.LBB213_387:                            ;   in Loop: Header=BB213_31 Depth=1
	s_or_saveexec_b64 s[6:7], s[6:7]
	v_mov_b32_e32 v7, s11
	s_xor_b64 exec, exec, s[6:7]
; %bb.388:                              ;   in Loop: Header=BB213_31 Depth=1
	v_mov_b32_e32 v4, s23
	v_subrev_co_u32_e32 v2, vcc, s22, v2
	v_subb_co_u32_e32 v3, vcc, v3, v4, vcc
	v_mov_b32_e32 v7, 0
	s_or_b64 s[2:3], s[2:3], exec
; %bb.389:                              ;   in Loop: Header=BB213_31 Depth=1
	s_or_b64 exec, exec, s[6:7]
	s_and_b64 s[46:47], s[2:3], exec
	v_pk_mov_b32 v[4:5], v[2:3], v[2:3] op_sel:[0,1]
.LBB213_390:                            ;   in Loop: Header=BB213_31 Depth=1
	s_or_b64 exec, exec, s[0:1]
	s_mov_b64 s[0:1], -1
                                        ; implicit-def: $sgpr2_sgpr3
                                        ; implicit-def: $sgpr6_sgpr7
                                        ; implicit-def: $sgpr50_sgpr51
	s_and_saveexec_b64 s[22:23], s[46:47]
	s_cbranch_execz .LBB213_491
; %bb.391:                              ;   in Loop: Header=BB213_31 Depth=1
	s_cmp_eq_u64 s[18:19], 1
	s_cselect_b64 s[0:1], -1, 0
	v_cmp_eq_u64_e32 vcc, 1, v[4:5]
	s_and_b64 s[52:53], s[0:1], vcc
	s_mov_b64 s[6:7], -1
                                        ; implicit-def: $sgpr2_sgpr3
                                        ; implicit-def: $sgpr46_sgpr47
                                        ; implicit-def: $sgpr48_sgpr49
	s_and_saveexec_b64 s[50:51], s[52:53]
	s_cbranch_execz .LBB213_425
; %bb.392:                              ;   in Loop: Header=BB213_31 Depth=1
	ds_read_b64 v[2:3], v15 offset:5120
	s_waitcnt lgkmcnt(0)
	s_barrier
	v_readfirstlane_b32 s0, v2
	v_readfirstlane_b32 s1, v3
	s_mov_b64 s[2:3], exec
	v_readlane_b32 s6, v59, 24
	v_readlane_b32 s7, v59, 25
	s_and_b64 s[6:7], s[2:3], s[6:7]
	s_mov_b64 exec, s[6:7]
	s_cbranch_execz .LBB213_394
; %bb.393:                              ;   in Loop: Header=BB213_31 Depth=1
	ds_write_b16 v46, v15
.LBB213_394:                            ;   in Loop: Header=BB213_31 Depth=1
	s_or_b64 exec, exec, s[2:3]
	v_and_b32_e32 v2, s94, v55
	v_lshl_or_b32 v55, 1, s95, v2
	v_or_b32_e32 v54, s86, v54
	s_cmp_eq_u64 s[0:1], 0
	s_waitcnt lgkmcnt(0)
	s_barrier
	s_cbranch_scc1 .LBB213_408
; %bb.395:                              ;   in Loop: Header=BB213_31 Depth=1
	v_readlane_b32 s2, v59, 28
	s_add_u32 s11, s2, s0
	v_readlane_b32 s2, v59, 30
	s_addc_u32 s3, s2, s1
	s_mov_b32 s2, s87
	s_cmp_lg_u64 s[2:3], 0
	s_cbranch_scc0 .LBB213_443
; %bb.396:                              ;   in Loop: Header=BB213_31 Depth=1
	v_cvt_f32_u32_e32 v2, s33
	s_sub_u32 s2, 0, s33
	s_subb_u32 s6, 0, 0
	v_mac_f32_e32 v2, 0, v51
	v_rcp_f32_e32 v2, v2
	v_mul_f32_e32 v2, 0x5f7ffffc, v2
	v_mul_f32_e32 v3, 0x2f800000, v2
	v_trunc_f32_e32 v3, v3
	v_mac_f32_e32 v2, 0xcf800000, v3
	v_cvt_u32_f32_e32 v3, v3
	v_cvt_u32_f32_e32 v2, v2
	v_readfirstlane_b32 s7, v3
	v_readfirstlane_b32 s46, v2
	s_mul_i32 s47, s2, s7
	s_mul_hi_u32 s49, s2, s46
	s_mul_i32 s48, s6, s46
	s_add_i32 s47, s49, s47
	s_mul_i32 s54, s2, s46
	s_add_i32 s47, s47, s48
	s_mul_hi_u32 s49, s46, s54
	s_mul_hi_u32 s48, s46, s47
	s_mul_i32 s46, s46, s47
	s_add_u32 s46, s49, s46
	s_addc_u32 s48, 0, s48
	s_mul_hi_u32 s55, s7, s54
	s_mul_i32 s54, s7, s54
	s_add_u32 s46, s46, s54
	s_mul_hi_u32 s49, s7, s47
	s_addc_u32 s46, s48, s55
	s_addc_u32 s48, s49, 0
	s_mul_i32 s47, s7, s47
	s_add_u32 s46, s46, s47
	s_addc_u32 s47, 0, s48
	v_add_co_u32_e32 v2, vcc, s46, v2
	s_cmp_lg_u64 vcc, 0
	s_addc_u32 s7, s7, s47
	v_readfirstlane_b32 s47, v2
	s_mul_i32 s46, s2, s7
	s_mul_hi_u32 s48, s2, s47
	s_add_i32 s46, s48, s46
	s_mul_i32 s6, s6, s47
	s_add_i32 s46, s46, s6
	s_mul_i32 s2, s2, s47
	s_mul_hi_u32 s48, s7, s2
	s_mul_i32 s49, s7, s2
	s_mul_i32 s55, s47, s46
	s_mul_hi_u32 s2, s47, s2
	s_mul_hi_u32 s54, s47, s46
	s_add_u32 s2, s2, s55
	s_addc_u32 s47, 0, s54
	s_add_u32 s2, s2, s49
	s_mul_hi_u32 s6, s7, s46
	s_addc_u32 s2, s47, s48
	s_addc_u32 s6, s6, 0
	s_mul_i32 s46, s7, s46
	s_add_u32 s2, s2, s46
	s_addc_u32 s6, 0, s6
	v_add_co_u32_e32 v2, vcc, s2, v2
	s_cmp_lg_u64 vcc, 0
	s_addc_u32 s2, s7, s6
	v_readfirstlane_b32 s46, v2
	s_mul_i32 s7, s11, s2
	s_mul_hi_u32 s47, s11, s46
	s_mul_hi_u32 s6, s11, s2
	s_add_u32 s7, s47, s7
	s_addc_u32 s6, 0, s6
	s_mul_hi_u32 s48, s3, s46
	s_mul_i32 s46, s3, s46
	s_add_u32 s7, s7, s46
	s_mul_hi_u32 s47, s3, s2
	s_addc_u32 s6, s6, s48
	s_addc_u32 s7, s47, 0
	s_mul_i32 s2, s3, s2
	s_add_u32 s2, s6, s2
	s_addc_u32 s6, 0, s7
	s_mul_hi_u32 s7, s33, s2
	s_mul_i32 s2, s33, s2
	s_mul_i32 s6, s33, s6
	v_mov_b32_e32 v2, s2
	s_add_i32 s7, s7, s6
	v_sub_co_u32_e32 v2, vcc, s11, v2
	s_cmp_lg_u64 vcc, 0
	s_subb_u32 s2, s3, s7
	v_subrev_co_u32_e32 v3, vcc, s33, v2
	s_cmp_lg_u64 vcc, 0
	s_subb_u32 s6, s2, 0
	v_subrev_co_u32_e32 v6, vcc, s33, v3
	s_cmp_lg_u64 vcc, 0
	s_subb_u32 s7, s6, 0
	v_cmp_le_u32_e32 vcc, s33, v3
	s_cmp_eq_u32 s6, 0
	v_cndmask_b32_e64 v7, 0, -1, vcc
	s_cselect_b64 vcc, -1, 0
	v_cndmask_b32_e32 v7, -1, v7, vcc
	v_mov_b32_e32 v8, s6
	v_mov_b32_e32 v9, s7
	v_cmp_ne_u32_e32 vcc, 0, v7
	v_cndmask_b32_e32 v7, v8, v9, vcc
	v_cndmask_b32_e32 v6, v3, v6, vcc
	v_cmp_le_u32_e32 vcc, s33, v2
	s_cmp_eq_u32 s2, 0
	v_cndmask_b32_e64 v3, 0, -1, vcc
	s_cselect_b64 vcc, -1, 0
	v_cndmask_b32_e32 v3, -1, v3, vcc
	v_mov_b32_e32 v8, s2
	v_cmp_ne_u32_e32 vcc, 0, v3
	v_cndmask_b32_e32 v3, v8, v7, vcc
	v_cndmask_b32_e32 v2, v2, v6, vcc
	s_cbranch_execnz .LBB213_398
.LBB213_397:                            ;   in Loop: Header=BB213_31 Depth=1
	v_cvt_f32_u32_e32 v2, s33
	s_sub_i32 s2, 0, s33
	v_rcp_iflag_f32_e32 v2, v2
	v_mul_f32_e32 v2, 0x4f7ffffe, v2
	v_cvt_u32_f32_e32 v2, v2
	v_mul_lo_u32 v3, s2, v2
	v_mul_hi_u32 v3, v2, v3
	v_add_u32_e32 v2, v2, v3
	v_mul_hi_u32 v2, s11, v2
	v_mul_lo_u32 v2, v2, s33
	v_sub_u32_e32 v2, s11, v2
	v_subrev_u32_e32 v3, s33, v2
	v_cmp_le_u32_e32 vcc, s33, v2
	v_cndmask_b32_e32 v2, v2, v3, vcc
	v_subrev_u32_e32 v3, s33, v2
	v_cmp_le_u32_e32 vcc, s33, v2
	v_cndmask_b32_e32 v14, v2, v3, vcc
	v_pk_mov_b32 v[2:3], v[14:15], v[14:15] op_sel:[0,1]
.LBB213_398:                            ;   in Loop: Header=BB213_31 Depth=1
	v_mov_b32_e32 v6, s3
	v_sub_co_u32_e32 v2, vcc, s11, v2
	v_subb_co_u32_e32 v3, vcc, v6, v3, vcc
	v_cmp_gt_u64_e32 vcc, v[2:3], v[0:1]
	s_mov_b64 s[6:7], 0
                                        ; implicit-def: $vgpr56
	s_and_saveexec_b64 s[2:3], vcc
	s_cbranch_execz .LBB213_410
; %bb.399:                              ;   in Loop: Header=BB213_31 Depth=1
	s_mov_b64 s[46:47], 0
	v_mov_b32_e32 v8, v45
	v_pk_mov_b32 v[6:7], v[0:1], v[0:1] op_sel:[0,1]
                                        ; implicit-def: $sgpr48_sgpr49
	s_branch .LBB213_401
.LBB213_400:                            ;   in Loop: Header=BB213_401 Depth=2
	s_or_b64 exec, exec, s[6:7]
	s_waitcnt lgkmcnt(0)
	s_barrier
	ds_read_b32 v9, v15 offset:3072
	v_mov_b32_e32 v14, s92
	v_add_co_u32_e64 v6, s[6:7], s33, v6
	v_addc_co_u32_e64 v7, s[6:7], v7, v14, s[6:7]
	s_waitcnt lgkmcnt(0)
	v_cmp_neq_f16_e32 vcc, 0, v9
	v_cmp_ge_u64_e64 s[6:7], v[6:7], v[2:3]
	s_or_b64 s[6:7], s[6:7], vcc
	s_and_b64 s[6:7], exec, s[6:7]
	s_or_b64 s[46:47], s[6:7], s[46:47]
	s_andn2_b64 s[6:7], s[48:49], exec
	s_and_b64 s[48:49], vcc, exec
	v_add_u32_e32 v8, s10, v8
	s_or_b64 s[48:49], s[6:7], s[48:49]
	s_barrier
	s_andn2_b64 exec, exec, s[46:47]
	s_cbranch_execz .LBB213_409
.LBB213_401:                            ;   Parent Loop BB213_31 Depth=1
                                        ; =>  This Inner Loop Header: Depth=2
	v_cmp_gt_u64_e32 vcc, s[0:1], v[6:7]
	v_mov_b32_e32 v9, 0
	s_and_saveexec_b64 s[6:7], vcc
	s_cbranch_execz .LBB213_403
; %bb.402:                              ;   in Loop: Header=BB213_401 Depth=2
	ds_read_u16 v9, v8
.LBB213_403:                            ;   in Loop: Header=BB213_401 Depth=2
	s_or_b64 exec, exec, s[6:7]
	s_and_saveexec_b64 s[6:7], vcc
	s_cbranch_execz .LBB213_400
; %bb.404:                              ;   in Loop: Header=BB213_401 Depth=2
	s_waitcnt lgkmcnt(0)
	v_cmp_lt_i16_e32 vcc, -1, v9
	v_cndmask_b32_e32 v14, v49, v50, vcc
	v_xor_b32_sdwa v14, v14, v9 dst_sel:DWORD dst_unused:UNUSED_PAD src0_sel:DWORD src1_sel:WORD_0
	v_cmp_o_f16_e32 vcc, v9, v9
	v_cndmask_b32_e32 v14, v49, v14, vcc
	v_and_b32_e32 v14, v14, v54
	v_cmp_eq_u32_e32 vcc, v14, v55
	s_and_b64 exec, exec, vcc
	s_cbranch_execz .LBB213_400
; %bb.405:                              ;   in Loop: Header=BB213_401 Depth=2
	s_movk_i32 s11, 0x3c00
	v_perm_b32 v9, v9, s11, v53
	ds_write_b32 v15, v9 offset:3072
	s_branch .LBB213_400
.LBB213_406:                            ;   in Loop: Header=BB213_31 Depth=1
                                        ; implicit-def: $vgpr4_vgpr5
	s_branch .LBB213_351
.LBB213_407:                            ;   in Loop: Header=BB213_31 Depth=1
                                        ; implicit-def: $vgpr4_vgpr5
	s_branch .LBB213_367
.LBB213_408:                            ;   in Loop: Header=BB213_31 Depth=1
	s_mov_b64 s[2:3], -1
	s_mov_b64 s[6:7], 0
                                        ; implicit-def: $sgpr46_sgpr47
                                        ; implicit-def: $vgpr56
	s_mov_b64 s[48:49], s[2:3]
	s_cbranch_execnz .LBB213_411
	s_branch .LBB213_424
.LBB213_409:                            ;   in Loop: Header=BB213_31 Depth=1
	s_or_b64 exec, exec, s[46:47]
	v_lshrrev_b32_e32 v56, 16, v9
	s_and_b64 s[6:7], s[48:49], exec
.LBB213_410:                            ;   in Loop: Header=BB213_31 Depth=1
	s_or_b64 exec, exec, s[2:3]
	s_mov_b64 s[2:3], 0
	s_mov_b64 s[46:47], -1
	s_mov_b64 s[48:49], s[2:3]
	s_branch .LBB213_424
.LBB213_411:                            ;   in Loop: Header=BB213_31 Depth=1
	v_readlane_b32 s48, v59, 31
	v_readlane_b32 s49, v59, 32
	s_mov_b32 s48, s87
	s_cmp_lg_u64 s[48:49], 0
	v_writelane_b32 v59, s48, 31
	v_writelane_b32 v59, s49, 32
	s_cbranch_scc0 .LBB213_444
; %bb.412:                              ;   in Loop: Header=BB213_31 Depth=1
	v_cvt_f32_u32_e32 v2, s33
	s_sub_u32 s0, 0, s33
	s_subb_u32 s1, 0, 0
	v_mac_f32_e32 v2, 0, v51
	v_rcp_f32_e32 v2, v2
	v_mul_f32_e32 v2, 0x5f7ffffc, v2
	v_mul_f32_e32 v3, 0x2f800000, v2
	v_trunc_f32_e32 v3, v3
	v_mac_f32_e32 v2, 0xcf800000, v3
	v_cvt_u32_f32_e32 v3, v3
	v_cvt_u32_f32_e32 v2, v2
	v_readfirstlane_b32 s2, v3
	v_readfirstlane_b32 s3, v2
	s_mul_i32 s6, s0, s2
	s_mul_hi_u32 s11, s0, s3
	s_mul_i32 s7, s1, s3
	s_add_i32 s6, s11, s6
	s_mul_i32 s46, s0, s3
	s_add_i32 s6, s6, s7
	s_mul_hi_u32 s11, s3, s46
	s_mul_hi_u32 s7, s3, s6
	s_mul_i32 s3, s3, s6
	s_add_u32 s3, s11, s3
	s_addc_u32 s7, 0, s7
	s_mul_hi_u32 s47, s2, s46
	s_mul_i32 s46, s2, s46
	s_add_u32 s3, s3, s46
	s_mul_hi_u32 s11, s2, s6
	s_addc_u32 s3, s7, s47
	s_addc_u32 s7, s11, 0
	s_mul_i32 s6, s2, s6
	s_add_u32 s3, s3, s6
	s_addc_u32 s6, 0, s7
	v_add_co_u32_e32 v2, vcc, s3, v2
	s_cmp_lg_u64 vcc, 0
	s_addc_u32 s2, s2, s6
	v_readfirstlane_b32 s6, v2
	s_mul_i32 s3, s0, s2
	s_mul_hi_u32 s7, s0, s6
	s_add_i32 s3, s7, s3
	s_mul_i32 s1, s1, s6
	s_add_i32 s3, s3, s1
	s_mul_i32 s0, s0, s6
	s_mul_hi_u32 s7, s2, s0
	s_mul_i32 s11, s2, s0
	s_mul_i32 s47, s6, s3
	s_mul_hi_u32 s0, s6, s0
	s_mul_hi_u32 s46, s6, s3
	s_add_u32 s0, s0, s47
	s_addc_u32 s6, 0, s46
	s_add_u32 s0, s0, s11
	s_mul_hi_u32 s1, s2, s3
	s_addc_u32 s0, s6, s7
	s_addc_u32 s1, s1, 0
	s_mul_i32 s3, s2, s3
	s_add_u32 s0, s0, s3
	s_addc_u32 s1, 0, s1
	v_add_co_u32_e32 v2, vcc, s0, v2
	s_cmp_lg_u64 vcc, 0
	s_addc_u32 s0, s2, s1
	v_readlane_b32 s11, v59, 29
	v_readfirstlane_b32 s3, v2
	s_mul_i32 s2, s11, s0
	s_mul_hi_u32 s6, s11, s3
	s_mul_hi_u32 s1, s11, s0
	s_add_u32 s2, s6, s2
	s_addc_u32 s1, 0, s1
	s_mul_hi_u32 s7, s49, s3
	s_mul_i32 s3, s49, s3
	s_add_u32 s2, s2, s3
	s_mul_hi_u32 s6, s49, s0
	s_addc_u32 s1, s1, s7
	s_addc_u32 s2, s6, 0
	s_mul_i32 s0, s49, s0
	s_add_u32 s0, s1, s0
	s_addc_u32 s1, 0, s2
	s_mul_hi_u32 s2, s33, s0
	s_mul_i32 s0, s33, s0
	s_mul_i32 s1, s33, s1
	v_mov_b32_e32 v2, s0
	s_add_i32 s2, s2, s1
	v_sub_co_u32_e32 v2, vcc, s11, v2
	s_cmp_lg_u64 vcc, 0
	s_subb_u32 s0, s49, s2
	v_subrev_co_u32_e32 v3, vcc, s33, v2
	s_cmp_lg_u64 vcc, 0
	s_subb_u32 s1, s0, 0
	v_subrev_co_u32_e32 v6, vcc, s33, v3
	s_cmp_lg_u64 vcc, 0
	s_subb_u32 s2, s1, 0
	v_cmp_le_u32_e32 vcc, s33, v3
	s_cmp_eq_u32 s1, 0
	v_cndmask_b32_e64 v7, 0, -1, vcc
	s_cselect_b64 vcc, -1, 0
	v_cndmask_b32_e32 v7, -1, v7, vcc
	v_mov_b32_e32 v8, s1
	v_mov_b32_e32 v9, s2
	v_cmp_ne_u32_e32 vcc, 0, v7
	v_cndmask_b32_e32 v7, v8, v9, vcc
	v_cndmask_b32_e32 v6, v3, v6, vcc
	v_cmp_le_u32_e32 vcc, s33, v2
	s_cmp_eq_u32 s0, 0
	v_cndmask_b32_e64 v3, 0, -1, vcc
	s_cselect_b64 vcc, -1, 0
	v_cndmask_b32_e32 v3, -1, v3, vcc
	v_mov_b32_e32 v8, s0
	v_cmp_ne_u32_e32 vcc, 0, v3
	v_cndmask_b32_e32 v3, v8, v7, vcc
	v_cndmask_b32_e32 v2, v2, v6, vcc
	s_cbranch_execnz .LBB213_414
.LBB213_413:                            ;   in Loop: Header=BB213_31 Depth=1
	v_cvt_f32_u32_e32 v2, s33
	s_sub_i32 s0, 0, s33
	v_rcp_iflag_f32_e32 v2, v2
	v_mul_f32_e32 v2, 0x4f7ffffe, v2
	v_cvt_u32_f32_e32 v2, v2
	v_mul_lo_u32 v3, s0, v2
	v_mul_hi_u32 v3, v2, v3
	v_add_u32_e32 v2, v2, v3
	v_readlane_b32 s0, v59, 29
	v_mul_hi_u32 v2, s0, v2
	v_mul_lo_u32 v2, v2, s33
	v_sub_u32_e32 v2, s0, v2
	v_subrev_u32_e32 v3, s33, v2
	v_cmp_le_u32_e32 vcc, s33, v2
	v_cndmask_b32_e32 v2, v2, v3, vcc
	v_subrev_u32_e32 v3, s33, v2
	v_cmp_le_u32_e32 vcc, s33, v2
	v_cndmask_b32_e32 v14, v2, v3, vcc
	v_pk_mov_b32 v[2:3], v[14:15], v[14:15] op_sel:[0,1]
.LBB213_414:                            ;   in Loop: Header=BB213_31 Depth=1
	v_readlane_b32 s0, v59, 31
	v_readlane_b32 s1, v59, 32
	;; [unrolled: 1-line block ×3, first 2 shown]
	v_mov_b32_e32 v6, s1
	v_sub_co_u32_e32 v2, vcc, s0, v2
	v_subb_co_u32_e32 v3, vcc, v6, v3, vcc
	v_cmp_gt_u64_e32 vcc, v[2:3], v[0:1]
	s_mov_b64 s[6:7], 0
                                        ; implicit-def: $vgpr56
	s_and_saveexec_b64 s[0:1], vcc
	s_cbranch_execz .LBB213_423
; %bb.415:                              ;   in Loop: Header=BB213_31 Depth=1
	s_mov_b64 s[2:3], 0
	v_pk_mov_b32 v[6:7], v[26:27], v[26:27] op_sel:[0,1]
	v_pk_mov_b32 v[8:9], v[0:1], v[0:1] op_sel:[0,1]
                                        ; implicit-def: $sgpr46_sgpr47
	s_branch .LBB213_417
.LBB213_416:                            ;   in Loop: Header=BB213_417 Depth=2
	s_or_b64 exec, exec, s[6:7]
	s_waitcnt lgkmcnt(0)
	s_barrier
	s_waitcnt vmcnt(0)
	ds_read_b32 v14, v15 offset:3072
	v_mov_b32_e32 v28, s92
	v_add_co_u32_e64 v8, s[6:7], s33, v8
	v_addc_co_u32_e64 v9, s[6:7], v9, v28, s[6:7]
	s_waitcnt lgkmcnt(0)
	v_cmp_neq_f16_e32 vcc, 0, v14
	v_cmp_ge_u64_e64 s[6:7], v[8:9], v[2:3]
	s_or_b64 s[48:49], s[6:7], vcc
	v_mov_b32_e32 v28, s65
	v_add_co_u32_e64 v6, s[6:7], s64, v6
	v_addc_co_u32_e64 v7, s[6:7], v7, v28, s[6:7]
	s_and_b64 s[6:7], exec, s[48:49]
	s_or_b64 s[2:3], s[6:7], s[2:3]
	s_andn2_b64 s[6:7], s[46:47], exec
	s_and_b64 s[46:47], vcc, exec
	s_or_b64 s[46:47], s[6:7], s[46:47]
	s_barrier
	s_andn2_b64 exec, exec, s[2:3]
	s_cbranch_execz .LBB213_422
.LBB213_417:                            ;   Parent Loop BB213_31 Depth=1
                                        ; =>  This Inner Loop Header: Depth=2
	v_cmp_gt_u64_e32 vcc, s[60:61], v[8:9]
	v_mov_b32_e32 v14, 0
	s_and_saveexec_b64 s[6:7], vcc
	s_cbranch_execz .LBB213_419
; %bb.418:                              ;   in Loop: Header=BB213_417 Depth=2
	global_load_ushort v14, v[6:7], off
.LBB213_419:                            ;   in Loop: Header=BB213_417 Depth=2
	s_or_b64 exec, exec, s[6:7]
	s_and_saveexec_b64 s[6:7], vcc
	s_cbranch_execz .LBB213_416
; %bb.420:                              ;   in Loop: Header=BB213_417 Depth=2
	s_waitcnt vmcnt(0)
	v_cmp_lt_i16_e32 vcc, -1, v14
	v_cndmask_b32_e32 v28, v49, v50, vcc
	v_xor_b32_sdwa v28, v28, v14 dst_sel:DWORD dst_unused:UNUSED_PAD src0_sel:DWORD src1_sel:WORD_0
	v_cmp_o_f16_e32 vcc, v14, v14
	v_cndmask_b32_e32 v28, v49, v28, vcc
	v_and_b32_e32 v28, v28, v54
	v_cmp_eq_u32_e32 vcc, v28, v55
	s_and_b64 exec, exec, vcc
	s_cbranch_execz .LBB213_416
; %bb.421:                              ;   in Loop: Header=BB213_417 Depth=2
	s_movk_i32 s11, 0x3c00
	v_perm_b32 v14, v14, s11, v53
	ds_write_b32 v15, v14 offset:3072
	s_branch .LBB213_416
.LBB213_422:                            ;   in Loop: Header=BB213_31 Depth=1
	s_or_b64 exec, exec, s[2:3]
	v_lshrrev_b32_e32 v56, 16, v14
	s_and_b64 s[6:7], s[46:47], exec
.LBB213_423:                            ;   in Loop: Header=BB213_31 Depth=1
	s_or_b64 exec, exec, s[0:1]
	s_mov_b64 s[46:47], 0
	s_mov_b64 s[2:3], -1
	s_mov_b64 s[48:49], 0
.LBB213_424:                            ;   in Loop: Header=BB213_31 Depth=1
	s_orn2_b64 s[6:7], s[6:7], exec
.LBB213_425:                            ;   in Loop: Header=BB213_31 Depth=1
	s_or_b64 exec, exec, s[50:51]
	s_mov_b64 s[0:1], 0
                                        ; implicit-def: $vgpr7
	s_and_saveexec_b64 s[50:51], s[6:7]
	s_cbranch_execz .LBB213_490
; %bb.426:                              ;   in Loop: Header=BB213_31 Depth=1
	v_mov_b32_e32 v2, 1
	s_xor_b64 s[6:7], s[52:53], -1
	s_mov_b64 s[54:55], 0
	v_mov_b32_e32 v3, 0
	v_mov_b32_e32 v7, 1
	s_and_saveexec_b64 s[0:1], s[6:7]
	s_cbranch_execz .LBB213_436
; %bb.427:                              ;   in Loop: Header=BB213_31 Depth=1
	v_cmp_ge_u64_e32 vcc, s[18:19], v[4:5]
                                        ; implicit-def: $sgpr11
                                        ; implicit-def: $sgpr6_sgpr7
	s_and_saveexec_b64 s[52:53], vcc
	s_xor_b64 s[52:53], exec, s[52:53]
	s_cbranch_execz .LBB213_433
; %bb.428:                              ;   in Loop: Header=BB213_31 Depth=1
	ds_read_b64 v[2:3], v15 offset:5120
	s_waitcnt lgkmcnt(0)
	v_cmp_ne_u64_e32 vcc, 0, v[2:3]
	s_cbranch_vccnz .LBB213_432
; %bb.429:                              ;   in Loop: Header=BB213_31 Depth=1
	s_mov_b64 s[6:7], exec
	v_readlane_b32 s54, v59, 10
	v_readlane_b32 s55, v59, 11
	s_and_b64 s[54:55], s[6:7], s[54:55]
	s_mov_b64 exec, s[54:55]
	s_cbranch_execz .LBB213_431
; %bb.430:                              ;   in Loop: Header=BB213_31 Depth=1
	v_pk_mov_b32 v[2:3], s[18:19], s[18:19] op_sel:[0,1]
	ds_write_b64 v15, v[2:3] offset:5128
.LBB213_431:                            ;   in Loop: Header=BB213_31 Depth=1
	s_or_b64 exec, exec, s[6:7]
	s_waitcnt lgkmcnt(0)
	s_barrier
.LBB213_432:                            ;   in Loop: Header=BB213_31 Depth=1
	v_and_b32_e32 v2, s94, v55
	v_lshl_or_b32 v55, 1, s95, v2
	v_or_b32_e32 v54, s86, v54
	s_mov_b64 s[6:7], 0
	s_mov_b32 s11, 5
.LBB213_433:                            ;   in Loop: Header=BB213_31 Depth=1
	s_or_saveexec_b64 s[52:53], s[52:53]
	v_mov_b32_e32 v7, s11
	s_xor_b64 exec, exec, s[52:53]
; %bb.434:                              ;   in Loop: Header=BB213_31 Depth=1
	v_mov_b32_e32 v2, s19
	v_subrev_co_u32_e32 v4, vcc, s18, v4
	v_subb_co_u32_e32 v5, vcc, v5, v2, vcc
	v_mov_b32_e32 v7, 0
	s_or_b64 s[6:7], s[6:7], exec
; %bb.435:                              ;   in Loop: Header=BB213_31 Depth=1
	s_or_b64 exec, exec, s[52:53]
	s_and_b64 s[54:55], s[6:7], exec
	v_pk_mov_b32 v[2:3], v[4:5], v[4:5] op_sel:[0,1]
.LBB213_436:                            ;   in Loop: Header=BB213_31 Depth=1
	s_or_b64 exec, exec, s[0:1]
	s_mov_b64 s[52:53], -1
                                        ; implicit-def: $sgpr0_sgpr1
                                        ; implicit-def: $sgpr6_sgpr7
                                        ; implicit-def: $sgpr66_sgpr67
	s_and_saveexec_b64 s[18:19], s[54:55]
	s_cbranch_execz .LBB213_489
; %bb.437:                              ;   in Loop: Header=BB213_31 Depth=1
	s_cmp_eq_u64 s[16:17], 1
	s_cselect_b64 s[0:1], -1, 0
	v_cmp_eq_u64_e32 vcc, 1, v[2:3]
	s_and_b64 s[52:53], s[0:1], vcc
	s_mov_b64 s[80:81], -1
                                        ; implicit-def: $sgpr0_sgpr1
                                        ; implicit-def: $sgpr6_sgpr7
                                        ; implicit-def: $sgpr66_sgpr67
	s_and_saveexec_b64 s[54:55], s[52:53]
	s_cbranch_execz .LBB213_476
; %bb.438:                              ;   in Loop: Header=BB213_31 Depth=1
	ds_read_b64 v[4:5], v15 offset:5120
	s_waitcnt lgkmcnt(0)
	s_barrier
	v_readfirstlane_b32 s0, v4
	v_readfirstlane_b32 s1, v5
	s_mov_b64 s[6:7], exec
	v_readlane_b32 s66, v59, 24
	v_readlane_b32 s67, v59, 25
	s_and_b64 s[66:67], s[6:7], s[66:67]
	s_mov_b64 exec, s[66:67]
	s_cbranch_execz .LBB213_440
; %bb.439:                              ;   in Loop: Header=BB213_31 Depth=1
	ds_write_b16 v46, v15
.LBB213_440:                            ;   in Loop: Header=BB213_31 Depth=1
	s_or_b64 exec, exec, s[6:7]
	v_and_b32_e32 v55, s94, v55
	v_or_b32_e32 v54, s86, v54
	s_cmp_eq_u64 s[0:1], 0
	s_waitcnt lgkmcnt(0)
	s_barrier
	s_cbranch_scc1 .LBB213_445
; %bb.441:                              ;   in Loop: Header=BB213_31 Depth=1
	v_readlane_b32 s6, v59, 28
	s_add_u32 s11, s6, s0
	v_readlane_b32 s6, v59, 30
	s_addc_u32 s7, s6, s1
	s_mov_b32 s6, s87
	s_cmp_lg_u64 s[6:7], 0
	s_cbranch_scc0 .LBB213_446
; %bb.442:                              ;   in Loop: Header=BB213_31 Depth=1
	v_cvt_f32_u32_e32 v4, s33
	s_sub_u32 s6, 0, s33
	s_subb_u32 s66, 0, 0
	v_mac_f32_e32 v4, 0, v51
	v_rcp_f32_e32 v4, v4
	v_mul_f32_e32 v4, 0x5f7ffffc, v4
	v_mul_f32_e32 v5, 0x2f800000, v4
	v_trunc_f32_e32 v5, v5
	v_mac_f32_e32 v4, 0xcf800000, v5
	v_cvt_u32_f32_e32 v5, v5
	v_cvt_u32_f32_e32 v4, v4
	v_readfirstlane_b32 s67, v5
	v_readfirstlane_b32 s68, v4
	s_mul_i32 s69, s6, s67
	s_mul_hi_u32 s81, s6, s68
	s_mul_i32 s80, s66, s68
	s_add_i32 s69, s81, s69
	s_mul_i32 s88, s6, s68
	s_add_i32 s69, s69, s80
	s_mul_hi_u32 s81, s68, s88
	s_mul_hi_u32 s80, s68, s69
	s_mul_i32 s68, s68, s69
	s_add_u32 s68, s81, s68
	s_addc_u32 s80, 0, s80
	s_mul_hi_u32 s89, s67, s88
	s_mul_i32 s88, s67, s88
	s_add_u32 s68, s68, s88
	s_mul_hi_u32 s81, s67, s69
	s_addc_u32 s68, s80, s89
	s_addc_u32 s80, s81, 0
	s_mul_i32 s69, s67, s69
	s_add_u32 s68, s68, s69
	s_addc_u32 s69, 0, s80
	v_add_co_u32_e32 v4, vcc, s68, v4
	s_cmp_lg_u64 vcc, 0
	s_addc_u32 s67, s67, s69
	v_readfirstlane_b32 s69, v4
	s_mul_i32 s68, s6, s67
	s_mul_hi_u32 s80, s6, s69
	s_add_i32 s68, s80, s68
	s_mul_i32 s66, s66, s69
	s_add_i32 s68, s68, s66
	s_mul_i32 s6, s6, s69
	s_mul_hi_u32 s80, s67, s6
	s_mul_i32 s81, s67, s6
	s_mul_i32 s89, s69, s68
	s_mul_hi_u32 s6, s69, s6
	s_mul_hi_u32 s88, s69, s68
	s_add_u32 s6, s6, s89
	s_addc_u32 s69, 0, s88
	s_add_u32 s6, s6, s81
	s_mul_hi_u32 s66, s67, s68
	s_addc_u32 s6, s69, s80
	s_addc_u32 s66, s66, 0
	s_mul_i32 s68, s67, s68
	s_add_u32 s6, s6, s68
	s_addc_u32 s66, 0, s66
	v_add_co_u32_e32 v4, vcc, s6, v4
	s_cmp_lg_u64 vcc, 0
	s_addc_u32 s6, s67, s66
	v_readfirstlane_b32 s68, v4
	s_mul_i32 s67, s11, s6
	s_mul_hi_u32 s69, s11, s68
	s_mul_hi_u32 s66, s11, s6
	s_add_u32 s67, s69, s67
	s_addc_u32 s66, 0, s66
	s_mul_hi_u32 s80, s7, s68
	s_mul_i32 s68, s7, s68
	s_add_u32 s67, s67, s68
	s_mul_hi_u32 s69, s7, s6
	s_addc_u32 s66, s66, s80
	s_addc_u32 s67, s69, 0
	s_mul_i32 s6, s7, s6
	s_add_u32 s6, s66, s6
	s_addc_u32 s66, 0, s67
	s_mul_hi_u32 s67, s33, s6
	s_mul_i32 s6, s33, s6
	s_mul_i32 s66, s33, s66
	v_mov_b32_e32 v4, s6
	s_add_i32 s67, s67, s66
	v_sub_co_u32_e32 v4, vcc, s11, v4
	s_cmp_lg_u64 vcc, 0
	s_subb_u32 s6, s7, s67
	v_subrev_co_u32_e32 v5, vcc, s33, v4
	s_cmp_lg_u64 vcc, 0
	s_subb_u32 s66, s6, 0
	v_subrev_co_u32_e32 v6, vcc, s33, v5
	s_cmp_lg_u64 vcc, 0
	s_subb_u32 s67, s66, 0
	v_cmp_le_u32_e32 vcc, s33, v5
	s_cmp_eq_u32 s66, 0
	v_cndmask_b32_e64 v7, 0, -1, vcc
	s_cselect_b64 vcc, -1, 0
	v_cndmask_b32_e32 v7, -1, v7, vcc
	v_mov_b32_e32 v8, s66
	v_mov_b32_e32 v9, s67
	v_cmp_ne_u32_e32 vcc, 0, v7
	v_cndmask_b32_e32 v7, v8, v9, vcc
	v_cndmask_b32_e32 v6, v5, v6, vcc
	v_cmp_le_u32_e32 vcc, s33, v4
	s_cmp_eq_u32 s6, 0
	v_cndmask_b32_e64 v5, 0, -1, vcc
	s_cselect_b64 vcc, -1, 0
	v_cndmask_b32_e32 v5, -1, v5, vcc
	v_mov_b32_e32 v8, s6
	v_cmp_ne_u32_e32 vcc, 0, v5
	v_cndmask_b32_e32 v5, v8, v7, vcc
	v_cndmask_b32_e32 v4, v4, v6, vcc
	s_mov_b64 s[66:67], 0
	s_branch .LBB213_447
.LBB213_443:                            ;   in Loop: Header=BB213_31 Depth=1
                                        ; implicit-def: $vgpr2_vgpr3
	s_branch .LBB213_397
.LBB213_444:                            ;   in Loop: Header=BB213_31 Depth=1
                                        ; implicit-def: $vgpr2_vgpr3
	s_branch .LBB213_413
.LBB213_445:                            ;   in Loop: Header=BB213_31 Depth=1
	s_mov_b64 s[0:1], -1
	s_mov_b64 s[80:81], 0
                                        ; implicit-def: $sgpr6_sgpr7
                                        ; implicit-def: $vgpr56
	s_branch .LBB213_459
.LBB213_446:                            ;   in Loop: Header=BB213_31 Depth=1
	s_mov_b64 s[66:67], -1
                                        ; implicit-def: $vgpr4_vgpr5
.LBB213_447:                            ;   in Loop: Header=BB213_31 Depth=1
	s_andn2_b64 vcc, exec, s[66:67]
	s_cbranch_vccnz .LBB213_449
; %bb.448:                              ;   in Loop: Header=BB213_31 Depth=1
	v_cvt_f32_u32_e32 v4, s33
	s_sub_i32 s6, 0, s33
	v_rcp_iflag_f32_e32 v4, v4
	v_mul_f32_e32 v4, 0x4f7ffffe, v4
	v_cvt_u32_f32_e32 v4, v4
	v_mul_lo_u32 v5, s6, v4
	v_mul_hi_u32 v5, v4, v5
	v_add_u32_e32 v4, v4, v5
	v_mul_hi_u32 v4, s11, v4
	v_mul_lo_u32 v4, v4, s33
	v_sub_u32_e32 v4, s11, v4
	v_subrev_u32_e32 v5, s33, v4
	v_cmp_le_u32_e32 vcc, s33, v4
	v_cndmask_b32_e32 v4, v4, v5, vcc
	v_subrev_u32_e32 v5, s33, v4
	v_cmp_le_u32_e32 vcc, s33, v4
	v_cndmask_b32_e32 v14, v4, v5, vcc
	v_pk_mov_b32 v[4:5], v[14:15], v[14:15] op_sel:[0,1]
.LBB213_449:                            ;   in Loop: Header=BB213_31 Depth=1
	v_mov_b32_e32 v6, s7
	v_sub_co_u32_e32 v4, vcc, s11, v4
	v_subb_co_u32_e32 v5, vcc, v6, v5, vcc
	v_cmp_gt_u64_e32 vcc, v[4:5], v[0:1]
	s_mov_b64 s[80:81], 0
                                        ; implicit-def: $vgpr56
	s_and_saveexec_b64 s[66:67], vcc
	s_cbranch_execz .LBB213_458
; %bb.450:                              ;   in Loop: Header=BB213_31 Depth=1
	v_mov_b32_e32 v8, v45
	v_pk_mov_b32 v[6:7], v[0:1], v[0:1] op_sel:[0,1]
                                        ; implicit-def: $sgpr88_sgpr89
	s_branch .LBB213_452
.LBB213_451:                            ;   in Loop: Header=BB213_452 Depth=2
	s_or_b64 exec, exec, s[6:7]
	s_waitcnt lgkmcnt(0)
	s_barrier
	ds_read_b32 v9, v15 offset:3072
	v_mov_b32_e32 v14, s92
	v_add_co_u32_e64 v6, s[6:7], s33, v6
	v_addc_co_u32_e64 v7, s[6:7], v7, v14, s[6:7]
	s_waitcnt lgkmcnt(0)
	v_cmp_neq_f16_e32 vcc, 0, v9
	v_cmp_ge_u64_e64 s[6:7], v[6:7], v[4:5]
	s_or_b64 s[6:7], s[6:7], vcc
	s_and_b64 s[6:7], exec, s[6:7]
	s_or_b64 s[80:81], s[6:7], s[80:81]
	s_andn2_b64 s[6:7], s[88:89], exec
	s_and_b64 s[68:69], vcc, exec
	v_add_u32_e32 v8, s10, v8
	s_or_b64 s[88:89], s[6:7], s[68:69]
	s_barrier
	s_andn2_b64 exec, exec, s[80:81]
	s_cbranch_execz .LBB213_457
.LBB213_452:                            ;   Parent Loop BB213_31 Depth=1
                                        ; =>  This Inner Loop Header: Depth=2
	v_cmp_gt_u64_e32 vcc, s[0:1], v[6:7]
	v_mov_b32_e32 v9, 0
	s_and_saveexec_b64 s[6:7], vcc
	s_cbranch_execz .LBB213_454
; %bb.453:                              ;   in Loop: Header=BB213_452 Depth=2
	ds_read_u16 v9, v8
.LBB213_454:                            ;   in Loop: Header=BB213_452 Depth=2
	s_or_b64 exec, exec, s[6:7]
	s_and_saveexec_b64 s[6:7], vcc
	s_cbranch_execz .LBB213_451
; %bb.455:                              ;   in Loop: Header=BB213_452 Depth=2
	s_waitcnt lgkmcnt(0)
	v_cmp_lt_i16_e32 vcc, -1, v9
	v_cndmask_b32_e32 v14, v49, v50, vcc
	v_xor_b32_sdwa v14, v14, v9 dst_sel:DWORD dst_unused:UNUSED_PAD src0_sel:DWORD src1_sel:WORD_0
	v_cmp_o_f16_e32 vcc, v9, v9
	v_cndmask_b32_e32 v14, v49, v14, vcc
	v_and_b32_e32 v14, v14, v54
	v_cmp_eq_u32_e32 vcc, v14, v55
	s_and_b64 exec, exec, vcc
	s_cbranch_execz .LBB213_451
; %bb.456:                              ;   in Loop: Header=BB213_452 Depth=2
	s_movk_i32 s11, 0x3c00
	v_perm_b32 v9, v9, s11, v53
	ds_write_b32 v15, v9 offset:3072
	s_branch .LBB213_451
.LBB213_457:                            ;   in Loop: Header=BB213_31 Depth=1
	s_or_b64 exec, exec, s[80:81]
	v_lshrrev_b32_e32 v56, 16, v9
	s_and_b64 s[80:81], s[88:89], exec
.LBB213_458:                            ;   in Loop: Header=BB213_31 Depth=1
	s_or_b64 exec, exec, s[66:67]
	s_mov_b64 s[0:1], 0
	s_mov_b64 s[6:7], -1
.LBB213_459:                            ;   in Loop: Header=BB213_31 Depth=1
	s_and_b64 vcc, exec, s[0:1]
	s_mov_b64 s[66:67], s[0:1]
	s_cbranch_vccz .LBB213_475
; %bb.460:                              ;   in Loop: Header=BB213_31 Depth=1
	v_readlane_b32 s80, v59, 31
	v_readlane_b32 s81, v59, 32
	s_mov_b32 s80, s87
	s_cmp_lg_u64 s[80:81], 0
	v_writelane_b32 v59, s80, 31
	v_writelane_b32 v59, s81, 32
	s_cbranch_scc0 .LBB213_462
; %bb.461:                              ;   in Loop: Header=BB213_31 Depth=1
	v_cvt_f32_u32_e32 v4, s33
	s_sub_u32 s0, 0, s33
	s_subb_u32 s1, 0, 0
	v_mac_f32_e32 v4, 0, v51
	v_rcp_f32_e32 v4, v4
	v_mul_f32_e32 v4, 0x5f7ffffc, v4
	v_mul_f32_e32 v5, 0x2f800000, v4
	v_trunc_f32_e32 v5, v5
	v_mac_f32_e32 v4, 0xcf800000, v5
	v_cvt_u32_f32_e32 v5, v5
	v_cvt_u32_f32_e32 v4, v4
	v_readfirstlane_b32 s6, v5
	v_readfirstlane_b32 s7, v4
	s_mul_i32 s11, s0, s6
	s_mul_hi_u32 s67, s0, s7
	s_mul_i32 s66, s1, s7
	s_add_i32 s11, s67, s11
	s_mul_i32 s68, s0, s7
	s_add_i32 s11, s11, s66
	s_mul_hi_u32 s67, s7, s68
	s_mul_hi_u32 s66, s7, s11
	s_mul_i32 s7, s7, s11
	s_add_u32 s7, s67, s7
	s_addc_u32 s66, 0, s66
	s_mul_hi_u32 s69, s6, s68
	s_mul_i32 s68, s6, s68
	s_add_u32 s7, s7, s68
	s_mul_hi_u32 s67, s6, s11
	s_addc_u32 s7, s66, s69
	s_addc_u32 s66, s67, 0
	s_mul_i32 s11, s6, s11
	s_add_u32 s7, s7, s11
	s_addc_u32 s11, 0, s66
	v_add_co_u32_e32 v4, vcc, s7, v4
	s_cmp_lg_u64 vcc, 0
	s_addc_u32 s6, s6, s11
	v_readfirstlane_b32 s11, v4
	s_mul_i32 s7, s0, s6
	s_mul_hi_u32 s66, s0, s11
	s_add_i32 s7, s66, s7
	s_mul_i32 s1, s1, s11
	s_add_i32 s7, s7, s1
	s_mul_i32 s0, s0, s11
	s_mul_hi_u32 s66, s6, s0
	s_mul_i32 s67, s6, s0
	s_mul_i32 s69, s11, s7
	s_mul_hi_u32 s0, s11, s0
	s_mul_hi_u32 s68, s11, s7
	s_add_u32 s0, s0, s69
	s_addc_u32 s11, 0, s68
	s_add_u32 s0, s0, s67
	s_mul_hi_u32 s1, s6, s7
	s_addc_u32 s0, s11, s66
	s_addc_u32 s1, s1, 0
	s_mul_i32 s7, s6, s7
	s_add_u32 s0, s0, s7
	s_addc_u32 s1, 0, s1
	v_add_co_u32_e32 v4, vcc, s0, v4
	s_cmp_lg_u64 vcc, 0
	s_addc_u32 s0, s6, s1
	v_readlane_b32 s67, v59, 29
	v_readfirstlane_b32 s7, v4
	s_mul_i32 s6, s67, s0
	s_mul_hi_u32 s11, s67, s7
	s_mul_hi_u32 s1, s67, s0
	s_add_u32 s6, s11, s6
	s_addc_u32 s1, 0, s1
	s_mul_hi_u32 s66, s81, s7
	s_mul_i32 s7, s81, s7
	s_add_u32 s6, s6, s7
	s_mul_hi_u32 s11, s81, s0
	s_addc_u32 s1, s1, s66
	s_addc_u32 s6, s11, 0
	s_mul_i32 s0, s81, s0
	s_add_u32 s0, s1, s0
	s_addc_u32 s1, 0, s6
	s_mul_hi_u32 s6, s33, s0
	s_mul_i32 s0, s33, s0
	s_mul_i32 s1, s33, s1
	v_mov_b32_e32 v4, s0
	s_add_i32 s6, s6, s1
	v_sub_co_u32_e32 v4, vcc, s67, v4
	s_cmp_lg_u64 vcc, 0
	s_subb_u32 s0, s81, s6
	v_subrev_co_u32_e32 v5, vcc, s33, v4
	s_cmp_lg_u64 vcc, 0
	s_subb_u32 s1, s0, 0
	v_subrev_co_u32_e32 v6, vcc, s33, v5
	s_cmp_lg_u64 vcc, 0
	s_subb_u32 s6, s1, 0
	v_cmp_le_u32_e32 vcc, s33, v5
	s_cmp_eq_u32 s1, 0
	v_cndmask_b32_e64 v7, 0, -1, vcc
	s_cselect_b64 vcc, -1, 0
	v_cndmask_b32_e32 v7, -1, v7, vcc
	v_mov_b32_e32 v8, s1
	v_mov_b32_e32 v9, s6
	v_cmp_ne_u32_e32 vcc, 0, v7
	v_cndmask_b32_e32 v7, v8, v9, vcc
	v_cndmask_b32_e32 v6, v5, v6, vcc
	v_cmp_le_u32_e32 vcc, s33, v4
	s_cmp_eq_u32 s0, 0
	v_cndmask_b32_e64 v5, 0, -1, vcc
	s_cselect_b64 vcc, -1, 0
	v_cndmask_b32_e32 v5, -1, v5, vcc
	v_mov_b32_e32 v8, s0
	v_cmp_ne_u32_e32 vcc, 0, v5
	v_cndmask_b32_e32 v5, v8, v7, vcc
	v_cndmask_b32_e32 v4, v4, v6, vcc
	s_mov_b64 s[0:1], 0
	s_branch .LBB213_463
.LBB213_462:                            ;   in Loop: Header=BB213_31 Depth=1
	s_mov_b64 s[0:1], -1
                                        ; implicit-def: $vgpr4_vgpr5
.LBB213_463:                            ;   in Loop: Header=BB213_31 Depth=1
	s_andn2_b64 vcc, exec, s[0:1]
	s_cbranch_vccnz .LBB213_465
; %bb.464:                              ;   in Loop: Header=BB213_31 Depth=1
	v_cvt_f32_u32_e32 v4, s33
	s_sub_i32 s0, 0, s33
	v_rcp_iflag_f32_e32 v4, v4
	v_mul_f32_e32 v4, 0x4f7ffffe, v4
	v_cvt_u32_f32_e32 v4, v4
	v_mul_lo_u32 v5, s0, v4
	v_mul_hi_u32 v5, v4, v5
	v_add_u32_e32 v4, v4, v5
	v_readlane_b32 s0, v59, 29
	v_mul_hi_u32 v4, s0, v4
	v_mul_lo_u32 v4, v4, s33
	v_sub_u32_e32 v4, s0, v4
	v_subrev_u32_e32 v5, s33, v4
	v_cmp_le_u32_e32 vcc, s33, v4
	v_cndmask_b32_e32 v4, v4, v5, vcc
	v_subrev_u32_e32 v5, s33, v4
	v_cmp_le_u32_e32 vcc, s33, v4
	v_cndmask_b32_e32 v14, v4, v5, vcc
	v_pk_mov_b32 v[4:5], v[14:15], v[14:15] op_sel:[0,1]
.LBB213_465:                            ;   in Loop: Header=BB213_31 Depth=1
	v_readlane_b32 s0, v59, 31
	v_readlane_b32 s1, v59, 32
	;; [unrolled: 1-line block ×3, first 2 shown]
	v_mov_b32_e32 v6, s1
	v_sub_co_u32_e32 v4, vcc, s0, v4
	v_subb_co_u32_e32 v5, vcc, v6, v5, vcc
	v_cmp_gt_u64_e32 vcc, v[4:5], v[0:1]
	s_mov_b64 s[80:81], 0
                                        ; implicit-def: $vgpr56
	s_and_saveexec_b64 s[0:1], vcc
	s_cbranch_execz .LBB213_474
; %bb.466:                              ;   in Loop: Header=BB213_31 Depth=1
	s_mov_b64 s[66:67], 0
	v_pk_mov_b32 v[6:7], v[26:27], v[26:27] op_sel:[0,1]
	v_pk_mov_b32 v[8:9], v[0:1], v[0:1] op_sel:[0,1]
                                        ; implicit-def: $sgpr80_sgpr81
	s_branch .LBB213_468
.LBB213_467:                            ;   in Loop: Header=BB213_468 Depth=2
	s_or_b64 exec, exec, s[6:7]
	s_waitcnt lgkmcnt(0)
	s_barrier
	s_waitcnt vmcnt(0)
	ds_read_b32 v14, v15 offset:3072
	v_mov_b32_e32 v28, s92
	v_add_co_u32_e64 v8, s[6:7], s33, v8
	v_addc_co_u32_e64 v9, s[6:7], v9, v28, s[6:7]
	s_waitcnt lgkmcnt(0)
	v_cmp_neq_f16_e32 vcc, 0, v14
	v_cmp_ge_u64_e64 s[6:7], v[8:9], v[4:5]
	s_or_b64 s[68:69], s[6:7], vcc
	v_mov_b32_e32 v28, s65
	v_add_co_u32_e64 v6, s[6:7], s64, v6
	v_addc_co_u32_e64 v7, s[6:7], v7, v28, s[6:7]
	s_and_b64 s[6:7], exec, s[68:69]
	s_or_b64 s[66:67], s[6:7], s[66:67]
	s_andn2_b64 s[6:7], s[80:81], exec
	s_and_b64 s[68:69], vcc, exec
	s_or_b64 s[80:81], s[6:7], s[68:69]
	s_barrier
	s_andn2_b64 exec, exec, s[66:67]
	s_cbranch_execz .LBB213_473
.LBB213_468:                            ;   Parent Loop BB213_31 Depth=1
                                        ; =>  This Inner Loop Header: Depth=2
	v_cmp_gt_u64_e32 vcc, s[60:61], v[8:9]
	v_mov_b32_e32 v14, 0
	s_and_saveexec_b64 s[6:7], vcc
	s_cbranch_execz .LBB213_470
; %bb.469:                              ;   in Loop: Header=BB213_468 Depth=2
	global_load_ushort v14, v[6:7], off
.LBB213_470:                            ;   in Loop: Header=BB213_468 Depth=2
	s_or_b64 exec, exec, s[6:7]
	s_and_saveexec_b64 s[6:7], vcc
	s_cbranch_execz .LBB213_467
; %bb.471:                              ;   in Loop: Header=BB213_468 Depth=2
	s_waitcnt vmcnt(0)
	v_cmp_lt_i16_e32 vcc, -1, v14
	v_cndmask_b32_e32 v28, v49, v50, vcc
	v_xor_b32_sdwa v28, v28, v14 dst_sel:DWORD dst_unused:UNUSED_PAD src0_sel:DWORD src1_sel:WORD_0
	v_cmp_o_f16_e32 vcc, v14, v14
	v_cndmask_b32_e32 v28, v49, v28, vcc
	v_and_b32_e32 v28, v28, v54
	v_cmp_eq_u32_e32 vcc, v28, v55
	s_and_b64 exec, exec, vcc
	s_cbranch_execz .LBB213_467
; %bb.472:                              ;   in Loop: Header=BB213_468 Depth=2
	s_movk_i32 s11, 0x3c00
	v_perm_b32 v14, v14, s11, v53
	ds_write_b32 v15, v14 offset:3072
	s_branch .LBB213_467
.LBB213_473:                            ;   in Loop: Header=BB213_31 Depth=1
	s_or_b64 exec, exec, s[66:67]
	v_lshrrev_b32_e32 v56, 16, v14
	s_and_b64 s[80:81], s[80:81], exec
.LBB213_474:                            ;   in Loop: Header=BB213_31 Depth=1
	s_or_b64 exec, exec, s[0:1]
	s_mov_b64 s[6:7], 0
	s_mov_b64 s[0:1], -1
	s_mov_b64 s[66:67], 0
.LBB213_475:                            ;   in Loop: Header=BB213_31 Depth=1
	s_orn2_b64 s[80:81], s[80:81], exec
.LBB213_476:                            ;   in Loop: Header=BB213_31 Depth=1
	s_or_b64 exec, exec, s[54:55]
	s_mov_b64 s[88:89], 0
                                        ; implicit-def: $vgpr7
                                        ; implicit-def: $vgpr4_vgpr5
	s_and_saveexec_b64 s[54:55], s[80:81]
	s_cbranch_execz .LBB213_488
; %bb.477:                              ;   in Loop: Header=BB213_31 Depth=1
	v_mov_b32_e32 v4, 1
	s_xor_b64 s[68:69], s[52:53], -1
	v_mov_b32_e32 v7, 1
	v_mov_b32_e32 v5, 0
	s_and_saveexec_b64 s[52:53], s[68:69]
	s_cbranch_execz .LBB213_487
; %bb.478:                              ;   in Loop: Header=BB213_31 Depth=1
	v_cmp_ge_u64_e32 vcc, s[16:17], v[2:3]
                                        ; implicit-def: $sgpr11
	s_and_saveexec_b64 s[68:69], vcc
	s_xor_b64 s[80:81], exec, s[68:69]
	s_cbranch_execz .LBB213_484
; %bb.479:                              ;   in Loop: Header=BB213_31 Depth=1
	ds_read_b64 v[4:5], v15 offset:5120
	s_waitcnt lgkmcnt(0)
	v_cmp_ne_u64_e32 vcc, 0, v[4:5]
	s_cbranch_vccnz .LBB213_483
; %bb.480:                              ;   in Loop: Header=BB213_31 Depth=1
	s_mov_b64 s[88:89], exec
	v_readlane_b32 s68, v59, 10
	v_readlane_b32 s69, v59, 11
	s_and_b64 s[68:69], s[88:89], s[68:69]
	s_mov_b64 exec, s[68:69]
	s_cbranch_execz .LBB213_482
; %bb.481:                              ;   in Loop: Header=BB213_31 Depth=1
	v_pk_mov_b32 v[4:5], s[16:17], s[16:17] op_sel:[0,1]
	ds_write_b64 v15, v[4:5] offset:5128
.LBB213_482:                            ;   in Loop: Header=BB213_31 Depth=1
	s_or_b64 exec, exec, s[88:89]
	s_waitcnt lgkmcnt(0)
	s_barrier
.LBB213_483:                            ;   in Loop: Header=BB213_31 Depth=1
	v_and_b32_e32 v55, s94, v55
	v_or_b32_e32 v54, s86, v54
	s_mov_b32 s11, 5
.LBB213_484:                            ;   in Loop: Header=BB213_31 Depth=1
	s_or_saveexec_b64 s[80:81], s[80:81]
	v_mov_b32_e32 v7, s11
	s_xor_b64 exec, exec, s[80:81]
; %bb.485:                              ;   in Loop: Header=BB213_31 Depth=1
	v_mov_b32_e32 v4, s17
	v_subrev_co_u32_e32 v2, vcc, s16, v2
	v_subb_co_u32_e32 v3, vcc, v3, v4, vcc
	v_mov_b32_e32 v7, 5
; %bb.486:                              ;   in Loop: Header=BB213_31 Depth=1
	s_or_b64 exec, exec, s[80:81]
	v_pk_mov_b32 v[4:5], v[2:3], v[2:3] op_sel:[0,1]
.LBB213_487:                            ;   in Loop: Header=BB213_31 Depth=1
	s_or_b64 exec, exec, s[52:53]
	s_mov_b64 s[88:89], exec
.LBB213_488:                            ;   in Loop: Header=BB213_31 Depth=1
	s_or_b64 exec, exec, s[54:55]
	s_orn2_b64 s[52:53], s[88:89], exec
	v_pk_mov_b32 v[2:3], v[4:5], v[4:5] op_sel:[0,1]
.LBB213_489:                            ;   in Loop: Header=BB213_31 Depth=1
	s_or_b64 exec, exec, s[18:19]
	s_andn2_b64 s[2:3], s[2:3], exec
	s_and_b64 s[0:1], s[0:1], exec
	s_or_b64 s[2:3], s[2:3], s[0:1]
	s_andn2_b64 s[0:1], s[46:47], exec
	s_and_b64 s[6:7], s[6:7], exec
	s_or_b64 s[46:47], s[0:1], s[6:7]
	;; [unrolled: 3-line block ×3, first 2 shown]
	s_and_b64 s[0:1], s[52:53], exec
	v_pk_mov_b32 v[4:5], v[2:3], v[2:3] op_sel:[0,1]
.LBB213_490:                            ;   in Loop: Header=BB213_31 Depth=1
	s_or_b64 exec, exec, s[50:51]
	s_and_b64 s[50:51], s[2:3], exec
	s_and_b64 s[6:7], s[46:47], exec
	;; [unrolled: 1-line block ×3, first 2 shown]
	s_orn2_b64 s[0:1], s[0:1], exec
.LBB213_491:                            ;   in Loop: Header=BB213_31 Depth=1
	s_or_b64 exec, exec, s[22:23]
	s_andn2_b64 s[16:17], s[36:37], exec
	s_and_b64 s[18:19], s[50:51], exec
	s_or_b64 s[36:37], s[16:17], s[18:19]
	s_andn2_b64 s[16:17], s[40:41], exec
	s_and_b64 s[6:7], s[6:7], exec
	s_or_b64 s[40:41], s[16:17], s[6:7]
	;; [unrolled: 3-line block ×3, first 2 shown]
	s_and_b64 s[6:7], s[0:1], exec
	v_pk_mov_b32 v[2:3], v[4:5], v[4:5] op_sel:[0,1]
.LBB213_492:                            ;   in Loop: Header=BB213_31 Depth=1
	s_or_b64 exec, exec, s[44:45]
	s_and_b64 s[36:37], s[36:37], exec
	s_and_b64 s[2:3], s[40:41], exec
	;; [unrolled: 1-line block ×3, first 2 shown]
	s_orn2_b64 s[40:41], s[6:7], exec
.LBB213_493:                            ;   in Loop: Header=BB213_31 Depth=1
	s_or_b64 exec, exec, s[24:25]
	s_mov_b64 s[6:7], s[28:29]
	s_mov_b64 s[16:17], s[26:27]
	s_and_saveexec_b64 s[18:19], s[40:41]
; %bb.494:                              ;   in Loop: Header=BB213_31 Depth=1
	v_cmp_ne_u32_e64 s[6:7], 5, v7
	v_cmp_eq_u32_e32 vcc, 5, v7
	s_andn2_b64 s[16:17], s[26:27], exec
	s_and_b64 s[6:7], s[6:7], exec
	s_or_b64 s[16:17], s[16:17], s[6:7]
	s_andn2_b64 s[6:7], s[28:29], exec
	s_and_b64 s[22:23], vcc, exec
	s_andn2_b64 s[36:37], s[36:37], exec
	s_andn2_b64 s[2:3], s[2:3], exec
	;; [unrolled: 1-line block ×3, first 2 shown]
	s_or_b64 s[6:7], s[6:7], s[22:23]
; %bb.495:                              ;   in Loop: Header=BB213_31 Depth=1
	s_or_b64 exec, exec, s[18:19]
	s_andn2_b64 s[14:15], s[14:15], exec
	s_and_b64 s[18:19], s[36:37], exec
	s_or_b64 s[14:15], s[14:15], s[18:19]
	s_andn2_b64 s[18:19], s[38:39], exec
	s_and_b64 s[2:3], s[2:3], exec
	s_or_b64 s[38:39], s[18:19], s[2:3]
	;; [unrolled: 3-line block ×5, first 2 shown]
	v_mov_b32_e32 v30, v55
	v_mov_b32_e32 v31, v54
	;; [unrolled: 1-line block ×3, first 2 shown]
.LBB213_496:                            ;   in Loop: Header=BB213_31 Depth=1
	s_or_b64 exec, exec, s[34:35]
	s_mov_b64 s[36:37], s[20:21]
	s_mov_b64 s[34:35], s[20:21]
	s_and_saveexec_b64 s[0:1], s[28:29]
.LBB213_497:                            ;   in Loop: Header=BB213_31 Depth=1
	v_mov_b32_e32 v7, 0
	s_andn2_b64 s[20:21], s[20:21], exec
	s_andn2_b64 s[14:15], s[14:15], exec
	;; [unrolled: 1-line block ×5, first 2 shown]
	s_or_b64 s[26:27], s[26:27], exec
.LBB213_498:                            ;   in Loop: Header=BB213_31 Depth=1
	s_or_b64 exec, exec, s[0:1]
	s_andn2_b64 s[0:1], s[4:5], exec
	s_and_b64 s[4:5], s[20:21], exec
	s_or_b64 s[4:5], s[0:1], s[4:5]
	v_readlane_b32 s0, v59, 60
	v_readlane_b32 s1, v59, 61
	s_andn2_b64 s[0:1], s[0:1], exec
	s_and_b64 s[6:7], s[14:15], exec
	s_or_b64 s[16:17], s[0:1], s[6:7]
	v_readlane_b32 s0, v59, 58
	v_readlane_b32 s1, v59, 59
	;; [unrolled: 5-line block ×4, first 2 shown]
	s_andn2_b64 s[0:1], s[0:1], exec
	s_and_b64 s[6:7], s[34:35], exec
	s_mov_b64 s[2:3], -1
	s_mov_b64 s[34:35], s[16:17]
	s_or_b64 s[24:25], s[0:1], s[6:7]
                                        ; implicit-def: $vgpr54
                                        ; implicit-def: $vgpr55
                                        ; implicit-def: $vgpr28_vgpr29
                                        ; implicit-def: $vgpr56
	s_and_saveexec_b64 s[0:1], s[26:27]
	s_mov_b64 s[26:27], s[14:15]
	s_xor_b64 s[0:1], exec, s[0:1]
	s_cbranch_execz .LBB213_30
; %bb.499:                              ;   in Loop: Header=BB213_31 Depth=1
	v_cmp_eq_u32_e32 vcc, 0, v7
	s_mov_b64 s[6:7], -1
	s_and_saveexec_b64 s[14:15], vcc
	s_cbranch_execz .LBB213_29
; %bb.500:                              ;   in Loop: Header=BB213_31 Depth=1
	v_readlane_b32 s2, v59, 51
	s_xor_b32 s2, s2, 1
	v_writelane_b32 v59, s2, 51
	v_readlane_b32 s2, v59, 50
	s_add_i32 s11, s2, -2
	s_cmp_eq_u32 s2, 0
	s_cselect_b64 s[2:3], -1, 0
	s_xor_b64 s[6:7], exec, -1
	s_orn2_b64 s[2:3], s[2:3], exec
	v_writelane_b32 v59, s11, 50
	s_branch .LBB213_29
.LBB213_501:
	s_or_b64 exec, exec, s[70:71]
	s_xor_b64 s[2:3], s[8:9], -1
	s_xor_b64 s[6:7], s[30:31], -1
	;; [unrolled: 1-line block ×5, first 2 shown]
	s_mov_b64 s[4:5], 0
	s_and_saveexec_b64 s[12:13], s[8:9]
	s_xor_b64 s[8:9], exec, s[12:13]
	s_cbranch_execnz .LBB213_506
; %bb.502:
	s_andn2_saveexec_b64 s[0:1], s[8:9]
	s_cbranch_execnz .LBB213_525
.LBB213_503:
	s_or_b64 exec, exec, s[0:1]
	s_and_saveexec_b64 s[0:1], s[4:5]
.LBB213_504:
	; divergent unreachable
.LBB213_505:
	s_endpgm
.LBB213_506:
	s_and_saveexec_b64 s[12:13], s[10:11]
	s_xor_b64 s[10:11], exec, s[12:13]
	s_cbranch_execz .LBB213_523
; %bb.507:
	s_and_saveexec_b64 s[12:13], s[6:7]
	s_xor_b64 s[12:13], exec, s[12:13]
	s_cbranch_execz .LBB213_521
; %bb.508:
	;; [unrolled: 4-line block ×3, first 2 shown]
	s_and_saveexec_b64 s[2:3], s[0:1]
	s_xor_b64 s[0:1], exec, s[2:3]
; %bb.510:
	v_and_b32_e32 v2, 0x8000, v30
	v_mov_b32_e32 v3, 0x8000
	v_mov_b32_e32 v4, 0xffff
	v_cmp_eq_u32_e32 vcc, 0, v2
	v_cndmask_b32_e32 v2, v3, v4, vcc
	v_xor_b32_e32 v6, v2, v30
; %bb.511:
	s_or_b64 exec, exec, s[0:1]
	s_mov_b64 s[0:1], exec
	v_readlane_b32 s2, v59, 10
	v_readlane_b32 s3, v59, 11
	;; [unrolled: 1-line block ×3, first 2 shown]
	s_and_b64 s[2:3], s[0:1], s[2:3]
	v_readlane_b32 s43, v59, 15
	s_mov_b64 exec, s[2:3]
	s_cbranch_execz .LBB213_513
; %bb.512:
	v_mov_b32_e32 v2, 0
	v_mov_b32_e32 v3, v2
	ds_write_b64 v2, v[2:3] offset:5136
.LBB213_513:
	s_or_b64 exec, exec, s[0:1]
	v_mov_b32_e32 v21, 0
	s_waitcnt lgkmcnt(0)
	s_barrier
	s_mov_b64 s[0:1], exec
	v_readlane_b32 s2, v59, 22
	v_readlane_b32 s3, v59, 23
	s_and_b64 s[2:3], s[0:1], s[2:3]
	s_mov_b64 exec, s[2:3]
	s_cbranch_execz .LBB213_515
; %bb.514:
	global_load_ushort v21, v[12:13], off
.LBB213_515:
	s_or_b64 exec, exec, s[0:1]
	v_readlane_b32 s2, v59, 2
	s_add_u32 s0, s60, 63
	v_readlane_b32 s3, v59, 3
	v_readlane_b32 s4, v59, 0
	s_addc_u32 s17, s61, 0
	s_and_b32 s16, s0, 0xffffffc0
	v_readlane_b32 s5, v59, 1
	s_mul_i32 s0, s4, s3
	s_mul_hi_u32 s1, s4, s2
	s_add_i32 s0, s1, s0
	s_mul_i32 s1, s5, s2
	s_add_i32 s1, s0, s1
	s_mul_i32 s0, s4, s2
	v_readlane_b32 s4, v59, 6
	v_readlane_b32 s5, v59, 7
	s_mul_i32 s2, s4, s79
	s_mul_hi_u32 s3, s4, s78
	s_add_i32 s2, s3, s2
	s_mul_i32 s3, s5, s78
	s_add_i32 s3, s2, s3
	s_mul_i32 s2, s4, s78
	s_lshl_b64 s[0:1], s[0:1], 1
	v_readlane_b32 s4, v59, 4
	v_readlane_b32 s5, v59, 5
	s_add_u32 s4, s4, s0
	s_addc_u32 s5, s5, s1
	s_lshl_b64 s[0:1], s[56:57], 1
	s_add_u32 s36, s4, s0
	s_addc_u32 s37, s5, s1
	s_lshl_b64 s[0:1], s[2:3], 3
	v_readlane_b32 s2, v59, 8
	v_readlane_b32 s3, v59, 9
	s_add_u32 s2, s2, s0
	s_addc_u32 s3, s3, s1
	s_lshl_b64 s[0:1], s[74:75], 3
	s_add_u32 s38, s2, s0
	s_addc_u32 s39, s3, s1
	v_readlane_b32 s0, v59, 12
	v_readlane_b32 s1, v59, 13
	s_load_dwordx2 s[18:19], s[0:1], 0x368
	s_load_dwordx2 s[20:21], s[0:1], 0x510
	v_mov_b32_e32 v19, 0xffff
	v_mov_b32_e32 v20, 0x8000
	v_cmp_lt_i16_e32 vcc, -1, v6
	v_cndmask_b32_e32 v2, v19, v20, vcc
	v_xor_b32_sdwa v2, v2, v6 dst_sel:DWORD dst_unused:UNUSED_PAD src0_sel:DWORD src1_sel:WORD_0
	v_cmp_o_f16_e32 vcc, v6, v6
	v_cndmask_b32_e32 v18, v19, v2, vcc
	v_cmp_gt_u64_e32 vcc, s[16:17], v[0:1]
	s_mov_b64 s[6:7], -1
	s_mov_b64 s[2:3], 0
	s_mov_b64 s[0:1], 0
	s_and_saveexec_b64 s[22:23], vcc
	s_cbranch_execnz .LBB213_526
; %bb.516:
	s_or_b64 exec, exec, s[22:23]
	s_and_saveexec_b64 s[4:5], s[6:7]
	s_cbranch_execnz .LBB213_543
.LBB213_517:
	s_or_b64 exec, exec, s[4:5]
	s_and_saveexec_b64 s[4:5], s[0:1]
	s_xor_b64 s[0:1], exec, s[4:5]
	s_cbranch_execnz .LBB213_566
.LBB213_518:
	s_or_b64 exec, exec, s[0:1]
	s_and_b64 s[4:5], s[2:3], exec
.LBB213_519:
	s_andn2_saveexec_b64 s[0:1], s[14:15]
	s_cbranch_execnz .LBB213_568
.LBB213_520:
	s_or_b64 exec, exec, s[0:1]
	s_and_b64 s[4:5], s[4:5], exec
.LBB213_521:
	s_andn2_saveexec_b64 s[0:1], s[12:13]
	s_cbranch_execnz .LBB213_567
.LBB213_522:
	s_or_b64 exec, exec, s[0:1]
	s_and_b64 s[4:5], s[4:5], exec
.LBB213_523:
	s_andn2_saveexec_b64 s[0:1], s[10:11]
	s_cbranch_execnz .LBB213_562
.LBB213_524:
	s_or_b64 exec, exec, s[0:1]
	s_and_b64 s[4:5], s[4:5], exec
	s_andn2_saveexec_b64 s[0:1], s[8:9]
	s_cbranch_execz .LBB213_503
.LBB213_525:
	s_or_b64 s[4:5], s[4:5], exec
	s_trap 2
	s_or_b64 exec, exec, s[0:1]
	s_and_saveexec_b64 s[0:1], s[4:5]
	s_cbranch_execnz .LBB213_504
	s_branch .LBB213_505
.LBB213_526:
	v_add_u32_e32 v5, s33, v0
	v_mad_u64_u32 v[2:3], s[0:1], s58, v5, 0
	v_mov_b32_e32 v4, v3
	v_mad_u64_u32 v[4:5], s[0:1], s59, v5, v[4:5]
	v_readlane_b32 s0, v59, 46
	v_readlane_b32 s1, v59, 47
	s_add_u32 s0, s0, s72
	s_addc_u32 s1, s1, s73
	v_readlane_b32 s4, v59, 48
	v_mov_b32_e32 v3, v4
	v_readlane_b32 s5, v59, 49
	s_add_u32 s0, s0, s4
	v_lshlrev_b64 v[2:3], 1, v[2:3]
	s_addc_u32 s1, s1, s5
	v_mov_b32_e32 v4, s1
	v_add_co_u32_e64 v2, s[4:5], s0, v2
	v_addc_co_u32_e64 v3, s[4:5], v4, v3, s[4:5]
	s_mov_b64 s[0:1], 0
	v_mov_b32_e32 v22, s92
	v_mov_b32_e32 v5, 0
	v_pk_mov_b32 v[14:15], v[0:1], v[0:1] op_sel:[0,1]
                                        ; implicit-def: $sgpr24_sgpr25
                                        ; implicit-def: $vgpr8_vgpr9
	s_branch .LBB213_528
.LBB213_527:                            ;   in Loop: Header=BB213_528 Depth=1
	s_or_b64 exec, exec, s[26:27]
	s_xor_b64 s[4:5], s[30:31], -1
	s_and_b64 s[6:7], exec, s[6:7]
	s_or_b64 s[0:1], s[6:7], s[0:1]
	s_andn2_b64 s[6:7], s[24:25], exec
	s_and_b64 s[4:5], s[4:5], exec
	s_or_b64 s[24:25], s[6:7], s[4:5]
	v_pk_mov_b32 v[14:15], v[6:7], v[6:7] op_sel:[0,1]
	s_waitcnt vmcnt(0)
	v_mov_b32_e32 v21, v23
	s_andn2_b64 exec, exec, s[0:1]
	s_cbranch_execz .LBB213_542
.LBB213_528:                            ; =>This Inner Loop Header: Depth=1
	v_add_co_u32_e64 v6, s[4:5], s33, v14
	v_addc_co_u32_e64 v7, s[4:5], v15, v22, s[4:5]
	v_cmp_gt_u64_e64 s[4:5], s[60:61], v[6:7]
	v_mov_b32_e32 v23, 0
	s_and_saveexec_b64 s[6:7], s[4:5]
	s_cbranch_execz .LBB213_530
; %bb.529:                              ;   in Loop: Header=BB213_528 Depth=1
	global_load_ushort v23, v[2:3], off
.LBB213_530:                            ;   in Loop: Header=BB213_528 Depth=1
	s_or_b64 exec, exec, s[6:7]
	v_cmp_gt_u64_e64 s[4:5], s[60:61], v[14:15]
	s_mov_b64 s[26:27], 0
	s_and_saveexec_b64 s[6:7], s[4:5]
	s_cbranch_execz .LBB213_532
; %bb.531:                              ;   in Loop: Header=BB213_528 Depth=1
	s_waitcnt vmcnt(0)
	v_cmp_lt_i16_e64 s[4:5], -1, v21
	v_cndmask_b32_e64 v4, v19, v20, s[4:5]
	v_xor_b32_sdwa v4, v4, v21 dst_sel:DWORD dst_unused:UNUSED_PAD src0_sel:DWORD src1_sel:WORD_0
	v_cmp_o_f16_e64 s[4:5], v21, v21
	v_cndmask_b32_e64 v4, v19, v4, s[4:5]
	v_cmp_gt_u32_e64 s[4:5], v4, v18
	v_cndmask_b32_e64 v16, 0, 1, s[4:5]
	v_cmp_lt_u32_e64 s[4:5], v4, v18
	v_cndmask_b32_e64 v4, 0, 1, s[4:5]
	v_cndmask_b32_e64 v4, v4, v16, s[42:43]
	v_and_b32_e32 v4, 1, v4
	v_cmp_eq_u32_e64 s[4:5], 1, v4
	s_and_b64 s[26:27], s[4:5], exec
.LBB213_532:                            ;   in Loop: Header=BB213_528 Depth=1
	s_or_b64 exec, exec, s[6:7]
	v_cndmask_b32_e64 v4, 0, 1, s[26:27]
	v_cmp_ne_u32_e64 s[4:5], 0, v4
	s_cmp_lg_u64 s[4:5], 0
	s_cselect_b64 s[6:7], -1, 0
	s_and_b64 s[6:7], s[90:91], s[6:7]
	s_and_saveexec_b64 s[28:29], s[6:7]
	s_cbranch_execz .LBB213_536
; %bb.533:                              ;   in Loop: Header=BB213_528 Depth=1
	s_mov_b64 s[34:35], exec
	v_mbcnt_lo_u32_b32 v4, s34, 0
	v_mbcnt_hi_u32_b32 v16, s35, v4
	s_bcnt1_i32_b64 s40, s[4:5]
	v_cmp_eq_u32_e64 s[6:7], 0, v16
                                        ; implicit-def: $vgpr8_vgpr9
	s_and_saveexec_b64 s[30:31], s[6:7]
	s_cbranch_execz .LBB213_535
; %bb.534:                              ;   in Loop: Header=BB213_528 Depth=1
	s_bcnt1_i32_b64 s6, s[34:35]
	s_mul_i32 s6, s40, s6
	v_mov_b32_e32 v4, s6
	s_waitcnt lgkmcnt(0)
	ds_add_rtn_u64 v[8:9], v5, v[4:5] offset:5136
.LBB213_535:                            ;   in Loop: Header=BB213_528 Depth=1
	s_or_b64 exec, exec, s[30:31]
	s_waitcnt lgkmcnt(0)
	v_readfirstlane_b32 s6, v9
	v_readfirstlane_b32 s7, v8
	v_mov_b32_e32 v8, s7
	v_mov_b32_e32 v9, s6
	v_mad_u64_u32 v[8:9], s[6:7], s40, v16, v[8:9]
.LBB213_536:                            ;   in Loop: Header=BB213_528 Depth=1
	s_or_b64 exec, exec, s[28:29]
	s_waitcnt lgkmcnt(0)
	ds_bpermute_b32 v8, v42, v8
	ds_bpermute_b32 v9, v42, v9
	s_mov_b64 s[6:7], -1
	s_mov_b64 s[34:35], -1
                                        ; implicit-def: $sgpr30_sgpr31
	s_and_saveexec_b64 s[28:29], s[26:27]
	s_cbranch_execz .LBB213_540
; %bb.537:                              ;   in Loop: Header=BB213_528 Depth=1
	v_and_b32_e32 v16, s4, v10
	v_and_b32_e32 v4, s5, v11
	v_bcnt_u32_b32 v16, v16, 0
	v_bcnt_u32_b32 v4, v4, v16
	s_waitcnt lgkmcnt(0)
	v_add_co_u32_e64 v16, s[4:5], v8, v4
	v_addc_co_u32_e64 v17, s[4:5], 0, v9, s[4:5]
	v_cmp_gt_u64_e64 s[4:5], s[62:63], v[16:17]
	s_mov_b64 s[26:27], 0
	s_and_saveexec_b64 s[30:31], s[4:5]
	s_cbranch_execz .LBB213_539
; %bb.538:                              ;   in Loop: Header=BB213_528 Depth=1
	v_mul_lo_u32 v4, v17, s18
	v_mul_lo_u32 v26, v16, s19
	v_mad_u64_u32 v[24:25], s[4:5], v16, s18, 0
	v_add3_u32 v25, v25, v26, v4
	v_mul_lo_u32 v4, v17, s20
	v_mul_lo_u32 v26, v16, s21
	v_mad_u64_u32 v[16:17], s[4:5], v16, s20, 0
	v_lshlrev_b64 v[24:25], 1, v[24:25]
	v_add3_u32 v17, v17, v26, v4
	v_mov_b32_e32 v4, s37
	v_add_co_u32_e64 v24, s[4:5], s36, v24
	v_addc_co_u32_e64 v25, s[4:5], v4, v25, s[4:5]
	v_lshlrev_b64 v[16:17], 3, v[16:17]
	v_mov_b32_e32 v4, s39
	v_add_co_u32_e64 v16, s[4:5], s38, v16
	s_mov_b64 s[26:27], exec
	v_addc_co_u32_e64 v17, s[4:5], v4, v17, s[4:5]
	s_waitcnt vmcnt(0)
	global_store_short v[24:25], v21, off
	global_store_dwordx2 v[16:17], v[14:15], off
.LBB213_539:                            ;   in Loop: Header=BB213_528 Depth=1
	s_or_b64 exec, exec, s[30:31]
	s_mov_b64 s[30:31], -1
	s_orn2_b64 s[34:35], s[26:27], exec
.LBB213_540:                            ;   in Loop: Header=BB213_528 Depth=1
	s_or_b64 exec, exec, s[28:29]
	s_and_saveexec_b64 s[26:27], s[34:35]
	s_cbranch_execz .LBB213_527
; %bb.541:                              ;   in Loop: Header=BB213_528 Depth=1
	v_mov_b32_e32 v4, s65
	v_add_co_u32_e64 v2, s[4:5], s64, v2
	v_addc_co_u32_e64 v3, s[4:5], v3, v4, s[4:5]
	v_cmp_le_u64_e64 s[4:5], s[16:17], v[6:7]
	s_andn2_b64 s[30:31], s[30:31], exec
	s_orn2_b64 s[6:7], s[4:5], exec
	s_branch .LBB213_527
.LBB213_542:
	s_or_b64 exec, exec, s[0:1]
	s_mov_b64 s[0:1], exec
	s_orn2_b64 s[6:7], s[24:25], exec
	s_or_b64 exec, exec, s[22:23]
	s_and_saveexec_b64 s[4:5], s[6:7]
	s_cbranch_execz .LBB213_517
.LBB213_543:
	v_mov_b32_e32 v17, 0
	s_waitcnt lgkmcnt(0)
	s_barrier
	s_mov_b64 s[2:3], exec
	v_readlane_b32 s6, v59, 22
	v_readlane_b32 s7, v59, 23
	s_and_b64 s[6:7], s[2:3], s[6:7]
	s_mov_b64 exec, s[6:7]
	s_cbranch_execz .LBB213_545
; %bb.544:
	global_load_ushort v17, v[12:13], off
.LBB213_545:
	s_or_b64 exec, exec, s[2:3]
	s_mov_b64 s[2:3], 0
	s_and_saveexec_b64 s[6:7], vcc
	s_cbranch_execz .LBB213_565
; %bb.546:
	v_add_u32_e32 v5, s33, v0
	v_mad_u64_u32 v[2:3], s[2:3], s58, v5, 0
	v_mov_b32_e32 v4, v3
	v_mad_u64_u32 v[4:5], s[2:3], s59, v5, v[4:5]
	v_readlane_b32 s2, v59, 46
	v_readlane_b32 s3, v59, 47
	s_add_u32 s2, s2, s72
	s_addc_u32 s3, s3, s73
	v_readlane_b32 s22, v59, 48
	v_mov_b32_e32 v3, v4
	v_readlane_b32 s23, v59, 49
	s_add_u32 s2, s2, s22
	v_lshlrev_b64 v[2:3], 1, v[2:3]
	s_addc_u32 s3, s3, s23
	v_mov_b32_e32 v4, s3
	v_add_co_u32_e32 v2, vcc, s2, v2
	v_addc_co_u32_e32 v3, vcc, v4, v3, vcc
	s_mov_b64 s[22:23], 0
	v_mov_b32_e32 v14, s92
	v_mov_b32_e32 v15, 0xffff
	;; [unrolled: 1-line block ×4, first 2 shown]
                                        ; implicit-def: $sgpr24_sgpr25
                                        ; implicit-def: $vgpr6_vgpr7
	s_branch .LBB213_549
.LBB213_547:                            ;   in Loop: Header=BB213_549 Depth=1
	s_or_b64 exec, exec, s[28:29]
	s_orn2_b64 s[30:31], s[30:31], exec
	s_orn2_b64 s[28:29], s[26:27], exec
	v_mov_b32_e32 v17, v19
	v_pk_mov_b32 v[0:1], v[8:9], v[8:9] op_sel:[0,1]
.LBB213_548:                            ;   in Loop: Header=BB213_549 Depth=1
	s_or_b64 exec, exec, s[2:3]
	s_xor_b64 s[2:3], s[30:31], -1
	s_and_b64 s[26:27], exec, s[28:29]
	s_or_b64 s[22:23], s[26:27], s[22:23]
	s_andn2_b64 s[24:25], s[24:25], exec
	s_and_b64 s[2:3], s[2:3], exec
	s_or_b64 s[24:25], s[24:25], s[2:3]
	s_andn2_b64 exec, exec, s[22:23]
	s_cbranch_execz .LBB213_563
.LBB213_549:                            ; =>This Inner Loop Header: Depth=1
	v_add_co_u32_e32 v8, vcc, s33, v0
	v_addc_co_u32_e32 v9, vcc, v1, v14, vcc
	v_cmp_gt_u64_e32 vcc, s[60:61], v[8:9]
	v_mov_b32_e32 v19, 0
	s_and_saveexec_b64 s[2:3], vcc
	s_cbranch_execz .LBB213_551
; %bb.550:                              ;   in Loop: Header=BB213_549 Depth=1
	global_load_ushort v19, v[2:3], off
.LBB213_551:                            ;   in Loop: Header=BB213_549 Depth=1
	s_or_b64 exec, exec, s[2:3]
	s_waitcnt vmcnt(0)
	v_cmp_lt_i16_e64 s[2:3], -1, v17
	v_cndmask_b32_e64 v4, v15, v16, s[2:3]
	v_xor_b32_sdwa v4, v4, v17 dst_sel:DWORD dst_unused:UNUSED_PAD src0_sel:DWORD src1_sel:WORD_0
	v_cmp_o_f16_e64 s[2:3], v17, v17
	v_cndmask_b32_e64 v4, v15, v4, s[2:3]
	v_cmp_gt_u64_e32 vcc, s[60:61], v[0:1]
	v_cmp_eq_u32_e64 s[2:3], v4, v18
	s_and_b64 s[26:27], vcc, s[2:3]
	v_cndmask_b32_e64 v4, 0, 1, s[26:27]
	v_cmp_ne_u32_e32 vcc, 0, v4
	s_cmp_lg_u64 vcc, 0
	s_cselect_b64 s[2:3], -1, 0
	s_and_b64 s[2:3], s[90:91], s[2:3]
	s_and_saveexec_b64 s[28:29], s[2:3]
	s_cbranch_execz .LBB213_555
; %bb.552:                              ;   in Loop: Header=BB213_549 Depth=1
	s_mov_b64 s[34:35], exec
	v_mbcnt_lo_u32_b32 v4, s34, 0
	v_mbcnt_hi_u32_b32 v12, s35, v4
	s_bcnt1_i32_b64 s40, vcc
	v_cmp_eq_u32_e64 s[2:3], 0, v12
                                        ; implicit-def: $vgpr6_vgpr7
	s_and_saveexec_b64 s[30:31], s[2:3]
	s_cbranch_execz .LBB213_554
; %bb.553:                              ;   in Loop: Header=BB213_549 Depth=1
	s_bcnt1_i32_b64 s2, s[34:35]
	s_mul_i32 s2, s40, s2
	v_mov_b32_e32 v4, s2
	ds_add_rtn_u64 v[6:7], v5, v[4:5] offset:5136
.LBB213_554:                            ;   in Loop: Header=BB213_549 Depth=1
	s_or_b64 exec, exec, s[30:31]
	s_waitcnt lgkmcnt(0)
	v_readfirstlane_b32 s2, v7
	v_readfirstlane_b32 s3, v6
	v_mov_b32_e32 v6, s3
	v_mov_b32_e32 v7, s2
	v_mad_u64_u32 v[6:7], s[2:3], s40, v12, v[6:7]
.LBB213_555:                            ;   in Loop: Header=BB213_549 Depth=1
	s_or_b64 exec, exec, s[28:29]
	ds_bpermute_b32 v6, v42, v6
	ds_bpermute_b32 v7, v42, v7
	s_cmp_eq_u64 vcc, 0
	s_cselect_b64 s[30:31], -1, 0
	s_mov_b64 s[28:29], -1
	s_waitcnt lgkmcnt(0)
	v_cmp_gt_u64_e64 s[2:3], s[62:63], v[6:7]
	s_or_b64 s[34:35], s[30:31], s[2:3]
	s_mov_b64 s[30:31], -1
	s_and_saveexec_b64 s[2:3], s[34:35]
	s_cbranch_execz .LBB213_548
; %bb.556:                              ;   in Loop: Header=BB213_549 Depth=1
	v_and_b32_e32 v12, vcc_lo, v10
	v_and_b32_e32 v4, vcc_hi, v11
	v_bcnt_u32_b32 v12, v12, 0
	v_bcnt_u32_b32 v4, v4, v12
	v_mov_b32_e32 v13, s63
	v_sub_co_u32_e32 v12, vcc, s62, v6
	v_subb_co_u32_e32 v13, vcc, v13, v7, vcc
	v_cmp_gt_u64_e32 vcc, v[12:13], v[4:5]
	s_and_b64 s[40:41], s[26:27], vcc
	s_mov_b64 s[26:27], -1
	s_mov_b64 s[34:35], -1
	s_and_saveexec_b64 s[28:29], s[40:41]
	s_cbranch_execz .LBB213_560
; %bb.557:                              ;   in Loop: Header=BB213_549 Depth=1
	v_add_co_u32_e32 v12, vcc, v6, v4
	v_addc_co_u32_e32 v13, vcc, 0, v7, vcc
	v_cmp_gt_u64_e32 vcc, s[62:63], v[12:13]
	s_mov_b64 s[34:35], 0
	s_and_saveexec_b64 s[30:31], vcc
	s_cbranch_execz .LBB213_559
; %bb.558:                              ;   in Loop: Header=BB213_549 Depth=1
	v_mul_lo_u32 v4, v13, s18
	v_mul_lo_u32 v22, v12, s19
	v_mad_u64_u32 v[20:21], s[40:41], v12, s18, 0
	v_add3_u32 v21, v21, v22, v4
	v_mul_lo_u32 v4, v13, s20
	v_mul_lo_u32 v22, v12, s21
	v_mad_u64_u32 v[12:13], s[40:41], v12, s20, 0
	v_lshlrev_b64 v[20:21], 1, v[20:21]
	v_add3_u32 v13, v13, v22, v4
	v_mov_b32_e32 v4, s37
	v_add_co_u32_e32 v20, vcc, s36, v20
	v_addc_co_u32_e32 v21, vcc, v4, v21, vcc
	v_lshlrev_b64 v[12:13], 3, v[12:13]
	v_mov_b32_e32 v4, s39
	v_add_co_u32_e32 v12, vcc, s38, v12
	s_mov_b64 s[34:35], exec
	v_addc_co_u32_e32 v13, vcc, v4, v13, vcc
	global_store_short v[20:21], v17, off
	global_store_dwordx2 v[12:13], v[0:1], off
.LBB213_559:                            ;   in Loop: Header=BB213_549 Depth=1
	s_or_b64 exec, exec, s[30:31]
	s_xor_b64 s[30:31], exec, -1
	s_orn2_b64 s[34:35], s[34:35], exec
.LBB213_560:                            ;   in Loop: Header=BB213_549 Depth=1
	s_or_b64 exec, exec, s[28:29]
	s_and_saveexec_b64 s[28:29], s[34:35]
	s_cbranch_execz .LBB213_547
; %bb.561:                              ;   in Loop: Header=BB213_549 Depth=1
	v_mov_b32_e32 v0, s65
	v_add_co_u32_e32 v2, vcc, s64, v2
	v_addc_co_u32_e32 v3, vcc, v3, v0, vcc
	v_cmp_le_u64_e32 vcc, s[16:17], v[8:9]
	s_or_b64 s[30:31], s[30:31], exec
	s_orn2_b64 s[26:27], vcc, exec
	s_branch .LBB213_547
.LBB213_562:
	s_or_b64 s[4:5], s[4:5], exec
	s_trap 2
	s_branch .LBB213_524
.LBB213_563:
	s_or_b64 exec, exec, s[22:23]
	s_mov_b64 s[2:3], 0
	s_and_saveexec_b64 s[16:17], s[24:25]
	s_xor_b64 s[16:17], exec, s[16:17]
	s_cbranch_execnz .LBB213_569
.LBB213_564:
	s_or_b64 exec, exec, s[16:17]
	s_and_b64 s[2:3], s[2:3], exec
.LBB213_565:
	s_or_b64 exec, exec, s[6:7]
	s_and_b64 s[2:3], s[2:3], exec
	s_andn2_b64 s[0:1], s[0:1], exec
	s_or_b64 exec, exec, s[4:5]
	s_and_saveexec_b64 s[4:5], s[0:1]
	s_xor_b64 s[0:1], exec, s[4:5]
	s_cbranch_execz .LBB213_518
.LBB213_566:
	s_trap 2
	s_or_b64 s[2:3], s[2:3], exec
	s_branch .LBB213_518
.LBB213_567:
	s_or_b64 s[4:5], s[4:5], exec
	s_trap 2
	s_branch .LBB213_522
.LBB213_568:
	s_trap 2
	s_or_b64 s[4:5], s[4:5], exec
	s_branch .LBB213_520
.LBB213_569:
	s_mov_b64 s[2:3], exec
	s_trap 2
	s_branch .LBB213_564
	.section	.rodata,"a",@progbits
	.p2align	6, 0x0
	.amdhsa_kernel _ZN2at6native6sbtopk10gatherTopKIN3c104HalfEmLin1ELb0EEEvNS_4cuda6detail10TensorInfoIKT_T0_EESA_SA_bSA_SA_NS7_IS8_SA_EESA_NS7_IlSA_EESA_PS8_
		.amdhsa_group_segment_fixed_size 5152
		.amdhsa_private_segment_fixed_size 0
		.amdhsa_kernarg_size 1568
		.amdhsa_user_sgpr_count 6
		.amdhsa_user_sgpr_private_segment_buffer 1
		.amdhsa_user_sgpr_dispatch_ptr 0
		.amdhsa_user_sgpr_queue_ptr 0
		.amdhsa_user_sgpr_kernarg_segment_ptr 1
		.amdhsa_user_sgpr_dispatch_id 0
		.amdhsa_user_sgpr_flat_scratch_init 0
		.amdhsa_user_sgpr_kernarg_preload_length 0
		.amdhsa_user_sgpr_kernarg_preload_offset 0
		.amdhsa_user_sgpr_private_segment_size 0
		.amdhsa_uses_dynamic_stack 0
		.amdhsa_system_sgpr_private_segment_wavefront_offset 0
		.amdhsa_system_sgpr_workgroup_id_x 1
		.amdhsa_system_sgpr_workgroup_id_y 1
		.amdhsa_system_sgpr_workgroup_id_z 1
		.amdhsa_system_sgpr_workgroup_info 0
		.amdhsa_system_vgpr_workitem_id 0
		.amdhsa_next_free_vgpr 60
		.amdhsa_next_free_sgpr 96
		.amdhsa_accum_offset 60
		.amdhsa_reserve_vcc 1
		.amdhsa_reserve_flat_scratch 0
		.amdhsa_float_round_mode_32 0
		.amdhsa_float_round_mode_16_64 0
		.amdhsa_float_denorm_mode_32 3
		.amdhsa_float_denorm_mode_16_64 3
		.amdhsa_dx10_clamp 1
		.amdhsa_ieee_mode 1
		.amdhsa_fp16_overflow 0
		.amdhsa_tg_split 0
		.amdhsa_exception_fp_ieee_invalid_op 0
		.amdhsa_exception_fp_denorm_src 0
		.amdhsa_exception_fp_ieee_div_zero 0
		.amdhsa_exception_fp_ieee_overflow 0
		.amdhsa_exception_fp_ieee_underflow 0
		.amdhsa_exception_fp_ieee_inexact 0
		.amdhsa_exception_int_div_zero 0
	.end_amdhsa_kernel
	.section	.text._ZN2at6native6sbtopk10gatherTopKIN3c104HalfEmLin1ELb0EEEvNS_4cuda6detail10TensorInfoIKT_T0_EESA_SA_bSA_SA_NS7_IS8_SA_EESA_NS7_IlSA_EESA_PS8_,"axG",@progbits,_ZN2at6native6sbtopk10gatherTopKIN3c104HalfEmLin1ELb0EEEvNS_4cuda6detail10TensorInfoIKT_T0_EESA_SA_bSA_SA_NS7_IS8_SA_EESA_NS7_IlSA_EESA_PS8_,comdat
.Lfunc_end213:
	.size	_ZN2at6native6sbtopk10gatherTopKIN3c104HalfEmLin1ELb0EEEvNS_4cuda6detail10TensorInfoIKT_T0_EESA_SA_bSA_SA_NS7_IS8_SA_EESA_NS7_IlSA_EESA_PS8_, .Lfunc_end213-_ZN2at6native6sbtopk10gatherTopKIN3c104HalfEmLin1ELb0EEEvNS_4cuda6detail10TensorInfoIKT_T0_EESA_SA_bSA_SA_NS7_IS8_SA_EESA_NS7_IlSA_EESA_PS8_
                                        ; -- End function
	.section	.AMDGPU.csdata,"",@progbits
; Kernel info:
; codeLenInByte = 30484
; NumSgprs: 100
; NumVgprs: 60
; NumAgprs: 0
; TotalNumVgprs: 60
; ScratchSize: 0
; MemoryBound: 0
; FloatMode: 240
; IeeeMode: 1
; LDSByteSize: 5152 bytes/workgroup (compile time only)
; SGPRBlocks: 12
; VGPRBlocks: 7
; NumSGPRsForWavesPerEU: 100
; NumVGPRsForWavesPerEU: 60
; AccumOffset: 60
; Occupancy: 8
; WaveLimiterHint : 1
; COMPUTE_PGM_RSRC2:SCRATCH_EN: 0
; COMPUTE_PGM_RSRC2:USER_SGPR: 6
; COMPUTE_PGM_RSRC2:TRAP_HANDLER: 0
; COMPUTE_PGM_RSRC2:TGID_X_EN: 1
; COMPUTE_PGM_RSRC2:TGID_Y_EN: 1
; COMPUTE_PGM_RSRC2:TGID_Z_EN: 1
; COMPUTE_PGM_RSRC2:TIDIG_COMP_CNT: 0
; COMPUTE_PGM_RSRC3_GFX90A:ACCUM_OFFSET: 14
; COMPUTE_PGM_RSRC3_GFX90A:TG_SPLIT: 0
	.section	.text._ZN2at6native6mbtopk23computeBlockDigitCountsIN3c108BFloat16EmjLi1EEEvNS_4cuda6detail10TensorInfoIKT_T0_EEjPjjSA_iijT1_PSD_Ps,"axG",@progbits,_ZN2at6native6mbtopk23computeBlockDigitCountsIN3c108BFloat16EmjLi1EEEvNS_4cuda6detail10TensorInfoIKT_T0_EEjPjjSA_iijT1_PSD_Ps,comdat
	.protected	_ZN2at6native6mbtopk23computeBlockDigitCountsIN3c108BFloat16EmjLi1EEEvNS_4cuda6detail10TensorInfoIKT_T0_EEjPjjSA_iijT1_PSD_Ps ; -- Begin function _ZN2at6native6mbtopk23computeBlockDigitCountsIN3c108BFloat16EmjLi1EEEvNS_4cuda6detail10TensorInfoIKT_T0_EEjPjjSA_iijT1_PSD_Ps
	.globl	_ZN2at6native6mbtopk23computeBlockDigitCountsIN3c108BFloat16EmjLi1EEEvNS_4cuda6detail10TensorInfoIKT_T0_EEjPjjSA_iijT1_PSD_Ps
	.p2align	8
	.type	_ZN2at6native6mbtopk23computeBlockDigitCountsIN3c108BFloat16EmjLi1EEEvNS_4cuda6detail10TensorInfoIKT_T0_EEjPjjSA_iijT1_PSD_Ps,@function
_ZN2at6native6mbtopk23computeBlockDigitCountsIN3c108BFloat16EmjLi1EEEvNS_4cuda6detail10TensorInfoIKT_T0_EEjPjjSA_iijT1_PSD_Ps: ; @_ZN2at6native6mbtopk23computeBlockDigitCountsIN3c108BFloat16EmjLi1EEEvNS_4cuda6detail10TensorInfoIKT_T0_EEjPjjSA_iijT1_PSD_Ps
; %bb.0:
	s_load_dwordx4 s[12:15], s[4:5], 0x1c0
	s_load_dword s2, s[4:5], 0x1b0
	s_load_dwordx2 s[0:1], s[4:5], 0x1e0
	s_mov_b32 s9, 0
	s_waitcnt lgkmcnt(0)
	v_cvt_f32_u32_e32 v1, s14
	s_sub_i32 s3, 0, s14
	s_mul_i32 s1, s1, s8
	s_add_i32 s1, s1, s7
	v_rcp_iflag_f32_e32 v1, v1
	s_mul_i32 s10, s1, s0
	s_add_i32 s10, s10, s6
	v_mul_f32_e32 v1, 0x4f7ffffe, v1
	v_cvt_u32_f32_e32 v1, v1
	v_readfirstlane_b32 s0, v1
	s_mul_i32 s3, s3, s0
	s_mul_hi_u32 s1, s0, s3
	s_add_i32 s0, s0, s1
	s_mul_hi_u32 s0, s10, s0
	s_mul_i32 s1, s0, s14
	s_sub_i32 s1, s10, s1
	s_add_i32 s3, s0, 1
	s_sub_i32 s6, s1, s14
	s_cmp_ge_u32 s1, s14
	s_cselect_b32 s0, s3, s0
	s_cselect_b32 s1, s6, s1
	s_add_i32 s3, s0, 1
	s_cmp_ge_u32 s1, s14
	s_cselect_b32 s8, s3, s0
	s_cmp_ge_u32 s8, s2
	s_cbranch_scc1 .LBB214_23
; %bb.1:
	s_load_dwordx4 s[0:3], s[4:5], 0x1d0
	s_lshl_b64 s[6:7], s[8:9], 2
	s_movk_i32 s9, 0x100
	v_cmp_gt_u32_e32 vcc, s9, v0
	v_lshlrev_b32_e32 v1, 2, v0
	s_waitcnt lgkmcnt(0)
	s_add_u32 s0, s0, s6
	s_addc_u32 s1, s1, s7
	s_and_saveexec_b64 s[6:7], vcc
	s_cbranch_execz .LBB214_3
; %bb.2:
	v_mov_b32_e32 v2, 0
	ds_write_b32 v1, v2
.LBB214_3:
	s_or_b64 exec, exec, s[6:7]
	s_load_dword s9, s[4:5], 0x1a0
	s_mul_i32 s6, s8, s14
	s_sub_i32 s6, s10, s6
	s_add_i32 s7, s6, 1
	s_mul_i32 s6, s13, s6
	s_lshl_b32 s18, s6, 8
	s_waitcnt lgkmcnt(0)
	s_sub_i32 s6, s9, s18
	s_add_u32 s6, s6, 0xff
	s_addc_u32 s11, 0, 0
	v_mov_b32_e32 v2, s6
	v_alignbit_b32 v2, s11, v2, 8
	s_cmp_lt_u32 s7, s14
	v_readfirstlane_b32 s6, v2
	s_cselect_b32 s13, s13, s6
	s_cmp_lt_i32 s13, 1
	s_mov_b32 s17, 0
	s_barrier
	s_cbranch_scc1 .LBB214_19
; %bb.4:
	s_load_dwordx2 s[20:21], s[4:5], 0xd0
	s_load_dwordx2 s[6:7], s[4:5], 0x1b8
	;; [unrolled: 1-line block ×3, first 2 shown]
	s_load_dword s11, s[0:1], 0x0
	v_add_u32_e32 v2, s18, v0
	s_waitcnt lgkmcnt(0)
	s_mul_i32 s0, s21, s8
	s_mul_hi_u32 s1, s20, s8
	s_add_i32 s1, s1, s0
	s_mul_i32 s0, s20, s8
	s_lshl_b64 s[0:1], s[0:1], 1
	s_add_u32 s14, s22, s0
	s_addc_u32 s16, s23, s1
	s_and_b32 s8, s12, 0xff
	s_cmp_eq_u32 s13, 1
	s_cbranch_scc1 .LBB214_14
; %bb.5:
	s_and_b32 s12, s13, 0x7ffffffe
	v_mov_b32_e32 v3, 1
	v_mov_b32_e32 v4, 0xffff
	;; [unrolled: 1-line block ×4, first 2 shown]
	s_branch .LBB214_7
.LBB214_6:                              ;   in Loop: Header=BB214_7 Depth=1
	s_or_b64 exec, exec, s[4:5]
	s_add_i32 s17, s17, 2
	s_cmp_eq_u32 s12, s17
	v_add_u32_e32 v6, 0x200, v6
	s_cbranch_scc1 .LBB214_13
.LBB214_7:                              ; =>This Inner Loop Header: Depth=1
	v_cmp_gt_u32_e64 s[0:1], s9, v6
	s_and_saveexec_b64 s[4:5], s[0:1]
	s_cbranch_execz .LBB214_10
; %bb.8:                                ;   in Loop: Header=BB214_7 Depth=1
	v_mad_u64_u32 v[8:9], s[0:1], v6, s6, 0
	v_mov_b32_e32 v10, v9
	v_mad_u64_u32 v[10:11], s[0:1], v6, s7, v[10:11]
	v_mov_b32_e32 v9, v10
	v_lshlrev_b64 v[8:9], 1, v[8:9]
	v_mov_b32_e32 v7, s16
	v_add_co_u32_e64 v8, s[0:1], s14, v8
	v_addc_co_u32_e64 v9, s[0:1], v7, v9, s[0:1]
	global_load_ushort v7, v[8:9], off
	s_waitcnt vmcnt(0)
	v_cmp_lt_i16_e64 s[0:1], -1, v7
	v_cndmask_b32_e64 v8, v4, v5, s[0:1]
	v_lshlrev_b32_e32 v9, 16, v7
	v_xor_b32_sdwa v7, v8, v7 dst_sel:DWORD dst_unused:UNUSED_PAD src0_sel:DWORD src1_sel:WORD_0
	v_cmp_o_f32_e64 s[0:1], v9, v9
	v_cndmask_b32_e64 v7, v4, v7, s[0:1]
	v_xor_b32_e32 v8, s11, v7
	v_and_b32_e32 v8, s15, v8
	v_cmp_eq_u32_e64 s[0:1], 0, v8
	s_and_b64 exec, exec, s[0:1]
	s_cbranch_execz .LBB214_10
; %bb.9:                                ;   in Loop: Header=BB214_7 Depth=1
	v_bfe_u32 v7, v7, s8, 8
	v_lshlrev_b32_e32 v7, 2, v7
	ds_add_u32 v7, v3
.LBB214_10:                             ;   in Loop: Header=BB214_7 Depth=1
	s_or_b64 exec, exec, s[4:5]
	v_add_u32_e32 v7, 0x100, v6
	v_cmp_gt_u32_e64 s[0:1], s9, v7
	s_and_saveexec_b64 s[4:5], s[0:1]
	s_cbranch_execz .LBB214_6
; %bb.11:                               ;   in Loop: Header=BB214_7 Depth=1
	v_mad_u64_u32 v[8:9], s[0:1], v7, s6, 0
	v_mov_b32_e32 v10, v9
	v_mad_u64_u32 v[10:11], s[0:1], v7, s7, v[10:11]
	v_mov_b32_e32 v9, v10
	v_lshlrev_b64 v[8:9], 1, v[8:9]
	v_mov_b32_e32 v7, s16
	v_add_co_u32_e64 v8, s[0:1], s14, v8
	v_addc_co_u32_e64 v9, s[0:1], v7, v9, s[0:1]
	global_load_ushort v7, v[8:9], off
	s_waitcnt vmcnt(0)
	v_cmp_lt_i16_e64 s[0:1], -1, v7
	v_cndmask_b32_e64 v8, v4, v5, s[0:1]
	v_lshlrev_b32_e32 v9, 16, v7
	v_xor_b32_sdwa v7, v8, v7 dst_sel:DWORD dst_unused:UNUSED_PAD src0_sel:DWORD src1_sel:WORD_0
	v_cmp_o_f32_e64 s[0:1], v9, v9
	v_cndmask_b32_e64 v7, v4, v7, s[0:1]
	v_xor_b32_e32 v8, s11, v7
	v_and_b32_e32 v8, s15, v8
	v_cmp_eq_u32_e64 s[0:1], 0, v8
	s_and_b64 exec, exec, s[0:1]
	s_cbranch_execz .LBB214_6
; %bb.12:                               ;   in Loop: Header=BB214_7 Depth=1
	v_bfe_u32 v7, v7, s8, 8
	v_lshlrev_b32_e32 v7, 2, v7
	ds_add_u32 v7, v3
	s_branch .LBB214_6
.LBB214_13:
	s_lshl_b32 s17, s12, 8
.LBB214_14:
	s_bitcmp0_b32 s13, 0
	s_cbranch_scc1 .LBB214_19
; %bb.15:
	v_add_u32_e32 v2, s17, v2
	v_cmp_gt_u32_e64 s[0:1], s9, v2
	s_and_saveexec_b64 s[4:5], s[0:1]
	s_cbranch_execz .LBB214_18
; %bb.16:
	v_mad_u64_u32 v[4:5], s[0:1], v2, s6, 0
	v_mov_b32_e32 v6, v5
	v_mad_u64_u32 v[2:3], s[0:1], v2, s7, v[6:7]
	v_mov_b32_e32 v5, v2
	v_lshlrev_b64 v[2:3], 1, v[4:5]
	v_mov_b32_e32 v4, s16
	v_add_co_u32_e64 v2, s[0:1], s14, v2
	v_addc_co_u32_e64 v3, s[0:1], v4, v3, s[0:1]
	global_load_ushort v2, v[2:3], off
	v_mov_b32_e32 v3, 0xffff
	v_mov_b32_e32 v4, 0x8000
	s_waitcnt vmcnt(0)
	v_cmp_lt_i16_e64 s[0:1], -1, v2
	v_cndmask_b32_e64 v4, v3, v4, s[0:1]
	v_lshlrev_b32_e32 v5, 16, v2
	v_xor_b32_sdwa v2, v4, v2 dst_sel:DWORD dst_unused:UNUSED_PAD src0_sel:DWORD src1_sel:WORD_0
	v_cmp_o_f32_e64 s[0:1], v5, v5
	v_cndmask_b32_e64 v2, v3, v2, s[0:1]
	v_xor_b32_e32 v3, s11, v2
	v_and_b32_e32 v3, s15, v3
	v_cmp_eq_u32_e64 s[0:1], 0, v3
	s_and_b64 exec, exec, s[0:1]
	s_cbranch_execz .LBB214_18
; %bb.17:
	v_bfe_u32 v2, v2, s8, 8
	v_lshlrev_b32_e32 v2, 2, v2
	v_mov_b32_e32 v3, 1
	ds_add_u32 v2, v3
.LBB214_18:
	s_or_b64 exec, exec, s[4:5]
.LBB214_19:
	v_mov_b32_e32 v2, 0
	s_waitcnt lgkmcnt(0)
	s_barrier
	s_and_saveexec_b64 s[0:1], vcc
	s_cbranch_execz .LBB214_21
; %bb.20:
	ds_read_b32 v2, v1
.LBB214_21:
	s_or_b64 exec, exec, s[0:1]
	s_and_saveexec_b64 s[0:1], vcc
	s_cbranch_execz .LBB214_23
; %bb.22:
	v_lshl_or_b32 v0, s10, 8, v0
	v_mov_b32_e32 v1, 0
	v_lshlrev_b64 v[0:1], 1, v[0:1]
	v_mov_b32_e32 v3, s3
	v_add_co_u32_e32 v0, vcc, s2, v0
	v_addc_co_u32_e32 v1, vcc, v3, v1, vcc
	s_waitcnt lgkmcnt(0)
	global_store_short v[0:1], v2, off
.LBB214_23:
	s_endpgm
	.section	.rodata,"a",@progbits
	.p2align	6, 0x0
	.amdhsa_kernel _ZN2at6native6mbtopk23computeBlockDigitCountsIN3c108BFloat16EmjLi1EEEvNS_4cuda6detail10TensorInfoIKT_T0_EEjPjjSA_iijT1_PSD_Ps
		.amdhsa_group_segment_fixed_size 1024
		.amdhsa_private_segment_fixed_size 0
		.amdhsa_kernarg_size 736
		.amdhsa_user_sgpr_count 6
		.amdhsa_user_sgpr_private_segment_buffer 1
		.amdhsa_user_sgpr_dispatch_ptr 0
		.amdhsa_user_sgpr_queue_ptr 0
		.amdhsa_user_sgpr_kernarg_segment_ptr 1
		.amdhsa_user_sgpr_dispatch_id 0
		.amdhsa_user_sgpr_flat_scratch_init 0
		.amdhsa_user_sgpr_kernarg_preload_length 0
		.amdhsa_user_sgpr_kernarg_preload_offset 0
		.amdhsa_user_sgpr_private_segment_size 0
		.amdhsa_uses_dynamic_stack 0
		.amdhsa_system_sgpr_private_segment_wavefront_offset 0
		.amdhsa_system_sgpr_workgroup_id_x 1
		.amdhsa_system_sgpr_workgroup_id_y 1
		.amdhsa_system_sgpr_workgroup_id_z 1
		.amdhsa_system_sgpr_workgroup_info 0
		.amdhsa_system_vgpr_workitem_id 0
		.amdhsa_next_free_vgpr 12
		.amdhsa_next_free_sgpr 24
		.amdhsa_accum_offset 12
		.amdhsa_reserve_vcc 1
		.amdhsa_reserve_flat_scratch 0
		.amdhsa_float_round_mode_32 0
		.amdhsa_float_round_mode_16_64 0
		.amdhsa_float_denorm_mode_32 3
		.amdhsa_float_denorm_mode_16_64 3
		.amdhsa_dx10_clamp 1
		.amdhsa_ieee_mode 1
		.amdhsa_fp16_overflow 0
		.amdhsa_tg_split 0
		.amdhsa_exception_fp_ieee_invalid_op 0
		.amdhsa_exception_fp_denorm_src 0
		.amdhsa_exception_fp_ieee_div_zero 0
		.amdhsa_exception_fp_ieee_overflow 0
		.amdhsa_exception_fp_ieee_underflow 0
		.amdhsa_exception_fp_ieee_inexact 0
		.amdhsa_exception_int_div_zero 0
	.end_amdhsa_kernel
	.section	.text._ZN2at6native6mbtopk23computeBlockDigitCountsIN3c108BFloat16EmjLi1EEEvNS_4cuda6detail10TensorInfoIKT_T0_EEjPjjSA_iijT1_PSD_Ps,"axG",@progbits,_ZN2at6native6mbtopk23computeBlockDigitCountsIN3c108BFloat16EmjLi1EEEvNS_4cuda6detail10TensorInfoIKT_T0_EEjPjjSA_iijT1_PSD_Ps,comdat
.Lfunc_end214:
	.size	_ZN2at6native6mbtopk23computeBlockDigitCountsIN3c108BFloat16EmjLi1EEEvNS_4cuda6detail10TensorInfoIKT_T0_EEjPjjSA_iijT1_PSD_Ps, .Lfunc_end214-_ZN2at6native6mbtopk23computeBlockDigitCountsIN3c108BFloat16EmjLi1EEEvNS_4cuda6detail10TensorInfoIKT_T0_EEjPjjSA_iijT1_PSD_Ps
                                        ; -- End function
	.section	.AMDGPU.csdata,"",@progbits
; Kernel info:
; codeLenInByte = 1080
; NumSgprs: 28
; NumVgprs: 12
; NumAgprs: 0
; TotalNumVgprs: 12
; ScratchSize: 0
; MemoryBound: 0
; FloatMode: 240
; IeeeMode: 1
; LDSByteSize: 1024 bytes/workgroup (compile time only)
; SGPRBlocks: 3
; VGPRBlocks: 1
; NumSGPRsForWavesPerEU: 28
; NumVGPRsForWavesPerEU: 12
; AccumOffset: 12
; Occupancy: 8
; WaveLimiterHint : 1
; COMPUTE_PGM_RSRC2:SCRATCH_EN: 0
; COMPUTE_PGM_RSRC2:USER_SGPR: 6
; COMPUTE_PGM_RSRC2:TRAP_HANDLER: 0
; COMPUTE_PGM_RSRC2:TGID_X_EN: 1
; COMPUTE_PGM_RSRC2:TGID_Y_EN: 1
; COMPUTE_PGM_RSRC2:TGID_Z_EN: 1
; COMPUTE_PGM_RSRC2:TIDIG_COMP_CNT: 0
; COMPUTE_PGM_RSRC3_GFX90A:ACCUM_OFFSET: 2
; COMPUTE_PGM_RSRC3_GFX90A:TG_SPLIT: 0
	.section	.text._ZN2at6native6mbtopk10gatherTopKIN3c108BFloat16EmLi1EEEvNS_4cuda6detail10TensorInfoIKT_T0_EESA_SA_bjSA_NS7_IS8_SA_EESA_NS7_IlSA_EESA_jjPS8_PjSF_j,"axG",@progbits,_ZN2at6native6mbtopk10gatherTopKIN3c108BFloat16EmLi1EEEvNS_4cuda6detail10TensorInfoIKT_T0_EESA_SA_bjSA_NS7_IS8_SA_EESA_NS7_IlSA_EESA_jjPS8_PjSF_j,comdat
	.protected	_ZN2at6native6mbtopk10gatherTopKIN3c108BFloat16EmLi1EEEvNS_4cuda6detail10TensorInfoIKT_T0_EESA_SA_bjSA_NS7_IS8_SA_EESA_NS7_IlSA_EESA_jjPS8_PjSF_j ; -- Begin function _ZN2at6native6mbtopk10gatherTopKIN3c108BFloat16EmLi1EEEvNS_4cuda6detail10TensorInfoIKT_T0_EESA_SA_bjSA_NS7_IS8_SA_EESA_NS7_IlSA_EESA_jjPS8_PjSF_j
	.globl	_ZN2at6native6mbtopk10gatherTopKIN3c108BFloat16EmLi1EEEvNS_4cuda6detail10TensorInfoIKT_T0_EESA_SA_bjSA_NS7_IS8_SA_EESA_NS7_IlSA_EESA_jjPS8_PjSF_j
	.p2align	8
	.type	_ZN2at6native6mbtopk10gatherTopKIN3c108BFloat16EmLi1EEEvNS_4cuda6detail10TensorInfoIKT_T0_EESA_SA_bjSA_NS7_IS8_SA_EESA_NS7_IlSA_EESA_jjPS8_PjSF_j,@function
_ZN2at6native6mbtopk10gatherTopKIN3c108BFloat16EmLi1EEEvNS_4cuda6detail10TensorInfoIKT_T0_EESA_SA_bjSA_NS7_IS8_SA_EESA_NS7_IlSA_EESA_jjPS8_PjSF_j: ; @_ZN2at6native6mbtopk10gatherTopKIN3c108BFloat16EmLi1EEEvNS_4cuda6detail10TensorInfoIKT_T0_EESA_SA_bjSA_NS7_IS8_SA_EESA_NS7_IlSA_EESA_jjPS8_PjSF_j
; %bb.0:
	s_load_dwordx2 s[0:1], s[4:5], 0x538
	s_load_dword s2, s[4:5], 0x530
	s_waitcnt lgkmcnt(0)
	s_mul_i32 s1, s1, s8
	s_add_i32 s1, s1, s7
	s_mul_i32 s0, s1, s0
	s_add_i32 s0, s0, s6
	s_cmp_ge_u32 s0, s2
	s_cbranch_scc1 .LBB215_42
; %bb.1:
	s_load_dwordx2 s[20:21], s[4:5], 0x510
	s_load_dwordx4 s[8:11], s[4:5], 0x1a0
	s_mov_b32 s7, 0
	s_waitcnt lgkmcnt(0)
	v_cvt_f32_u32_e32 v1, s21
	s_sub_i32 s2, 0, s21
	s_lshl_b32 s1, s20, 8
	v_rcp_iflag_f32_e32 v1, v1
	v_mul_f32_e32 v1, 0x4f7ffffe, v1
	v_cvt_u32_f32_e32 v1, v1
	v_readfirstlane_b32 s3, v1
	s_mul_i32 s2, s2, s3
	s_mul_hi_u32 s2, s3, s2
	s_add_i32 s3, s3, s2
	s_mul_hi_u32 s2, s0, s3
	s_mul_i32 s3, s2, s21
	s_sub_i32 s3, s0, s3
	s_add_i32 s6, s2, 1
	s_sub_i32 s12, s3, s21
	s_cmp_ge_u32 s3, s21
	s_cselect_b32 s2, s6, s2
	s_cselect_b32 s3, s12, s3
	s_add_i32 s6, s2, 1
	s_cmp_ge_u32 s3, s21
	s_cselect_b32 s6, s6, s2
	s_mul_i32 s24, s6, s21
	s_sub_i32 s40, s0, s24
	s_add_i32 s0, s40, 1
	s_cmp_lt_u32 s0, s21
	s_mul_i32 s33, s40, s1
	s_cbranch_scc1 .LBB215_3
; %bb.2:
	s_sub_u32 s0, s8, s33
	s_subb_u32 s1, s9, 0
	s_add_u32 s0, s0, 0xff
	s_addc_u32 s1, s1, 0
	s_ashr_i32 s2, s1, 31
	s_lshr_b32 s2, s2, 24
	s_add_u32 s0, s0, s2
	s_addc_u32 s1, s1, 0
	v_mov_b32_e32 v1, s0
	v_alignbit_b32 v1, s1, v1, 8
	v_readfirstlane_b32 s20, v1
.LBB215_3:
	s_load_dwordx4 s[12:15], s[4:5], 0x518
	s_lshl_b64 s[0:1], s[6:7], 1
	v_mov_b32_e32 v1, 0
	v_cmp_eq_u32_e64 s[2:3], 0, v0
	s_waitcnt lgkmcnt(0)
	s_add_u32 s0, s12, s0
	s_addc_u32 s1, s13, s1
	global_load_ushort v1, v1, s[0:1]
	s_load_dwordx2 s[22:23], s[4:5], 0x0
	s_load_dwordx2 s[30:31], s[4:5], 0xd0
	;; [unrolled: 1-line block ×4, first 2 shown]
	v_cmp_ne_u32_e64 s[0:1], 0, v0
	s_waitcnt vmcnt(0)
	v_readfirstlane_b32 s7, v1
	s_and_saveexec_b64 s[12:13], s[2:3]
	s_cbranch_execz .LBB215_19
; %bb.4:
	s_load_dwordx2 s[34:35], s[4:5], 0x528
	s_mov_b32 s25, 0
	s_lshl_b64 s[36:37], s[24:25], 2
	s_add_u32 s16, s14, s36
	s_addc_u32 s17, s15, s37
	s_waitcnt lgkmcnt(0)
	s_add_u32 s18, s34, s36
	s_addc_u32 s19, s35, s37
	s_mov_b32 s24, 0
	s_mov_b32 s41, 0
	s_cmp_lt_u32 s21, 4
	s_cbranch_scc1 .LBB215_16
; %bb.5:
	s_mov_b32 s42, 0
.LBB215_6:                              ; =>This Inner Loop Header: Depth=1
	s_add_u32 s16, s14, s36
	s_addc_u32 s17, s15, s37
	s_load_dwordx4 s[16:19], s[16:17], 0x0
	s_add_u32 s38, s34, s36
	s_addc_u32 s39, s35, s37
	s_cmp_ge_u32 s42, s40
	s_cbranch_scc0 .LBB215_13
; %bb.7:                                ;   in Loop: Header=BB215_6 Depth=1
	s_add_i32 s43, s42, 1
	s_cmp_ge_u32 s43, s40
	s_cbranch_scc0 .LBB215_14
.LBB215_8:                              ;   in Loop: Header=BB215_6 Depth=1
	s_add_i32 s43, s43, 1
	s_cmp_ge_u32 s43, s40
	s_cbranch_scc0 .LBB215_15
.LBB215_9:                              ;   in Loop: Header=BB215_6 Depth=1
	s_add_i32 s43, s43, 1
	s_cmp_ge_u32 s43, s40
	s_cbranch_scc1 .LBB215_11
.LBB215_10:                             ;   in Loop: Header=BB215_6 Depth=1
	s_load_dword s38, s[38:39], 0xc
	s_waitcnt lgkmcnt(0)
	s_add_i32 s25, s25, s19
	s_add_i32 s24, s38, s24
.LBB215_11:                             ;   in Loop: Header=BB215_6 Depth=1
	s_waitcnt lgkmcnt(0)
	s_add_i32 s16, s16, s41
	s_add_i32 s16, s16, s17
	;; [unrolled: 1-line block ×4, first 2 shown]
	s_add_u32 s14, s14, 16
	s_addc_u32 s15, s15, 0
	s_add_u32 s34, s34, 16
	s_addc_u32 s35, s35, 0
	s_add_i32 s39, s43, 4
	s_add_u32 s18, s34, s36
	s_addc_u32 s19, s35, s37
	s_add_u32 s16, s14, s36
	s_addc_u32 s17, s15, s37
	s_add_i32 s38, s43, 1
	s_cmp_ge_u32 s39, s21
	s_cbranch_scc1 .LBB215_17
; %bb.12:                               ;   in Loop: Header=BB215_6 Depth=1
	s_mov_b32 s42, s38
	s_branch .LBB215_6
.LBB215_13:                             ;   in Loop: Header=BB215_6 Depth=1
	s_load_dword s43, s[38:39], 0x0
	s_waitcnt lgkmcnt(0)
	s_add_i32 s25, s16, s25
	s_add_i32 s24, s43, s24
	;; [unrolled: 1-line block ×3, first 2 shown]
	s_cmp_ge_u32 s43, s40
	s_cbranch_scc1 .LBB215_8
.LBB215_14:                             ;   in Loop: Header=BB215_6 Depth=1
	s_load_dword s44, s[38:39], 0x4
	s_waitcnt lgkmcnt(0)
	s_add_i32 s25, s25, s17
	s_add_i32 s24, s44, s24
	s_add_i32 s43, s43, 1
	s_cmp_ge_u32 s43, s40
	s_cbranch_scc1 .LBB215_9
.LBB215_15:                             ;   in Loop: Header=BB215_6 Depth=1
	s_load_dword s44, s[38:39], 0x8
	s_waitcnt lgkmcnt(0)
	s_add_i32 s25, s25, s18
	s_add_i32 s24, s44, s24
	;; [unrolled: 1-line block ×3, first 2 shown]
	s_cmp_ge_u32 s43, s40
	s_cbranch_scc0 .LBB215_10
	s_branch .LBB215_11
.LBB215_16:
	s_mov_b32 s14, 0
	s_cmp_ge_u32 s14, s21
	s_cbranch_scc0 .LBB215_40
	s_branch .LBB215_18
.LBB215_17:
	s_add_i32 s14, s42, 4
	s_cmp_ge_u32 s14, s21
	s_cbranch_scc0 .LBB215_40
.LBB215_18:
	v_mov_b32_e32 v2, s24
	v_mov_b32_e32 v3, s41
	;; [unrolled: 1-line block ×4, first 2 shown]
	ds_write_b96 v1, v[2:4] offset:1056
.LBB215_19:
	s_or_b64 exec, exec, s[12:13]
	s_load_dwordx4 s[12:15], s[4:5], 0x1b8
	s_load_dwordx4 s[16:19], s[4:5], 0x360
	s_cmp_eq_u32 s20, 0
	s_waitcnt lgkmcnt(0)
	s_barrier
	s_cbranch_scc1 .LBB215_42
; %bb.20:
	s_mul_i32 s21, s31, s6
	s_mul_hi_u32 s24, s30, s6
	s_add_i32 s25, s24, s21
	s_mul_i32 s21, s29, s6
	s_mul_hi_u32 s29, s28, s6
	s_mul_i32 s24, s30, s6
	s_add_i32 s29, s29, s21
	s_mul_i32 s21, s27, s6
	s_mul_hi_u32 s27, s26, s6
	s_add_i32 s27, s27, s21
	s_lshl_b64 s[24:25], s[24:25], 1
	s_mul_i32 s28, s28, s6
	s_add_u32 s21, s22, s24
	s_addc_u32 s22, s23, s25
	s_lshl_b64 s[24:25], s[28:29], 1
	s_mul_i32 s26, s26, s6
	s_add_u32 s23, s14, s24
	s_addc_u32 s24, s15, s25
	s_lshl_b64 s[14:15], s[26:27], 3
	s_add_u32 s25, s18, s14
	v_mov_b32_e32 v1, 0
	s_addc_u32 s26, s19, s15
	s_and_b32 s14, 0xffff, s7
	s_sext_i32_i16 s6, s7
	ds_read_b96 v[2:4], v1 offset:1056
	s_cmp_gt_i32 s6, -1
	s_mov_b32 s6, 0x8000
	s_cselect_b32 s15, s6, 0xffff
	s_lshl_b32 s6, s7, 16
	v_cmp_o_f32_e64 s[6:7], s6, s6
	s_xor_b32 s14, s15, s14
	s_and_b64 s[6:7], s[6:7], exec
	s_load_dword s6, s[4:5], 0x1b0
	s_waitcnt lgkmcnt(0)
	v_add_u32_e32 v2, v2, v3
	v_lshrrev_b32_e32 v3, 5, v0
	v_add_lshl_u32 v5, v3, v0, 2
	v_lshlrev_b32_e32 v3, 2, v0
	v_lshrrev_b32_e32 v6, 3, v0
	s_cselect_b32 s27, s14, 0xffff
	s_load_dwordx2 s[14:15], s[4:5], 0x508
	v_add_lshl_u32 v8, v6, v3, 2
	v_add_u32_e32 v3, -1, v0
	v_lshrrev_b32_e32 v6, 5, v3
	v_add_lshl_u32 v9, v6, v3, 2
	v_mbcnt_lo_u32_b32 v3, -1, 0
	s_bitcmp1_b32 s6, 0
	v_mbcnt_hi_u32_b32 v12, -1, v3
	s_cselect_b64 s[4:5], -1, 0
	v_cmp_gt_u32_e64 s[6:7], 64, v0
	v_add_u32_e32 v0, s33, v0
	v_mov_b32_e32 v10, 0xffff
	v_mov_b32_e32 v11, 0x8000
	v_and_b32_e32 v13, 15, v12
	v_bfe_i32 v14, v12, 4, 1
	v_add_u32_e32 v15, -1, v12
	v_and_b32_e32 v16, 64, v12
                                        ; implicit-def: $vgpr17
	s_branch .LBB215_23
.LBB215_21:                             ;   in Loop: Header=BB215_23 Depth=1
	s_or_b64 exec, exec, s[18:19]
	v_add_u32_e32 v2, v3, v2
.LBB215_22:                             ;   in Loop: Header=BB215_23 Depth=1
	s_add_i32 s20, s20, -1
	v_add_u32_e32 v4, v18, v4
	s_cmp_lg_u32 s20, 0
	v_add_u32_e32 v0, 0x100, v0
	s_cbranch_scc0 .LBB215_42
.LBB215_23:                             ; =>This Inner Loop Header: Depth=1
	v_cmp_gt_u64_e32 vcc, s[8:9], v[0:1]
	v_mov_b32_e32 v3, v1
	v_mov_b32_e32 v6, v1
	s_and_saveexec_b64 s[18:19], vcc
	s_cbranch_execz .LBB215_25
; %bb.24:                               ;   in Loop: Header=BB215_23 Depth=1
	v_mad_u64_u32 v[6:7], s[28:29], v0, s12, 0
	v_mov_b32_e32 v18, v7
	v_mad_u64_u32 v[18:19], s[28:29], v0, s13, v[18:19]
	v_mov_b32_e32 v7, v18
	v_lshlrev_b64 v[6:7], 1, v[6:7]
	v_mov_b32_e32 v3, s22
	v_add_co_u32_e32 v6, vcc, s21, v6
	v_addc_co_u32_e32 v7, vcc, v3, v7, vcc
	global_load_ushort v17, v[6:7], off
	s_waitcnt vmcnt(0)
	v_cmp_lt_i16_e32 vcc, -1, v17
	v_cndmask_b32_e32 v3, v10, v11, vcc
	v_lshlrev_b32_e32 v6, 16, v17
	v_xor_b32_sdwa v3, v3, v17 dst_sel:DWORD dst_unused:UNUSED_PAD src0_sel:DWORD src1_sel:WORD_0
	v_cmp_o_f32_e32 vcc, v6, v6
	v_cndmask_b32_e32 v6, v10, v3, vcc
	v_cmp_lt_u32_e32 vcc, s27, v6
	v_cndmask_b32_e64 v3, 0, 1, vcc
	v_cmp_gt_u32_e32 vcc, s27, v6
	v_cndmask_b32_e64 v7, 0, 1, vcc
	v_cndmask_b32_e64 v3, v7, v3, s[4:5]
	v_cmp_eq_u32_e32 vcc, s27, v6
	v_and_b32_e32 v3, 1, v3
	v_cndmask_b32_e64 v6, 0, 1, vcc
.LBB215_25:                             ;   in Loop: Header=BB215_23 Depth=1
	s_or_b64 exec, exec, s[18:19]
	ds_write_b32 v5, v3
	s_waitcnt lgkmcnt(0)
	s_barrier
	s_and_saveexec_b64 s[18:19], s[6:7]
	s_cbranch_execz .LBB215_27
; %bb.26:                               ;   in Loop: Header=BB215_23 Depth=1
	ds_read2_b32 v[18:19], v8 offset1:1
	ds_read2_b32 v[20:21], v8 offset0:2 offset1:3
	v_cmp_ne_u32_e32 vcc, 0, v13
	; wave barrier
	s_waitcnt lgkmcnt(1)
	v_add_u32_e32 v7, v19, v18
	s_waitcnt lgkmcnt(0)
	v_add3_u32 v7, v7, v20, v21
	s_nop 1
	v_mov_b32_dpp v19, v7 row_shr:1 row_mask:0xf bank_mask:0xf
	v_cndmask_b32_e32 v19, 0, v19, vcc
	v_add_u32_e32 v7, v19, v7
	v_cmp_lt_u32_e32 vcc, 1, v13
	s_nop 0
	v_mov_b32_dpp v19, v7 row_shr:2 row_mask:0xf bank_mask:0xf
	v_cndmask_b32_e32 v19, 0, v19, vcc
	v_add_u32_e32 v7, v7, v19
	v_cmp_lt_u32_e32 vcc, 3, v13
	;; [unrolled: 5-line block ×4, first 2 shown]
	s_nop 0
	v_mov_b32_dpp v19, v7 row_bcast:15 row_mask:0xf bank_mask:0xf
	v_and_b32_e32 v19, v14, v19
	v_add_u32_e32 v7, v7, v19
	s_nop 1
	v_mov_b32_dpp v19, v7 row_bcast:31 row_mask:0xf bank_mask:0xf
	v_cndmask_b32_e32 v19, 0, v19, vcc
	v_cmp_lt_i32_e32 vcc, v15, v16
	v_add_u32_e32 v7, v7, v19
	v_cndmask_b32_e32 v19, v15, v12, vcc
	v_lshlrev_b32_e32 v19, 2, v19
	ds_bpermute_b32 v7, v19, v7
	s_waitcnt lgkmcnt(0)
	v_add_u32_e32 v7, v7, v18
	v_cndmask_b32_e64 v7, v7, v3, s[2:3]
	ds_write_b32 v8, v7
	; wave barrier
	ds_read2_b32 v[18:19], v8 offset0:1 offset1:2
	ds_read_b32 v20, v8 offset:12
	s_waitcnt lgkmcnt(1)
	v_add_u32_e32 v7, v18, v7
	v_add_u32_e32 v18, v19, v7
	ds_write2_b32 v8, v7, v18 offset0:1 offset1:2
	s_waitcnt lgkmcnt(1)
	v_add_u32_e32 v7, v20, v18
	ds_write_b32 v8, v7 offset:12
.LBB215_27:                             ;   in Loop: Header=BB215_23 Depth=1
	s_or_b64 exec, exec, s[18:19]
	v_mov_b32_e32 v7, 0
	s_waitcnt lgkmcnt(0)
	s_barrier
	s_and_saveexec_b64 s[18:19], s[0:1]
	s_cbranch_execz .LBB215_29
; %bb.28:                               ;   in Loop: Header=BB215_23 Depth=1
	ds_read_b32 v7, v9
.LBB215_29:                             ;   in Loop: Header=BB215_23 Depth=1
	s_or_b64 exec, exec, s[18:19]
	ds_read_b32 v18, v1 offset:1048
	v_cmp_ne_u32_e32 vcc, 0, v3
	s_waitcnt lgkmcnt(0)
	s_barrier
	s_and_saveexec_b64 s[18:19], vcc
	s_cbranch_execz .LBB215_31
; %bb.30:                               ;   in Loop: Header=BB215_23 Depth=1
	v_add_u32_e32 v3, v7, v4
	v_mad_u64_u32 v[20:21], s[28:29], v3, s16, 0
	v_mov_b32_e32 v22, v21
	v_mad_u64_u32 v[22:23], s[28:29], v3, s17, v[22:23]
	v_mov_b32_e32 v21, v22
	v_lshlrev_b64 v[20:21], 1, v[20:21]
	v_mov_b32_e32 v7, s24
	v_add_co_u32_e32 v20, vcc, s23, v20
	v_addc_co_u32_e32 v21, vcc, v7, v21, vcc
	global_store_short v[20:21], v17, off
	v_mad_u64_u32 v[20:21], s[28:29], v3, s14, 0
	v_mov_b32_e32 v22, v21
	v_mad_u64_u32 v[22:23], s[28:29], v3, s15, v[22:23]
	v_mov_b32_e32 v21, v22
	v_lshlrev_b64 v[20:21], 3, v[20:21]
	v_mov_b32_e32 v3, s26
	v_add_co_u32_e32 v20, vcc, s25, v20
	v_addc_co_u32_e32 v21, vcc, v3, v21, vcc
	global_store_dwordx2 v[20:21], v[0:1], off
.LBB215_31:                             ;   in Loop: Header=BB215_23 Depth=1
	s_or_b64 exec, exec, s[18:19]
	v_mov_b32_e32 v3, v1
	v_cmp_le_u64_e32 vcc, s[10:11], v[2:3]
	s_cbranch_vccnz .LBB215_22
; %bb.32:                               ;   in Loop: Header=BB215_23 Depth=1
	ds_write_b32 v5, v6
	s_waitcnt lgkmcnt(0)
	s_barrier
	s_and_saveexec_b64 s[18:19], s[6:7]
	s_cbranch_execz .LBB215_34
; %bb.33:                               ;   in Loop: Header=BB215_23 Depth=1
	ds_read2_b32 v[20:21], v8 offset1:1
	ds_read2_b32 v[22:23], v8 offset0:2 offset1:3
	v_cmp_ne_u32_e32 vcc, 0, v13
	; wave barrier
	s_waitcnt lgkmcnt(1)
	v_add_u32_e32 v3, v21, v20
	s_waitcnt lgkmcnt(0)
	v_add3_u32 v3, v3, v22, v23
	s_nop 1
	v_mov_b32_dpp v7, v3 row_shr:1 row_mask:0xf bank_mask:0xf
	v_cndmask_b32_e32 v7, 0, v7, vcc
	v_add_u32_e32 v3, v7, v3
	v_cmp_lt_u32_e32 vcc, 1, v13
	s_nop 0
	v_mov_b32_dpp v7, v3 row_shr:2 row_mask:0xf bank_mask:0xf
	v_cndmask_b32_e32 v7, 0, v7, vcc
	v_add_u32_e32 v3, v3, v7
	v_cmp_lt_u32_e32 vcc, 3, v13
	;; [unrolled: 5-line block ×4, first 2 shown]
	s_nop 0
	v_mov_b32_dpp v7, v3 row_bcast:15 row_mask:0xf bank_mask:0xf
	v_and_b32_e32 v7, v14, v7
	v_add_u32_e32 v3, v3, v7
	s_nop 1
	v_mov_b32_dpp v7, v3 row_bcast:31 row_mask:0xf bank_mask:0xf
	v_cndmask_b32_e32 v7, 0, v7, vcc
	v_cmp_lt_i32_e32 vcc, v15, v16
	v_add_u32_e32 v3, v3, v7
	v_cndmask_b32_e32 v7, v15, v12, vcc
	v_lshlrev_b32_e32 v7, 2, v7
	ds_bpermute_b32 v3, v7, v3
	s_waitcnt lgkmcnt(0)
	v_add_u32_e32 v3, v3, v20
	v_cndmask_b32_e64 v3, v3, v6, s[2:3]
	ds_write_b32 v8, v3
	; wave barrier
	ds_read2_b32 v[20:21], v8 offset0:1 offset1:2
	ds_read_b32 v7, v8 offset:12
	s_waitcnt lgkmcnt(1)
	v_add_u32_e32 v3, v20, v3
	v_add_u32_e32 v19, v21, v3
	ds_write2_b32 v8, v3, v19 offset0:1 offset1:2
	s_waitcnt lgkmcnt(1)
	v_add_u32_e32 v3, v7, v19
	ds_write_b32 v8, v3 offset:12
.LBB215_34:                             ;   in Loop: Header=BB215_23 Depth=1
	s_or_b64 exec, exec, s[18:19]
	v_mov_b32_e32 v7, 0
	s_waitcnt lgkmcnt(0)
	s_barrier
	s_and_saveexec_b64 s[18:19], s[0:1]
	s_cbranch_execz .LBB215_36
; %bb.35:                               ;   in Loop: Header=BB215_23 Depth=1
	ds_read_b32 v7, v9
.LBB215_36:                             ;   in Loop: Header=BB215_23 Depth=1
	s_or_b64 exec, exec, s[18:19]
	ds_read_b32 v3, v1 offset:1048
	v_cmp_ne_u32_e32 vcc, 0, v6
	s_waitcnt lgkmcnt(0)
	s_barrier
	s_and_saveexec_b64 s[18:19], vcc
	s_cbranch_execz .LBB215_21
; %bb.37:                               ;   in Loop: Header=BB215_23 Depth=1
	v_add_u32_e32 v6, v7, v2
	v_mov_b32_e32 v7, v1
	v_cmp_gt_u64_e32 vcc, s[10:11], v[6:7]
	s_and_b64 exec, exec, vcc
	s_cbranch_execz .LBB215_21
; %bb.38:                               ;   in Loop: Header=BB215_23 Depth=1
	v_mad_u64_u32 v[20:21], s[28:29], v6, s16, 0
	v_mov_b32_e32 v22, v21
	v_mad_u64_u32 v[22:23], s[28:29], v6, s17, v[22:23]
	v_mov_b32_e32 v21, v22
	v_lshlrev_b64 v[20:21], 1, v[20:21]
	v_mov_b32_e32 v7, s24
	v_add_co_u32_e32 v20, vcc, s23, v20
	v_addc_co_u32_e32 v21, vcc, v7, v21, vcc
	global_store_short v[20:21], v17, off
	v_mad_u64_u32 v[20:21], s[28:29], v6, s14, 0
	v_mov_b32_e32 v22, v21
	v_mad_u64_u32 v[6:7], s[28:29], v6, s15, v[22:23]
	v_mov_b32_e32 v21, v6
	v_lshlrev_b64 v[6:7], 3, v[20:21]
	v_mov_b32_e32 v19, s26
	v_add_co_u32_e32 v6, vcc, s25, v6
	v_addc_co_u32_e32 v7, vcc, v19, v7, vcc
	global_store_dwordx2 v[6:7], v[0:1], off
	s_branch .LBB215_21
.LBB215_39:                             ;   in Loop: Header=BB215_40 Depth=1
	s_add_u32 s16, s16, 4
	s_addc_u32 s17, s17, 0
	s_waitcnt lgkmcnt(0)
	s_add_i32 s41, s15, s41
	s_add_u32 s18, s18, 4
	s_addc_u32 s19, s19, 0
	s_add_i32 s14, s14, 1
	s_cmp_lt_u32 s14, s21
	s_cbranch_scc0 .LBB215_18
.LBB215_40:                             ; =>This Inner Loop Header: Depth=1
	s_load_dword s15, s[16:17], 0x0
	s_cmp_ge_u32 s14, s40
	s_cbranch_scc1 .LBB215_39
; %bb.41:                               ;   in Loop: Header=BB215_40 Depth=1
	s_load_dword s34, s[18:19], 0x0
	s_waitcnt lgkmcnt(0)
	s_add_i32 s25, s15, s25
	s_add_i32 s24, s34, s24
	s_branch .LBB215_39
.LBB215_42:
	s_endpgm
	.section	.rodata,"a",@progbits
	.p2align	6, 0x0
	.amdhsa_kernel _ZN2at6native6mbtopk10gatherTopKIN3c108BFloat16EmLi1EEEvNS_4cuda6detail10TensorInfoIKT_T0_EESA_SA_bjSA_NS7_IS8_SA_EESA_NS7_IlSA_EESA_jjPS8_PjSF_j
		.amdhsa_group_segment_fixed_size 1068
		.amdhsa_private_segment_fixed_size 0
		.amdhsa_kernarg_size 1592
		.amdhsa_user_sgpr_count 6
		.amdhsa_user_sgpr_private_segment_buffer 1
		.amdhsa_user_sgpr_dispatch_ptr 0
		.amdhsa_user_sgpr_queue_ptr 0
		.amdhsa_user_sgpr_kernarg_segment_ptr 1
		.amdhsa_user_sgpr_dispatch_id 0
		.amdhsa_user_sgpr_flat_scratch_init 0
		.amdhsa_user_sgpr_kernarg_preload_length 0
		.amdhsa_user_sgpr_kernarg_preload_offset 0
		.amdhsa_user_sgpr_private_segment_size 0
		.amdhsa_uses_dynamic_stack 0
		.amdhsa_system_sgpr_private_segment_wavefront_offset 0
		.amdhsa_system_sgpr_workgroup_id_x 1
		.amdhsa_system_sgpr_workgroup_id_y 1
		.amdhsa_system_sgpr_workgroup_id_z 1
		.amdhsa_system_sgpr_workgroup_info 0
		.amdhsa_system_vgpr_workitem_id 0
		.amdhsa_next_free_vgpr 24
		.amdhsa_next_free_sgpr 45
		.amdhsa_accum_offset 24
		.amdhsa_reserve_vcc 1
		.amdhsa_reserve_flat_scratch 0
		.amdhsa_float_round_mode_32 0
		.amdhsa_float_round_mode_16_64 0
		.amdhsa_float_denorm_mode_32 3
		.amdhsa_float_denorm_mode_16_64 3
		.amdhsa_dx10_clamp 1
		.amdhsa_ieee_mode 1
		.amdhsa_fp16_overflow 0
		.amdhsa_tg_split 0
		.amdhsa_exception_fp_ieee_invalid_op 0
		.amdhsa_exception_fp_denorm_src 0
		.amdhsa_exception_fp_ieee_div_zero 0
		.amdhsa_exception_fp_ieee_overflow 0
		.amdhsa_exception_fp_ieee_underflow 0
		.amdhsa_exception_fp_ieee_inexact 0
		.amdhsa_exception_int_div_zero 0
	.end_amdhsa_kernel
	.section	.text._ZN2at6native6mbtopk10gatherTopKIN3c108BFloat16EmLi1EEEvNS_4cuda6detail10TensorInfoIKT_T0_EESA_SA_bjSA_NS7_IS8_SA_EESA_NS7_IlSA_EESA_jjPS8_PjSF_j,"axG",@progbits,_ZN2at6native6mbtopk10gatherTopKIN3c108BFloat16EmLi1EEEvNS_4cuda6detail10TensorInfoIKT_T0_EESA_SA_bjSA_NS7_IS8_SA_EESA_NS7_IlSA_EESA_jjPS8_PjSF_j,comdat
.Lfunc_end215:
	.size	_ZN2at6native6mbtopk10gatherTopKIN3c108BFloat16EmLi1EEEvNS_4cuda6detail10TensorInfoIKT_T0_EESA_SA_bjSA_NS7_IS8_SA_EESA_NS7_IlSA_EESA_jjPS8_PjSF_j, .Lfunc_end215-_ZN2at6native6mbtopk10gatherTopKIN3c108BFloat16EmLi1EEEvNS_4cuda6detail10TensorInfoIKT_T0_EESA_SA_bjSA_NS7_IS8_SA_EESA_NS7_IlSA_EESA_jjPS8_PjSF_j
                                        ; -- End function
	.section	.AMDGPU.csdata,"",@progbits
; Kernel info:
; codeLenInByte = 2280
; NumSgprs: 49
; NumVgprs: 24
; NumAgprs: 0
; TotalNumVgprs: 24
; ScratchSize: 0
; MemoryBound: 0
; FloatMode: 240
; IeeeMode: 1
; LDSByteSize: 1068 bytes/workgroup (compile time only)
; SGPRBlocks: 6
; VGPRBlocks: 2
; NumSGPRsForWavesPerEU: 49
; NumVGPRsForWavesPerEU: 24
; AccumOffset: 24
; Occupancy: 8
; WaveLimiterHint : 1
; COMPUTE_PGM_RSRC2:SCRATCH_EN: 0
; COMPUTE_PGM_RSRC2:USER_SGPR: 6
; COMPUTE_PGM_RSRC2:TRAP_HANDLER: 0
; COMPUTE_PGM_RSRC2:TGID_X_EN: 1
; COMPUTE_PGM_RSRC2:TGID_Y_EN: 1
; COMPUTE_PGM_RSRC2:TGID_Z_EN: 1
; COMPUTE_PGM_RSRC2:TIDIG_COMP_CNT: 0
; COMPUTE_PGM_RSRC3_GFX90A:ACCUM_OFFSET: 5
; COMPUTE_PGM_RSRC3_GFX90A:TG_SPLIT: 0
	.section	.text._ZN2at6native6sbtopk10gatherTopKIN3c108BFloat16EmLi1ELb0EEEvNS_4cuda6detail10TensorInfoIKT_T0_EESA_SA_bSA_SA_NS7_IS8_SA_EESA_NS7_IlSA_EESA_PS8_,"axG",@progbits,_ZN2at6native6sbtopk10gatherTopKIN3c108BFloat16EmLi1ELb0EEEvNS_4cuda6detail10TensorInfoIKT_T0_EESA_SA_bSA_SA_NS7_IS8_SA_EESA_NS7_IlSA_EESA_PS8_,comdat
	.protected	_ZN2at6native6sbtopk10gatherTopKIN3c108BFloat16EmLi1ELb0EEEvNS_4cuda6detail10TensorInfoIKT_T0_EESA_SA_bSA_SA_NS7_IS8_SA_EESA_NS7_IlSA_EESA_PS8_ ; -- Begin function _ZN2at6native6sbtopk10gatherTopKIN3c108BFloat16EmLi1ELb0EEEvNS_4cuda6detail10TensorInfoIKT_T0_EESA_SA_bSA_SA_NS7_IS8_SA_EESA_NS7_IlSA_EESA_PS8_
	.globl	_ZN2at6native6sbtopk10gatherTopKIN3c108BFloat16EmLi1ELb0EEEvNS_4cuda6detail10TensorInfoIKT_T0_EESA_SA_bSA_SA_NS7_IS8_SA_EESA_NS7_IlSA_EESA_PS8_
	.p2align	8
	.type	_ZN2at6native6sbtopk10gatherTopKIN3c108BFloat16EmLi1ELb0EEEvNS_4cuda6detail10TensorInfoIKT_T0_EESA_SA_bSA_SA_NS7_IS8_SA_EESA_NS7_IlSA_EESA_PS8_,@function
_ZN2at6native6sbtopk10gatherTopKIN3c108BFloat16EmLi1ELb0EEEvNS_4cuda6detail10TensorInfoIKT_T0_EESA_SA_bSA_SA_NS7_IS8_SA_EESA_NS7_IlSA_EESA_PS8_: ; @_ZN2at6native6sbtopk10gatherTopKIN3c108BFloat16EmLi1ELb0EEEvNS_4cuda6detail10TensorInfoIKT_T0_EESA_SA_bSA_SA_NS7_IS8_SA_EESA_NS7_IlSA_EESA_PS8_
; %bb.0:
	s_load_dwordx4 s[60:63], s[4:5], 0x1b8
	s_load_dwordx2 s[14:15], s[4:5], 0x520
	s_add_u32 s2, s4, 0x520
	s_addc_u32 s3, s5, 0
	s_mov_b32 s17, 0
	s_waitcnt lgkmcnt(0)
	v_mov_b32_e32 v2, s60
	s_mul_i32 s0, s15, s8
	s_add_i32 s0, s0, s7
	s_mul_i32 s0, s0, s14
	v_mov_b32_e32 v3, s61
	s_add_i32 s16, s0, s6
	v_cmp_ge_u64_e32 vcc, s[16:17], v[2:3]
	s_cbranch_vccnz .LBB216_480
; %bb.1:
	s_load_dwordx2 s[0:1], s[4:5], 0x440
                                        ; implicit-def: $vgpr56 : SGPR spill to VGPR lane
	v_cmp_eq_u32_e64 s[10:11], 0, v0
	s_waitcnt lgkmcnt(0)
	v_writelane_b32 v56, s0, 0
	v_writelane_b32 v56, s1, 1
	s_load_dwordx2 s[0:1], s[4:5], 0x370
	s_waitcnt lgkmcnt(0)
	v_writelane_b32 v56, s0, 2
	v_writelane_b32 v56, s1, 3
	s_load_dwordx2 s[0:1], s[4:5], 0x298
	s_waitcnt lgkmcnt(0)
	v_writelane_b32 v56, s0, 4
	v_writelane_b32 v56, s1, 5
	s_load_dwordx4 s[56:59], s[4:5], 0x1a0
	s_load_dwordx2 s[0:1], s[4:5], 0x1c8
	s_waitcnt lgkmcnt(0)
	v_writelane_b32 v56, s0, 6
	v_writelane_b32 v56, s1, 7
	s_load_dwordx2 s[0:1], s[4:5], 0xd0
	s_load_dwordx2 s[12:13], s[4:5], 0x0
	s_mov_b64 s[8:9], exec
	v_writelane_b32 v56, s10, 8
	v_writelane_b32 v56, s11, 9
	s_and_b64 s[10:11], s[8:9], s[10:11]
	s_mov_b64 exec, s[10:11]
	s_cbranch_execz .LBB216_3
; %bb.2:
	v_mov_b32_e32 v2, 0
	v_mov_b32_e32 v4, s56
	;; [unrolled: 1-line block ×4, first 2 shown]
	ds_write_b32 v2, v2 offset:5144
	ds_write_b128 v2, v[2:5] offset:5120
.LBB216_3:
	s_or_b64 exec, exec, s[8:9]
	s_waitcnt lgkmcnt(0)
	s_mul_i32 s1, s1, s16
	s_mul_hi_u32 s7, s0, s16
	v_writelane_b32 v56, s4, 10
	s_add_i32 s1, s7, s1
	v_writelane_b32 v56, s5, 11
	s_load_dword s5, s[4:5], 0x1b0
	s_mov_b32 s4, s16
	s_mul_i32 s0, s0, s16
	s_waitcnt lgkmcnt(0)
	v_writelane_b32 v56, s4, 12
	s_lshl_b64 s[0:1], s[0:1], 1
	v_writelane_b32 v56, s5, 13
	s_add_u32 s72, s12, s0
	v_writelane_b32 v56, s0, 14
	s_addc_u32 s73, s13, s1
	s_bitcmp1_b32 s5, 0
	v_writelane_b32 v56, s1, 15
	s_cselect_b64 s[0:1], -1, 0
	v_writelane_b32 v56, s0, 16
	v_writelane_b32 v56, s1, 17
	s_xor_b64 s[0:1], s[0:1], -1
	v_mov_b32_e32 v2, 0x600
	v_writelane_b32 v56, s0, 18
	v_mov_b32_e32 v3, 0
	v_writelane_b32 v56, s1, 19
	v_cmp_gt_u64_e64 s[0:1], s[56:57], v[2:3]
	v_writelane_b32 v56, s0, 20
	v_writelane_b32 v56, s1, 21
	v_mad_u64_u32 v[2:3], s[0:1], v0, s62, 0
	v_mov_b32_e32 v15, 0
	v_mbcnt_lo_u32_b32 v1, -1, 0
	v_mov_b32_e32 v4, v3
	v_mbcnt_hi_u32_b32 v33, -1, v1
	v_mov_b32_e32 v1, v15
	v_mad_u64_u32 v[4:5], s[0:1], v0, s63, v[4:5]
	v_cmp_gt_u64_e64 s[0:1], s[56:57], v[0:1]
	v_writelane_b32 v56, s0, 22
	v_writelane_b32 v56, s1, 23
	v_cmp_gt_u32_e64 s[0:1], 2, v0
	v_writelane_b32 v56, s0, 24
	s_barrier
	v_writelane_b32 v56, s1, 25
	s_load_dword s0, s[2:3], 0xc
	v_cmp_gt_u32_e32 vcc, 64, v0
	v_cmp_gt_i32_e64 s[10:11], 4, v33
	s_and_b64 s[84:85], vcc, s[10:11]
	v_mov_b32_e32 v3, v4
	s_waitcnt lgkmcnt(0)
	s_and_b32 s33, s0, 0xffff
	s_bfe_u32 s1, s0, 0xa0006
	v_cmp_gt_u16_e64 s[4:5], s0, 63
	v_writelane_b32 v56, s4, 26
	s_add_u32 s0, s33, -1
	v_writelane_b32 v56, s5, 27
	s_addc_u32 s4, 0, -1
	v_writelane_b32 v56, s0, 28
	s_add_u32 s0, s0, s56
	s_addc_u32 s5, s4, s57
	v_writelane_b32 v56, s0, 29
	s_cmp_lt_u32 s6, s14
	v_writelane_b32 v56, s4, 30
	s_cselect_b32 s0, 12, 18
	v_writelane_b32 v56, s4, 31
	s_add_u32 s2, s2, s0
	v_writelane_b32 v56, s5, 32
	s_addc_u32 s3, s3, 0
	v_writelane_b32 v56, s2, 33
	v_writelane_b32 v56, s3, 34
	s_add_i32 s0, s1, -1
	s_bfe_u32 s2, s33, 0x30006
	s_cmp_gt_u32 s0, 6
	s_cselect_b64 s[4:5], -1, 0
	v_writelane_b32 v56, s4, 35
	s_and_b32 s89, s1, 0x3f8
	v_lshlrev_b64 v[4:5], 1, v[2:3]
	v_writelane_b32 v56, s5, 36
	s_cmp_lg_u32 s2, 0
	v_add_co_u32_e32 v12, vcc, s72, v4
	v_lshrrev_b32_e32 v4, 4, v0
	v_writelane_b32 v56, s2, 37
	s_cselect_b64 s[0:1], -1, 0
	v_mov_b32_e32 v6, s73
	v_and_b32_e32 v34, 60, v4
	v_lshlrev_b32_e32 v4, 2, v33
	v_writelane_b32 v56, s0, 38
	v_addc_co_u32_e32 v13, vcc, v6, v5, vcc
	v_and_b32_e32 v32, 0x100, v4
	v_lshlrev_b64 v[4:5], v33, -1
	v_writelane_b32 v56, s1, 39
	s_lshl_b64 s[0:1], s[62:63], 1
	v_lshlrev_b32_e32 v37, 3, v0
	v_not_b32_e32 v11, v5
	v_writelane_b32 v56, s0, 40
	v_or_b32_e32 v5, 6, v37
	v_writelane_b32 v56, s1, 41
	v_mad_u64_u32 v[18:19], s[0:1], s62, v5, 0
	v_not_b32_e32 v10, v4
	v_mov_b32_e32 v4, v19
	v_mad_u64_u32 v[4:5], s[0:1], s63, v5, v[4:5]
	s_lshl_b64 s[0:1], s[62:63], 3
	v_writelane_b32 v56, s0, 42
	v_or_b32_e32 v5, 4, v37
	v_writelane_b32 v56, s1, 43
	v_mad_u64_u32 v[20:21], s[0:1], s62, v5, 0
	v_mov_b32_e32 v19, v4
	v_mov_b32_e32 v4, v21
	v_mad_u64_u32 v[4:5], s[0:1], s63, v5, v[4:5]
	v_or_b32_e32 v5, 2, v37
	v_mad_u64_u32 v[22:23], s[0:1], s62, v5, 0
	v_mov_b32_e32 v21, v4
	v_mov_b32_e32 v4, v23
	v_mad_u64_u32 v[4:5], s[0:1], s63, v5, v[4:5]
	s_mul_i32 s1, s63, s33
	s_mul_hi_u32 s2, s62, s33
	s_add_i32 s3, s2, s1
	s_mov_b32 s1, 14
	v_writelane_b32 v56, s1, 44
	s_mov_b32 s1, 0
	s_mov_b32 s83, 0
	v_lshlrev_b32_e32 v35, 1, v0
	v_lshlrev_b64 v[24:25], 3, v[2:3]
	v_mov_b32_e32 v2, 0xc00
	s_mul_i32 s2, s62, s33
	v_writelane_b32 v56, s1, 45
	v_cmp_eq_u32_e64 s[94:95], 0, v33
	v_lshlrev_b32_e32 v16, 2, v0
	v_mov_b32_e32 v17, v15
	v_add_u32_e32 v36, 0xc00, v35
	s_mov_b32 s88, s83
	v_mov_b32_e32 v23, v4
	v_lshl_or_b32 v38, v33, 3, v2
	s_lshl_b32 s0, s33, 1
	s_lshl_b64 s[60:61], s[2:3], 1
	s_mov_b64 s[74:75], 0
	v_pk_mov_b32 v[26:27], s[58:59], s[58:59] op_sel:[0,1]
	v_mov_b32_e32 v39, 0xffff
	v_mov_b32_e32 v40, 0x8000
	;; [unrolled: 1-line block ×3, first 2 shown]
	v_mov_b32_e32 v42, -1
	v_mov_b32_e32 v43, 0x5040100
	v_mov_b32_e32 v46, 0
	;; [unrolled: 1-line block ×4, first 2 shown]
	v_writelane_b32 v56, s84, 46
                                        ; implicit-def: $sgpr64_sgpr65
                                        ; implicit-def: $sgpr2_sgpr3
                                        ; implicit-def: $sgpr76_sgpr77
                                        ; implicit-def: $sgpr92_sgpr93
                                        ; implicit-def: $sgpr66_sgpr67
                                        ; implicit-def: $sgpr22_sgpr23
                                        ; implicit-def: $sgpr24_sgpr25
                                        ; implicit-def: $sgpr30_sgpr31
                                        ; implicit-def: $sgpr8_sgpr9
                                        ; implicit-def: $sgpr10_sgpr11
	v_writelane_b32 v56, s85, 47
	s_branch .LBB216_6
.LBB216_4:                              ;   in Loop: Header=BB216_6 Depth=1
	s_or_b64 exec, exec, s[14:15]
	s_andn2_b64 s[10:11], s[10:11], exec
	s_and_b64 s[12:13], s[12:13], exec
	s_or_b64 s[10:11], s[10:11], s[12:13]
	s_andn2_b64 s[8:9], s[8:9], exec
	s_andn2_b64 s[30:31], s[30:31], exec
	;; [unrolled: 1-line block ×4, first 2 shown]
	s_orn2_b64 s[6:7], s[6:7], exec
	v_mov_b32_e32 v44, v29
	v_mov_b32_e32 v45, v28
	v_pk_mov_b32 v[26:27], v[2:3], v[2:3] op_sel:[0,1]
	v_mov_b32_e32 v46, v6
.LBB216_5:                              ;   in Loop: Header=BB216_6 Depth=1
	s_or_b64 exec, exec, s[4:5]
	s_and_b64 s[4:5], exec, s[6:7]
	s_or_b64 s[74:75], s[4:5], s[74:75]
	s_andn2_b64 s[4:5], s[66:67], exec
	s_and_b64 s[6:7], s[10:11], exec
	s_or_b64 s[66:67], s[4:5], s[6:7]
	s_andn2_b64 s[4:5], s[92:93], exec
	s_and_b64 s[6:7], s[8:9], exec
	;; [unrolled: 3-line block ×5, first 2 shown]
	s_or_b64 s[64:65], s[4:5], s[6:7]
	s_andn2_b64 exec, exec, s[74:75]
	s_cbranch_execz .LBB216_476
.LBB216_6:                              ; =>This Loop Header: Depth=1
                                        ;     Child Loop BB216_11 Depth 2
                                        ;     Child Loop BB216_26 Depth 2
                                        ;     Child Loop BB216_53 Depth 2
                                        ;     Child Loop BB216_57 Depth 2
                                        ;     Child Loop BB216_39 Depth 2
                                        ;     Child Loop BB216_46 Depth 2
                                        ;     Child Loop BB216_66 Depth 2
                                        ;     Child Loop BB216_72 Depth 2
                                        ;     Child Loop BB216_104 Depth 2
                                        ;     Child Loop BB216_85 Depth 2
                                        ;     Child Loop BB216_150 Depth 2
                                        ;     Child Loop BB216_134 Depth 2
                                        ;     Child Loop BB216_196 Depth 2
                                        ;     Child Loop BB216_180 Depth 2
                                        ;     Child Loop BB216_231 Depth 2
                                        ;     Child Loop BB216_247 Depth 2
                                        ;     Child Loop BB216_300 Depth 2
                                        ;     Child Loop BB216_286 Depth 2
                                        ;     Child Loop BB216_346 Depth 2
                                        ;     Child Loop BB216_330 Depth 2
                                        ;     Child Loop BB216_392 Depth 2
                                        ;     Child Loop BB216_376 Depth 2
                                        ;     Child Loop BB216_427 Depth 2
                                        ;     Child Loop BB216_443 Depth 2
	ds_read_b128 v[2:5], v15 offset:5120
	s_waitcnt lgkmcnt(0)
	v_readfirstlane_b32 s87, v3
	v_readfirstlane_b32 s86, v2
	s_cmp_lg_u64 s[86:87], 0
	s_cbranch_scc1 .LBB216_33
; %bb.7:                                ;   in Loop: Header=BB216_6 Depth=1
	v_readlane_b32 s4, v56, 20
	v_readlane_b32 s5, v56, 21
	s_and_b64 vcc, exec, s[4:5]
	s_cbranch_vccz .LBB216_19
; %bb.8:                                ;   in Loop: Header=BB216_6 Depth=1
	s_mov_b64 s[4:5], 0x601
	v_cmp_gt_u64_e32 vcc, s[4:5], v[4:5]
	s_mov_b64 s[86:87], 0
	s_mov_b64 s[4:5], 0
	s_cbranch_vccz .LBB216_20
; %bb.9:                                ;   in Loop: Header=BB216_6 Depth=1
	v_readlane_b32 s4, v56, 33
	v_readlane_b32 s5, v56, 34
	s_nop 4
	global_load_ushort v6, v15, s[4:5]
	global_load_ushort v7, v[12:13], off
	v_pk_mov_b32 v[2:3], s[72:73], s[72:73] op_sel:[0,1]
	v_readlane_b32 s14, v56, 40
	v_readlane_b32 s15, v56, 41
	s_mov_b64 s[4:5], 0
	s_waitcnt vmcnt(1)
	v_readfirstlane_b32 s1, v6
	s_and_b32 s1, 0xffff, s1
	v_add_u32_e32 v5, s1, v0
	v_mad_u64_u32 v[2:3], s[6:7], s14, v5, v[2:3]
	v_mov_b32_e32 v4, v3
	s_mul_i32 s12, s15, s1
	s_mul_hi_u32 s13, s14, s1
	v_mad_u64_u32 v[4:5], s[6:7], s15, v5, v[4:5]
	s_mul_i32 s1, s14, s1
	s_add_i32 s20, s13, s12
	v_mov_b32_e32 v3, v4
	v_pk_mov_b32 v[4:5], v[0:1], v[0:1] op_sel:[0,1]
	s_branch .LBB216_11
.LBB216_10:                             ;   in Loop: Header=BB216_11 Depth=2
	s_or_b64 exec, exec, s[6:7]
	v_mov_b32_e32 v7, s20
	v_add_co_u32_e32 v2, vcc, s1, v2
	v_addc_co_u32_e32 v3, vcc, v3, v7, vcc
	v_mov_b32_e32 v7, v8
	s_andn2_b64 exec, exec, s[4:5]
	s_cbranch_execz .LBB216_92
.LBB216_11:                             ;   Parent Loop BB216_6 Depth=1
                                        ; =>  This Inner Loop Header: Depth=2
	v_add_co_u32_sdwa v4, vcc, v4, v6 dst_sel:DWORD dst_unused:UNUSED_PAD src0_sel:DWORD src1_sel:WORD_0
	v_addc_co_u32_e32 v5, vcc, 0, v5, vcc
	v_cmp_gt_u64_e64 s[6:7], s[56:57], v[4:5]
	v_cmp_le_u64_e32 vcc, s[56:57], v[4:5]
	s_waitcnt lgkmcnt(0)
	v_mov_b32_e32 v9, 0
	v_mov_b32_e32 v8, 0
	s_and_saveexec_b64 s[12:13], s[6:7]
	s_cbranch_execz .LBB216_13
; %bb.12:                               ;   in Loop: Header=BB216_11 Depth=2
	global_load_ushort v8, v[2:3], off
.LBB216_13:                             ;   in Loop: Header=BB216_11 Depth=2
	s_or_b64 exec, exec, s[12:13]
	s_waitcnt vmcnt(0)
	v_cmp_lt_i16_e64 s[6:7], -1, v7
	v_cndmask_b32_e64 v14, v39, v40, s[6:7]
	v_lshlrev_b32_e32 v28, 16, v7
	v_xor_b32_sdwa v14, v14, v7 dst_sel:DWORD dst_unused:UNUSED_PAD src0_sel:DWORD src1_sel:WORD_0
	v_cmp_o_f32_e64 s[6:7], v28, v28
	v_cndmask_b32_e64 v14, v39, v14, s[6:7]
	v_and_b32_e32 v14, v14, v44
	v_cmp_eq_u32_e64 s[14:15], v14, v45
	s_cmp_lg_u64 s[14:15], 0
	s_cselect_b64 s[6:7], -1, 0
	s_and_b64 s[6:7], s[94:95], s[6:7]
	s_and_saveexec_b64 s[12:13], s[6:7]
	s_cbranch_execz .LBB216_17
; %bb.14:                               ;   in Loop: Header=BB216_11 Depth=2
	s_mov_b64 s[18:19], exec
	v_mbcnt_lo_u32_b32 v9, s18, 0
	v_mbcnt_hi_u32_b32 v9, s19, v9
	s_bcnt1_i32_b64 s21, s[14:15]
	v_cmp_eq_u32_e64 s[6:7], 0, v9
                                        ; implicit-def: $vgpr14
	s_and_saveexec_b64 s[16:17], s[6:7]
	s_cbranch_execz .LBB216_16
; %bb.15:                               ;   in Loop: Header=BB216_11 Depth=2
	s_bcnt1_i32_b64 s6, s[18:19]
	s_mul_i32 s6, s21, s6
	v_mov_b32_e32 v14, s6
	ds_add_rtn_u32 v14, v15, v14 offset:5144
.LBB216_16:                             ;   in Loop: Header=BB216_11 Depth=2
	s_or_b64 exec, exec, s[16:17]
	s_waitcnt lgkmcnt(0)
	v_readfirstlane_b32 s6, v14
	v_mov_b32_e32 v14, s6
	v_mad_u32_u24 v9, s21, v9, v14
.LBB216_17:                             ;   in Loop: Header=BB216_11 Depth=2
	s_or_b64 exec, exec, s[12:13]
	ds_bpermute_b32 v9, v32, v9
	s_and_b64 s[6:7], exec, vcc
	s_or_b64 s[4:5], s[6:7], s[4:5]
	s_and_saveexec_b64 s[6:7], s[14:15]
	s_cbranch_execz .LBB216_10
; %bb.18:                               ;   in Loop: Header=BB216_11 Depth=2
	v_and_b32_e32 v28, s14, v10
	v_and_b32_e32 v14, s15, v11
	v_bcnt_u32_b32 v28, v28, 0
	v_bcnt_u32_b32 v14, v14, v28
	v_lshlrev_b32_e32 v14, 1, v14
	s_waitcnt lgkmcnt(0)
	v_lshl_add_u32 v9, v9, 1, v14
	ds_write_b16 v9, v7
	s_branch .LBB216_10
.LBB216_19:                             ;   in Loop: Header=BB216_6 Depth=1
	s_mov_b64 s[86:87], -1
	s_mov_b64 s[4:5], 0
.LBB216_20:                             ;   in Loop: Header=BB216_6 Depth=1
	s_and_b64 vcc, exec, s[86:87]
	s_cbranch_vccz .LBB216_31
.LBB216_21:                             ;   in Loop: Header=BB216_6 Depth=1
	v_mov_b32_e32 v6, 0
	s_mov_b64 s[4:5], exec
	v_readlane_b32 s6, v56, 22
	v_readlane_b32 s7, v56, 23
	s_and_b64 s[6:7], s[4:5], s[6:7]
	s_mov_b64 exec, s[6:7]
	s_cbranch_execz .LBB216_23
; %bb.22:                               ;   in Loop: Header=BB216_6 Depth=1
	global_load_ushort v6, v[12:13], off
.LBB216_23:                             ;   in Loop: Header=BB216_6 Depth=1
	s_or_b64 exec, exec, s[4:5]
	s_mov_b64 s[4:5], exec
	v_readlane_b32 s6, v56, 22
	v_readlane_b32 s7, v56, 23
	s_and_b64 s[6:7], s[4:5], s[6:7]
	s_mov_b64 exec, s[6:7]
	s_cbranch_execz .LBB216_28
; %bb.24:                               ;   in Loop: Header=BB216_6 Depth=1
	v_readlane_b32 s6, v56, 33
	v_readlane_b32 s7, v56, 34
	;; [unrolled: 1-line block ×3, first 2 shown]
	v_pk_mov_b32 v[2:3], s[72:73], s[72:73] op_sel:[0,1]
	v_readlane_b32 s19, v56, 41
	s_mov_b64 s[12:13], 0
	v_mov_b32_e32 v8, v35
	global_load_ushort v7, v15, s[6:7]
	s_waitcnt vmcnt(0)
	v_readfirstlane_b32 s1, v7
	s_and_b32 s6, 0xffff, s1
	v_add_u32_e32 v5, s6, v0
	s_lshl_b32 s1, s6, 1
	s_mul_i32 s14, s19, s6
	s_mul_hi_u32 s15, s18, s6
	s_mul_i32 s16, s18, s6
	v_mad_u64_u32 v[2:3], s[6:7], s18, v5, v[2:3]
	v_mov_b32_e32 v4, v3
	v_mad_u64_u32 v[4:5], s[6:7], s19, v5, v[4:5]
	s_add_i32 s17, s15, s14
	v_mov_b32_e32 v3, v4
	v_pk_mov_b32 v[4:5], v[0:1], v[0:1] op_sel:[0,1]
	s_branch .LBB216_26
.LBB216_25:                             ;   in Loop: Header=BB216_26 Depth=2
	s_or_b64 exec, exec, s[14:15]
	s_and_b64 s[6:7], exec, vcc
	ds_write_b16 v8, v6
	v_mov_b32_e32 v6, s17
	v_add_co_u32_e32 v2, vcc, s16, v2
	s_or_b64 s[12:13], s[6:7], s[12:13]
	v_add_u32_e32 v8, s1, v8
	v_addc_co_u32_e32 v3, vcc, v3, v6, vcc
	s_waitcnt vmcnt(0)
	v_mov_b32_e32 v6, v9
	s_andn2_b64 exec, exec, s[12:13]
	s_cbranch_execz .LBB216_28
.LBB216_26:                             ;   Parent Loop BB216_6 Depth=1
                                        ; =>  This Inner Loop Header: Depth=2
	v_add_co_u32_sdwa v4, vcc, v4, v7 dst_sel:DWORD dst_unused:UNUSED_PAD src0_sel:DWORD src1_sel:WORD_0
	v_addc_co_u32_e32 v5, vcc, 0, v5, vcc
	v_cmp_gt_u64_e64 s[6:7], s[56:57], v[4:5]
	v_cmp_le_u64_e32 vcc, s[56:57], v[4:5]
	v_mov_b32_e32 v9, 0
	s_and_saveexec_b64 s[14:15], s[6:7]
	s_cbranch_execz .LBB216_25
; %bb.27:                               ;   in Loop: Header=BB216_26 Depth=2
	global_load_ushort v9, v[2:3], off
	s_branch .LBB216_25
.LBB216_28:                             ;   in Loop: Header=BB216_6 Depth=1
	s_or_b64 exec, exec, s[4:5]
	s_waitcnt lgkmcnt(0)
	s_barrier
	s_mov_b64 s[4:5], exec
	v_readlane_b32 s6, v56, 8
	v_readlane_b32 s7, v56, 9
	s_and_b64 s[6:7], s[4:5], s[6:7]
	s_mov_b64 exec, s[6:7]
	s_cbranch_execz .LBB216_30
; %bb.29:                               ;   in Loop: Header=BB216_6 Depth=1
	v_pk_mov_b32 v[2:3], s[56:57], s[56:57] op_sel:[0,1]
	ds_write_b64 v15, v[2:3] offset:5120
.LBB216_30:                             ;   in Loop: Header=BB216_6 Depth=1
	s_or_b64 exec, exec, s[4:5]
	s_mov_b64 s[4:5], -1
	s_waitcnt lgkmcnt(0)
	s_barrier
                                        ; implicit-def: $sgpr86_sgpr87
.LBB216_31:                             ;   in Loop: Header=BB216_6 Depth=1
	s_and_b64 vcc, exec, s[4:5]
	s_cbranch_vccz .LBB216_33
; %bb.32:                               ;   in Loop: Header=BB216_6 Depth=1
	ds_read_b64 v[2:3], v15 offset:5120
	s_waitcnt lgkmcnt(0)
	v_readfirstlane_b32 s86, v2
.LBB216_33:                             ;   in Loop: Header=BB216_6 Depth=1
	v_writelane_b32 v56, s22, 48
	v_writelane_b32 v56, s23, 49
	s_cmp_lt_i32 s86, 1
	v_writelane_b32 v56, s24, 50
	v_writelane_b32 v56, s25, 51
	s_cbranch_scc0 .LBB216_48
; %bb.34:                               ;   in Loop: Header=BB216_6 Depth=1
	v_readlane_b32 s4, v56, 33
	v_readlane_b32 s5, v56, 34
	s_nop 4
	global_load_ushort v2, v15, s[4:5]
	s_mov_b32 s4, s83
	s_mov_b32 s5, s57
	s_waitcnt vmcnt(0)
	v_readfirstlane_b32 s1, v2
	s_and_b32 s82, s1, 0xffff
	s_lshl_b32 s87, s82, 2
	s_cmp_lg_u64 s[4:5], 0
	s_cbranch_scc0 .LBB216_68
; %bb.35:                               ;   in Loop: Header=BB216_6 Depth=1
	v_cvt_f32_u32_e32 v2, s87
	s_sub_u32 s1, 0, s87
	s_subb_u32 s4, 0, 0
	v_mac_f32_e32 v2, 0, v41
	v_rcp_f32_e32 v2, v2
	v_mul_f32_e32 v2, 0x5f7ffffc, v2
	v_mul_f32_e32 v3, 0x2f800000, v2
	v_trunc_f32_e32 v3, v3
	v_mac_f32_e32 v2, 0xcf800000, v3
	v_cvt_u32_f32_e32 v3, v3
	v_cvt_u32_f32_e32 v2, v2
	v_readfirstlane_b32 s5, v3
	v_readfirstlane_b32 s6, v2
	s_mul_i32 s7, s1, s5
	s_mul_hi_u32 s13, s1, s6
	s_mul_i32 s12, s4, s6
	s_add_i32 s7, s13, s7
	s_mul_i32 s14, s1, s6
	s_add_i32 s7, s7, s12
	s_mul_hi_u32 s13, s6, s14
	s_mul_hi_u32 s12, s6, s7
	s_mul_i32 s6, s6, s7
	s_add_u32 s6, s13, s6
	s_addc_u32 s12, 0, s12
	s_mul_hi_u32 s15, s5, s14
	s_mul_i32 s14, s5, s14
	s_add_u32 s6, s6, s14
	s_mul_hi_u32 s13, s5, s7
	s_addc_u32 s6, s12, s15
	s_addc_u32 s12, s13, 0
	s_mul_i32 s7, s5, s7
	s_add_u32 s6, s6, s7
	s_addc_u32 s7, 0, s12
	v_add_co_u32_e32 v2, vcc, s6, v2
	s_cmp_lg_u64 vcc, 0
	s_addc_u32 s5, s5, s7
	v_readfirstlane_b32 s7, v2
	s_mul_i32 s6, s1, s5
	s_mul_hi_u32 s12, s1, s7
	s_add_i32 s6, s12, s6
	s_mul_i32 s4, s4, s7
	s_add_i32 s6, s6, s4
	s_mul_i32 s1, s1, s7
	s_mul_hi_u32 s12, s5, s1
	s_mul_i32 s13, s5, s1
	s_mul_i32 s15, s7, s6
	s_mul_hi_u32 s1, s7, s1
	s_mul_hi_u32 s14, s7, s6
	s_add_u32 s1, s1, s15
	s_addc_u32 s7, 0, s14
	s_add_u32 s1, s1, s13
	s_mul_hi_u32 s4, s5, s6
	s_addc_u32 s1, s7, s12
	s_addc_u32 s4, s4, 0
	s_mul_i32 s6, s5, s6
	s_add_u32 s1, s1, s6
	s_addc_u32 s4, 0, s4
	v_add_co_u32_e32 v2, vcc, s1, v2
	s_cmp_lg_u64 vcc, 0
	s_addc_u32 s1, s5, s4
	v_readfirstlane_b32 s6, v2
	s_mul_i32 s5, s56, s1
	s_mul_hi_u32 s7, s56, s6
	s_mul_hi_u32 s4, s56, s1
	s_add_u32 s5, s7, s5
	s_addc_u32 s4, 0, s4
	s_mul_hi_u32 s12, s57, s6
	s_mul_i32 s6, s57, s6
	s_add_u32 s5, s5, s6
	s_mul_hi_u32 s7, s57, s1
	s_addc_u32 s4, s4, s12
	s_addc_u32 s5, s7, 0
	s_mul_i32 s1, s57, s1
	s_add_u32 s1, s4, s1
	s_addc_u32 s4, 0, s5
	s_mul_hi_u32 s5, s87, s1
	s_mul_i32 s1, s87, s1
	s_mul_i32 s4, s87, s4
	v_mov_b32_e32 v2, s1
	s_add_i32 s5, s5, s4
	v_sub_co_u32_e32 v2, vcc, s56, v2
	s_cmp_lg_u64 vcc, 0
	s_subb_u32 s1, s57, s5
	v_subrev_co_u32_e32 v3, vcc, s87, v2
	s_cmp_lg_u64 vcc, 0
	s_subb_u32 s4, s1, 0
	v_subrev_co_u32_e32 v4, vcc, s87, v3
	s_cmp_lg_u64 vcc, 0
	s_subb_u32 s5, s4, 0
	v_cmp_le_u32_e32 vcc, s87, v3
	s_cmp_eq_u32 s4, 0
	v_cndmask_b32_e64 v5, 0, -1, vcc
	s_cselect_b64 vcc, -1, 0
	v_cndmask_b32_e32 v5, -1, v5, vcc
	v_mov_b32_e32 v6, s4
	v_mov_b32_e32 v7, s5
	v_cmp_ne_u32_e32 vcc, 0, v5
	v_cndmask_b32_e32 v5, v6, v7, vcc
	v_cndmask_b32_e32 v4, v3, v4, vcc
	v_cmp_le_u32_e32 vcc, s87, v2
	s_cmp_eq_u32 s1, 0
	v_cndmask_b32_e64 v3, 0, -1, vcc
	s_cselect_b64 vcc, -1, 0
	v_cndmask_b32_e32 v3, -1, v3, vcc
	v_mov_b32_e32 v6, s1
	v_cmp_ne_u32_e32 vcc, 0, v3
	v_cndmask_b32_e32 v3, v6, v5, vcc
	v_cndmask_b32_e32 v2, v2, v4, vcc
	s_cbranch_execnz .LBB216_37
.LBB216_36:                             ;   in Loop: Header=BB216_6 Depth=1
	v_cvt_f32_u32_e32 v2, s87
	s_sub_i32 s1, 0, s87
	v_rcp_iflag_f32_e32 v2, v2
	v_mul_f32_e32 v2, 0x4f7ffffe, v2
	v_cvt_u32_f32_e32 v2, v2
	v_mul_lo_u32 v3, s1, v2
	v_mul_hi_u32 v3, v2, v3
	v_add_u32_e32 v2, v2, v3
	v_mul_hi_u32 v2, s56, v2
	v_mul_lo_u32 v2, v2, s87
	v_sub_u32_e32 v2, s56, v2
	v_subrev_u32_e32 v3, s87, v2
	v_cmp_le_u32_e32 vcc, s87, v2
	v_cndmask_b32_e32 v2, v2, v3, vcc
	v_subrev_u32_e32 v3, s87, v2
	v_cmp_le_u32_e32 vcc, s87, v2
	v_cndmask_b32_e32 v14, v2, v3, vcc
	v_pk_mov_b32 v[2:3], v[14:15], v[14:15] op_sel:[0,1]
.LBB216_37:                             ;   in Loop: Header=BB216_6 Depth=1
	v_mov_b32_e32 v4, s57
	v_sub_co_u32_e32 v28, vcc, s56, v2
	v_subb_co_u32_e32 v29, vcc, v4, v3, vcc
	v_pk_mov_b32 v[2:3], 0, 0
	v_cmp_gt_u64_e32 vcc, v[28:29], v[16:17]
	s_mov_b64 s[12:13], 0
	v_pk_mov_b32 v[4:5], v[2:3], v[2:3] op_sel:[0,1]
	v_pk_mov_b32 v[6:7], v[2:3], v[2:3] op_sel:[0,1]
	;; [unrolled: 1-line block ×3, first 2 shown]
	s_and_saveexec_b64 s[4:5], vcc
	s_cbranch_execz .LBB216_41
; %bb.38:                               ;   in Loop: Header=BB216_6 Depth=1
	v_readlane_b32 s14, v56, 42
	v_readlane_b32 s15, v56, 43
	;; [unrolled: 1-line block ×3, first 2 shown]
	s_mul_i32 s6, s15, s82
	s_mul_hi_u32 s7, s14, s82
	s_mov_b64 s[68:69], s[94:95]
	s_and_b32 s1, s1, 0xfe
	s_add_i32 s94, s7, s6
	s_mul_i32 s95, s14, s82
	s_mov_b64 s[78:79], s[72:73]
	s_mov_b64 s[70:71], 0
	;; [unrolled: 1-line block ×5, first 2 shown]
	v_pk_mov_b32 v[30:31], v[16:17], v[16:17] op_sel:[0,1]
.LBB216_39:                             ;   Parent Loop BB216_6 Depth=1
                                        ; =>  This Inner Loop Header: Depth=2
	v_add_co_u32_e64 v30, s[6:7], s87, v30
	v_addc_co_u32_e64 v31, s[6:7], 0, v31, s[6:7]
	v_mov_b32_e32 v7, s79
	v_add_co_u32_e32 v2, vcc, s78, v22
	v_add_co_u32_e64 v8, s[6:7], s78, v24
	v_add_co_u32_e64 v4, s[14:15], s78, v20
	;; [unrolled: 1-line block ×3, first 2 shown]
	v_addc_co_u32_e64 v9, s[6:7], v7, v25, s[6:7]
	v_addc_co_u32_e32 v3, vcc, v7, v23, vcc
	v_addc_co_u32_e64 v5, vcc, v7, v21, s[14:15]
	v_addc_co_u32_e64 v7, vcc, v7, v19, s[16:17]
	global_load_ushort v8, v[8:9], off
	s_nop 0
	global_load_ushort v2, v[2:3], off
	s_nop 0
	;; [unrolled: 2-line block ×3, first 2 shown]
	global_load_ushort v4, v[6:7], off
	v_cmp_ge_u64_e32 vcc, v[30:31], v[28:29]
	s_waitcnt vmcnt(3)
	v_cmp_lt_i16_e64 s[6:7], -1, v8
	v_cndmask_b32_e64 v14, v39, v40, s[6:7]
	s_waitcnt vmcnt(2)
	v_cmp_lt_i16_e64 s[6:7], -1, v2
	v_cndmask_b32_e64 v47, v39, v40, s[6:7]
	s_waitcnt vmcnt(1)
	v_cmp_lt_i16_e64 s[6:7], -1, v3
	v_lshlrev_b32_e32 v5, 16, v8
	v_lshlrev_b32_e32 v6, 16, v2
	v_cndmask_b32_e64 v48, v39, v40, s[6:7]
	s_waitcnt vmcnt(0)
	v_cmp_lt_i16_e64 s[6:7], -1, v4
	v_cndmask_b32_e64 v49, v39, v40, s[6:7]
	v_cmp_o_f32_e64 s[6:7], v6, v6
	v_xor_b32_sdwa v6, v14, v8 dst_sel:DWORD dst_unused:UNUSED_PAD src0_sel:DWORD src1_sel:WORD_0
	v_cmp_o_f32_e64 s[18:19], v5, v5
	v_lshlrev_b32_e32 v7, 16, v3
	v_xor_b32_sdwa v2, v47, v2 dst_sel:DWORD dst_unused:UNUSED_PAD src0_sel:DWORD src1_sel:WORD_0
	v_cndmask_b32_e64 v5, v39, v6, s[18:19]
	v_lshlrev_b32_e32 v9, 16, v4
	v_xor_b32_sdwa v3, v48, v3 dst_sel:DWORD dst_unused:UNUSED_PAD src0_sel:DWORD src1_sel:WORD_0
	v_cmp_o_f32_e64 s[14:15], v7, v7
	v_cndmask_b32_e64 v2, v39, v2, s[6:7]
	v_and_b32_e32 v6, v5, v44
	v_bfe_u32 v5, v5, s1, 2
	v_xor_b32_sdwa v4, v49, v4 dst_sel:DWORD dst_unused:UNUSED_PAD src0_sel:DWORD src1_sel:WORD_0
	v_cmp_o_f32_e64 s[16:17], v9, v9
	v_cndmask_b32_e64 v3, v39, v3, s[14:15]
	v_and_b32_e32 v7, v2, v44
	v_bfe_u32 v2, v2, s1, 2
	v_cmp_eq_u32_e64 s[20:21], v6, v45
	v_cmp_eq_u32_e64 s[6:7], 0, v5
	v_cndmask_b32_e64 v4, v39, v4, s[16:17]
	v_and_b32_e32 v8, v3, v44
	v_bfe_u32 v3, v3, s1, 2
	v_cmp_eq_u32_e64 s[18:19], v7, v45
	v_cmp_eq_u32_e64 s[34:35], 0, v2
	s_and_b64 s[6:7], s[20:21], s[6:7]
	v_and_b32_e32 v9, v4, v44
	v_bfe_u32 v4, v4, s1, 2
	v_cmp_eq_u32_e64 s[16:17], v8, v45
	v_cmp_eq_u32_e64 s[36:37], 0, v3
	;; [unrolled: 1-line block ×5, first 2 shown]
	v_cndmask_b32_e64 v2, 0, 1, s[6:7]
	s_and_b64 s[6:7], s[18:19], s[34:35]
	v_cmp_eq_u32_e64 s[14:15], v9, v45
	v_cmp_eq_u32_e64 s[38:39], 0, v4
	;; [unrolled: 1-line block ×5, first 2 shown]
	v_cndmask_b32_e64 v3, 0, 1, s[6:7]
	s_and_b64 s[6:7], s[16:17], s[36:37]
	v_cmp_eq_u32_e64 s[46:47], 1, v4
	v_cmp_eq_u32_e64 s[54:55], 2, v4
	;; [unrolled: 1-line block ×3, first 2 shown]
	v_cndmask_b32_e64 v4, 0, 1, s[6:7]
	s_and_b64 s[6:7], s[14:15], s[38:39]
	v_cmp_eq_u32_e64 s[40:41], 1, v5
	v_cmp_eq_u32_e64 s[48:49], 2, v5
	;; [unrolled: 1-line block ×3, first 2 shown]
	v_cndmask_b32_e64 v5, 0, 1, s[6:7]
	v_cmp_ne_u32_e64 s[6:7], 0, v2
	v_cmp_ne_u32_e64 s[34:35], 0, v3
	v_cmp_ne_u32_e64 s[36:37], 0, v4
	v_cmp_ne_u32_e64 s[38:39], 0, v5
	s_bcnt1_i32_b64 s6, s[6:7]
	s_bcnt1_i32_b64 s7, s[34:35]
	s_bcnt1_i32_b64 s34, s[36:37]
	s_bcnt1_i32_b64 s35, s[38:39]
	s_add_u32 s6, s6, s90
	s_addc_u32 s36, 0, s91
	s_add_u32 s6, s6, s7
	s_addc_u32 s7, s36, 0
	s_add_u32 s6, s6, s34
	s_addc_u32 s7, s7, 0
	s_add_u32 s90, s6, s35
	s_addc_u32 s91, s7, 0
	s_and_b64 s[6:7], s[20:21], s[40:41]
	v_cndmask_b32_e64 v4, 0, 1, s[6:7]
	s_and_b64 s[6:7], s[18:19], s[42:43]
	v_cndmask_b32_e64 v5, 0, 1, s[6:7]
	s_and_b64 s[6:7], s[16:17], s[44:45]
	v_cndmask_b32_e64 v6, 0, 1, s[6:7]
	s_and_b64 s[6:7], s[14:15], s[46:47]
	v_cndmask_b32_e64 v7, 0, 1, s[6:7]
	v_cmp_ne_u32_e64 s[6:7], 0, v4
	v_cmp_ne_u32_e64 s[34:35], 0, v5
	v_cmp_ne_u32_e64 s[36:37], 0, v6
	v_cmp_ne_u32_e64 s[38:39], 0, v7
	s_bcnt1_i32_b64 s6, s[6:7]
	s_bcnt1_i32_b64 s7, s[34:35]
	s_bcnt1_i32_b64 s34, s[36:37]
	s_bcnt1_i32_b64 s35, s[38:39]
	s_add_u32 s6, s6, s84
	s_addc_u32 s36, 0, s85
	s_add_u32 s6, s6, s7
	s_addc_u32 s7, s36, 0
	s_add_u32 s6, s6, s34
	s_addc_u32 s7, s7, 0
	s_add_u32 s84, s6, s35
	s_addc_u32 s85, s7, 0
	s_and_b64 s[6:7], s[20:21], s[48:49]
	v_cndmask_b32_e64 v6, 0, 1, s[6:7]
	s_and_b64 s[6:7], s[18:19], s[50:51]
	v_cndmask_b32_e64 v7, 0, 1, s[6:7]
	s_and_b64 s[6:7], s[16:17], s[52:53]
	v_cndmask_b32_e64 v8, 0, 1, s[6:7]
	s_and_b64 s[6:7], s[14:15], s[54:55]
	;; [unrolled: 24-line block ×3, first 2 shown]
	v_cndmask_b32_e64 v47, 0, 1, s[6:7]
	v_cmp_ne_u32_e64 s[6:7], 0, v8
	v_cmp_ne_u32_e64 s[14:15], 0, v9
	;; [unrolled: 1-line block ×4, first 2 shown]
	s_bcnt1_i32_b64 s6, s[6:7]
	s_bcnt1_i32_b64 s7, s[14:15]
	;; [unrolled: 1-line block ×4, first 2 shown]
	s_add_u32 s6, s6, s70
	s_addc_u32 s16, 0, s71
	s_add_u32 s6, s6, s7
	s_addc_u32 s7, s16, 0
	;; [unrolled: 2-line block ×5, first 2 shown]
	v_pk_mov_b32 v[2:3], s[90:91], s[90:91] op_sel:[0,1]
	v_pk_mov_b32 v[4:5], s[84:85], s[84:85] op_sel:[0,1]
	v_pk_mov_b32 v[6:7], s[80:81], s[80:81] op_sel:[0,1]
	s_or_b64 s[12:13], vcc, s[12:13]
	v_pk_mov_b32 v[8:9], s[70:71], s[70:71] op_sel:[0,1]
	s_andn2_b64 exec, exec, s[12:13]
	s_cbranch_execnz .LBB216_39
; %bb.40:                               ;   in Loop: Header=BB216_6 Depth=1
	s_or_b64 exec, exec, s[12:13]
	v_readlane_b32 s84, v56, 46
	s_mov_b64 s[94:95], s[68:69]
	v_readlane_b32 s85, v56, 47
.LBB216_41:                             ;   in Loop: Header=BB216_6 Depth=1
	s_or_b64 exec, exec, s[4:5]
	v_add_co_u32_e32 v28, vcc, v28, v0
	v_addc_co_u32_e32 v29, vcc, 0, v29, vcc
	v_cmp_gt_u64_e32 vcc, s[56:57], v[28:29]
	v_mov_b32_e32 v14, 0
	s_and_saveexec_b64 s[4:5], vcc
	s_cbranch_execz .LBB216_43
; %bb.42:                               ;   in Loop: Header=BB216_6 Depth=1
	v_mul_lo_u32 v14, v29, s62
	v_mul_lo_u32 v47, v28, s63
	v_mad_u64_u32 v[30:31], s[6:7], v28, s62, 0
	v_add3_u32 v31, v31, v47, v14
	v_lshlrev_b64 v[30:31], 1, v[30:31]
	v_mov_b32_e32 v14, s73
	v_add_co_u32_e64 v30, s[6:7], s72, v30
	v_addc_co_u32_e64 v31, s[6:7], v14, v31, s[6:7]
	global_load_ushort v14, v[30:31], off
.LBB216_43:                             ;   in Loop: Header=BB216_6 Depth=1
	s_or_b64 exec, exec, s[4:5]
	s_and_saveexec_b64 s[4:5], vcc
	s_cbranch_execz .LBB216_50
; %bb.44:                               ;   in Loop: Header=BB216_6 Depth=1
	v_readlane_b32 s1, v56, 44
	s_and_b32 s1, s1, 0xfe
	s_mov_b64 s[12:13], 0
	s_branch .LBB216_46
.LBB216_45:                             ;   in Loop: Header=BB216_46 Depth=2
	s_or_b64 exec, exec, s[14:15]
	s_and_b64 s[6:7], exec, vcc
	s_waitcnt vmcnt(0)
	v_cmp_lt_i16_e32 vcc, -1, v14
	v_cndmask_b32_e32 v31, v39, v40, vcc
	v_lshlrev_b32_e32 v47, 16, v14
	v_xor_b32_sdwa v14, v31, v14 dst_sel:DWORD dst_unused:UNUSED_PAD src0_sel:DWORD src1_sel:WORD_0
	v_cmp_o_f32_e32 vcc, v47, v47
	v_cndmask_b32_e32 v14, v39, v14, vcc
	v_and_b32_e32 v31, v14, v44
	v_bfe_u32 v14, v14, s1, 2
	s_or_b64 s[12:13], s[6:7], s[12:13]
	v_cmp_eq_u32_e32 vcc, v31, v45
	v_cmp_eq_u32_e64 s[6:7], 0, v14
	s_and_b64 s[6:7], vcc, s[6:7]
	v_cndmask_b32_e64 v31, 0, 1, s[6:7]
	v_cmp_ne_u32_e64 s[6:7], 0, v31
	s_bcnt1_i32_b64 s6, s[6:7]
	v_add_co_u32_e64 v2, s[6:7], s6, v2
	v_addc_co_u32_e64 v3, s[6:7], 0, v3, s[6:7]
	v_cmp_eq_u32_e64 s[6:7], 1, v14
	s_and_b64 s[6:7], vcc, s[6:7]
	v_cndmask_b32_e64 v31, 0, 1, s[6:7]
	v_cmp_ne_u32_e64 s[6:7], 0, v31
	s_bcnt1_i32_b64 s6, s[6:7]
	v_add_co_u32_e64 v4, s[6:7], s6, v4
	v_addc_co_u32_e64 v5, s[6:7], 0, v5, s[6:7]
	;; [unrolled: 7-line block ×3, first 2 shown]
	v_cmp_eq_u32_e64 s[6:7], 3, v14
	s_and_b64 s[6:7], vcc, s[6:7]
	v_cndmask_b32_e64 v14, 0, 1, s[6:7]
	v_cmp_ne_u32_e32 vcc, 0, v14
	s_bcnt1_i32_b64 s6, vcc
	v_add_co_u32_e32 v8, vcc, s6, v8
	v_addc_co_u32_e32 v9, vcc, 0, v9, vcc
	v_mov_b32_e32 v14, v30
	s_andn2_b64 exec, exec, s[12:13]
	s_cbranch_execz .LBB216_49
.LBB216_46:                             ;   Parent Loop BB216_6 Depth=1
                                        ; =>  This Inner Loop Header: Depth=2
	v_mov_b32_e32 v30, s83
	v_add_co_u32_e32 v28, vcc, s82, v28
	v_addc_co_u32_e32 v29, vcc, v29, v30, vcc
	v_cmp_gt_u64_e64 s[6:7], s[56:57], v[28:29]
	v_cmp_le_u64_e32 vcc, s[56:57], v[28:29]
	v_mov_b32_e32 v30, 0
	s_and_saveexec_b64 s[14:15], s[6:7]
	s_cbranch_execz .LBB216_45
; %bb.47:                               ;   in Loop: Header=BB216_46 Depth=2
	v_mul_lo_u32 v47, v29, s62
	v_mul_lo_u32 v48, v28, s63
	v_mad_u64_u32 v[30:31], s[6:7], v28, s62, 0
	v_add3_u32 v31, v31, v48, v47
	v_lshlrev_b64 v[30:31], 1, v[30:31]
	v_mov_b32_e32 v47, s73
	v_add_co_u32_e64 v30, s[6:7], s72, v30
	v_addc_co_u32_e64 v31, s[6:7], v47, v31, s[6:7]
	global_load_ushort v30, v[30:31], off
	s_branch .LBB216_45
.LBB216_48:                             ;   in Loop: Header=BB216_6 Depth=1
                                        ; implicit-def: $vgpr8_vgpr9
                                        ; implicit-def: $vgpr4_vgpr5
	s_cbranch_execnz .LBB216_51
	s_branch .LBB216_60
.LBB216_49:                             ;   in Loop: Header=BB216_6 Depth=1
	s_or_b64 exec, exec, s[12:13]
.LBB216_50:                             ;   in Loop: Header=BB216_6 Depth=1
	s_or_b64 exec, exec, s[4:5]
	s_branch .LBB216_60
.LBB216_51:                             ;   in Loop: Header=BB216_6 Depth=1
	v_readlane_b32 s4, v56, 33
	v_readlane_b32 s5, v56, 34
	s_nop 4
	global_load_ushort v8, v15, s[4:5]
	s_mov_b64 s[4:5], 0
	s_waitcnt vmcnt(0)
	v_readfirstlane_b32 s1, v8
	s_and_b32 s1, 0xffff, s1
	s_lshl_b32 s87, s1, 2
	v_cvt_f32_u32_e32 v2, s87
	s_sub_i32 s1, 0, s87
	v_and_b32_e32 v30, 0xffff, v8
	v_rcp_iflag_f32_e32 v6, v2
	v_pk_mov_b32 v[2:3], 0, 0
	v_pk_mov_b32 v[4:5], v[2:3], v[2:3] op_sel:[0,1]
	v_mul_f32_e32 v6, 0x4f7ffffe, v6
	v_cvt_u32_f32_e32 v9, v6
	v_pk_mov_b32 v[6:7], v[2:3], v[2:3] op_sel:[0,1]
	v_readfirstlane_b32 s6, v9
	s_mul_i32 s1, s1, s6
	s_mul_hi_u32 s1, s6, s1
	s_add_i32 s6, s6, s1
	s_mul_hi_u32 s1, s86, s6
	s_mul_i32 s1, s1, s87
	s_sub_i32 s1, s86, s1
	s_sub_i32 s6, s1, s87
	s_cmp_ge_u32 s1, s87
	s_cselect_b32 s1, s6, s1
	s_sub_i32 s6, s1, s87
	s_cmp_ge_u32 s1, s87
	s_cselect_b32 s1, s6, s1
	s_sub_i32 s82, s86, s1
	v_cmp_gt_u32_e32 vcc, s82, v16
	v_pk_mov_b32 v[8:9], v[2:3], v[2:3] op_sel:[0,1]
	s_and_saveexec_b64 s[12:13], vcc
	s_cbranch_execz .LBB216_55
; %bb.52:                               ;   in Loop: Header=BB216_6 Depth=1
	v_readlane_b32 s1, v56, 44
	s_and_b32 s1, s1, 0xfe
	v_lshlrev_b32_e32 v14, 3, v30
	v_mov_b32_e32 v31, v37
	s_mov_b64 s[70:71], 0
	s_mov_b64 s[78:79], 0
	;; [unrolled: 1-line block ×4, first 2 shown]
	v_pk_mov_b32 v[28:29], v[16:17], v[16:17] op_sel:[0,1]
.LBB216_53:                             ;   Parent Loop BB216_6 Depth=1
                                        ; =>  This Inner Loop Header: Depth=2
	ds_read_b64 v[2:3], v31
	v_add_co_u32_e32 v28, vcc, s87, v28
	v_addc_co_u32_e32 v29, vcc, 0, v29, vcc
	s_waitcnt lgkmcnt(0)
	v_cmp_lt_i16_e64 s[6:7], -1, v2
	v_cndmask_b32_e64 v8, v39, v40, s[6:7]
	v_cmp_gt_i16_sdwa s[6:7], v2, v42 src0_sel:WORD_1 src1_sel:DWORD
	v_lshlrev_b32_e32 v4, 16, v2
	v_cndmask_b32_e64 v9, v39, v40, s[6:7]
	v_cmp_lt_i16_e64 s[6:7], -1, v3
	v_and_b32_e32 v5, 0xffff0000, v2
	v_cndmask_b32_e64 v47, v39, v40, s[6:7]
	v_cmp_gt_i16_sdwa s[6:7], v3, v42 src0_sel:WORD_1 src1_sel:DWORD
	v_xor_b32_sdwa v9, v9, v2 dst_sel:DWORD dst_unused:UNUSED_PAD src0_sel:DWORD src1_sel:WORD_1
	v_xor_b32_sdwa v2, v8, v2 dst_sel:DWORD dst_unused:UNUSED_PAD src0_sel:DWORD src1_sel:WORD_0
	v_cmp_o_f32_e64 s[18:19], v4, v4
	v_lshlrev_b32_e32 v6, 16, v3
	v_cndmask_b32_e64 v48, v39, v40, s[6:7]
	v_cmp_o_f32_e64 s[6:7], v5, v5
	v_cndmask_b32_e64 v2, v39, v2, s[18:19]
	v_and_b32_e32 v7, 0xffff0000, v3
	v_xor_b32_sdwa v5, v47, v3 dst_sel:DWORD dst_unused:UNUSED_PAD src0_sel:DWORD src1_sel:WORD_0
	v_cmp_o_f32_e64 s[14:15], v6, v6
	v_cndmask_b32_e64 v4, v39, v9, s[6:7]
	v_and_b32_e32 v6, v2, v44
	v_bfe_u32 v2, v2, s1, 2
	v_xor_b32_sdwa v3, v48, v3 dst_sel:DWORD dst_unused:UNUSED_PAD src0_sel:DWORD src1_sel:WORD_1
	v_cmp_o_f32_e64 s[16:17], v7, v7
	v_cndmask_b32_e64 v5, v39, v5, s[14:15]
	v_and_b32_e32 v7, v4, v44
	v_bfe_u32 v4, v4, s1, 2
	v_cmp_eq_u32_e64 s[20:21], v6, v45
	v_cmp_eq_u32_e64 s[6:7], 0, v2
	v_cndmask_b32_e64 v3, v39, v3, s[16:17]
	v_and_b32_e32 v8, v5, v44
	v_bfe_u32 v5, v5, s1, 2
	v_cmp_eq_u32_e64 s[18:19], v7, v45
	v_cmp_eq_u32_e64 s[34:35], 0, v4
	s_and_b64 s[6:7], s[20:21], s[6:7]
	v_and_b32_e32 v9, v3, v44
	v_bfe_u32 v3, v3, s1, 2
	v_cmp_eq_u32_e64 s[16:17], v8, v45
	v_cmp_eq_u32_e64 s[36:37], 0, v5
	;; [unrolled: 1-line block ×5, first 2 shown]
	v_cndmask_b32_e64 v2, 0, 1, s[6:7]
	s_and_b64 s[6:7], s[18:19], s[34:35]
	v_cmp_eq_u32_e64 s[14:15], v9, v45
	v_cmp_eq_u32_e64 s[38:39], 0, v3
	v_cmp_eq_u32_e64 s[46:47], 1, v3
	v_cmp_eq_u32_e64 s[54:55], 2, v3
	v_cmp_eq_u32_e64 s[22:23], 3, v3
	v_cndmask_b32_e64 v3, 0, 1, s[6:7]
	s_and_b64 s[6:7], s[16:17], s[36:37]
	v_cmp_eq_u32_e64 s[42:43], 1, v4
	v_cmp_eq_u32_e64 s[50:51], 2, v4
	;; [unrolled: 1-line block ×3, first 2 shown]
	v_cndmask_b32_e64 v4, 0, 1, s[6:7]
	s_and_b64 s[6:7], s[14:15], s[38:39]
	v_cmp_eq_u32_e64 s[44:45], 1, v5
	v_cmp_eq_u32_e64 s[52:53], 2, v5
	;; [unrolled: 1-line block ×3, first 2 shown]
	v_cndmask_b32_e64 v5, 0, 1, s[6:7]
	v_cmp_ne_u32_e64 s[6:7], 0, v2
	v_cmp_ne_u32_e64 s[34:35], 0, v3
	v_cmp_ne_u32_e64 s[36:37], 0, v4
	v_cmp_ne_u32_e64 s[38:39], 0, v5
	s_bcnt1_i32_b64 s6, s[6:7]
	s_bcnt1_i32_b64 s7, s[34:35]
	s_bcnt1_i32_b64 s34, s[36:37]
	s_bcnt1_i32_b64 s35, s[38:39]
	s_add_u32 s6, s6, s84
	s_addc_u32 s36, 0, s85
	s_add_u32 s6, s6, s7
	s_addc_u32 s7, s36, 0
	s_add_u32 s6, s6, s34
	s_addc_u32 s7, s7, 0
	s_add_u32 s84, s6, s35
	s_addc_u32 s85, s7, 0
	s_and_b64 s[6:7], s[20:21], s[40:41]
	v_cndmask_b32_e64 v4, 0, 1, s[6:7]
	s_and_b64 s[6:7], s[18:19], s[42:43]
	v_cndmask_b32_e64 v5, 0, 1, s[6:7]
	s_and_b64 s[6:7], s[16:17], s[44:45]
	v_cndmask_b32_e64 v6, 0, 1, s[6:7]
	s_and_b64 s[6:7], s[14:15], s[46:47]
	v_cndmask_b32_e64 v7, 0, 1, s[6:7]
	v_cmp_ne_u32_e64 s[6:7], 0, v4
	v_cmp_ne_u32_e64 s[34:35], 0, v5
	v_cmp_ne_u32_e64 s[36:37], 0, v6
	v_cmp_ne_u32_e64 s[38:39], 0, v7
	s_bcnt1_i32_b64 s6, s[6:7]
	s_bcnt1_i32_b64 s7, s[34:35]
	s_bcnt1_i32_b64 s34, s[36:37]
	s_bcnt1_i32_b64 s35, s[38:39]
	s_add_u32 s6, s6, s80
	s_addc_u32 s36, 0, s81
	s_add_u32 s6, s6, s7
	s_addc_u32 s7, s36, 0
	s_add_u32 s6, s6, s34
	s_addc_u32 s7, s7, 0
	s_add_u32 s80, s6, s35
	s_addc_u32 s81, s7, 0
	s_and_b64 s[6:7], s[20:21], s[48:49]
	v_cndmask_b32_e64 v6, 0, 1, s[6:7]
	s_and_b64 s[6:7], s[18:19], s[50:51]
	v_cndmask_b32_e64 v7, 0, 1, s[6:7]
	s_and_b64 s[6:7], s[16:17], s[52:53]
	v_cndmask_b32_e64 v8, 0, 1, s[6:7]
	s_and_b64 s[6:7], s[14:15], s[54:55]
	;; [unrolled: 24-line block ×3, first 2 shown]
	v_cndmask_b32_e64 v48, 0, 1, s[6:7]
	v_cmp_ne_u32_e64 s[6:7], 0, v8
	v_cmp_ne_u32_e64 s[14:15], 0, v9
	v_cmp_ne_u32_e64 s[16:17], 0, v47
	v_cmp_ne_u32_e64 s[18:19], 0, v48
	s_bcnt1_i32_b64 s6, s[6:7]
	s_bcnt1_i32_b64 s7, s[14:15]
	s_bcnt1_i32_b64 s14, s[16:17]
	s_bcnt1_i32_b64 s15, s[18:19]
	s_add_u32 s6, s6, s70
	s_addc_u32 s16, 0, s71
	s_add_u32 s6, s6, s7
	s_addc_u32 s7, s16, 0
	;; [unrolled: 2-line block ×3, first 2 shown]
	s_add_u32 s70, s6, s15
	v_cmp_le_u64_e32 vcc, s[82:83], v[28:29]
	s_addc_u32 s71, s7, 0
	v_add_u32_e32 v31, v31, v14
	v_pk_mov_b32 v[2:3], s[84:85], s[84:85] op_sel:[0,1]
	v_pk_mov_b32 v[4:5], s[80:81], s[80:81] op_sel:[0,1]
	;; [unrolled: 1-line block ×3, first 2 shown]
	s_or_b64 s[4:5], vcc, s[4:5]
	v_pk_mov_b32 v[8:9], s[70:71], s[70:71] op_sel:[0,1]
	s_andn2_b64 exec, exec, s[4:5]
	s_cbranch_execnz .LBB216_53
; %bb.54:                               ;   in Loop: Header=BB216_6 Depth=1
	s_or_b64 exec, exec, s[4:5]
	v_readlane_b32 s84, v56, 46
	v_readlane_b32 s85, v56, 47
.LBB216_55:                             ;   in Loop: Header=BB216_6 Depth=1
	s_or_b64 exec, exec, s[12:13]
	v_add_u32_e32 v14, s82, v0
	v_cmp_gt_u32_e32 vcc, s86, v14
	s_and_saveexec_b64 s[4:5], vcc
	s_cbranch_execz .LBB216_59
; %bb.56:                               ;   in Loop: Header=BB216_6 Depth=1
	v_readlane_b32 s1, v56, 44
	s_and_b32 s82, s86, 0x7fffffff
	s_and_b32 s1, s1, 0xfe
	v_lshlrev_b32_e32 v31, 1, v14
	v_lshlrev_b32_e32 v47, 1, v30
	s_mov_b64 s[12:13], 0
	v_pk_mov_b32 v[28:29], v[14:15], v[14:15] op_sel:[0,1]
.LBB216_57:                             ;   Parent Loop BB216_6 Depth=1
                                        ; =>  This Inner Loop Header: Depth=2
	ds_read_u16 v14, v31
	v_add_co_u32_e32 v28, vcc, v28, v30
	v_addc_co_u32_e32 v29, vcc, 0, v29, vcc
	s_waitcnt lgkmcnt(0)
	v_cmp_lt_i16_e64 s[6:7], -1, v14
	v_lshlrev_b32_e32 v48, 16, v14
	v_cndmask_b32_e64 v49, v39, v40, s[6:7]
	v_xor_b32_sdwa v14, v49, v14 dst_sel:DWORD dst_unused:UNUSED_PAD src0_sel:DWORD src1_sel:WORD_0
	v_cmp_o_f32_e64 s[6:7], v48, v48
	v_cndmask_b32_e64 v14, v39, v14, s[6:7]
	v_and_b32_e32 v48, v14, v44
	v_bfe_u32 v14, v14, s1, 2
	v_cmp_eq_u32_e64 s[6:7], v48, v45
	v_cmp_eq_u32_e64 s[14:15], 0, v14
	;; [unrolled: 1-line block ×3, first 2 shown]
	s_and_b64 s[14:15], s[6:7], s[14:15]
	v_cmp_eq_u32_e64 s[18:19], 2, v14
	v_cmp_eq_u32_e64 s[20:21], 3, v14
	v_cndmask_b32_e64 v14, 0, 1, s[14:15]
	s_and_b64 s[14:15], s[6:7], s[16:17]
	v_cndmask_b32_e64 v48, 0, 1, s[14:15]
	s_and_b64 s[14:15], s[6:7], s[18:19]
	s_and_b64 s[6:7], s[6:7], s[20:21]
	v_cndmask_b32_e64 v49, 0, 1, s[14:15]
	v_cndmask_b32_e64 v50, 0, 1, s[6:7]
	v_cmp_ne_u32_e64 s[6:7], 0, v14
	v_cmp_ne_u32_e64 s[14:15], 0, v48
	;; [unrolled: 1-line block ×4, first 2 shown]
	v_cmp_le_u64_e32 vcc, s[82:83], v[28:29]
	s_bcnt1_i32_b64 s6, s[6:7]
	s_bcnt1_i32_b64 s7, s[14:15]
	;; [unrolled: 1-line block ×4, first 2 shown]
	s_or_b64 s[12:13], vcc, s[12:13]
	v_add_co_u32_e32 v2, vcc, s6, v2
	v_addc_co_u32_e32 v3, vcc, 0, v3, vcc
	v_add_co_u32_e32 v4, vcc, s7, v4
	v_addc_co_u32_e32 v5, vcc, 0, v5, vcc
	;; [unrolled: 2-line block ×3, first 2 shown]
	v_add_co_u32_e32 v8, vcc, s15, v8
	v_add_u32_e32 v31, v31, v47
	v_addc_co_u32_e32 v9, vcc, 0, v9, vcc
	s_andn2_b64 exec, exec, s[12:13]
	s_cbranch_execnz .LBB216_57
; %bb.58:                               ;   in Loop: Header=BB216_6 Depth=1
	s_or_b64 exec, exec, s[12:13]
.LBB216_59:                             ;   in Loop: Header=BB216_6 Depth=1
	s_or_b64 exec, exec, s[4:5]
.LBB216_60:                             ;   in Loop: Header=BB216_6 Depth=1
	v_readlane_b32 s1, v56, 45
	s_lshl_b32 s1, s1, 6
	s_and_saveexec_b64 s[4:5], s[94:95]
	s_cbranch_execz .LBB216_62
; %bb.61:                               ;   in Loop: Header=BB216_6 Depth=1
	s_waitcnt vmcnt(0)
	v_or_b32_e32 v14, s1, v34
	v_lshlrev_b32_e32 v14, 3, v14
	ds_write_b128 v14, v[2:5] offset:3072
	ds_write_b128 v14, v[6:9] offset:3088
.LBB216_62:                             ;   in Loop: Header=BB216_6 Depth=1
	s_or_b64 exec, exec, s[4:5]
	s_waitcnt lgkmcnt(0)
	s_barrier
	s_and_saveexec_b64 s[4:5], s[84:85]
	s_cbranch_execz .LBB216_74
; %bb.63:                               ;   in Loop: Header=BB216_6 Depth=1
	v_readlane_b32 s6, v56, 26
	v_readlane_b32 s7, v56, 27
	s_andn2_b64 vcc, exec, s[6:7]
	v_pk_mov_b32 v[2:3], 0, 0
	s_cbranch_vccnz .LBB216_73
; %bb.64:                               ;   in Loop: Header=BB216_6 Depth=1
	v_readlane_b32 s6, v56, 35
	v_readlane_b32 s7, v56, 36
	s_andn2_b64 vcc, exec, s[6:7]
	s_cbranch_vccnz .LBB216_69
; %bb.65:                               ;   in Loop: Header=BB216_6 Depth=1
	v_readlane_b32 s6, v56, 45
	v_lshl_add_u32 v4, s6, 9, v38
	s_mov_b32 s6, 0
	v_pk_mov_b32 v[2:3], 0, 0
.LBB216_66:                             ;   Parent Loop BB216_6 Depth=1
                                        ; =>  This Inner Loop Header: Depth=2
	s_waitcnt vmcnt(0)
	ds_read2_b64 v[6:9], v4 offset1:4
	ds_read2_b64 v[28:31], v4 offset0:8 offset1:12
	ds_read2_b64 v[48:51], v4 offset0:16 offset1:20
	;; [unrolled: 1-line block ×3, first 2 shown]
	s_add_i32 s6, s6, 8
	s_waitcnt lgkmcnt(3)
	v_add_co_u32_e32 v2, vcc, v6, v2
	v_addc_co_u32_e32 v3, vcc, v7, v3, vcc
	v_add_co_u32_e32 v2, vcc, v8, v2
	v_addc_co_u32_e32 v3, vcc, v9, v3, vcc
	s_waitcnt lgkmcnt(2)
	v_add_co_u32_e32 v2, vcc, v28, v2
	v_addc_co_u32_e32 v3, vcc, v29, v3, vcc
	v_add_co_u32_e32 v2, vcc, v30, v2
	v_addc_co_u32_e32 v3, vcc, v31, v3, vcc
	s_waitcnt lgkmcnt(1)
	v_add_co_u32_e32 v2, vcc, v48, v2
	v_addc_co_u32_e32 v3, vcc, v49, v3, vcc
	v_add_co_u32_e32 v2, vcc, v50, v2
	v_addc_co_u32_e32 v3, vcc, v51, v3, vcc
	s_waitcnt lgkmcnt(0)
	v_add_co_u32_e32 v2, vcc, v52, v2
	v_addc_co_u32_e32 v3, vcc, v53, v3, vcc
	v_add_co_u32_e32 v2, vcc, v54, v2
	v_add_u32_e32 v4, 0x100, v4
	s_cmp_eq_u32 s89, s6
	v_addc_co_u32_e32 v3, vcc, v55, v3, vcc
	s_cbranch_scc0 .LBB216_66
; %bb.67:                               ;   in Loop: Header=BB216_6 Depth=1
	s_mov_b32 s6, s89
	s_branch .LBB216_70
.LBB216_68:                             ;   in Loop: Header=BB216_6 Depth=1
                                        ; implicit-def: $vgpr2_vgpr3
	s_branch .LBB216_36
.LBB216_69:                             ;   in Loop: Header=BB216_6 Depth=1
	s_mov_b32 s6, 0
	v_pk_mov_b32 v[2:3], 0, 0
.LBB216_70:                             ;   in Loop: Header=BB216_6 Depth=1
	v_readlane_b32 s12, v56, 38
	v_readlane_b32 s13, v56, 39
	s_andn2_b64 vcc, exec, s[12:13]
	s_cbranch_vccnz .LBB216_73
; %bb.71:                               ;   in Loop: Header=BB216_6 Depth=1
	v_readlane_b32 s7, v56, 45
	s_lshl_b32 s7, s7, 9
	s_lshl_b32 s6, s6, 5
	s_add_i32 s7, s7, s6
	v_add_u32_e32 v4, s7, v38
	v_readlane_b32 s6, v56, 37
.LBB216_72:                             ;   Parent Loop BB216_6 Depth=1
                                        ; =>  This Inner Loop Header: Depth=2
	s_waitcnt vmcnt(0)
	ds_read_b64 v[6:7], v4
	s_add_i32 s6, s6, -1
	v_add_u32_e32 v4, 32, v4
	s_cmp_lg_u32 s6, 0
	s_waitcnt lgkmcnt(0)
	v_add_co_u32_e32 v2, vcc, v6, v2
	v_addc_co_u32_e32 v3, vcc, v7, v3, vcc
	s_cbranch_scc1 .LBB216_72
.LBB216_73:                             ;   in Loop: Header=BB216_6 Depth=1
	v_add_lshl_u32 v4, s1, v33, 3
	ds_write_b64 v4, v[2:3] offset:3072
.LBB216_74:                             ;   in Loop: Header=BB216_6 Depth=1
	s_or_b64 exec, exec, s[4:5]
	s_lshl_b32 s1, s1, 3
	s_waitcnt vmcnt(0)
	v_mov_b32_e32 v6, s1
	s_waitcnt lgkmcnt(0)
	s_barrier
	ds_read_b128 v[2:5], v6 offset:3072
	ds_read_b128 v[6:9], v6 offset:3088
	v_readlane_b32 s1, v56, 44
	s_and_b32 s91, s1, 0xfe
	v_readlane_b32 s4, v56, 18
	s_lshl_b32 s82, 3, s91
	v_readlane_b32 s5, v56, 19
	s_waitcnt lgkmcnt(1)
	v_readfirstlane_b32 s17, v3
	v_readfirstlane_b32 s16, v2
	;; [unrolled: 1-line block ×4, first 2 shown]
	s_waitcnt lgkmcnt(0)
	v_readfirstlane_b32 s23, v7
	v_readfirstlane_b32 s22, v6
	;; [unrolled: 1-line block ×4, first 2 shown]
	s_not_b32 s90, s82
	s_andn2_b64 vcc, exec, s[4:5]
	v_cmp_eq_u64_e64 s[14:15], 1, v[26:27]
	s_cbranch_vccnz .LBB216_90
; %bb.75:                               ;   in Loop: Header=BB216_6 Depth=1
	s_cmp_eq_u64 s[16:17], 1
	s_cselect_b64 s[4:5], -1, 0
	s_and_b64 s[42:43], s[4:5], s[14:15]
	s_mov_b64 s[6:7], -1
	v_mov_b32_e32 v28, v45
	v_mov_b32_e32 v29, v44
	;; [unrolled: 1-line block ×3, first 2 shown]
                                        ; implicit-def: $sgpr20_sgpr21
                                        ; implicit-def: $sgpr36_sgpr37
                                        ; implicit-def: $sgpr34_sgpr35
	s_and_saveexec_b64 s[4:5], s[42:43]
	s_cbranch_execz .LBB216_112
; %bb.76:                               ;   in Loop: Header=BB216_6 Depth=1
	ds_read_b64 v[2:3], v15 offset:5120
	s_waitcnt lgkmcnt(0)
	s_barrier
	v_readfirstlane_b32 s12, v2
	v_readfirstlane_b32 s13, v3
	s_mov_b64 s[6:7], exec
	v_readlane_b32 s20, v56, 24
	v_readlane_b32 s21, v56, 25
	s_and_b64 s[20:21], s[6:7], s[20:21]
	s_mov_b64 exec, s[20:21]
	s_cbranch_execz .LBB216_78
; %bb.77:                               ;   in Loop: Header=BB216_6 Depth=1
	ds_write_b16 v36, v15
.LBB216_78:                             ;   in Loop: Header=BB216_6 Depth=1
	s_or_b64 exec, exec, s[6:7]
	v_and_b32_e32 v28, s90, v45
	v_or_b32_e32 v29, s82, v44
	s_cmp_eq_u64 s[12:13], 0
	s_waitcnt lgkmcnt(0)
	s_barrier
	s_cbranch_scc1 .LBB216_95
; %bb.79:                               ;   in Loop: Header=BB216_6 Depth=1
	v_readlane_b32 s1, v56, 28
	s_add_u32 s1, s1, s12
	v_readlane_b32 s6, v56, 30
	s_addc_u32 s7, s6, s13
	s_mov_b32 s6, s83
	s_cmp_lg_u64 s[6:7], 0
	s_cbranch_scc0 .LBB216_139
; %bb.80:                               ;   in Loop: Header=BB216_6 Depth=1
	v_cvt_f32_u32_e32 v2, s33
	s_sub_u32 s6, 0, s33
	s_subb_u32 s20, 0, 0
	v_mac_f32_e32 v2, 0, v41
	v_rcp_f32_e32 v2, v2
	v_mul_f32_e32 v2, 0x5f7ffffc, v2
	v_mul_f32_e32 v3, 0x2f800000, v2
	v_trunc_f32_e32 v3, v3
	v_mac_f32_e32 v2, 0xcf800000, v3
	v_cvt_u32_f32_e32 v3, v3
	v_cvt_u32_f32_e32 v2, v2
	v_readfirstlane_b32 s21, v3
	v_readfirstlane_b32 s26, v2
	s_mul_i32 s27, s6, s21
	s_mul_hi_u32 s29, s6, s26
	s_mul_i32 s28, s20, s26
	s_add_i32 s27, s29, s27
	s_mul_i32 s34, s6, s26
	s_add_i32 s27, s27, s28
	s_mul_hi_u32 s29, s26, s34
	s_mul_hi_u32 s28, s26, s27
	s_mul_i32 s26, s26, s27
	s_add_u32 s26, s29, s26
	s_addc_u32 s28, 0, s28
	s_mul_hi_u32 s35, s21, s34
	s_mul_i32 s34, s21, s34
	s_add_u32 s26, s26, s34
	s_mul_hi_u32 s29, s21, s27
	s_addc_u32 s26, s28, s35
	s_addc_u32 s28, s29, 0
	s_mul_i32 s27, s21, s27
	s_add_u32 s26, s26, s27
	s_addc_u32 s27, 0, s28
	v_add_co_u32_e32 v2, vcc, s26, v2
	s_cmp_lg_u64 vcc, 0
	s_addc_u32 s21, s21, s27
	v_readfirstlane_b32 s27, v2
	s_mul_i32 s26, s6, s21
	s_mul_hi_u32 s28, s6, s27
	s_add_i32 s26, s28, s26
	s_mul_i32 s20, s20, s27
	s_add_i32 s26, s26, s20
	s_mul_i32 s6, s6, s27
	s_mul_hi_u32 s28, s21, s6
	s_mul_i32 s29, s21, s6
	s_mul_i32 s35, s27, s26
	s_mul_hi_u32 s6, s27, s6
	s_mul_hi_u32 s34, s27, s26
	s_add_u32 s6, s6, s35
	s_addc_u32 s27, 0, s34
	s_add_u32 s6, s6, s29
	s_mul_hi_u32 s20, s21, s26
	s_addc_u32 s6, s27, s28
	s_addc_u32 s20, s20, 0
	s_mul_i32 s26, s21, s26
	s_add_u32 s6, s6, s26
	s_addc_u32 s20, 0, s20
	v_add_co_u32_e32 v2, vcc, s6, v2
	s_cmp_lg_u64 vcc, 0
	s_addc_u32 s6, s21, s20
	v_readfirstlane_b32 s26, v2
	s_mul_i32 s21, s1, s6
	s_mul_hi_u32 s27, s1, s26
	s_mul_hi_u32 s20, s1, s6
	s_add_u32 s21, s27, s21
	s_addc_u32 s20, 0, s20
	s_mul_hi_u32 s28, s7, s26
	s_mul_i32 s26, s7, s26
	s_add_u32 s21, s21, s26
	s_mul_hi_u32 s27, s7, s6
	s_addc_u32 s20, s20, s28
	s_addc_u32 s21, s27, 0
	s_mul_i32 s6, s7, s6
	s_add_u32 s6, s20, s6
	s_addc_u32 s20, 0, s21
	s_mul_hi_u32 s21, s33, s6
	s_mul_i32 s6, s33, s6
	s_mul_i32 s20, s33, s20
	v_mov_b32_e32 v2, s6
	s_add_i32 s21, s21, s20
	v_sub_co_u32_e32 v2, vcc, s1, v2
	s_cmp_lg_u64 vcc, 0
	s_subb_u32 s6, s7, s21
	v_subrev_co_u32_e32 v3, vcc, s33, v2
	s_cmp_lg_u64 vcc, 0
	s_subb_u32 s20, s6, 0
	v_subrev_co_u32_e32 v4, vcc, s33, v3
	s_cmp_lg_u64 vcc, 0
	s_subb_u32 s21, s20, 0
	v_cmp_le_u32_e32 vcc, s33, v3
	s_cmp_eq_u32 s20, 0
	v_cndmask_b32_e64 v5, 0, -1, vcc
	s_cselect_b64 vcc, -1, 0
	v_cndmask_b32_e32 v5, -1, v5, vcc
	v_mov_b32_e32 v6, s20
	v_mov_b32_e32 v7, s21
	v_cmp_ne_u32_e32 vcc, 0, v5
	v_cndmask_b32_e32 v5, v6, v7, vcc
	v_cndmask_b32_e32 v4, v3, v4, vcc
	v_cmp_le_u32_e32 vcc, s33, v2
	s_cmp_eq_u32 s6, 0
	v_cndmask_b32_e64 v3, 0, -1, vcc
	s_cselect_b64 vcc, -1, 0
	v_cndmask_b32_e32 v3, -1, v3, vcc
	v_mov_b32_e32 v6, s6
	v_cmp_ne_u32_e32 vcc, 0, v3
	v_cndmask_b32_e32 v3, v6, v5, vcc
	v_cndmask_b32_e32 v2, v2, v4, vcc
	s_cbranch_execnz .LBB216_82
.LBB216_81:                             ;   in Loop: Header=BB216_6 Depth=1
	v_cvt_f32_u32_e32 v2, s33
	s_sub_i32 s6, 0, s33
	v_rcp_iflag_f32_e32 v2, v2
	v_mul_f32_e32 v2, 0x4f7ffffe, v2
	v_cvt_u32_f32_e32 v2, v2
	v_mul_lo_u32 v3, s6, v2
	v_mul_hi_u32 v3, v2, v3
	v_add_u32_e32 v2, v2, v3
	v_mul_hi_u32 v2, s1, v2
	v_mul_lo_u32 v2, v2, s33
	v_sub_u32_e32 v2, s1, v2
	v_subrev_u32_e32 v3, s33, v2
	v_cmp_le_u32_e32 vcc, s33, v2
	v_cndmask_b32_e32 v2, v2, v3, vcc
	v_subrev_u32_e32 v3, s33, v2
	v_cmp_le_u32_e32 vcc, s33, v2
	v_cndmask_b32_e32 v14, v2, v3, vcc
	v_pk_mov_b32 v[2:3], v[14:15], v[14:15] op_sel:[0,1]
.LBB216_82:                             ;   in Loop: Header=BB216_6 Depth=1
	v_mov_b32_e32 v4, s7
	v_sub_co_u32_e32 v2, vcc, s1, v2
	v_subb_co_u32_e32 v3, vcc, v4, v3, vcc
	v_cmp_gt_u64_e32 vcc, v[2:3], v[0:1]
	s_mov_b64 s[6:7], 0
                                        ; implicit-def: $vgpr6
	s_and_saveexec_b64 s[20:21], vcc
	s_cbranch_execz .LBB216_97
; %bb.83:                               ;   in Loop: Header=BB216_6 Depth=1
	s_mov_b64 s[26:27], 0
	v_mov_b32_e32 v6, v35
	v_pk_mov_b32 v[4:5], v[0:1], v[0:1] op_sel:[0,1]
                                        ; implicit-def: $sgpr28_sgpr29
	s_branch .LBB216_85
.LBB216_84:                             ;   in Loop: Header=BB216_85 Depth=2
	s_or_b64 exec, exec, s[6:7]
	s_waitcnt lgkmcnt(0)
	s_barrier
	ds_read_b32 v7, v15 offset:3072
	v_add_co_u32_e64 v4, s[6:7], s33, v4
	v_add_u32_e32 v6, s0, v6
	s_waitcnt lgkmcnt(0)
	v_and_b32_e32 v8, 0x7fff, v7
	v_cmp_ne_u16_e32 vcc, 0, v8
	v_mov_b32_e32 v8, s88
	v_addc_co_u32_e64 v5, s[6:7], v5, v8, s[6:7]
	v_cmp_ge_u64_e64 s[6:7], v[4:5], v[2:3]
	s_or_b64 s[6:7], s[6:7], vcc
	s_and_b64 s[6:7], exec, s[6:7]
	s_or_b64 s[26:27], s[6:7], s[26:27]
	s_andn2_b64 s[6:7], s[28:29], exec
	s_and_b64 s[28:29], vcc, exec
	s_or_b64 s[28:29], s[6:7], s[28:29]
	s_barrier
	s_andn2_b64 exec, exec, s[26:27]
	s_cbranch_execz .LBB216_96
.LBB216_85:                             ;   Parent Loop BB216_6 Depth=1
                                        ; =>  This Inner Loop Header: Depth=2
	v_cmp_gt_u64_e32 vcc, s[12:13], v[4:5]
	v_mov_b32_e32 v7, 0
	s_and_saveexec_b64 s[6:7], vcc
	s_cbranch_execz .LBB216_87
; %bb.86:                               ;   in Loop: Header=BB216_85 Depth=2
	ds_read_u16 v7, v6
.LBB216_87:                             ;   in Loop: Header=BB216_85 Depth=2
	s_or_b64 exec, exec, s[6:7]
	s_and_saveexec_b64 s[6:7], vcc
	s_cbranch_execz .LBB216_84
; %bb.88:                               ;   in Loop: Header=BB216_85 Depth=2
	s_waitcnt lgkmcnt(0)
	v_cmp_lt_i16_e32 vcc, -1, v7
	v_cndmask_b32_e32 v8, v39, v40, vcc
	v_lshlrev_b32_e32 v9, 16, v7
	v_xor_b32_sdwa v8, v8, v7 dst_sel:DWORD dst_unused:UNUSED_PAD src0_sel:DWORD src1_sel:WORD_0
	v_cmp_o_f32_e32 vcc, v9, v9
	v_cndmask_b32_e32 v8, v39, v8, vcc
	v_and_b32_e32 v8, v8, v29
	v_cmp_eq_u32_e32 vcc, v8, v28
	s_and_b64 exec, exec, vcc
	s_cbranch_execz .LBB216_84
; %bb.89:                               ;   in Loop: Header=BB216_85 Depth=2
	s_movk_i32 s1, 0x3f80
	v_perm_b32 v7, v7, s1, v43
	ds_write_b32 v15, v7 offset:3072
	s_branch .LBB216_84
.LBB216_90:                             ;   in Loop: Header=BB216_6 Depth=1
	s_mov_b64 s[28:29], 0
	s_mov_b64 s[26:27], 0
                                        ; implicit-def: $sgpr34_sgpr35
                                        ; implicit-def: $sgpr36_sgpr37
                                        ; implicit-def: $sgpr20_sgpr21
                                        ; implicit-def: $vgpr7
                                        ; implicit-def: $vgpr2_vgpr3
                                        ; implicit-def: $vgpr28
                                        ; implicit-def: $vgpr29
                                        ; implicit-def: $vgpr6
	s_cbranch_execnz .LBB216_276
.LBB216_91:                             ;   in Loop: Header=BB216_6 Depth=1
	s_mov_b64 s[14:15], s[20:21]
	s_mov_b64 s[38:39], s[20:21]
	s_and_saveexec_b64 s[4:5], s[28:29]
	s_cbranch_execnz .LBB216_472
	s_branch .LBB216_473
.LBB216_92:                             ;   in Loop: Header=BB216_6 Depth=1
	s_or_b64 exec, exec, s[4:5]
	s_waitcnt lgkmcnt(0)
	s_barrier
	s_mov_b64 s[4:5], exec
	v_readlane_b32 s6, v56, 8
	v_readlane_b32 s7, v56, 9
	s_and_b64 s[6:7], s[4:5], s[6:7]
	s_mov_b64 exec, s[6:7]
	s_cbranch_execz .LBB216_94
; %bb.93:                               ;   in Loop: Header=BB216_6 Depth=1
	ds_read_b32 v2, v15 offset:5144
	s_waitcnt lgkmcnt(0)
	v_ashrrev_i32_e32 v3, 31, v2
	ds_write_b64 v15, v[2:3] offset:5120
.LBB216_94:                             ;   in Loop: Header=BB216_6 Depth=1
	s_or_b64 exec, exec, s[4:5]
	s_waitcnt lgkmcnt(0)
	s_barrier
	s_mov_b64 s[4:5], -1
	s_and_b64 vcc, exec, s[86:87]
	s_cbranch_vccnz .LBB216_21
	s_branch .LBB216_31
.LBB216_95:                             ;   in Loop: Header=BB216_6 Depth=1
	s_mov_b64 s[20:21], -1
	s_mov_b64 s[6:7], 0
                                        ; implicit-def: $sgpr34_sgpr35
                                        ; implicit-def: $vgpr6
	s_mov_b64 s[36:37], s[20:21]
	s_cbranch_execnz .LBB216_98
	s_branch .LBB216_111
.LBB216_96:                             ;   in Loop: Header=BB216_6 Depth=1
	s_or_b64 exec, exec, s[26:27]
	v_lshrrev_b32_e32 v6, 16, v7
	s_and_b64 s[6:7], s[28:29], exec
.LBB216_97:                             ;   in Loop: Header=BB216_6 Depth=1
	s_or_b64 exec, exec, s[20:21]
	s_mov_b64 s[34:35], -1
	s_mov_b64 s[20:21], 0
	s_mov_b64 s[36:37], s[20:21]
	s_branch .LBB216_111
.LBB216_98:                             ;   in Loop: Header=BB216_6 Depth=1
	v_readlane_b32 s28, v56, 31
	v_readlane_b32 s29, v56, 32
	s_mov_b32 s28, s83
	s_cmp_lg_u64 s[28:29], 0
	v_writelane_b32 v56, s28, 31
	v_writelane_b32 v56, s29, 32
	s_cbranch_scc0 .LBB216_140
; %bb.99:                               ;   in Loop: Header=BB216_6 Depth=1
	v_cvt_f32_u32_e32 v2, s33
	s_sub_u32 s1, 0, s33
	s_subb_u32 s6, 0, 0
	v_mac_f32_e32 v2, 0, v41
	v_rcp_f32_e32 v2, v2
	v_mul_f32_e32 v2, 0x5f7ffffc, v2
	v_mul_f32_e32 v3, 0x2f800000, v2
	v_trunc_f32_e32 v3, v3
	v_mac_f32_e32 v2, 0xcf800000, v3
	v_cvt_u32_f32_e32 v3, v3
	v_cvt_u32_f32_e32 v2, v2
	v_readfirstlane_b32 s7, v3
	v_readfirstlane_b32 s12, v2
	s_mul_i32 s13, s1, s7
	s_mul_hi_u32 s21, s1, s12
	s_mul_i32 s20, s6, s12
	s_add_i32 s13, s21, s13
	s_mul_i32 s26, s1, s12
	s_add_i32 s13, s13, s20
	s_mul_hi_u32 s21, s12, s26
	s_mul_hi_u32 s20, s12, s13
	s_mul_i32 s12, s12, s13
	s_add_u32 s12, s21, s12
	s_addc_u32 s20, 0, s20
	s_mul_hi_u32 s27, s7, s26
	s_mul_i32 s26, s7, s26
	s_add_u32 s12, s12, s26
	s_mul_hi_u32 s21, s7, s13
	s_addc_u32 s12, s20, s27
	s_addc_u32 s20, s21, 0
	s_mul_i32 s13, s7, s13
	s_add_u32 s12, s12, s13
	s_addc_u32 s13, 0, s20
	v_add_co_u32_e32 v2, vcc, s12, v2
	s_cmp_lg_u64 vcc, 0
	s_addc_u32 s7, s7, s13
	v_readfirstlane_b32 s13, v2
	s_mul_i32 s12, s1, s7
	s_mul_hi_u32 s20, s1, s13
	s_add_i32 s12, s20, s12
	s_mul_i32 s6, s6, s13
	s_add_i32 s12, s12, s6
	s_mul_i32 s1, s1, s13
	s_mul_hi_u32 s20, s7, s1
	s_mul_i32 s21, s7, s1
	s_mul_i32 s27, s13, s12
	s_mul_hi_u32 s1, s13, s1
	s_mul_hi_u32 s26, s13, s12
	s_add_u32 s1, s1, s27
	s_addc_u32 s13, 0, s26
	s_add_u32 s1, s1, s21
	s_mul_hi_u32 s6, s7, s12
	s_addc_u32 s1, s13, s20
	s_addc_u32 s6, s6, 0
	s_mul_i32 s12, s7, s12
	s_add_u32 s1, s1, s12
	s_addc_u32 s6, 0, s6
	v_add_co_u32_e32 v2, vcc, s1, v2
	s_cmp_lg_u64 vcc, 0
	s_addc_u32 s1, s7, s6
	v_readlane_b32 s21, v56, 29
	v_readfirstlane_b32 s12, v2
	s_mul_i32 s7, s21, s1
	s_mul_hi_u32 s13, s21, s12
	s_mul_hi_u32 s6, s21, s1
	s_add_u32 s7, s13, s7
	s_addc_u32 s6, 0, s6
	s_mul_hi_u32 s20, s29, s12
	s_mul_i32 s12, s29, s12
	s_add_u32 s7, s7, s12
	s_mul_hi_u32 s13, s29, s1
	s_addc_u32 s6, s6, s20
	s_addc_u32 s7, s13, 0
	s_mul_i32 s1, s29, s1
	s_add_u32 s1, s6, s1
	s_addc_u32 s6, 0, s7
	s_mul_hi_u32 s7, s33, s1
	s_mul_i32 s1, s33, s1
	s_mul_i32 s6, s33, s6
	v_mov_b32_e32 v2, s1
	s_add_i32 s7, s7, s6
	v_sub_co_u32_e32 v2, vcc, s21, v2
	s_cmp_lg_u64 vcc, 0
	s_subb_u32 s1, s29, s7
	v_subrev_co_u32_e32 v3, vcc, s33, v2
	s_cmp_lg_u64 vcc, 0
	s_subb_u32 s6, s1, 0
	v_subrev_co_u32_e32 v4, vcc, s33, v3
	s_cmp_lg_u64 vcc, 0
	s_subb_u32 s7, s6, 0
	v_cmp_le_u32_e32 vcc, s33, v3
	s_cmp_eq_u32 s6, 0
	v_cndmask_b32_e64 v5, 0, -1, vcc
	s_cselect_b64 vcc, -1, 0
	v_cndmask_b32_e32 v5, -1, v5, vcc
	v_mov_b32_e32 v6, s6
	v_mov_b32_e32 v7, s7
	v_cmp_ne_u32_e32 vcc, 0, v5
	v_cndmask_b32_e32 v5, v6, v7, vcc
	v_cndmask_b32_e32 v4, v3, v4, vcc
	v_cmp_le_u32_e32 vcc, s33, v2
	s_cmp_eq_u32 s1, 0
	v_cndmask_b32_e64 v3, 0, -1, vcc
	s_cselect_b64 vcc, -1, 0
	v_cndmask_b32_e32 v3, -1, v3, vcc
	v_mov_b32_e32 v6, s1
	v_cmp_ne_u32_e32 vcc, 0, v3
	v_cndmask_b32_e32 v3, v6, v5, vcc
	v_cndmask_b32_e32 v2, v2, v4, vcc
	s_cbranch_execnz .LBB216_101
.LBB216_100:                            ;   in Loop: Header=BB216_6 Depth=1
	v_cvt_f32_u32_e32 v2, s33
	s_sub_i32 s1, 0, s33
	v_rcp_iflag_f32_e32 v2, v2
	v_mul_f32_e32 v2, 0x4f7ffffe, v2
	v_cvt_u32_f32_e32 v2, v2
	v_mul_lo_u32 v3, s1, v2
	v_mul_hi_u32 v3, v2, v3
	v_add_u32_e32 v2, v2, v3
	v_readlane_b32 s1, v56, 29
	v_mul_hi_u32 v2, s1, v2
	v_mul_lo_u32 v2, v2, s33
	v_sub_u32_e32 v2, s1, v2
	v_subrev_u32_e32 v3, s33, v2
	v_cmp_le_u32_e32 vcc, s33, v2
	v_cndmask_b32_e32 v2, v2, v3, vcc
	v_subrev_u32_e32 v3, s33, v2
	v_cmp_le_u32_e32 vcc, s33, v2
	v_cndmask_b32_e32 v14, v2, v3, vcc
	v_pk_mov_b32 v[2:3], v[14:15], v[14:15] op_sel:[0,1]
.LBB216_101:                            ;   in Loop: Header=BB216_6 Depth=1
	v_readlane_b32 s6, v56, 31
	v_readlane_b32 s7, v56, 32
	;; [unrolled: 1-line block ×3, first 2 shown]
	v_mov_b32_e32 v4, s7
	v_sub_co_u32_e32 v2, vcc, s1, v2
	v_subb_co_u32_e32 v3, vcc, v4, v3, vcc
	v_cmp_gt_u64_e32 vcc, v[2:3], v[0:1]
	s_mov_b64 s[6:7], 0
                                        ; implicit-def: $vgpr6
	s_and_saveexec_b64 s[12:13], vcc
	s_cbranch_execz .LBB216_110
; %bb.102:                              ;   in Loop: Header=BB216_6 Depth=1
	s_mov_b64 s[20:21], 0
	v_pk_mov_b32 v[4:5], v[12:13], v[12:13] op_sel:[0,1]
	v_pk_mov_b32 v[6:7], v[0:1], v[0:1] op_sel:[0,1]
                                        ; implicit-def: $sgpr26_sgpr27
	s_branch .LBB216_104
.LBB216_103:                            ;   in Loop: Header=BB216_104 Depth=2
	s_or_b64 exec, exec, s[6:7]
	s_waitcnt lgkmcnt(0)
	s_barrier
	s_waitcnt vmcnt(0)
	ds_read_b32 v8, v15 offset:3072
	v_add_co_u32_e64 v6, s[6:7], s33, v6
	s_waitcnt lgkmcnt(0)
	s_barrier
	v_and_b32_e32 v9, 0x7fff, v8
	v_cmp_ne_u16_e32 vcc, 0, v9
	v_mov_b32_e32 v9, s88
	v_addc_co_u32_e64 v7, s[6:7], v7, v9, s[6:7]
	v_cmp_ge_u64_e64 s[6:7], v[6:7], v[2:3]
	s_or_b64 s[28:29], s[6:7], vcc
	v_mov_b32_e32 v9, s61
	v_add_co_u32_e64 v4, s[6:7], s60, v4
	v_addc_co_u32_e64 v5, s[6:7], v5, v9, s[6:7]
	s_and_b64 s[6:7], exec, s[28:29]
	s_or_b64 s[20:21], s[6:7], s[20:21]
	s_andn2_b64 s[6:7], s[26:27], exec
	s_and_b64 s[26:27], vcc, exec
	s_or_b64 s[26:27], s[6:7], s[26:27]
	s_andn2_b64 exec, exec, s[20:21]
	s_cbranch_execz .LBB216_109
.LBB216_104:                            ;   Parent Loop BB216_6 Depth=1
                                        ; =>  This Inner Loop Header: Depth=2
	v_cmp_gt_u64_e32 vcc, s[56:57], v[6:7]
	v_mov_b32_e32 v8, 0
	s_and_saveexec_b64 s[6:7], vcc
	s_cbranch_execz .LBB216_106
; %bb.105:                              ;   in Loop: Header=BB216_104 Depth=2
	global_load_ushort v8, v[4:5], off
.LBB216_106:                            ;   in Loop: Header=BB216_104 Depth=2
	s_or_b64 exec, exec, s[6:7]
	s_and_saveexec_b64 s[6:7], vcc
	s_cbranch_execz .LBB216_103
; %bb.107:                              ;   in Loop: Header=BB216_104 Depth=2
	s_waitcnt vmcnt(0)
	v_cmp_lt_i16_e32 vcc, -1, v8
	v_cndmask_b32_e32 v9, v39, v40, vcc
	v_lshlrev_b32_e32 v14, 16, v8
	v_xor_b32_sdwa v9, v9, v8 dst_sel:DWORD dst_unused:UNUSED_PAD src0_sel:DWORD src1_sel:WORD_0
	v_cmp_o_f32_e32 vcc, v14, v14
	v_cndmask_b32_e32 v9, v39, v9, vcc
	v_and_b32_e32 v9, v9, v29
	v_cmp_eq_u32_e32 vcc, v9, v28
	s_and_b64 exec, exec, vcc
	s_cbranch_execz .LBB216_103
; %bb.108:                              ;   in Loop: Header=BB216_104 Depth=2
	s_movk_i32 s1, 0x3f80
	v_perm_b32 v8, v8, s1, v43
	ds_write_b32 v15, v8 offset:3072
	s_branch .LBB216_103
.LBB216_109:                            ;   in Loop: Header=BB216_6 Depth=1
	s_or_b64 exec, exec, s[20:21]
	v_lshrrev_b32_e32 v6, 16, v8
	s_and_b64 s[6:7], s[26:27], exec
.LBB216_110:                            ;   in Loop: Header=BB216_6 Depth=1
	s_or_b64 exec, exec, s[12:13]
	s_mov_b64 s[36:37], -1
	s_mov_b64 s[20:21], 0
	s_mov_b64 s[34:35], 0
.LBB216_111:                            ;   in Loop: Header=BB216_6 Depth=1
	s_orn2_b64 s[6:7], s[6:7], exec
.LBB216_112:                            ;   in Loop: Header=BB216_6 Depth=1
	s_or_b64 exec, exec, s[4:5]
	s_mov_b64 s[38:39], 0
	s_mov_b64 s[28:29], 0
	;; [unrolled: 1-line block ×3, first 2 shown]
                                        ; implicit-def: $vgpr7
                                        ; implicit-def: $vgpr2_vgpr3
	s_and_saveexec_b64 s[40:41], s[6:7]
	s_cbranch_execz .LBB216_275
; %bb.113:                              ;   in Loop: Header=BB216_6 Depth=1
	v_mov_b32_e32 v2, 1
	s_xor_b64 s[12:13], s[42:43], -1
	s_mov_b64 s[6:7], 0
	v_mov_b32_e32 v3, 0
	v_mov_b32_e32 v7, 1
	s_and_saveexec_b64 s[4:5], s[12:13]
	s_cbranch_execz .LBB216_123
; %bb.114:                              ;   in Loop: Header=BB216_6 Depth=1
	v_cmp_ge_u64_e32 vcc, s[16:17], v[26:27]
                                        ; implicit-def: $sgpr1
                                        ; implicit-def: $sgpr6_sgpr7
	s_and_saveexec_b64 s[12:13], vcc
	s_xor_b64 s[12:13], exec, s[12:13]
	s_cbranch_execz .LBB216_120
; %bb.115:                              ;   in Loop: Header=BB216_6 Depth=1
	ds_read_b64 v[2:3], v15 offset:5120
	s_waitcnt lgkmcnt(0)
	v_cmp_ne_u64_e32 vcc, 0, v[2:3]
	s_cbranch_vccnz .LBB216_119
; %bb.116:                              ;   in Loop: Header=BB216_6 Depth=1
	s_mov_b64 s[6:7], exec
	v_readlane_b32 s26, v56, 8
	v_readlane_b32 s27, v56, 9
	s_and_b64 s[26:27], s[6:7], s[26:27]
	s_mov_b64 exec, s[26:27]
	s_cbranch_execz .LBB216_118
; %bb.117:                              ;   in Loop: Header=BB216_6 Depth=1
	v_pk_mov_b32 v[2:3], s[16:17], s[16:17] op_sel:[0,1]
	ds_write_b64 v15, v[2:3] offset:5128
.LBB216_118:                            ;   in Loop: Header=BB216_6 Depth=1
	s_or_b64 exec, exec, s[6:7]
	s_waitcnt lgkmcnt(0)
	s_barrier
.LBB216_119:                            ;   in Loop: Header=BB216_6 Depth=1
	v_and_b32_e32 v28, s90, v28
	v_or_b32_e32 v29, s82, v29
	s_mov_b64 s[6:7], 0
	s_mov_b32 s1, 8
.LBB216_120:                            ;   in Loop: Header=BB216_6 Depth=1
	s_or_saveexec_b64 s[12:13], s[12:13]
	v_mov_b32_e32 v7, s1
	v_pk_mov_b32 v[2:3], v[26:27], v[26:27] op_sel:[0,1]
	s_xor_b64 exec, exec, s[12:13]
; %bb.121:                              ;   in Loop: Header=BB216_6 Depth=1
	v_mov_b32_e32 v3, s17
	v_subrev_co_u32_e32 v2, vcc, s16, v26
	v_subb_co_u32_e32 v3, vcc, v27, v3, vcc
	v_mov_b32_e32 v7, 0
	s_or_b64 s[6:7], s[6:7], exec
; %bb.122:                              ;   in Loop: Header=BB216_6 Depth=1
	s_or_b64 exec, exec, s[12:13]
	s_and_b64 s[6:7], s[6:7], exec
.LBB216_123:                            ;   in Loop: Header=BB216_6 Depth=1
	s_or_b64 exec, exec, s[4:5]
	s_mov_b64 s[42:43], -1
                                        ; implicit-def: $sgpr4_sgpr5
                                        ; implicit-def: $sgpr12_sgpr13
                                        ; implicit-def: $sgpr28_sgpr29
	s_and_saveexec_b64 s[26:27], s[6:7]
	s_xor_b64 s[26:27], exec, s[26:27]
	s_cbranch_execz .LBB216_272
; %bb.124:                              ;   in Loop: Header=BB216_6 Depth=1
	s_cmp_eq_u64 s[18:19], 1
	s_cselect_b64 s[4:5], -1, 0
	v_cmp_eq_u64_e32 vcc, 1, v[2:3]
	s_and_b64 s[48:49], s[4:5], vcc
	s_mov_b64 s[12:13], -1
                                        ; implicit-def: $sgpr28_sgpr29
                                        ; implicit-def: $sgpr44_sgpr45
                                        ; implicit-def: $sgpr42_sgpr43
	s_and_saveexec_b64 s[4:5], s[48:49]
	s_cbranch_execz .LBB216_158
; %bb.125:                              ;   in Loop: Header=BB216_6 Depth=1
	ds_read_b64 v[4:5], v15 offset:5120
	s_waitcnt lgkmcnt(0)
	s_barrier
	v_readfirstlane_b32 s12, v4
	v_readfirstlane_b32 s13, v5
	s_mov_b64 s[6:7], exec
	v_readlane_b32 s28, v56, 24
	v_readlane_b32 s29, v56, 25
	s_and_b64 s[28:29], s[6:7], s[28:29]
	s_mov_b64 exec, s[28:29]
	s_cbranch_execz .LBB216_127
; %bb.126:                              ;   in Loop: Header=BB216_6 Depth=1
	ds_write_b16 v36, v15
.LBB216_127:                            ;   in Loop: Header=BB216_6 Depth=1
	s_or_b64 exec, exec, s[6:7]
	v_and_b32_e32 v4, s90, v28
	v_lshl_or_b32 v28, 1, s91, v4
	v_or_b32_e32 v29, s82, v29
	s_cmp_eq_u64 s[12:13], 0
	s_waitcnt lgkmcnt(0)
	s_barrier
	s_cbranch_scc1 .LBB216_141
; %bb.128:                              ;   in Loop: Header=BB216_6 Depth=1
	v_readlane_b32 s1, v56, 28
	s_add_u32 s1, s1, s12
	v_readlane_b32 s6, v56, 30
	s_addc_u32 s7, s6, s13
	s_mov_b32 s6, s83
	s_cmp_lg_u64 s[6:7], 0
	s_cbranch_scc0 .LBB216_185
; %bb.129:                              ;   in Loop: Header=BB216_6 Depth=1
	v_cvt_f32_u32_e32 v4, s33
	s_sub_u32 s6, 0, s33
	s_subb_u32 s28, 0, 0
	v_mac_f32_e32 v4, 0, v41
	v_rcp_f32_e32 v4, v4
	v_mul_f32_e32 v4, 0x5f7ffffc, v4
	v_mul_f32_e32 v5, 0x2f800000, v4
	v_trunc_f32_e32 v5, v5
	v_mac_f32_e32 v4, 0xcf800000, v5
	v_cvt_u32_f32_e32 v5, v5
	v_cvt_u32_f32_e32 v4, v4
	v_readfirstlane_b32 s29, v5
	v_readfirstlane_b32 s42, v4
	s_mul_i32 s43, s6, s29
	s_mul_hi_u32 s45, s6, s42
	s_mul_i32 s44, s28, s42
	s_add_i32 s43, s45, s43
	s_mul_i32 s46, s6, s42
	s_add_i32 s43, s43, s44
	s_mul_hi_u32 s45, s42, s46
	s_mul_hi_u32 s44, s42, s43
	s_mul_i32 s42, s42, s43
	s_add_u32 s42, s45, s42
	s_addc_u32 s44, 0, s44
	s_mul_hi_u32 s47, s29, s46
	s_mul_i32 s46, s29, s46
	s_add_u32 s42, s42, s46
	s_mul_hi_u32 s45, s29, s43
	s_addc_u32 s42, s44, s47
	s_addc_u32 s44, s45, 0
	s_mul_i32 s43, s29, s43
	s_add_u32 s42, s42, s43
	s_addc_u32 s43, 0, s44
	v_add_co_u32_e32 v4, vcc, s42, v4
	s_cmp_lg_u64 vcc, 0
	s_addc_u32 s29, s29, s43
	v_readfirstlane_b32 s43, v4
	s_mul_i32 s42, s6, s29
	s_mul_hi_u32 s44, s6, s43
	s_add_i32 s42, s44, s42
	s_mul_i32 s28, s28, s43
	s_add_i32 s42, s42, s28
	s_mul_i32 s6, s6, s43
	s_mul_hi_u32 s44, s29, s6
	s_mul_i32 s45, s29, s6
	s_mul_i32 s47, s43, s42
	s_mul_hi_u32 s6, s43, s6
	s_mul_hi_u32 s46, s43, s42
	s_add_u32 s6, s6, s47
	s_addc_u32 s43, 0, s46
	s_add_u32 s6, s6, s45
	s_mul_hi_u32 s28, s29, s42
	s_addc_u32 s6, s43, s44
	s_addc_u32 s28, s28, 0
	s_mul_i32 s42, s29, s42
	s_add_u32 s6, s6, s42
	s_addc_u32 s28, 0, s28
	v_add_co_u32_e32 v4, vcc, s6, v4
	s_cmp_lg_u64 vcc, 0
	s_addc_u32 s6, s29, s28
	v_readfirstlane_b32 s42, v4
	s_mul_i32 s29, s1, s6
	s_mul_hi_u32 s43, s1, s42
	s_mul_hi_u32 s28, s1, s6
	s_add_u32 s29, s43, s29
	s_addc_u32 s28, 0, s28
	s_mul_hi_u32 s44, s7, s42
	s_mul_i32 s42, s7, s42
	s_add_u32 s29, s29, s42
	s_mul_hi_u32 s43, s7, s6
	s_addc_u32 s28, s28, s44
	s_addc_u32 s29, s43, 0
	s_mul_i32 s6, s7, s6
	s_add_u32 s6, s28, s6
	s_addc_u32 s28, 0, s29
	s_mul_hi_u32 s29, s33, s6
	s_mul_i32 s6, s33, s6
	s_mul_i32 s28, s33, s28
	v_mov_b32_e32 v4, s6
	s_add_i32 s29, s29, s28
	v_sub_co_u32_e32 v4, vcc, s1, v4
	s_cmp_lg_u64 vcc, 0
	s_subb_u32 s6, s7, s29
	v_subrev_co_u32_e32 v5, vcc, s33, v4
	s_cmp_lg_u64 vcc, 0
	s_subb_u32 s28, s6, 0
	v_subrev_co_u32_e32 v6, vcc, s33, v5
	s_cmp_lg_u64 vcc, 0
	s_subb_u32 s29, s28, 0
	v_cmp_le_u32_e32 vcc, s33, v5
	s_cmp_eq_u32 s28, 0
	v_cndmask_b32_e64 v7, 0, -1, vcc
	s_cselect_b64 vcc, -1, 0
	v_cndmask_b32_e32 v7, -1, v7, vcc
	v_mov_b32_e32 v8, s28
	v_mov_b32_e32 v9, s29
	v_cmp_ne_u32_e32 vcc, 0, v7
	v_cndmask_b32_e32 v7, v8, v9, vcc
	v_cndmask_b32_e32 v6, v5, v6, vcc
	v_cmp_le_u32_e32 vcc, s33, v4
	s_cmp_eq_u32 s6, 0
	v_cndmask_b32_e64 v5, 0, -1, vcc
	s_cselect_b64 vcc, -1, 0
	v_cndmask_b32_e32 v5, -1, v5, vcc
	v_mov_b32_e32 v8, s6
	v_cmp_ne_u32_e32 vcc, 0, v5
	v_cndmask_b32_e32 v5, v8, v7, vcc
	v_cndmask_b32_e32 v4, v4, v6, vcc
	s_cbranch_execnz .LBB216_131
.LBB216_130:                            ;   in Loop: Header=BB216_6 Depth=1
	v_cvt_f32_u32_e32 v4, s33
	s_sub_i32 s6, 0, s33
	v_rcp_iflag_f32_e32 v4, v4
	v_mul_f32_e32 v4, 0x4f7ffffe, v4
	v_cvt_u32_f32_e32 v4, v4
	v_mul_lo_u32 v5, s6, v4
	v_mul_hi_u32 v5, v4, v5
	v_add_u32_e32 v4, v4, v5
	v_mul_hi_u32 v4, s1, v4
	v_mul_lo_u32 v4, v4, s33
	v_sub_u32_e32 v4, s1, v4
	v_subrev_u32_e32 v5, s33, v4
	v_cmp_le_u32_e32 vcc, s33, v4
	v_cndmask_b32_e32 v4, v4, v5, vcc
	v_subrev_u32_e32 v5, s33, v4
	v_cmp_le_u32_e32 vcc, s33, v4
	v_cndmask_b32_e32 v14, v4, v5, vcc
	v_pk_mov_b32 v[4:5], v[14:15], v[14:15] op_sel:[0,1]
.LBB216_131:                            ;   in Loop: Header=BB216_6 Depth=1
	v_mov_b32_e32 v6, s7
	v_sub_co_u32_e32 v4, vcc, s1, v4
	v_subb_co_u32_e32 v5, vcc, v6, v5, vcc
	v_cmp_gt_u64_e32 vcc, v[4:5], v[0:1]
	s_mov_b64 s[6:7], 0
                                        ; implicit-def: $vgpr6
	s_and_saveexec_b64 s[28:29], vcc
	s_cbranch_execz .LBB216_143
; %bb.132:                              ;   in Loop: Header=BB216_6 Depth=1
	s_mov_b64 s[42:43], 0
	v_mov_b32_e32 v8, v35
	v_pk_mov_b32 v[6:7], v[0:1], v[0:1] op_sel:[0,1]
                                        ; implicit-def: $sgpr44_sgpr45
	s_branch .LBB216_134
.LBB216_133:                            ;   in Loop: Header=BB216_134 Depth=2
	s_or_b64 exec, exec, s[6:7]
	s_waitcnt lgkmcnt(0)
	s_barrier
	ds_read_b32 v9, v15 offset:3072
	v_add_co_u32_e64 v6, s[6:7], s33, v6
	v_add_u32_e32 v8, s0, v8
	s_waitcnt lgkmcnt(0)
	v_and_b32_e32 v14, 0x7fff, v9
	v_cmp_ne_u16_e32 vcc, 0, v14
	v_mov_b32_e32 v14, s88
	v_addc_co_u32_e64 v7, s[6:7], v7, v14, s[6:7]
	v_cmp_ge_u64_e64 s[6:7], v[6:7], v[4:5]
	s_or_b64 s[6:7], s[6:7], vcc
	s_and_b64 s[6:7], exec, s[6:7]
	s_or_b64 s[42:43], s[6:7], s[42:43]
	s_andn2_b64 s[6:7], s[44:45], exec
	s_and_b64 s[44:45], vcc, exec
	s_or_b64 s[44:45], s[6:7], s[44:45]
	s_barrier
	s_andn2_b64 exec, exec, s[42:43]
	s_cbranch_execz .LBB216_142
.LBB216_134:                            ;   Parent Loop BB216_6 Depth=1
                                        ; =>  This Inner Loop Header: Depth=2
	v_cmp_gt_u64_e32 vcc, s[12:13], v[6:7]
	v_mov_b32_e32 v9, 0
	s_and_saveexec_b64 s[6:7], vcc
	s_cbranch_execz .LBB216_136
; %bb.135:                              ;   in Loop: Header=BB216_134 Depth=2
	ds_read_u16 v9, v8
.LBB216_136:                            ;   in Loop: Header=BB216_134 Depth=2
	s_or_b64 exec, exec, s[6:7]
	s_and_saveexec_b64 s[6:7], vcc
	s_cbranch_execz .LBB216_133
; %bb.137:                              ;   in Loop: Header=BB216_134 Depth=2
	s_waitcnt lgkmcnt(0)
	v_cmp_lt_i16_e32 vcc, -1, v9
	v_cndmask_b32_e32 v14, v39, v40, vcc
	v_lshlrev_b32_e32 v30, 16, v9
	v_xor_b32_sdwa v14, v14, v9 dst_sel:DWORD dst_unused:UNUSED_PAD src0_sel:DWORD src1_sel:WORD_0
	v_cmp_o_f32_e32 vcc, v30, v30
	v_cndmask_b32_e32 v14, v39, v14, vcc
	v_and_b32_e32 v14, v14, v29
	v_cmp_eq_u32_e32 vcc, v14, v28
	s_and_b64 exec, exec, vcc
	s_cbranch_execz .LBB216_133
; %bb.138:                              ;   in Loop: Header=BB216_134 Depth=2
	s_movk_i32 s1, 0x3f80
	v_perm_b32 v9, v9, s1, v43
	ds_write_b32 v15, v9 offset:3072
	s_branch .LBB216_133
.LBB216_139:                            ;   in Loop: Header=BB216_6 Depth=1
                                        ; implicit-def: $vgpr2_vgpr3
	s_branch .LBB216_81
.LBB216_140:                            ;   in Loop: Header=BB216_6 Depth=1
                                        ; implicit-def: $vgpr2_vgpr3
	s_branch .LBB216_100
.LBB216_141:                            ;   in Loop: Header=BB216_6 Depth=1
	s_mov_b64 s[28:29], -1
	s_mov_b64 s[6:7], 0
                                        ; implicit-def: $sgpr42_sgpr43
                                        ; implicit-def: $vgpr6
	s_mov_b64 s[44:45], s[28:29]
	s_cbranch_execnz .LBB216_144
	s_branch .LBB216_157
.LBB216_142:                            ;   in Loop: Header=BB216_6 Depth=1
	s_or_b64 exec, exec, s[42:43]
	v_lshrrev_b32_e32 v6, 16, v9
	s_and_b64 s[6:7], s[44:45], exec
.LBB216_143:                            ;   in Loop: Header=BB216_6 Depth=1
	s_or_b64 exec, exec, s[28:29]
	s_mov_b64 s[42:43], -1
	s_mov_b64 s[28:29], 0
	s_mov_b64 s[44:45], s[28:29]
	s_branch .LBB216_157
.LBB216_144:                            ;   in Loop: Header=BB216_6 Depth=1
	v_readlane_b32 s44, v56, 31
	v_readlane_b32 s45, v56, 32
	s_mov_b32 s44, s83
	s_cmp_lg_u64 s[44:45], 0
	v_writelane_b32 v56, s44, 31
	v_writelane_b32 v56, s45, 32
	s_cbranch_scc0 .LBB216_186
; %bb.145:                              ;   in Loop: Header=BB216_6 Depth=1
	v_cvt_f32_u32_e32 v4, s33
	s_sub_u32 s1, 0, s33
	s_subb_u32 s6, 0, 0
	v_mac_f32_e32 v4, 0, v41
	v_rcp_f32_e32 v4, v4
	v_mul_f32_e32 v4, 0x5f7ffffc, v4
	v_mul_f32_e32 v5, 0x2f800000, v4
	v_trunc_f32_e32 v5, v5
	v_mac_f32_e32 v4, 0xcf800000, v5
	v_cvt_u32_f32_e32 v5, v5
	v_cvt_u32_f32_e32 v4, v4
	v_readfirstlane_b32 s7, v5
	v_readfirstlane_b32 s12, v4
	s_mul_i32 s13, s1, s7
	s_mul_hi_u32 s29, s1, s12
	s_mul_i32 s28, s6, s12
	s_add_i32 s13, s29, s13
	s_mul_i32 s42, s1, s12
	s_add_i32 s13, s13, s28
	s_mul_hi_u32 s29, s12, s42
	s_mul_hi_u32 s28, s12, s13
	s_mul_i32 s12, s12, s13
	s_add_u32 s12, s29, s12
	s_addc_u32 s28, 0, s28
	s_mul_hi_u32 s43, s7, s42
	s_mul_i32 s42, s7, s42
	s_add_u32 s12, s12, s42
	s_mul_hi_u32 s29, s7, s13
	s_addc_u32 s12, s28, s43
	s_addc_u32 s28, s29, 0
	s_mul_i32 s13, s7, s13
	s_add_u32 s12, s12, s13
	s_addc_u32 s13, 0, s28
	v_add_co_u32_e32 v4, vcc, s12, v4
	s_cmp_lg_u64 vcc, 0
	s_addc_u32 s7, s7, s13
	v_readfirstlane_b32 s13, v4
	s_mul_i32 s12, s1, s7
	s_mul_hi_u32 s28, s1, s13
	s_add_i32 s12, s28, s12
	s_mul_i32 s6, s6, s13
	s_add_i32 s12, s12, s6
	s_mul_i32 s1, s1, s13
	s_mul_hi_u32 s28, s7, s1
	s_mul_i32 s29, s7, s1
	s_mul_i32 s43, s13, s12
	s_mul_hi_u32 s1, s13, s1
	s_mul_hi_u32 s42, s13, s12
	s_add_u32 s1, s1, s43
	s_addc_u32 s13, 0, s42
	s_add_u32 s1, s1, s29
	s_mul_hi_u32 s6, s7, s12
	s_addc_u32 s1, s13, s28
	s_addc_u32 s6, s6, 0
	s_mul_i32 s12, s7, s12
	s_add_u32 s1, s1, s12
	s_addc_u32 s6, 0, s6
	v_add_co_u32_e32 v4, vcc, s1, v4
	s_cmp_lg_u64 vcc, 0
	s_addc_u32 s1, s7, s6
	v_readlane_b32 s29, v56, 29
	v_readfirstlane_b32 s12, v4
	s_mul_i32 s7, s29, s1
	s_mul_hi_u32 s13, s29, s12
	s_mul_hi_u32 s6, s29, s1
	s_add_u32 s7, s13, s7
	s_addc_u32 s6, 0, s6
	s_mul_hi_u32 s28, s45, s12
	s_mul_i32 s12, s45, s12
	s_add_u32 s7, s7, s12
	s_mul_hi_u32 s13, s45, s1
	s_addc_u32 s6, s6, s28
	s_addc_u32 s7, s13, 0
	s_mul_i32 s1, s45, s1
	s_add_u32 s1, s6, s1
	s_addc_u32 s6, 0, s7
	s_mul_hi_u32 s7, s33, s1
	s_mul_i32 s1, s33, s1
	s_mul_i32 s6, s33, s6
	v_mov_b32_e32 v4, s1
	s_add_i32 s7, s7, s6
	v_sub_co_u32_e32 v4, vcc, s29, v4
	s_cmp_lg_u64 vcc, 0
	s_subb_u32 s1, s45, s7
	v_subrev_co_u32_e32 v5, vcc, s33, v4
	s_cmp_lg_u64 vcc, 0
	s_subb_u32 s6, s1, 0
	v_subrev_co_u32_e32 v6, vcc, s33, v5
	s_cmp_lg_u64 vcc, 0
	s_subb_u32 s7, s6, 0
	v_cmp_le_u32_e32 vcc, s33, v5
	s_cmp_eq_u32 s6, 0
	v_cndmask_b32_e64 v7, 0, -1, vcc
	s_cselect_b64 vcc, -1, 0
	v_cndmask_b32_e32 v7, -1, v7, vcc
	v_mov_b32_e32 v8, s6
	v_mov_b32_e32 v9, s7
	v_cmp_ne_u32_e32 vcc, 0, v7
	v_cndmask_b32_e32 v7, v8, v9, vcc
	v_cndmask_b32_e32 v6, v5, v6, vcc
	v_cmp_le_u32_e32 vcc, s33, v4
	s_cmp_eq_u32 s1, 0
	v_cndmask_b32_e64 v5, 0, -1, vcc
	s_cselect_b64 vcc, -1, 0
	v_cndmask_b32_e32 v5, -1, v5, vcc
	v_mov_b32_e32 v8, s1
	v_cmp_ne_u32_e32 vcc, 0, v5
	v_cndmask_b32_e32 v5, v8, v7, vcc
	v_cndmask_b32_e32 v4, v4, v6, vcc
	s_cbranch_execnz .LBB216_147
.LBB216_146:                            ;   in Loop: Header=BB216_6 Depth=1
	v_cvt_f32_u32_e32 v4, s33
	s_sub_i32 s1, 0, s33
	v_rcp_iflag_f32_e32 v4, v4
	v_mul_f32_e32 v4, 0x4f7ffffe, v4
	v_cvt_u32_f32_e32 v4, v4
	v_mul_lo_u32 v5, s1, v4
	v_mul_hi_u32 v5, v4, v5
	v_add_u32_e32 v4, v4, v5
	v_readlane_b32 s1, v56, 29
	v_mul_hi_u32 v4, s1, v4
	v_mul_lo_u32 v4, v4, s33
	v_sub_u32_e32 v4, s1, v4
	v_subrev_u32_e32 v5, s33, v4
	v_cmp_le_u32_e32 vcc, s33, v4
	v_cndmask_b32_e32 v4, v4, v5, vcc
	v_subrev_u32_e32 v5, s33, v4
	v_cmp_le_u32_e32 vcc, s33, v4
	v_cndmask_b32_e32 v14, v4, v5, vcc
	v_pk_mov_b32 v[4:5], v[14:15], v[14:15] op_sel:[0,1]
.LBB216_147:                            ;   in Loop: Header=BB216_6 Depth=1
	v_readlane_b32 s6, v56, 31
	v_readlane_b32 s7, v56, 32
	;; [unrolled: 1-line block ×3, first 2 shown]
	v_mov_b32_e32 v6, s7
	v_sub_co_u32_e32 v4, vcc, s1, v4
	v_subb_co_u32_e32 v5, vcc, v6, v5, vcc
	v_cmp_gt_u64_e32 vcc, v[4:5], v[0:1]
	s_mov_b64 s[6:7], 0
                                        ; implicit-def: $vgpr6
	s_and_saveexec_b64 s[12:13], vcc
	s_cbranch_execz .LBB216_156
; %bb.148:                              ;   in Loop: Header=BB216_6 Depth=1
	s_mov_b64 s[28:29], 0
	v_pk_mov_b32 v[6:7], v[12:13], v[12:13] op_sel:[0,1]
	v_pk_mov_b32 v[8:9], v[0:1], v[0:1] op_sel:[0,1]
                                        ; implicit-def: $sgpr42_sgpr43
	s_branch .LBB216_150
.LBB216_149:                            ;   in Loop: Header=BB216_150 Depth=2
	s_or_b64 exec, exec, s[6:7]
	s_waitcnt lgkmcnt(0)
	s_barrier
	s_waitcnt vmcnt(0)
	ds_read_b32 v14, v15 offset:3072
	v_add_co_u32_e64 v8, s[6:7], s33, v8
	s_waitcnt lgkmcnt(0)
	s_barrier
	v_and_b32_e32 v30, 0x7fff, v14
	v_cmp_ne_u16_e32 vcc, 0, v30
	v_mov_b32_e32 v30, s88
	v_addc_co_u32_e64 v9, s[6:7], v9, v30, s[6:7]
	v_cmp_ge_u64_e64 s[6:7], v[8:9], v[4:5]
	s_or_b64 s[44:45], s[6:7], vcc
	v_mov_b32_e32 v30, s61
	v_add_co_u32_e64 v6, s[6:7], s60, v6
	v_addc_co_u32_e64 v7, s[6:7], v7, v30, s[6:7]
	s_and_b64 s[6:7], exec, s[44:45]
	s_or_b64 s[28:29], s[6:7], s[28:29]
	s_andn2_b64 s[6:7], s[42:43], exec
	s_and_b64 s[42:43], vcc, exec
	s_or_b64 s[42:43], s[6:7], s[42:43]
	s_andn2_b64 exec, exec, s[28:29]
	s_cbranch_execz .LBB216_155
.LBB216_150:                            ;   Parent Loop BB216_6 Depth=1
                                        ; =>  This Inner Loop Header: Depth=2
	v_cmp_gt_u64_e32 vcc, s[56:57], v[8:9]
	v_mov_b32_e32 v14, 0
	s_and_saveexec_b64 s[6:7], vcc
	s_cbranch_execz .LBB216_152
; %bb.151:                              ;   in Loop: Header=BB216_150 Depth=2
	global_load_ushort v14, v[6:7], off
.LBB216_152:                            ;   in Loop: Header=BB216_150 Depth=2
	s_or_b64 exec, exec, s[6:7]
	s_and_saveexec_b64 s[6:7], vcc
	s_cbranch_execz .LBB216_149
; %bb.153:                              ;   in Loop: Header=BB216_150 Depth=2
	s_waitcnt vmcnt(0)
	v_cmp_lt_i16_e32 vcc, -1, v14
	v_cndmask_b32_e32 v30, v39, v40, vcc
	v_lshlrev_b32_e32 v31, 16, v14
	v_xor_b32_sdwa v30, v30, v14 dst_sel:DWORD dst_unused:UNUSED_PAD src0_sel:DWORD src1_sel:WORD_0
	v_cmp_o_f32_e32 vcc, v31, v31
	v_cndmask_b32_e32 v30, v39, v30, vcc
	v_and_b32_e32 v30, v30, v29
	v_cmp_eq_u32_e32 vcc, v30, v28
	s_and_b64 exec, exec, vcc
	s_cbranch_execz .LBB216_149
; %bb.154:                              ;   in Loop: Header=BB216_150 Depth=2
	s_movk_i32 s1, 0x3f80
	v_perm_b32 v14, v14, s1, v43
	ds_write_b32 v15, v14 offset:3072
	s_branch .LBB216_149
.LBB216_155:                            ;   in Loop: Header=BB216_6 Depth=1
	s_or_b64 exec, exec, s[28:29]
	v_lshrrev_b32_e32 v6, 16, v14
	s_and_b64 s[6:7], s[42:43], exec
.LBB216_156:                            ;   in Loop: Header=BB216_6 Depth=1
	s_or_b64 exec, exec, s[12:13]
	s_mov_b64 s[44:45], -1
	s_mov_b64 s[28:29], 0
	s_mov_b64 s[42:43], 0
.LBB216_157:                            ;   in Loop: Header=BB216_6 Depth=1
	s_orn2_b64 s[12:13], s[6:7], exec
.LBB216_158:                            ;   in Loop: Header=BB216_6 Depth=1
	s_or_b64 exec, exec, s[4:5]
	s_mov_b64 s[6:7], 0
                                        ; implicit-def: $vgpr7
	s_and_saveexec_b64 s[46:47], s[12:13]
	s_cbranch_execz .LBB216_271
; %bb.159:                              ;   in Loop: Header=BB216_6 Depth=1
	v_mov_b32_e32 v4, 1
	s_xor_b64 s[6:7], s[48:49], -1
	s_mov_b64 s[12:13], 0
	v_mov_b32_e32 v5, 0
	v_mov_b32_e32 v7, 1
	s_and_saveexec_b64 s[4:5], s[6:7]
	s_cbranch_execz .LBB216_169
; %bb.160:                              ;   in Loop: Header=BB216_6 Depth=1
	v_cmp_ge_u64_e32 vcc, s[18:19], v[2:3]
                                        ; implicit-def: $sgpr1
                                        ; implicit-def: $sgpr6_sgpr7
	s_and_saveexec_b64 s[12:13], vcc
	s_xor_b64 s[12:13], exec, s[12:13]
	s_cbranch_execz .LBB216_166
; %bb.161:                              ;   in Loop: Header=BB216_6 Depth=1
	ds_read_b64 v[4:5], v15 offset:5120
	s_waitcnt lgkmcnt(0)
	v_cmp_ne_u64_e32 vcc, 0, v[4:5]
	s_cbranch_vccnz .LBB216_165
; %bb.162:                              ;   in Loop: Header=BB216_6 Depth=1
	s_mov_b64 s[6:7], exec
	v_readlane_b32 s48, v56, 8
	v_readlane_b32 s49, v56, 9
	s_and_b64 s[48:49], s[6:7], s[48:49]
	s_mov_b64 exec, s[48:49]
	s_cbranch_execz .LBB216_164
; %bb.163:                              ;   in Loop: Header=BB216_6 Depth=1
	v_pk_mov_b32 v[4:5], s[18:19], s[18:19] op_sel:[0,1]
	ds_write_b64 v15, v[4:5] offset:5128
.LBB216_164:                            ;   in Loop: Header=BB216_6 Depth=1
	s_or_b64 exec, exec, s[6:7]
	s_waitcnt lgkmcnt(0)
	s_barrier
.LBB216_165:                            ;   in Loop: Header=BB216_6 Depth=1
	v_and_b32_e32 v4, s90, v28
	v_lshl_or_b32 v28, 1, s91, v4
	v_or_b32_e32 v29, s82, v29
	s_mov_b64 s[6:7], 0
	s_mov_b32 s1, 8
.LBB216_166:                            ;   in Loop: Header=BB216_6 Depth=1
	s_or_saveexec_b64 s[12:13], s[12:13]
	v_mov_b32_e32 v7, s1
	s_xor_b64 exec, exec, s[12:13]
; %bb.167:                              ;   in Loop: Header=BB216_6 Depth=1
	v_mov_b32_e32 v4, s19
	v_subrev_co_u32_e32 v2, vcc, s18, v2
	v_subb_co_u32_e32 v3, vcc, v3, v4, vcc
	v_mov_b32_e32 v7, 0
	s_or_b64 s[6:7], s[6:7], exec
; %bb.168:                              ;   in Loop: Header=BB216_6 Depth=1
	s_or_b64 exec, exec, s[12:13]
	s_and_b64 s[12:13], s[6:7], exec
	v_pk_mov_b32 v[4:5], v[2:3], v[2:3] op_sel:[0,1]
.LBB216_169:                            ;   in Loop: Header=BB216_6 Depth=1
	s_or_b64 exec, exec, s[4:5]
	s_mov_b64 s[4:5], -1
                                        ; implicit-def: $sgpr6_sgpr7
                                        ; implicit-def: $sgpr50_sgpr51
                                        ; implicit-def: $sgpr52_sgpr53
	s_and_saveexec_b64 s[48:49], s[12:13]
	s_cbranch_execz .LBB216_270
; %bb.170:                              ;   in Loop: Header=BB216_6 Depth=1
	s_cmp_eq_u64 s[22:23], 1
	s_cselect_b64 s[4:5], -1, 0
	v_cmp_eq_u64_e32 vcc, 1, v[4:5]
	s_and_b64 s[52:53], s[4:5], vcc
	s_mov_b64 s[6:7], -1
                                        ; implicit-def: $sgpr50_sgpr51
                                        ; implicit-def: $sgpr54_sgpr55
                                        ; implicit-def: $sgpr4_sgpr5
	s_and_saveexec_b64 s[86:87], s[52:53]
	s_cbranch_execz .LBB216_204
; %bb.171:                              ;   in Loop: Header=BB216_6 Depth=1
	ds_read_b64 v[2:3], v15 offset:5120
	s_waitcnt lgkmcnt(0)
	s_barrier
	v_readfirstlane_b32 s4, v2
	v_readfirstlane_b32 s5, v3
	s_mov_b64 s[6:7], exec
	v_readlane_b32 s12, v56, 24
	v_readlane_b32 s13, v56, 25
	s_and_b64 s[12:13], s[6:7], s[12:13]
	s_mov_b64 exec, s[12:13]
	s_cbranch_execz .LBB216_173
; %bb.172:                              ;   in Loop: Header=BB216_6 Depth=1
	ds_write_b16 v36, v15
.LBB216_173:                            ;   in Loop: Header=BB216_6 Depth=1
	s_or_b64 exec, exec, s[6:7]
	v_and_b32_e32 v2, s90, v28
	v_lshl_or_b32 v28, 2, s91, v2
	v_or_b32_e32 v29, s82, v29
	s_cmp_eq_u64 s[4:5], 0
	s_waitcnt lgkmcnt(0)
	s_barrier
	s_cbranch_scc1 .LBB216_187
; %bb.174:                              ;   in Loop: Header=BB216_6 Depth=1
	v_readlane_b32 s1, v56, 28
	s_add_u32 s1, s1, s4
	v_readlane_b32 s6, v56, 30
	s_addc_u32 s7, s6, s5
	s_mov_b32 s6, s83
	s_cmp_lg_u64 s[6:7], 0
	s_cbranch_scc0 .LBB216_222
; %bb.175:                              ;   in Loop: Header=BB216_6 Depth=1
	v_cvt_f32_u32_e32 v2, s33
	s_sub_u32 s6, 0, s33
	s_subb_u32 s12, 0, 0
	v_mac_f32_e32 v2, 0, v41
	v_rcp_f32_e32 v2, v2
	v_mul_f32_e32 v2, 0x5f7ffffc, v2
	v_mul_f32_e32 v3, 0x2f800000, v2
	v_trunc_f32_e32 v3, v3
	v_mac_f32_e32 v2, 0xcf800000, v3
	v_cvt_u32_f32_e32 v3, v3
	v_cvt_u32_f32_e32 v2, v2
	v_readfirstlane_b32 s13, v3
	v_readfirstlane_b32 s50, v2
	s_mul_i32 s51, s6, s13
	s_mul_hi_u32 s55, s6, s50
	s_mul_i32 s54, s12, s50
	s_add_i32 s51, s55, s51
	s_mul_i32 s70, s6, s50
	s_add_i32 s51, s51, s54
	s_mul_hi_u32 s55, s50, s70
	s_mul_hi_u32 s54, s50, s51
	s_mul_i32 s50, s50, s51
	s_add_u32 s50, s55, s50
	s_addc_u32 s54, 0, s54
	s_mul_hi_u32 s71, s13, s70
	s_mul_i32 s70, s13, s70
	s_add_u32 s50, s50, s70
	s_mul_hi_u32 s55, s13, s51
	s_addc_u32 s50, s54, s71
	s_addc_u32 s54, s55, 0
	s_mul_i32 s51, s13, s51
	s_add_u32 s50, s50, s51
	s_addc_u32 s51, 0, s54
	v_add_co_u32_e32 v2, vcc, s50, v2
	s_cmp_lg_u64 vcc, 0
	s_addc_u32 s13, s13, s51
	v_readfirstlane_b32 s51, v2
	s_mul_i32 s50, s6, s13
	s_mul_hi_u32 s54, s6, s51
	s_add_i32 s50, s54, s50
	s_mul_i32 s12, s12, s51
	s_add_i32 s50, s50, s12
	s_mul_i32 s6, s6, s51
	s_mul_hi_u32 s54, s13, s6
	s_mul_i32 s55, s13, s6
	s_mul_i32 s71, s51, s50
	s_mul_hi_u32 s6, s51, s6
	s_mul_hi_u32 s70, s51, s50
	s_add_u32 s6, s6, s71
	s_addc_u32 s51, 0, s70
	s_add_u32 s6, s6, s55
	s_mul_hi_u32 s12, s13, s50
	s_addc_u32 s6, s51, s54
	s_addc_u32 s12, s12, 0
	s_mul_i32 s50, s13, s50
	s_add_u32 s6, s6, s50
	s_addc_u32 s12, 0, s12
	v_add_co_u32_e32 v2, vcc, s6, v2
	s_cmp_lg_u64 vcc, 0
	s_addc_u32 s6, s13, s12
	v_readfirstlane_b32 s50, v2
	s_mul_i32 s13, s1, s6
	s_mul_hi_u32 s51, s1, s50
	s_mul_hi_u32 s12, s1, s6
	s_add_u32 s13, s51, s13
	s_addc_u32 s12, 0, s12
	s_mul_hi_u32 s54, s7, s50
	s_mul_i32 s50, s7, s50
	s_add_u32 s13, s13, s50
	s_mul_hi_u32 s51, s7, s6
	s_addc_u32 s12, s12, s54
	s_addc_u32 s13, s51, 0
	s_mul_i32 s6, s7, s6
	s_add_u32 s6, s12, s6
	s_addc_u32 s12, 0, s13
	s_mul_hi_u32 s13, s33, s6
	s_mul_i32 s6, s33, s6
	s_mul_i32 s12, s33, s12
	v_mov_b32_e32 v2, s6
	s_add_i32 s13, s13, s12
	v_sub_co_u32_e32 v2, vcc, s1, v2
	s_cmp_lg_u64 vcc, 0
	s_subb_u32 s6, s7, s13
	v_subrev_co_u32_e32 v3, vcc, s33, v2
	s_cmp_lg_u64 vcc, 0
	s_subb_u32 s12, s6, 0
	v_subrev_co_u32_e32 v6, vcc, s33, v3
	s_cmp_lg_u64 vcc, 0
	s_subb_u32 s13, s12, 0
	v_cmp_le_u32_e32 vcc, s33, v3
	s_cmp_eq_u32 s12, 0
	v_cndmask_b32_e64 v7, 0, -1, vcc
	s_cselect_b64 vcc, -1, 0
	v_cndmask_b32_e32 v7, -1, v7, vcc
	v_mov_b32_e32 v8, s12
	v_mov_b32_e32 v9, s13
	v_cmp_ne_u32_e32 vcc, 0, v7
	v_cndmask_b32_e32 v7, v8, v9, vcc
	v_cndmask_b32_e32 v6, v3, v6, vcc
	v_cmp_le_u32_e32 vcc, s33, v2
	s_cmp_eq_u32 s6, 0
	v_cndmask_b32_e64 v3, 0, -1, vcc
	s_cselect_b64 vcc, -1, 0
	v_cndmask_b32_e32 v3, -1, v3, vcc
	v_mov_b32_e32 v8, s6
	v_cmp_ne_u32_e32 vcc, 0, v3
	v_cndmask_b32_e32 v3, v8, v7, vcc
	v_cndmask_b32_e32 v2, v2, v6, vcc
	s_cbranch_execnz .LBB216_177
.LBB216_176:                            ;   in Loop: Header=BB216_6 Depth=1
	v_cvt_f32_u32_e32 v2, s33
	s_sub_i32 s6, 0, s33
	v_rcp_iflag_f32_e32 v2, v2
	v_mul_f32_e32 v2, 0x4f7ffffe, v2
	v_cvt_u32_f32_e32 v2, v2
	v_mul_lo_u32 v3, s6, v2
	v_mul_hi_u32 v3, v2, v3
	v_add_u32_e32 v2, v2, v3
	v_mul_hi_u32 v2, s1, v2
	v_mul_lo_u32 v2, v2, s33
	v_sub_u32_e32 v2, s1, v2
	v_subrev_u32_e32 v3, s33, v2
	v_cmp_le_u32_e32 vcc, s33, v2
	v_cndmask_b32_e32 v2, v2, v3, vcc
	v_subrev_u32_e32 v3, s33, v2
	v_cmp_le_u32_e32 vcc, s33, v2
	v_cndmask_b32_e32 v14, v2, v3, vcc
	v_pk_mov_b32 v[2:3], v[14:15], v[14:15] op_sel:[0,1]
.LBB216_177:                            ;   in Loop: Header=BB216_6 Depth=1
	v_mov_b32_e32 v6, s7
	v_sub_co_u32_e32 v2, vcc, s1, v2
	v_subb_co_u32_e32 v3, vcc, v6, v3, vcc
	v_cmp_gt_u64_e32 vcc, v[2:3], v[0:1]
	s_mov_b64 s[6:7], 0
                                        ; implicit-def: $vgpr6
	s_and_saveexec_b64 s[12:13], vcc
	s_cbranch_execz .LBB216_189
; %bb.178:                              ;   in Loop: Header=BB216_6 Depth=1
	s_mov_b64 s[50:51], 0
	v_mov_b32_e32 v8, v35
	v_pk_mov_b32 v[6:7], v[0:1], v[0:1] op_sel:[0,1]
                                        ; implicit-def: $sgpr54_sgpr55
	s_branch .LBB216_180
.LBB216_179:                            ;   in Loop: Header=BB216_180 Depth=2
	s_or_b64 exec, exec, s[6:7]
	s_waitcnt lgkmcnt(0)
	s_barrier
	ds_read_b32 v9, v15 offset:3072
	v_add_co_u32_e64 v6, s[6:7], s33, v6
	v_add_u32_e32 v8, s0, v8
	s_waitcnt lgkmcnt(0)
	v_and_b32_e32 v14, 0x7fff, v9
	v_cmp_ne_u16_e32 vcc, 0, v14
	v_mov_b32_e32 v14, s88
	v_addc_co_u32_e64 v7, s[6:7], v7, v14, s[6:7]
	v_cmp_ge_u64_e64 s[6:7], v[6:7], v[2:3]
	s_or_b64 s[6:7], s[6:7], vcc
	s_and_b64 s[6:7], exec, s[6:7]
	s_or_b64 s[50:51], s[6:7], s[50:51]
	s_andn2_b64 s[6:7], s[54:55], exec
	s_and_b64 s[54:55], vcc, exec
	s_or_b64 s[54:55], s[6:7], s[54:55]
	s_barrier
	s_andn2_b64 exec, exec, s[50:51]
	s_cbranch_execz .LBB216_188
.LBB216_180:                            ;   Parent Loop BB216_6 Depth=1
                                        ; =>  This Inner Loop Header: Depth=2
	v_cmp_gt_u64_e32 vcc, s[4:5], v[6:7]
	v_mov_b32_e32 v9, 0
	s_and_saveexec_b64 s[6:7], vcc
	s_cbranch_execz .LBB216_182
; %bb.181:                              ;   in Loop: Header=BB216_180 Depth=2
	ds_read_u16 v9, v8
.LBB216_182:                            ;   in Loop: Header=BB216_180 Depth=2
	s_or_b64 exec, exec, s[6:7]
	s_and_saveexec_b64 s[6:7], vcc
	s_cbranch_execz .LBB216_179
; %bb.183:                              ;   in Loop: Header=BB216_180 Depth=2
	s_waitcnt lgkmcnt(0)
	v_cmp_lt_i16_e32 vcc, -1, v9
	v_cndmask_b32_e32 v14, v39, v40, vcc
	v_lshlrev_b32_e32 v30, 16, v9
	v_xor_b32_sdwa v14, v14, v9 dst_sel:DWORD dst_unused:UNUSED_PAD src0_sel:DWORD src1_sel:WORD_0
	v_cmp_o_f32_e32 vcc, v30, v30
	v_cndmask_b32_e32 v14, v39, v14, vcc
	v_and_b32_e32 v14, v14, v29
	v_cmp_eq_u32_e32 vcc, v14, v28
	s_and_b64 exec, exec, vcc
	s_cbranch_execz .LBB216_179
; %bb.184:                              ;   in Loop: Header=BB216_180 Depth=2
	s_movk_i32 s1, 0x3f80
	v_perm_b32 v9, v9, s1, v43
	ds_write_b32 v15, v9 offset:3072
	s_branch .LBB216_179
.LBB216_185:                            ;   in Loop: Header=BB216_6 Depth=1
                                        ; implicit-def: $vgpr4_vgpr5
	s_branch .LBB216_130
.LBB216_186:                            ;   in Loop: Header=BB216_6 Depth=1
                                        ; implicit-def: $vgpr4_vgpr5
	s_branch .LBB216_146
.LBB216_187:                            ;   in Loop: Header=BB216_6 Depth=1
	s_mov_b64 s[50:51], -1
	s_mov_b64 s[6:7], 0
                                        ; implicit-def: $sgpr4_sgpr5
                                        ; implicit-def: $vgpr6
	s_mov_b64 s[54:55], s[50:51]
	s_cbranch_execnz .LBB216_190
	s_branch .LBB216_203
.LBB216_188:                            ;   in Loop: Header=BB216_6 Depth=1
	s_or_b64 exec, exec, s[50:51]
	v_lshrrev_b32_e32 v6, 16, v9
	s_and_b64 s[6:7], s[54:55], exec
.LBB216_189:                            ;   in Loop: Header=BB216_6 Depth=1
	s_or_b64 exec, exec, s[12:13]
	s_mov_b64 s[4:5], -1
	s_mov_b64 s[50:51], 0
	s_mov_b64 s[54:55], s[50:51]
	s_branch .LBB216_203
.LBB216_190:                            ;   in Loop: Header=BB216_6 Depth=1
	v_readlane_b32 s54, v56, 31
	v_readlane_b32 s55, v56, 32
	s_mov_b32 s54, s83
	s_cmp_lg_u64 s[54:55], 0
	v_writelane_b32 v56, s54, 31
	v_writelane_b32 v56, s55, 32
	s_cbranch_scc0 .LBB216_223
; %bb.191:                              ;   in Loop: Header=BB216_6 Depth=1
	v_cvt_f32_u32_e32 v2, s33
	s_sub_u32 s1, 0, s33
	s_subb_u32 s4, 0, 0
	v_mac_f32_e32 v2, 0, v41
	v_rcp_f32_e32 v2, v2
	v_mul_f32_e32 v2, 0x5f7ffffc, v2
	v_mul_f32_e32 v3, 0x2f800000, v2
	v_trunc_f32_e32 v3, v3
	v_mac_f32_e32 v2, 0xcf800000, v3
	v_cvt_u32_f32_e32 v3, v3
	v_cvt_u32_f32_e32 v2, v2
	v_readfirstlane_b32 s5, v3
	v_readfirstlane_b32 s6, v2
	s_mul_i32 s7, s1, s5
	s_mul_hi_u32 s13, s1, s6
	s_mul_i32 s12, s4, s6
	s_add_i32 s7, s13, s7
	s_mul_i32 s50, s1, s6
	s_add_i32 s7, s7, s12
	s_mul_hi_u32 s13, s6, s50
	s_mul_hi_u32 s12, s6, s7
	s_mul_i32 s6, s6, s7
	s_add_u32 s6, s13, s6
	s_addc_u32 s12, 0, s12
	s_mul_hi_u32 s51, s5, s50
	s_mul_i32 s50, s5, s50
	s_add_u32 s6, s6, s50
	s_mul_hi_u32 s13, s5, s7
	s_addc_u32 s6, s12, s51
	s_addc_u32 s12, s13, 0
	s_mul_i32 s7, s5, s7
	s_add_u32 s6, s6, s7
	s_addc_u32 s7, 0, s12
	v_add_co_u32_e32 v2, vcc, s6, v2
	s_cmp_lg_u64 vcc, 0
	s_addc_u32 s5, s5, s7
	v_readfirstlane_b32 s7, v2
	s_mul_i32 s6, s1, s5
	s_mul_hi_u32 s12, s1, s7
	s_add_i32 s6, s12, s6
	s_mul_i32 s4, s4, s7
	s_add_i32 s6, s6, s4
	s_mul_i32 s1, s1, s7
	s_mul_hi_u32 s12, s5, s1
	s_mul_i32 s13, s5, s1
	s_mul_i32 s51, s7, s6
	s_mul_hi_u32 s1, s7, s1
	s_mul_hi_u32 s50, s7, s6
	s_add_u32 s1, s1, s51
	s_addc_u32 s7, 0, s50
	s_add_u32 s1, s1, s13
	s_mul_hi_u32 s4, s5, s6
	s_addc_u32 s1, s7, s12
	s_addc_u32 s4, s4, 0
	s_mul_i32 s6, s5, s6
	s_add_u32 s1, s1, s6
	s_addc_u32 s4, 0, s4
	v_add_co_u32_e32 v2, vcc, s1, v2
	s_cmp_lg_u64 vcc, 0
	s_addc_u32 s1, s5, s4
	v_readlane_b32 s13, v56, 29
	v_readfirstlane_b32 s6, v2
	s_mul_i32 s5, s13, s1
	s_mul_hi_u32 s7, s13, s6
	s_mul_hi_u32 s4, s13, s1
	s_add_u32 s5, s7, s5
	s_addc_u32 s4, 0, s4
	s_mul_hi_u32 s12, s55, s6
	s_mul_i32 s6, s55, s6
	s_add_u32 s5, s5, s6
	s_mul_hi_u32 s7, s55, s1
	s_addc_u32 s4, s4, s12
	s_addc_u32 s5, s7, 0
	s_mul_i32 s1, s55, s1
	s_add_u32 s1, s4, s1
	s_addc_u32 s4, 0, s5
	s_mul_hi_u32 s5, s33, s1
	s_mul_i32 s1, s33, s1
	s_mul_i32 s4, s33, s4
	v_mov_b32_e32 v2, s1
	s_add_i32 s5, s5, s4
	v_sub_co_u32_e32 v2, vcc, s13, v2
	s_cmp_lg_u64 vcc, 0
	s_subb_u32 s1, s55, s5
	v_subrev_co_u32_e32 v3, vcc, s33, v2
	s_cmp_lg_u64 vcc, 0
	s_subb_u32 s4, s1, 0
	v_subrev_co_u32_e32 v6, vcc, s33, v3
	s_cmp_lg_u64 vcc, 0
	s_subb_u32 s5, s4, 0
	v_cmp_le_u32_e32 vcc, s33, v3
	s_cmp_eq_u32 s4, 0
	v_cndmask_b32_e64 v7, 0, -1, vcc
	s_cselect_b64 vcc, -1, 0
	v_cndmask_b32_e32 v7, -1, v7, vcc
	v_mov_b32_e32 v8, s4
	v_mov_b32_e32 v9, s5
	v_cmp_ne_u32_e32 vcc, 0, v7
	v_cndmask_b32_e32 v7, v8, v9, vcc
	v_cndmask_b32_e32 v6, v3, v6, vcc
	v_cmp_le_u32_e32 vcc, s33, v2
	s_cmp_eq_u32 s1, 0
	v_cndmask_b32_e64 v3, 0, -1, vcc
	s_cselect_b64 vcc, -1, 0
	v_cndmask_b32_e32 v3, -1, v3, vcc
	v_mov_b32_e32 v8, s1
	v_cmp_ne_u32_e32 vcc, 0, v3
	v_cndmask_b32_e32 v3, v8, v7, vcc
	v_cndmask_b32_e32 v2, v2, v6, vcc
	s_cbranch_execnz .LBB216_193
.LBB216_192:                            ;   in Loop: Header=BB216_6 Depth=1
	v_cvt_f32_u32_e32 v2, s33
	s_sub_i32 s1, 0, s33
	v_rcp_iflag_f32_e32 v2, v2
	v_mul_f32_e32 v2, 0x4f7ffffe, v2
	v_cvt_u32_f32_e32 v2, v2
	v_mul_lo_u32 v3, s1, v2
	v_mul_hi_u32 v3, v2, v3
	v_add_u32_e32 v2, v2, v3
	v_readlane_b32 s1, v56, 29
	v_mul_hi_u32 v2, s1, v2
	v_mul_lo_u32 v2, v2, s33
	v_sub_u32_e32 v2, s1, v2
	v_subrev_u32_e32 v3, s33, v2
	v_cmp_le_u32_e32 vcc, s33, v2
	v_cndmask_b32_e32 v2, v2, v3, vcc
	v_subrev_u32_e32 v3, s33, v2
	v_cmp_le_u32_e32 vcc, s33, v2
	v_cndmask_b32_e32 v14, v2, v3, vcc
	v_pk_mov_b32 v[2:3], v[14:15], v[14:15] op_sel:[0,1]
.LBB216_193:                            ;   in Loop: Header=BB216_6 Depth=1
	v_readlane_b32 s4, v56, 31
	v_readlane_b32 s5, v56, 32
	;; [unrolled: 1-line block ×3, first 2 shown]
	v_mov_b32_e32 v6, s5
	v_sub_co_u32_e32 v2, vcc, s1, v2
	v_subb_co_u32_e32 v3, vcc, v6, v3, vcc
	v_cmp_gt_u64_e32 vcc, v[2:3], v[0:1]
	s_mov_b64 s[6:7], 0
                                        ; implicit-def: $vgpr6
	s_and_saveexec_b64 s[4:5], vcc
	s_cbranch_execz .LBB216_202
; %bb.194:                              ;   in Loop: Header=BB216_6 Depth=1
	s_mov_b64 s[12:13], 0
	v_pk_mov_b32 v[6:7], v[12:13], v[12:13] op_sel:[0,1]
	v_pk_mov_b32 v[8:9], v[0:1], v[0:1] op_sel:[0,1]
                                        ; implicit-def: $sgpr50_sgpr51
	s_branch .LBB216_196
.LBB216_195:                            ;   in Loop: Header=BB216_196 Depth=2
	s_or_b64 exec, exec, s[6:7]
	s_waitcnt lgkmcnt(0)
	s_barrier
	s_waitcnt vmcnt(0)
	ds_read_b32 v14, v15 offset:3072
	v_add_co_u32_e64 v8, s[6:7], s33, v8
	s_waitcnt lgkmcnt(0)
	s_barrier
	v_and_b32_e32 v30, 0x7fff, v14
	v_cmp_ne_u16_e32 vcc, 0, v30
	v_mov_b32_e32 v30, s88
	v_addc_co_u32_e64 v9, s[6:7], v9, v30, s[6:7]
	v_cmp_ge_u64_e64 s[6:7], v[8:9], v[2:3]
	s_or_b64 s[54:55], s[6:7], vcc
	v_mov_b32_e32 v30, s61
	v_add_co_u32_e64 v6, s[6:7], s60, v6
	v_addc_co_u32_e64 v7, s[6:7], v7, v30, s[6:7]
	s_and_b64 s[6:7], exec, s[54:55]
	s_or_b64 s[12:13], s[6:7], s[12:13]
	s_andn2_b64 s[6:7], s[50:51], exec
	s_and_b64 s[50:51], vcc, exec
	s_or_b64 s[50:51], s[6:7], s[50:51]
	s_andn2_b64 exec, exec, s[12:13]
	s_cbranch_execz .LBB216_201
.LBB216_196:                            ;   Parent Loop BB216_6 Depth=1
                                        ; =>  This Inner Loop Header: Depth=2
	v_cmp_gt_u64_e32 vcc, s[56:57], v[8:9]
	v_mov_b32_e32 v14, 0
	s_and_saveexec_b64 s[6:7], vcc
	s_cbranch_execz .LBB216_198
; %bb.197:                              ;   in Loop: Header=BB216_196 Depth=2
	global_load_ushort v14, v[6:7], off
.LBB216_198:                            ;   in Loop: Header=BB216_196 Depth=2
	s_or_b64 exec, exec, s[6:7]
	s_and_saveexec_b64 s[6:7], vcc
	s_cbranch_execz .LBB216_195
; %bb.199:                              ;   in Loop: Header=BB216_196 Depth=2
	s_waitcnt vmcnt(0)
	v_cmp_lt_i16_e32 vcc, -1, v14
	v_cndmask_b32_e32 v30, v39, v40, vcc
	v_lshlrev_b32_e32 v31, 16, v14
	v_xor_b32_sdwa v30, v30, v14 dst_sel:DWORD dst_unused:UNUSED_PAD src0_sel:DWORD src1_sel:WORD_0
	v_cmp_o_f32_e32 vcc, v31, v31
	v_cndmask_b32_e32 v30, v39, v30, vcc
	v_and_b32_e32 v30, v30, v29
	v_cmp_eq_u32_e32 vcc, v30, v28
	s_and_b64 exec, exec, vcc
	s_cbranch_execz .LBB216_195
; %bb.200:                              ;   in Loop: Header=BB216_196 Depth=2
	s_movk_i32 s1, 0x3f80
	v_perm_b32 v14, v14, s1, v43
	ds_write_b32 v15, v14 offset:3072
	s_branch .LBB216_195
.LBB216_201:                            ;   in Loop: Header=BB216_6 Depth=1
	s_or_b64 exec, exec, s[12:13]
	v_lshrrev_b32_e32 v6, 16, v14
	s_and_b64 s[6:7], s[50:51], exec
.LBB216_202:                            ;   in Loop: Header=BB216_6 Depth=1
	s_or_b64 exec, exec, s[4:5]
	s_mov_b64 s[54:55], -1
	s_mov_b64 s[50:51], 0
	s_mov_b64 s[4:5], 0
.LBB216_203:                            ;   in Loop: Header=BB216_6 Depth=1
	s_orn2_b64 s[6:7], s[6:7], exec
.LBB216_204:                            ;   in Loop: Header=BB216_6 Depth=1
	s_or_b64 exec, exec, s[86:87]
	s_mov_b64 s[12:13], 0
                                        ; implicit-def: $vgpr7
	s_and_saveexec_b64 s[86:87], s[6:7]
	s_cbranch_execz .LBB216_269
; %bb.205:                              ;   in Loop: Header=BB216_6 Depth=1
	v_mov_b32_e32 v2, 1
	s_xor_b64 s[12:13], s[52:53], -1
	s_mov_b64 s[78:79], 0
	v_mov_b32_e32 v3, 0
	v_mov_b32_e32 v7, 1
	s_and_saveexec_b64 s[6:7], s[12:13]
	s_cbranch_execz .LBB216_215
; %bb.206:                              ;   in Loop: Header=BB216_6 Depth=1
	v_cmp_ge_u64_e32 vcc, s[22:23], v[4:5]
                                        ; implicit-def: $sgpr1
                                        ; implicit-def: $sgpr12_sgpr13
	s_and_saveexec_b64 s[52:53], vcc
	s_xor_b64 s[52:53], exec, s[52:53]
	s_cbranch_execz .LBB216_212
; %bb.207:                              ;   in Loop: Header=BB216_6 Depth=1
	ds_read_b64 v[2:3], v15 offset:5120
	s_waitcnt lgkmcnt(0)
	v_cmp_ne_u64_e32 vcc, 0, v[2:3]
	s_cbranch_vccnz .LBB216_211
; %bb.208:                              ;   in Loop: Header=BB216_6 Depth=1
	v_readlane_b32 s68, v56, 8
	v_readlane_b32 s69, v56, 9
	s_and_saveexec_b64 s[12:13], s[68:69]
	s_cbranch_execz .LBB216_210
; %bb.209:                              ;   in Loop: Header=BB216_6 Depth=1
	v_pk_mov_b32 v[2:3], s[22:23], s[22:23] op_sel:[0,1]
	ds_write_b64 v15, v[2:3] offset:5128
.LBB216_210:                            ;   in Loop: Header=BB216_6 Depth=1
	s_or_b64 exec, exec, s[12:13]
	s_waitcnt lgkmcnt(0)
	s_barrier
.LBB216_211:                            ;   in Loop: Header=BB216_6 Depth=1
	v_and_b32_e32 v2, s90, v28
	v_lshl_or_b32 v28, 2, s91, v2
	v_or_b32_e32 v29, s82, v29
	s_mov_b64 s[12:13], 0
	s_mov_b32 s1, 8
.LBB216_212:                            ;   in Loop: Header=BB216_6 Depth=1
	s_or_saveexec_b64 s[52:53], s[52:53]
	v_mov_b32_e32 v7, s1
	s_xor_b64 exec, exec, s[52:53]
; %bb.213:                              ;   in Loop: Header=BB216_6 Depth=1
	v_mov_b32_e32 v2, s23
	v_subrev_co_u32_e32 v4, vcc, s22, v4
	v_subb_co_u32_e32 v5, vcc, v5, v2, vcc
	v_mov_b32_e32 v7, 0
	s_or_b64 s[12:13], s[12:13], exec
; %bb.214:                              ;   in Loop: Header=BB216_6 Depth=1
	s_or_b64 exec, exec, s[52:53]
	s_and_b64 s[78:79], s[12:13], exec
	v_pk_mov_b32 v[2:3], v[4:5], v[4:5] op_sel:[0,1]
.LBB216_215:                            ;   in Loop: Header=BB216_6 Depth=1
	s_or_b64 exec, exec, s[6:7]
	s_mov_b64 s[52:53], -1
                                        ; implicit-def: $sgpr6_sgpr7
                                        ; implicit-def: $sgpr70_sgpr71
                                        ; implicit-def: $sgpr12_sgpr13
	s_and_saveexec_b64 s[68:69], s[78:79]
	s_cbranch_execz .LBB216_268
; %bb.216:                              ;   in Loop: Header=BB216_6 Depth=1
	s_cmp_eq_u64 s[24:25], 1
	s_cselect_b64 s[6:7], -1, 0
	v_cmp_eq_u64_e32 vcc, 1, v[2:3]
	v_writelane_b32 v56, s68, 52
	s_and_b64 vcc, s[6:7], vcc
	s_mov_b64 s[78:79], -1
	v_writelane_b32 v56, s69, 53
                                        ; implicit-def: $sgpr6_sgpr7
                                        ; implicit-def: $sgpr70_sgpr71
                                        ; implicit-def: $sgpr12_sgpr13
	s_and_saveexec_b64 s[52:53], vcc
	s_cbranch_execz .LBB216_255
; %bb.217:                              ;   in Loop: Header=BB216_6 Depth=1
	ds_read_b64 v[4:5], v15 offset:5120
	v_readlane_b32 s68, v56, 24
	v_readlane_b32 s69, v56, 25
	s_waitcnt lgkmcnt(0)
	s_barrier
	v_readfirstlane_b32 s12, v4
	v_readfirstlane_b32 s13, v5
	s_and_saveexec_b64 s[6:7], s[68:69]
	s_cbranch_execz .LBB216_219
; %bb.218:                              ;   in Loop: Header=BB216_6 Depth=1
	ds_write_b16 v36, v15
.LBB216_219:                            ;   in Loop: Header=BB216_6 Depth=1
	s_or_b64 exec, exec, s[6:7]
	v_or_b32_e32 v28, s82, v28
	v_or_b32_e32 v29, s82, v29
	s_cmp_eq_u64 s[12:13], 0
	v_writelane_b32 v56, vcc_lo, 54
	s_waitcnt lgkmcnt(0)
	s_barrier
	v_writelane_b32 v56, vcc_hi, 55
	s_cbranch_scc1 .LBB216_224
; %bb.220:                              ;   in Loop: Header=BB216_6 Depth=1
	v_readlane_b32 s1, v56, 28
	s_add_u32 s1, s1, s12
	v_readlane_b32 s6, v56, 30
	s_addc_u32 s7, s6, s13
	s_mov_b32 s6, s83
	s_cmp_lg_u64 s[6:7], 0
	s_cbranch_scc0 .LBB216_225
; %bb.221:                              ;   in Loop: Header=BB216_6 Depth=1
	v_cvt_f32_u32_e32 v4, s33
	s_sub_u32 s6, 0, s33
	s_subb_u32 s70, 0, 0
	v_mac_f32_e32 v4, 0, v41
	v_rcp_f32_e32 v4, v4
	v_mul_f32_e32 v4, 0x5f7ffffc, v4
	v_mul_f32_e32 v5, 0x2f800000, v4
	v_trunc_f32_e32 v5, v5
	v_mac_f32_e32 v4, 0xcf800000, v5
	v_cvt_u32_f32_e32 v5, v5
	v_cvt_u32_f32_e32 v4, v4
	v_readfirstlane_b32 s71, v5
	v_readfirstlane_b32 s78, v4
	s_mul_i32 s79, s6, s71
	s_mul_hi_u32 s81, s6, s78
	s_mul_i32 s80, s70, s78
	s_add_i32 s79, s81, s79
	s_mul_i32 s84, s6, s78
	s_add_i32 s79, s79, s80
	s_mul_hi_u32 s81, s78, s84
	s_mul_hi_u32 s80, s78, s79
	s_mul_i32 s78, s78, s79
	s_add_u32 s78, s81, s78
	s_addc_u32 s80, 0, s80
	s_mul_hi_u32 s85, s71, s84
	s_mul_i32 s84, s71, s84
	s_add_u32 s78, s78, s84
	s_mul_hi_u32 s81, s71, s79
	s_addc_u32 s78, s80, s85
	s_addc_u32 s80, s81, 0
	s_mul_i32 s79, s71, s79
	s_add_u32 s78, s78, s79
	s_addc_u32 s79, 0, s80
	v_add_co_u32_e32 v4, vcc, s78, v4
	s_cmp_lg_u64 vcc, 0
	s_addc_u32 s71, s71, s79
	v_readfirstlane_b32 s79, v4
	s_mul_i32 s78, s6, s71
	s_mul_hi_u32 s80, s6, s79
	s_add_i32 s78, s80, s78
	s_mul_i32 s70, s70, s79
	s_add_i32 s78, s78, s70
	s_mul_i32 s6, s6, s79
	s_mul_hi_u32 s80, s71, s6
	s_mul_i32 s81, s71, s6
	s_mul_i32 s85, s79, s78
	s_mul_hi_u32 s6, s79, s6
	s_mul_hi_u32 s84, s79, s78
	s_add_u32 s6, s6, s85
	s_addc_u32 s79, 0, s84
	s_add_u32 s6, s6, s81
	s_mul_hi_u32 s70, s71, s78
	s_addc_u32 s6, s79, s80
	s_addc_u32 s70, s70, 0
	s_mul_i32 s78, s71, s78
	s_add_u32 s6, s6, s78
	s_addc_u32 s70, 0, s70
	v_add_co_u32_e32 v4, vcc, s6, v4
	s_cmp_lg_u64 vcc, 0
	s_addc_u32 s6, s71, s70
	v_readfirstlane_b32 s78, v4
	s_mul_i32 s71, s1, s6
	s_mul_hi_u32 s79, s1, s78
	s_mul_hi_u32 s70, s1, s6
	s_add_u32 s71, s79, s71
	s_addc_u32 s70, 0, s70
	s_mul_hi_u32 s80, s7, s78
	s_mul_i32 s78, s7, s78
	s_add_u32 s71, s71, s78
	s_mul_hi_u32 s79, s7, s6
	s_addc_u32 s70, s70, s80
	s_addc_u32 s71, s79, 0
	s_mul_i32 s6, s7, s6
	s_add_u32 s6, s70, s6
	s_addc_u32 s70, 0, s71
	s_mul_hi_u32 s71, s33, s6
	s_mul_i32 s6, s33, s6
	s_mul_i32 s70, s33, s70
	v_mov_b32_e32 v4, s6
	s_add_i32 s71, s71, s70
	v_sub_co_u32_e32 v4, vcc, s1, v4
	s_cmp_lg_u64 vcc, 0
	s_subb_u32 s6, s7, s71
	v_subrev_co_u32_e32 v5, vcc, s33, v4
	s_cmp_lg_u64 vcc, 0
	s_subb_u32 s70, s6, 0
	v_subrev_co_u32_e32 v6, vcc, s33, v5
	s_cmp_lg_u64 vcc, 0
	s_subb_u32 s71, s70, 0
	v_cmp_le_u32_e32 vcc, s33, v5
	s_cmp_eq_u32 s70, 0
	v_cndmask_b32_e64 v7, 0, -1, vcc
	s_cselect_b64 vcc, -1, 0
	v_cndmask_b32_e32 v7, -1, v7, vcc
	v_mov_b32_e32 v8, s70
	v_mov_b32_e32 v9, s71
	v_cmp_ne_u32_e32 vcc, 0, v7
	v_cndmask_b32_e32 v7, v8, v9, vcc
	v_cndmask_b32_e32 v6, v5, v6, vcc
	v_cmp_le_u32_e32 vcc, s33, v4
	s_cmp_eq_u32 s6, 0
	v_cndmask_b32_e64 v5, 0, -1, vcc
	s_cselect_b64 vcc, -1, 0
	v_cndmask_b32_e32 v5, -1, v5, vcc
	v_mov_b32_e32 v8, s6
	v_cmp_ne_u32_e32 vcc, 0, v5
	v_cndmask_b32_e32 v5, v8, v7, vcc
	v_cndmask_b32_e32 v4, v4, v6, vcc
	s_mov_b64 s[70:71], 0
	s_branch .LBB216_226
.LBB216_222:                            ;   in Loop: Header=BB216_6 Depth=1
                                        ; implicit-def: $vgpr2_vgpr3
	s_branch .LBB216_176
.LBB216_223:                            ;   in Loop: Header=BB216_6 Depth=1
                                        ; implicit-def: $vgpr2_vgpr3
	s_branch .LBB216_192
.LBB216_224:                            ;   in Loop: Header=BB216_6 Depth=1
	s_mov_b64 s[6:7], -1
	s_mov_b64 s[78:79], 0
                                        ; implicit-def: $sgpr12_sgpr13
                                        ; implicit-def: $vgpr6
	s_branch .LBB216_238
.LBB216_225:                            ;   in Loop: Header=BB216_6 Depth=1
	s_mov_b64 s[70:71], -1
                                        ; implicit-def: $vgpr4_vgpr5
.LBB216_226:                            ;   in Loop: Header=BB216_6 Depth=1
	s_andn2_b64 vcc, exec, s[70:71]
	s_cbranch_vccnz .LBB216_228
; %bb.227:                              ;   in Loop: Header=BB216_6 Depth=1
	v_cvt_f32_u32_e32 v4, s33
	s_sub_i32 s6, 0, s33
	v_rcp_iflag_f32_e32 v4, v4
	v_mul_f32_e32 v4, 0x4f7ffffe, v4
	v_cvt_u32_f32_e32 v4, v4
	v_mul_lo_u32 v5, s6, v4
	v_mul_hi_u32 v5, v4, v5
	v_add_u32_e32 v4, v4, v5
	v_mul_hi_u32 v4, s1, v4
	v_mul_lo_u32 v4, v4, s33
	v_sub_u32_e32 v4, s1, v4
	v_subrev_u32_e32 v5, s33, v4
	v_cmp_le_u32_e32 vcc, s33, v4
	v_cndmask_b32_e32 v4, v4, v5, vcc
	v_subrev_u32_e32 v5, s33, v4
	v_cmp_le_u32_e32 vcc, s33, v4
	v_cndmask_b32_e32 v14, v4, v5, vcc
	v_pk_mov_b32 v[4:5], v[14:15], v[14:15] op_sel:[0,1]
.LBB216_228:                            ;   in Loop: Header=BB216_6 Depth=1
	v_mov_b32_e32 v6, s7
	v_sub_co_u32_e32 v4, vcc, s1, v4
	v_subb_co_u32_e32 v5, vcc, v6, v5, vcc
	v_cmp_gt_u64_e32 vcc, v[4:5], v[0:1]
	s_mov_b64 s[78:79], 0
                                        ; implicit-def: $vgpr6
	s_and_saveexec_b64 s[70:71], vcc
	s_cbranch_execz .LBB216_237
; %bb.229:                              ;   in Loop: Header=BB216_6 Depth=1
	v_mov_b32_e32 v8, v35
	v_pk_mov_b32 v[6:7], v[0:1], v[0:1] op_sel:[0,1]
                                        ; implicit-def: $sgpr80_sgpr81
	s_branch .LBB216_231
.LBB216_230:                            ;   in Loop: Header=BB216_231 Depth=2
	s_or_b64 exec, exec, s[6:7]
	s_waitcnt lgkmcnt(0)
	s_barrier
	ds_read_b32 v9, v15 offset:3072
	v_add_co_u32_e64 v6, s[6:7], s33, v6
	v_add_u32_e32 v8, s0, v8
	s_waitcnt lgkmcnt(0)
	v_and_b32_e32 v14, 0x7fff, v9
	v_cmp_ne_u16_e32 vcc, 0, v14
	v_mov_b32_e32 v14, s88
	v_addc_co_u32_e64 v7, s[6:7], v7, v14, s[6:7]
	v_cmp_ge_u64_e64 s[6:7], v[6:7], v[4:5]
	s_or_b64 s[6:7], s[6:7], vcc
	s_and_b64 s[6:7], exec, s[6:7]
	s_or_b64 s[78:79], s[6:7], s[78:79]
	s_andn2_b64 s[6:7], s[80:81], exec
	s_and_b64 s[80:81], vcc, exec
	s_or_b64 s[80:81], s[6:7], s[80:81]
	s_barrier
	s_andn2_b64 exec, exec, s[78:79]
	s_cbranch_execz .LBB216_236
.LBB216_231:                            ;   Parent Loop BB216_6 Depth=1
                                        ; =>  This Inner Loop Header: Depth=2
	v_cmp_gt_u64_e32 vcc, s[12:13], v[6:7]
	v_mov_b32_e32 v9, 0
	s_and_saveexec_b64 s[6:7], vcc
	s_cbranch_execz .LBB216_233
; %bb.232:                              ;   in Loop: Header=BB216_231 Depth=2
	ds_read_u16 v9, v8
.LBB216_233:                            ;   in Loop: Header=BB216_231 Depth=2
	s_or_b64 exec, exec, s[6:7]
	s_and_saveexec_b64 s[6:7], vcc
	s_cbranch_execz .LBB216_230
; %bb.234:                              ;   in Loop: Header=BB216_231 Depth=2
	s_waitcnt lgkmcnt(0)
	v_cmp_lt_i16_e32 vcc, -1, v9
	v_cndmask_b32_e32 v14, v39, v40, vcc
	v_lshlrev_b32_e32 v30, 16, v9
	v_xor_b32_sdwa v14, v14, v9 dst_sel:DWORD dst_unused:UNUSED_PAD src0_sel:DWORD src1_sel:WORD_0
	v_cmp_o_f32_e32 vcc, v30, v30
	v_cndmask_b32_e32 v14, v39, v14, vcc
	v_and_b32_e32 v14, v14, v29
	v_cmp_eq_u32_e32 vcc, v14, v28
	s_and_b64 exec, exec, vcc
	s_cbranch_execz .LBB216_230
; %bb.235:                              ;   in Loop: Header=BB216_231 Depth=2
	s_movk_i32 s1, 0x3f80
	v_perm_b32 v9, v9, s1, v43
	ds_write_b32 v15, v9 offset:3072
	s_branch .LBB216_230
.LBB216_236:                            ;   in Loop: Header=BB216_6 Depth=1
	s_or_b64 exec, exec, s[78:79]
	v_lshrrev_b32_e32 v6, 16, v9
	s_and_b64 s[78:79], s[80:81], exec
.LBB216_237:                            ;   in Loop: Header=BB216_6 Depth=1
	s_or_b64 exec, exec, s[70:71]
	v_readlane_b32 s84, v56, 46
	v_readlane_b32 s85, v56, 47
	s_mov_b64 s[12:13], -1
	s_mov_b64 s[6:7], 0
.LBB216_238:                            ;   in Loop: Header=BB216_6 Depth=1
	s_and_b64 vcc, exec, s[6:7]
	s_mov_b64 s[70:71], s[6:7]
	s_cbranch_vccz .LBB216_254
; %bb.239:                              ;   in Loop: Header=BB216_6 Depth=1
	v_readlane_b32 s68, v56, 31
	v_readlane_b32 s69, v56, 32
	s_mov_b32 s68, s83
	s_cmp_lg_u64 s[68:69], 0
	v_writelane_b32 v56, s68, 31
	v_writelane_b32 v56, s69, 32
	s_cbranch_scc0 .LBB216_241
; %bb.240:                              ;   in Loop: Header=BB216_6 Depth=1
	v_cvt_f32_u32_e32 v4, s33
	s_sub_u32 s1, 0, s33
	s_subb_u32 s6, 0, 0
	v_readlane_b32 s68, v56, 29
	v_mac_f32_e32 v4, 0, v41
	v_rcp_f32_e32 v4, v4
	v_mul_f32_e32 v4, 0x5f7ffffc, v4
	v_mul_f32_e32 v5, 0x2f800000, v4
	v_trunc_f32_e32 v5, v5
	v_mac_f32_e32 v4, 0xcf800000, v5
	v_cvt_u32_f32_e32 v5, v5
	v_cvt_u32_f32_e32 v4, v4
	v_readfirstlane_b32 s7, v5
	v_readfirstlane_b32 s12, v4
	s_mul_i32 s13, s1, s7
	s_mul_hi_u32 s71, s1, s12
	s_mul_i32 s70, s6, s12
	s_add_i32 s13, s71, s13
	s_mul_i32 s78, s1, s12
	s_add_i32 s13, s13, s70
	s_mul_hi_u32 s71, s12, s78
	s_mul_hi_u32 s70, s12, s13
	s_mul_i32 s12, s12, s13
	s_add_u32 s12, s71, s12
	s_addc_u32 s70, 0, s70
	s_mul_hi_u32 s79, s7, s78
	s_mul_i32 s78, s7, s78
	s_add_u32 s12, s12, s78
	s_mul_hi_u32 s71, s7, s13
	s_addc_u32 s12, s70, s79
	s_addc_u32 s70, s71, 0
	s_mul_i32 s13, s7, s13
	s_add_u32 s12, s12, s13
	s_addc_u32 s13, 0, s70
	v_add_co_u32_e32 v4, vcc, s12, v4
	s_cmp_lg_u64 vcc, 0
	s_addc_u32 s7, s7, s13
	v_readfirstlane_b32 s13, v4
	s_mul_i32 s12, s1, s7
	s_mul_hi_u32 s70, s1, s13
	s_add_i32 s12, s70, s12
	s_mul_i32 s6, s6, s13
	s_add_i32 s12, s12, s6
	s_mul_i32 s1, s1, s13
	s_mul_hi_u32 s70, s7, s1
	s_mul_i32 s71, s7, s1
	s_mul_i32 s79, s13, s12
	s_mul_hi_u32 s1, s13, s1
	s_mul_hi_u32 s78, s13, s12
	s_add_u32 s1, s1, s79
	s_addc_u32 s13, 0, s78
	s_add_u32 s1, s1, s71
	s_mul_hi_u32 s6, s7, s12
	s_addc_u32 s1, s13, s70
	s_addc_u32 s6, s6, 0
	s_mul_i32 s12, s7, s12
	s_add_u32 s1, s1, s12
	s_addc_u32 s6, 0, s6
	v_add_co_u32_e32 v4, vcc, s1, v4
	s_cmp_lg_u64 vcc, 0
	s_addc_u32 s1, s7, s6
	v_readfirstlane_b32 s12, v4
	s_mul_i32 s7, s68, s1
	s_mul_hi_u32 s13, s68, s12
	s_mul_hi_u32 s6, s68, s1
	s_add_u32 s7, s13, s7
	s_addc_u32 s6, 0, s6
	s_mul_hi_u32 s70, s69, s12
	s_mul_i32 s12, s69, s12
	s_add_u32 s7, s7, s12
	s_mul_hi_u32 s13, s69, s1
	s_addc_u32 s6, s6, s70
	s_addc_u32 s7, s13, 0
	s_mul_i32 s1, s69, s1
	s_add_u32 s1, s6, s1
	s_addc_u32 s6, 0, s7
	s_mul_hi_u32 s7, s33, s1
	s_mul_i32 s1, s33, s1
	s_mul_i32 s6, s33, s6
	v_mov_b32_e32 v4, s1
	s_add_i32 s7, s7, s6
	v_sub_co_u32_e32 v4, vcc, s68, v4
	s_cmp_lg_u64 vcc, 0
	s_subb_u32 s1, s69, s7
	v_subrev_co_u32_e32 v5, vcc, s33, v4
	s_cmp_lg_u64 vcc, 0
	s_subb_u32 s6, s1, 0
	v_subrev_co_u32_e32 v6, vcc, s33, v5
	s_cmp_lg_u64 vcc, 0
	s_subb_u32 s7, s6, 0
	v_cmp_le_u32_e32 vcc, s33, v5
	s_cmp_eq_u32 s6, 0
	v_cndmask_b32_e64 v7, 0, -1, vcc
	s_cselect_b64 vcc, -1, 0
	v_cndmask_b32_e32 v7, -1, v7, vcc
	v_mov_b32_e32 v8, s6
	v_mov_b32_e32 v9, s7
	v_cmp_ne_u32_e32 vcc, 0, v7
	v_cndmask_b32_e32 v7, v8, v9, vcc
	v_cndmask_b32_e32 v6, v5, v6, vcc
	v_cmp_le_u32_e32 vcc, s33, v4
	s_cmp_eq_u32 s1, 0
	v_cndmask_b32_e64 v5, 0, -1, vcc
	s_cselect_b64 vcc, -1, 0
	v_cndmask_b32_e32 v5, -1, v5, vcc
	v_mov_b32_e32 v8, s1
	v_cmp_ne_u32_e32 vcc, 0, v5
	v_cndmask_b32_e32 v5, v8, v7, vcc
	v_cndmask_b32_e32 v4, v4, v6, vcc
	s_mov_b64 s[6:7], 0
	s_branch .LBB216_242
.LBB216_241:                            ;   in Loop: Header=BB216_6 Depth=1
	s_mov_b64 s[6:7], -1
                                        ; implicit-def: $vgpr4_vgpr5
.LBB216_242:                            ;   in Loop: Header=BB216_6 Depth=1
	s_andn2_b64 vcc, exec, s[6:7]
	s_cbranch_vccnz .LBB216_244
; %bb.243:                              ;   in Loop: Header=BB216_6 Depth=1
	v_cvt_f32_u32_e32 v4, s33
	s_sub_i32 s1, 0, s33
	v_rcp_iflag_f32_e32 v4, v4
	v_mul_f32_e32 v4, 0x4f7ffffe, v4
	v_cvt_u32_f32_e32 v4, v4
	v_mul_lo_u32 v5, s1, v4
	v_mul_hi_u32 v5, v4, v5
	v_add_u32_e32 v4, v4, v5
	v_readlane_b32 s1, v56, 29
	v_mul_hi_u32 v4, s1, v4
	v_mul_lo_u32 v4, v4, s33
	v_sub_u32_e32 v4, s1, v4
	v_subrev_u32_e32 v5, s33, v4
	v_cmp_le_u32_e32 vcc, s33, v4
	v_cndmask_b32_e32 v4, v4, v5, vcc
	v_subrev_u32_e32 v5, s33, v4
	v_cmp_le_u32_e32 vcc, s33, v4
	v_cndmask_b32_e32 v14, v4, v5, vcc
	v_pk_mov_b32 v[4:5], v[14:15], v[14:15] op_sel:[0,1]
.LBB216_244:                            ;   in Loop: Header=BB216_6 Depth=1
	v_readlane_b32 s6, v56, 31
	v_readlane_b32 s7, v56, 32
	;; [unrolled: 1-line block ×3, first 2 shown]
	v_mov_b32_e32 v6, s7
	v_sub_co_u32_e32 v4, vcc, s1, v4
	v_subb_co_u32_e32 v5, vcc, v6, v5, vcc
	v_cmp_gt_u64_e32 vcc, v[4:5], v[0:1]
	s_mov_b64 s[78:79], 0
                                        ; implicit-def: $vgpr6
	s_and_saveexec_b64 s[12:13], vcc
	s_cbranch_execz .LBB216_253
; %bb.245:                              ;   in Loop: Header=BB216_6 Depth=1
	s_mov_b64 s[70:71], 0
	v_pk_mov_b32 v[6:7], v[12:13], v[12:13] op_sel:[0,1]
	v_pk_mov_b32 v[8:9], v[0:1], v[0:1] op_sel:[0,1]
                                        ; implicit-def: $sgpr78_sgpr79
	s_branch .LBB216_247
.LBB216_246:                            ;   in Loop: Header=BB216_247 Depth=2
	s_or_b64 exec, exec, s[6:7]
	s_waitcnt lgkmcnt(0)
	s_barrier
	s_waitcnt vmcnt(0)
	ds_read_b32 v14, v15 offset:3072
	v_add_co_u32_e64 v8, s[6:7], s33, v8
	s_waitcnt lgkmcnt(0)
	s_barrier
	v_and_b32_e32 v30, 0x7fff, v14
	v_cmp_ne_u16_e32 vcc, 0, v30
	v_mov_b32_e32 v30, s88
	v_addc_co_u32_e64 v9, s[6:7], v9, v30, s[6:7]
	v_cmp_ge_u64_e64 s[6:7], v[8:9], v[4:5]
	s_or_b64 s[80:81], s[6:7], vcc
	v_mov_b32_e32 v30, s61
	v_add_co_u32_e64 v6, s[6:7], s60, v6
	v_addc_co_u32_e64 v7, s[6:7], v7, v30, s[6:7]
	s_and_b64 s[6:7], exec, s[80:81]
	s_or_b64 s[70:71], s[6:7], s[70:71]
	s_andn2_b64 s[6:7], s[78:79], exec
	s_and_b64 s[78:79], vcc, exec
	s_or_b64 s[78:79], s[6:7], s[78:79]
	s_andn2_b64 exec, exec, s[70:71]
	s_cbranch_execz .LBB216_252
.LBB216_247:                            ;   Parent Loop BB216_6 Depth=1
                                        ; =>  This Inner Loop Header: Depth=2
	v_cmp_gt_u64_e32 vcc, s[56:57], v[8:9]
	v_mov_b32_e32 v14, 0
	s_and_saveexec_b64 s[6:7], vcc
	s_cbranch_execz .LBB216_249
; %bb.248:                              ;   in Loop: Header=BB216_247 Depth=2
	global_load_ushort v14, v[6:7], off
.LBB216_249:                            ;   in Loop: Header=BB216_247 Depth=2
	s_or_b64 exec, exec, s[6:7]
	s_and_saveexec_b64 s[6:7], vcc
	s_cbranch_execz .LBB216_246
; %bb.250:                              ;   in Loop: Header=BB216_247 Depth=2
	s_waitcnt vmcnt(0)
	v_cmp_lt_i16_e32 vcc, -1, v14
	v_cndmask_b32_e32 v30, v39, v40, vcc
	v_lshlrev_b32_e32 v31, 16, v14
	v_xor_b32_sdwa v30, v30, v14 dst_sel:DWORD dst_unused:UNUSED_PAD src0_sel:DWORD src1_sel:WORD_0
	v_cmp_o_f32_e32 vcc, v31, v31
	v_cndmask_b32_e32 v30, v39, v30, vcc
	v_and_b32_e32 v30, v30, v29
	v_cmp_eq_u32_e32 vcc, v30, v28
	s_and_b64 exec, exec, vcc
	s_cbranch_execz .LBB216_246
; %bb.251:                              ;   in Loop: Header=BB216_247 Depth=2
	s_movk_i32 s1, 0x3f80
	v_perm_b32 v14, v14, s1, v43
	ds_write_b32 v15, v14 offset:3072
	s_branch .LBB216_246
.LBB216_252:                            ;   in Loop: Header=BB216_6 Depth=1
	s_or_b64 exec, exec, s[70:71]
	v_lshrrev_b32_e32 v6, 16, v14
	s_and_b64 s[78:79], s[78:79], exec
.LBB216_253:                            ;   in Loop: Header=BB216_6 Depth=1
	s_or_b64 exec, exec, s[12:13]
	s_mov_b64 s[70:71], -1
	s_mov_b64 s[6:7], 0
	s_mov_b64 s[12:13], 0
.LBB216_254:                            ;   in Loop: Header=BB216_6 Depth=1
	v_readlane_b32 vcc_lo, v56, 54
	s_orn2_b64 s[78:79], s[78:79], exec
	v_readlane_b32 vcc_hi, v56, 55
.LBB216_255:                            ;   in Loop: Header=BB216_6 Depth=1
	s_or_b64 exec, exec, s[52:53]
	s_mov_b64 s[80:81], 0
                                        ; implicit-def: $vgpr7
                                        ; implicit-def: $vgpr4_vgpr5
	s_and_saveexec_b64 s[52:53], s[78:79]
	v_readlane_b32 s68, v56, 52
	v_readlane_b32 s69, v56, 53
	s_cbranch_execz .LBB216_267
; %bb.256:                              ;   in Loop: Header=BB216_6 Depth=1
	v_mov_b32_e32 v4, 1
	s_xor_b64 s[80:81], vcc, -1
	v_mov_b32_e32 v7, 1
	v_mov_b32_e32 v5, 0
	s_and_saveexec_b64 s[78:79], s[80:81]
	s_cbranch_execz .LBB216_266
; %bb.257:                              ;   in Loop: Header=BB216_6 Depth=1
	v_cmp_ge_u64_e32 vcc, s[24:25], v[2:3]
                                        ; implicit-def: $sgpr1
	s_and_saveexec_b64 s[80:81], vcc
	s_xor_b64 s[80:81], exec, s[80:81]
	s_cbranch_execz .LBB216_263
; %bb.258:                              ;   in Loop: Header=BB216_6 Depth=1
	ds_read_b64 v[4:5], v15 offset:5120
	s_waitcnt lgkmcnt(0)
	v_cmp_ne_u64_e32 vcc, 0, v[4:5]
	s_cbranch_vccnz .LBB216_262
; %bb.259:                              ;   in Loop: Header=BB216_6 Depth=1
	s_mov_b64 s[68:69], s[94:95]
	s_mov_b64 s[84:85], exec
	v_readlane_b32 s94, v56, 8
	v_readlane_b32 s95, v56, 9
	s_and_b64 s[94:95], s[84:85], s[94:95]
	s_mov_b64 exec, s[94:95]
	s_cbranch_execz .LBB216_261
; %bb.260:                              ;   in Loop: Header=BB216_6 Depth=1
	v_pk_mov_b32 v[4:5], s[24:25], s[24:25] op_sel:[0,1]
	ds_write_b64 v15, v[4:5] offset:5128
.LBB216_261:                            ;   in Loop: Header=BB216_6 Depth=1
	s_or_b64 exec, exec, s[84:85]
	s_mov_b64 s[94:95], s[68:69]
	s_waitcnt lgkmcnt(0)
	s_barrier
.LBB216_262:                            ;   in Loop: Header=BB216_6 Depth=1
	v_or_b32_e32 v28, s82, v28
	v_or_b32_e32 v29, s82, v29
	s_mov_b32 s1, 8
.LBB216_263:                            ;   in Loop: Header=BB216_6 Depth=1
	s_or_saveexec_b64 s[80:81], s[80:81]
	v_mov_b32_e32 v7, s1
	s_xor_b64 exec, exec, s[80:81]
; %bb.264:                              ;   in Loop: Header=BB216_6 Depth=1
	v_mov_b32_e32 v4, s25
	v_subrev_co_u32_e32 v2, vcc, s24, v2
	v_subb_co_u32_e32 v3, vcc, v3, v4, vcc
	v_mov_b32_e32 v7, 8
; %bb.265:                              ;   in Loop: Header=BB216_6 Depth=1
	s_or_b64 exec, exec, s[80:81]
	v_readlane_b32 s84, v56, 46
	v_readlane_b32 s68, v56, 52
	v_pk_mov_b32 v[4:5], v[2:3], v[2:3] op_sel:[0,1]
	v_readlane_b32 s85, v56, 47
	v_readlane_b32 s69, v56, 53
.LBB216_266:                            ;   in Loop: Header=BB216_6 Depth=1
	s_or_b64 exec, exec, s[78:79]
	s_mov_b64 s[80:81], exec
.LBB216_267:                            ;   in Loop: Header=BB216_6 Depth=1
	s_or_b64 exec, exec, s[52:53]
	s_orn2_b64 s[52:53], s[80:81], exec
	v_pk_mov_b32 v[2:3], v[4:5], v[4:5] op_sel:[0,1]
.LBB216_268:                            ;   in Loop: Header=BB216_6 Depth=1
	s_or_b64 exec, exec, s[68:69]
	s_andn2_b64 s[50:51], s[50:51], exec
	s_and_b64 s[6:7], s[6:7], exec
	s_or_b64 s[50:51], s[50:51], s[6:7]
	s_andn2_b64 s[6:7], s[54:55], exec
	s_and_b64 s[54:55], s[70:71], exec
	s_or_b64 s[54:55], s[6:7], s[54:55]
	;; [unrolled: 3-line block ×3, first 2 shown]
	s_and_b64 s[12:13], s[52:53], exec
	v_pk_mov_b32 v[4:5], v[2:3], v[2:3] op_sel:[0,1]
.LBB216_269:                            ;   in Loop: Header=BB216_6 Depth=1
	s_or_b64 exec, exec, s[86:87]
	s_and_b64 s[52:53], s[50:51], exec
	s_and_b64 s[50:51], s[54:55], exec
	;; [unrolled: 1-line block ×3, first 2 shown]
	s_orn2_b64 s[4:5], s[12:13], exec
.LBB216_270:                            ;   in Loop: Header=BB216_6 Depth=1
	s_or_b64 exec, exec, s[48:49]
	s_andn2_b64 s[12:13], s[28:29], exec
	s_and_b64 s[28:29], s[52:53], exec
	s_or_b64 s[28:29], s[12:13], s[28:29]
	s_andn2_b64 s[12:13], s[44:45], exec
	s_and_b64 s[44:45], s[50:51], exec
	s_or_b64 s[44:45], s[12:13], s[44:45]
	;; [unrolled: 3-line block ×3, first 2 shown]
	s_and_b64 s[6:7], s[4:5], exec
	v_pk_mov_b32 v[2:3], v[4:5], v[4:5] op_sel:[0,1]
.LBB216_271:                            ;   in Loop: Header=BB216_6 Depth=1
	s_or_b64 exec, exec, s[46:47]
	s_and_b64 s[28:29], s[28:29], exec
	s_and_b64 s[12:13], s[44:45], exec
	;; [unrolled: 1-line block ×3, first 2 shown]
	s_orn2_b64 s[42:43], s[6:7], exec
.LBB216_272:                            ;   in Loop: Header=BB216_6 Depth=1
	s_or_b64 exec, exec, s[26:27]
	s_mov_b64 s[6:7], 0
	s_mov_b64 s[26:27], 0
	s_and_saveexec_b64 s[44:45], s[42:43]
	s_xor_b64 s[42:43], exec, s[44:45]
; %bb.273:                              ;   in Loop: Header=BB216_6 Depth=1
	v_cmp_eq_u32_e32 vcc, 8, v7
	v_cmp_ne_u32_e64 s[6:7], 8, v7
	s_andn2_b64 s[28:29], s[28:29], exec
	s_andn2_b64 s[12:13], s[12:13], exec
	;; [unrolled: 1-line block ×3, first 2 shown]
	s_and_b64 s[26:27], s[6:7], exec
	s_and_b64 s[6:7], vcc, exec
; %bb.274:                              ;   in Loop: Header=BB216_6 Depth=1
	s_or_b64 exec, exec, s[42:43]
	s_andn2_b64 s[20:21], s[20:21], exec
	s_and_b64 s[28:29], s[28:29], exec
	s_or_b64 s[20:21], s[20:21], s[28:29]
	s_andn2_b64 s[28:29], s[36:37], exec
	s_and_b64 s[12:13], s[12:13], exec
	s_or_b64 s[36:37], s[28:29], s[12:13]
	;; [unrolled: 3-line block ×3, first 2 shown]
	s_and_b64 s[26:27], s[26:27], exec
	s_and_b64 s[28:29], s[6:7], exec
.LBB216_275:                            ;   in Loop: Header=BB216_6 Depth=1
	s_or_b64 exec, exec, s[40:41]
	s_and_b64 vcc, exec, s[38:39]
	s_cbranch_vccz .LBB216_91
.LBB216_276:                            ;   in Loop: Header=BB216_6 Depth=1
	s_cmp_eq_u64 s[24:25], 1
	s_cselect_b64 s[4:5], -1, 0
	s_and_b64 s[36:37], s[4:5], s[14:15]
	s_mov_b64 s[6:7], -1
                                        ; implicit-def: $sgpr14_sgpr15
                                        ; implicit-def: $sgpr38_sgpr39
                                        ; implicit-def: $sgpr20_sgpr21
	s_and_saveexec_b64 s[4:5], s[36:37]
	s_cbranch_execz .LBB216_308
; %bb.277:                              ;   in Loop: Header=BB216_6 Depth=1
	ds_read_b64 v[2:3], v15 offset:5120
	s_waitcnt lgkmcnt(0)
	s_barrier
	v_readfirstlane_b32 s12, v2
	v_readfirstlane_b32 s13, v3
	s_mov_b64 s[6:7], exec
	v_readlane_b32 s14, v56, 24
	v_readlane_b32 s15, v56, 25
	s_and_b64 s[14:15], s[6:7], s[14:15]
	s_mov_b64 exec, s[14:15]
	s_cbranch_execz .LBB216_279
; %bb.278:                              ;   in Loop: Header=BB216_6 Depth=1
	ds_write_b16 v36, v15
.LBB216_279:                            ;   in Loop: Header=BB216_6 Depth=1
	s_or_b64 exec, exec, s[6:7]
	v_or_b32_e32 v45, s82, v45
	v_or_b32_e32 v44, s82, v44
	s_cmp_eq_u64 s[12:13], 0
	s_waitcnt lgkmcnt(0)
	s_barrier
	s_cbranch_scc1 .LBB216_291
; %bb.280:                              ;   in Loop: Header=BB216_6 Depth=1
	v_readlane_b32 s1, v56, 28
	s_add_u32 s1, s1, s12
	v_readlane_b32 s6, v56, 30
	s_addc_u32 s7, s6, s13
	s_mov_b32 s6, s83
	s_cmp_lg_u64 s[6:7], 0
	s_cbranch_scc0 .LBB216_335
; %bb.281:                              ;   in Loop: Header=BB216_6 Depth=1
	v_cvt_f32_u32_e32 v2, s33
	s_sub_u32 s6, 0, s33
	s_subb_u32 s14, 0, 0
	v_mac_f32_e32 v2, 0, v41
	v_rcp_f32_e32 v2, v2
	v_mul_f32_e32 v2, 0x5f7ffffc, v2
	v_mul_f32_e32 v3, 0x2f800000, v2
	v_trunc_f32_e32 v3, v3
	v_mac_f32_e32 v2, 0xcf800000, v3
	v_cvt_u32_f32_e32 v3, v3
	v_cvt_u32_f32_e32 v2, v2
	v_readfirstlane_b32 s15, v3
	v_readfirstlane_b32 s20, v2
	s_mul_i32 s21, s6, s15
	s_mul_hi_u32 s35, s6, s20
	s_mul_i32 s34, s14, s20
	s_add_i32 s21, s35, s21
	s_mul_i32 s38, s6, s20
	s_add_i32 s21, s21, s34
	s_mul_hi_u32 s35, s20, s38
	s_mul_hi_u32 s34, s20, s21
	s_mul_i32 s20, s20, s21
	s_add_u32 s20, s35, s20
	s_addc_u32 s34, 0, s34
	s_mul_hi_u32 s39, s15, s38
	s_mul_i32 s38, s15, s38
	s_add_u32 s20, s20, s38
	s_mul_hi_u32 s35, s15, s21
	s_addc_u32 s20, s34, s39
	s_addc_u32 s34, s35, 0
	s_mul_i32 s21, s15, s21
	s_add_u32 s20, s20, s21
	s_addc_u32 s21, 0, s34
	v_add_co_u32_e32 v2, vcc, s20, v2
	s_cmp_lg_u64 vcc, 0
	s_addc_u32 s15, s15, s21
	v_readfirstlane_b32 s21, v2
	s_mul_i32 s20, s6, s15
	s_mul_hi_u32 s34, s6, s21
	s_add_i32 s20, s34, s20
	s_mul_i32 s14, s14, s21
	s_add_i32 s20, s20, s14
	s_mul_i32 s6, s6, s21
	s_mul_hi_u32 s34, s15, s6
	s_mul_i32 s35, s15, s6
	s_mul_i32 s39, s21, s20
	s_mul_hi_u32 s6, s21, s6
	s_mul_hi_u32 s38, s21, s20
	s_add_u32 s6, s6, s39
	s_addc_u32 s21, 0, s38
	s_add_u32 s6, s6, s35
	s_mul_hi_u32 s14, s15, s20
	s_addc_u32 s6, s21, s34
	s_addc_u32 s14, s14, 0
	s_mul_i32 s20, s15, s20
	s_add_u32 s6, s6, s20
	s_addc_u32 s14, 0, s14
	v_add_co_u32_e32 v2, vcc, s6, v2
	s_cmp_lg_u64 vcc, 0
	s_addc_u32 s6, s15, s14
	v_readfirstlane_b32 s20, v2
	s_mul_i32 s15, s1, s6
	s_mul_hi_u32 s21, s1, s20
	s_mul_hi_u32 s14, s1, s6
	s_add_u32 s15, s21, s15
	s_addc_u32 s14, 0, s14
	s_mul_hi_u32 s34, s7, s20
	s_mul_i32 s20, s7, s20
	s_add_u32 s15, s15, s20
	s_mul_hi_u32 s21, s7, s6
	s_addc_u32 s14, s14, s34
	s_addc_u32 s15, s21, 0
	s_mul_i32 s6, s7, s6
	s_add_u32 s6, s14, s6
	s_addc_u32 s14, 0, s15
	s_mul_hi_u32 s15, s33, s6
	s_mul_i32 s6, s33, s6
	s_mul_i32 s14, s33, s14
	v_mov_b32_e32 v2, s6
	s_add_i32 s15, s15, s14
	v_sub_co_u32_e32 v2, vcc, s1, v2
	s_cmp_lg_u64 vcc, 0
	s_subb_u32 s6, s7, s15
	v_subrev_co_u32_e32 v3, vcc, s33, v2
	s_cmp_lg_u64 vcc, 0
	s_subb_u32 s14, s6, 0
	v_subrev_co_u32_e32 v4, vcc, s33, v3
	s_cmp_lg_u64 vcc, 0
	s_subb_u32 s15, s14, 0
	v_cmp_le_u32_e32 vcc, s33, v3
	s_cmp_eq_u32 s14, 0
	v_cndmask_b32_e64 v5, 0, -1, vcc
	s_cselect_b64 vcc, -1, 0
	v_cndmask_b32_e32 v5, -1, v5, vcc
	v_mov_b32_e32 v6, s14
	v_mov_b32_e32 v7, s15
	v_cmp_ne_u32_e32 vcc, 0, v5
	v_cndmask_b32_e32 v5, v6, v7, vcc
	v_cndmask_b32_e32 v4, v3, v4, vcc
	v_cmp_le_u32_e32 vcc, s33, v2
	s_cmp_eq_u32 s6, 0
	v_cndmask_b32_e64 v3, 0, -1, vcc
	s_cselect_b64 vcc, -1, 0
	v_cndmask_b32_e32 v3, -1, v3, vcc
	v_mov_b32_e32 v6, s6
	v_cmp_ne_u32_e32 vcc, 0, v3
	v_cndmask_b32_e32 v3, v6, v5, vcc
	v_cndmask_b32_e32 v2, v2, v4, vcc
	s_cbranch_execnz .LBB216_283
.LBB216_282:                            ;   in Loop: Header=BB216_6 Depth=1
	v_cvt_f32_u32_e32 v2, s33
	s_sub_i32 s6, 0, s33
	v_rcp_iflag_f32_e32 v2, v2
	v_mul_f32_e32 v2, 0x4f7ffffe, v2
	v_cvt_u32_f32_e32 v2, v2
	v_mul_lo_u32 v3, s6, v2
	v_mul_hi_u32 v3, v2, v3
	v_add_u32_e32 v2, v2, v3
	v_mul_hi_u32 v2, s1, v2
	v_mul_lo_u32 v2, v2, s33
	v_sub_u32_e32 v2, s1, v2
	v_subrev_u32_e32 v3, s33, v2
	v_cmp_le_u32_e32 vcc, s33, v2
	v_cndmask_b32_e32 v2, v2, v3, vcc
	v_subrev_u32_e32 v3, s33, v2
	v_cmp_le_u32_e32 vcc, s33, v2
	v_cndmask_b32_e32 v14, v2, v3, vcc
	v_pk_mov_b32 v[2:3], v[14:15], v[14:15] op_sel:[0,1]
.LBB216_283:                            ;   in Loop: Header=BB216_6 Depth=1
	v_mov_b32_e32 v4, s7
	v_sub_co_u32_e32 v2, vcc, s1, v2
	v_subb_co_u32_e32 v3, vcc, v4, v3, vcc
	v_cmp_gt_u64_e32 vcc, v[2:3], v[0:1]
	s_mov_b64 s[6:7], 0
                                        ; implicit-def: $vgpr46
	s_and_saveexec_b64 s[14:15], vcc
	s_cbranch_execz .LBB216_293
; %bb.284:                              ;   in Loop: Header=BB216_6 Depth=1
	s_mov_b64 s[20:21], 0
	v_mov_b32_e32 v6, v35
	v_pk_mov_b32 v[4:5], v[0:1], v[0:1] op_sel:[0,1]
                                        ; implicit-def: $sgpr34_sgpr35
	s_branch .LBB216_286
.LBB216_285:                            ;   in Loop: Header=BB216_286 Depth=2
	s_or_b64 exec, exec, s[6:7]
	s_waitcnt lgkmcnt(0)
	s_barrier
	ds_read_b32 v7, v15 offset:3072
	v_add_co_u32_e64 v4, s[6:7], s33, v4
	v_add_u32_e32 v6, s0, v6
	s_waitcnt lgkmcnt(0)
	v_and_b32_e32 v8, 0x7fff, v7
	v_cmp_ne_u16_e32 vcc, 0, v8
	v_mov_b32_e32 v8, s88
	v_addc_co_u32_e64 v5, s[6:7], v5, v8, s[6:7]
	v_cmp_ge_u64_e64 s[6:7], v[4:5], v[2:3]
	s_or_b64 s[6:7], s[6:7], vcc
	s_and_b64 s[6:7], exec, s[6:7]
	s_or_b64 s[20:21], s[6:7], s[20:21]
	s_andn2_b64 s[6:7], s[34:35], exec
	s_and_b64 s[34:35], vcc, exec
	s_or_b64 s[34:35], s[6:7], s[34:35]
	s_barrier
	s_andn2_b64 exec, exec, s[20:21]
	s_cbranch_execz .LBB216_292
.LBB216_286:                            ;   Parent Loop BB216_6 Depth=1
                                        ; =>  This Inner Loop Header: Depth=2
	v_cmp_gt_u64_e32 vcc, s[12:13], v[4:5]
	v_mov_b32_e32 v7, 0
	s_and_saveexec_b64 s[6:7], vcc
	s_cbranch_execz .LBB216_288
; %bb.287:                              ;   in Loop: Header=BB216_286 Depth=2
	ds_read_u16 v7, v6
.LBB216_288:                            ;   in Loop: Header=BB216_286 Depth=2
	s_or_b64 exec, exec, s[6:7]
	s_and_saveexec_b64 s[6:7], vcc
	s_cbranch_execz .LBB216_285
; %bb.289:                              ;   in Loop: Header=BB216_286 Depth=2
	s_waitcnt lgkmcnt(0)
	v_cmp_lt_i16_e32 vcc, -1, v7
	v_cndmask_b32_e32 v8, v39, v40, vcc
	v_lshlrev_b32_e32 v9, 16, v7
	v_xor_b32_sdwa v8, v8, v7 dst_sel:DWORD dst_unused:UNUSED_PAD src0_sel:DWORD src1_sel:WORD_0
	v_cmp_o_f32_e32 vcc, v9, v9
	v_cndmask_b32_e32 v8, v39, v8, vcc
	v_and_b32_e32 v8, v8, v44
	v_cmp_eq_u32_e32 vcc, v8, v45
	s_and_b64 exec, exec, vcc
	s_cbranch_execz .LBB216_285
; %bb.290:                              ;   in Loop: Header=BB216_286 Depth=2
	s_movk_i32 s1, 0x3f80
	v_perm_b32 v7, v7, s1, v43
	ds_write_b32 v15, v7 offset:3072
	s_branch .LBB216_285
.LBB216_291:                            ;   in Loop: Header=BB216_6 Depth=1
	s_mov_b64 s[14:15], -1
	s_mov_b64 s[6:7], 0
                                        ; implicit-def: $sgpr38_sgpr39
                                        ; implicit-def: $vgpr46
	s_mov_b64 s[20:21], s[14:15]
	s_cbranch_execnz .LBB216_294
	s_branch .LBB216_307
.LBB216_292:                            ;   in Loop: Header=BB216_6 Depth=1
	s_or_b64 exec, exec, s[20:21]
	v_lshrrev_b32_e32 v46, 16, v7
	s_and_b64 s[6:7], s[34:35], exec
.LBB216_293:                            ;   in Loop: Header=BB216_6 Depth=1
	s_or_b64 exec, exec, s[14:15]
	s_mov_b64 s[14:15], 0
	s_mov_b64 s[38:39], -1
	s_mov_b64 s[20:21], s[14:15]
	s_branch .LBB216_307
.LBB216_294:                            ;   in Loop: Header=BB216_6 Depth=1
	v_readlane_b32 s12, v56, 31
	v_readlane_b32 s13, v56, 32
	s_mov_b32 s12, s83
	s_mov_b32 s1, s13
	s_cmp_lg_u64 s[12:13], 0
	v_writelane_b32 v56, s0, 31
	v_writelane_b32 v56, s1, 32
	s_cbranch_scc0 .LBB216_336
; %bb.295:                              ;   in Loop: Header=BB216_6 Depth=1
	v_cvt_f32_u32_e32 v2, s33
	s_sub_u32 s1, 0, s33
	s_subb_u32 s6, 0, 0
	v_mac_f32_e32 v2, 0, v41
	v_rcp_f32_e32 v2, v2
	v_mul_f32_e32 v2, 0x5f7ffffc, v2
	v_mul_f32_e32 v3, 0x2f800000, v2
	v_trunc_f32_e32 v3, v3
	v_mac_f32_e32 v2, 0xcf800000, v3
	v_cvt_u32_f32_e32 v3, v3
	v_cvt_u32_f32_e32 v2, v2
	v_readfirstlane_b32 s7, v3
	v_readfirstlane_b32 s12, v2
	s_mul_i32 s13, s1, s7
	s_mul_hi_u32 s15, s1, s12
	s_mul_i32 s14, s6, s12
	s_add_i32 s13, s15, s13
	s_mul_i32 s20, s1, s12
	s_add_i32 s13, s13, s14
	s_mul_hi_u32 s15, s12, s20
	s_mul_hi_u32 s14, s12, s13
	s_mul_i32 s12, s12, s13
	s_add_u32 s12, s15, s12
	s_addc_u32 s14, 0, s14
	s_mul_hi_u32 s21, s7, s20
	s_mul_i32 s20, s7, s20
	s_add_u32 s12, s12, s20
	s_mul_hi_u32 s15, s7, s13
	s_addc_u32 s12, s14, s21
	s_addc_u32 s14, s15, 0
	s_mul_i32 s13, s7, s13
	s_add_u32 s12, s12, s13
	s_addc_u32 s13, 0, s14
	v_add_co_u32_e32 v2, vcc, s12, v2
	s_cmp_lg_u64 vcc, 0
	s_addc_u32 s7, s7, s13
	v_readfirstlane_b32 s13, v2
	s_mul_i32 s12, s1, s7
	s_mul_hi_u32 s14, s1, s13
	s_add_i32 s12, s14, s12
	s_mul_i32 s6, s6, s13
	s_add_i32 s12, s12, s6
	s_mul_i32 s1, s1, s13
	s_mul_hi_u32 s14, s7, s1
	s_mul_i32 s15, s7, s1
	s_mul_i32 s21, s13, s12
	s_mul_hi_u32 s1, s13, s1
	s_mul_hi_u32 s20, s13, s12
	s_add_u32 s1, s1, s21
	s_addc_u32 s13, 0, s20
	s_add_u32 s1, s1, s15
	s_mul_hi_u32 s6, s7, s12
	s_addc_u32 s1, s13, s14
	s_addc_u32 s6, s6, 0
	s_mul_i32 s12, s7, s12
	s_add_u32 s1, s1, s12
	s_addc_u32 s6, 0, s6
	v_add_co_u32_e32 v2, vcc, s1, v2
	s_cmp_lg_u64 vcc, 0
	s_addc_u32 s1, s7, s6
	v_readlane_b32 s15, v56, 29
	v_readfirstlane_b32 s12, v2
	v_readlane_b32 s20, v56, 31
	s_mul_i32 s7, s15, s1
	s_mul_hi_u32 s13, s15, s12
	v_readlane_b32 s21, v56, 32
	s_add_u32 s7, s13, s7
	s_mul_hi_u32 s13, s21, s1
	v_readlane_b32 s20, v56, 31
	v_readlane_b32 s21, v56, 32
	s_mul_hi_u32 s14, s21, s12
	v_readlane_b32 s20, v56, 31
	s_mul_hi_u32 s6, s15, s1
	v_readlane_b32 s21, v56, 32
	s_addc_u32 s6, 0, s6
	s_mul_i32 s12, s21, s12
	s_add_u32 s7, s7, s12
	s_addc_u32 s6, s6, s14
	s_addc_u32 s7, s13, 0
	v_readlane_b32 s12, v56, 31
	v_readlane_b32 s13, v56, 32
	s_mul_i32 s1, s13, s1
	s_add_u32 s1, s6, s1
	s_addc_u32 s6, 0, s7
	s_mul_hi_u32 s7, s33, s1
	s_mul_i32 s1, s33, s1
	s_mul_i32 s6, s33, s6
	v_mov_b32_e32 v2, s1
	s_add_i32 s7, s7, s6
	v_sub_co_u32_e32 v2, vcc, s15, v2
	v_readlane_b32 s12, v56, 31
	v_readlane_b32 s13, v56, 32
	s_cmp_lg_u64 vcc, 0
	s_subb_u32 s1, s13, s7
	v_subrev_co_u32_e32 v3, vcc, s33, v2
	s_cmp_lg_u64 vcc, 0
	s_subb_u32 s6, s1, 0
	v_subrev_co_u32_e32 v4, vcc, s33, v3
	s_cmp_lg_u64 vcc, 0
	s_subb_u32 s7, s6, 0
	v_cmp_le_u32_e32 vcc, s33, v3
	s_cmp_eq_u32 s6, 0
	v_cndmask_b32_e64 v5, 0, -1, vcc
	s_cselect_b64 vcc, -1, 0
	v_cndmask_b32_e32 v5, -1, v5, vcc
	v_mov_b32_e32 v6, s6
	v_mov_b32_e32 v7, s7
	v_cmp_ne_u32_e32 vcc, 0, v5
	v_cndmask_b32_e32 v5, v6, v7, vcc
	v_cndmask_b32_e32 v4, v3, v4, vcc
	v_cmp_le_u32_e32 vcc, s33, v2
	s_cmp_eq_u32 s1, 0
	v_cndmask_b32_e64 v3, 0, -1, vcc
	s_cselect_b64 vcc, -1, 0
	v_cndmask_b32_e32 v3, -1, v3, vcc
	v_mov_b32_e32 v6, s1
	v_cmp_ne_u32_e32 vcc, 0, v3
	v_cndmask_b32_e32 v3, v6, v5, vcc
	v_cndmask_b32_e32 v2, v2, v4, vcc
	s_cbranch_execnz .LBB216_297
.LBB216_296:                            ;   in Loop: Header=BB216_6 Depth=1
	v_cvt_f32_u32_e32 v2, s33
	s_sub_i32 s1, 0, s33
	v_rcp_iflag_f32_e32 v2, v2
	v_mul_f32_e32 v2, 0x4f7ffffe, v2
	v_cvt_u32_f32_e32 v2, v2
	v_mul_lo_u32 v3, s1, v2
	v_mul_hi_u32 v3, v2, v3
	v_add_u32_e32 v2, v2, v3
	v_readlane_b32 s1, v56, 29
	v_mul_hi_u32 v2, s1, v2
	v_mul_lo_u32 v2, v2, s33
	v_sub_u32_e32 v2, s1, v2
	v_subrev_u32_e32 v3, s33, v2
	v_cmp_le_u32_e32 vcc, s33, v2
	v_cndmask_b32_e32 v2, v2, v3, vcc
	v_subrev_u32_e32 v3, s33, v2
	v_cmp_le_u32_e32 vcc, s33, v2
	v_cndmask_b32_e32 v14, v2, v3, vcc
	v_pk_mov_b32 v[2:3], v[14:15], v[14:15] op_sel:[0,1]
.LBB216_297:                            ;   in Loop: Header=BB216_6 Depth=1
	v_readlane_b32 s1, v56, 29
	v_mov_b32_e32 v4, s13
	v_sub_co_u32_e32 v2, vcc, s1, v2
	v_subb_co_u32_e32 v3, vcc, v4, v3, vcc
	v_cmp_gt_u64_e32 vcc, v[2:3], v[0:1]
	s_mov_b64 s[6:7], 0
                                        ; implicit-def: $vgpr46
	s_and_saveexec_b64 s[12:13], vcc
	s_cbranch_execz .LBB216_306
; %bb.298:                              ;   in Loop: Header=BB216_6 Depth=1
	s_mov_b64 s[14:15], 0
	v_pk_mov_b32 v[4:5], v[12:13], v[12:13] op_sel:[0,1]
	v_pk_mov_b32 v[6:7], v[0:1], v[0:1] op_sel:[0,1]
                                        ; implicit-def: $sgpr20_sgpr21
	s_branch .LBB216_300
.LBB216_299:                            ;   in Loop: Header=BB216_300 Depth=2
	s_or_b64 exec, exec, s[6:7]
	s_waitcnt lgkmcnt(0)
	s_barrier
	s_waitcnt vmcnt(0)
	ds_read_b32 v8, v15 offset:3072
	v_add_co_u32_e64 v6, s[6:7], s33, v6
	s_waitcnt lgkmcnt(0)
	s_barrier
	v_and_b32_e32 v9, 0x7fff, v8
	v_cmp_ne_u16_e32 vcc, 0, v9
	v_mov_b32_e32 v9, s88
	v_addc_co_u32_e64 v7, s[6:7], v7, v9, s[6:7]
	v_cmp_ge_u64_e64 s[6:7], v[6:7], v[2:3]
	s_or_b64 s[34:35], s[6:7], vcc
	v_mov_b32_e32 v9, s61
	v_add_co_u32_e64 v4, s[6:7], s60, v4
	v_addc_co_u32_e64 v5, s[6:7], v5, v9, s[6:7]
	s_and_b64 s[6:7], exec, s[34:35]
	s_or_b64 s[14:15], s[6:7], s[14:15]
	s_andn2_b64 s[6:7], s[20:21], exec
	s_and_b64 s[20:21], vcc, exec
	s_or_b64 s[20:21], s[6:7], s[20:21]
	s_andn2_b64 exec, exec, s[14:15]
	s_cbranch_execz .LBB216_305
.LBB216_300:                            ;   Parent Loop BB216_6 Depth=1
                                        ; =>  This Inner Loop Header: Depth=2
	v_cmp_gt_u64_e32 vcc, s[56:57], v[6:7]
	v_mov_b32_e32 v8, 0
	s_and_saveexec_b64 s[6:7], vcc
	s_cbranch_execz .LBB216_302
; %bb.301:                              ;   in Loop: Header=BB216_300 Depth=2
	global_load_ushort v8, v[4:5], off
.LBB216_302:                            ;   in Loop: Header=BB216_300 Depth=2
	s_or_b64 exec, exec, s[6:7]
	s_and_saveexec_b64 s[6:7], vcc
	s_cbranch_execz .LBB216_299
; %bb.303:                              ;   in Loop: Header=BB216_300 Depth=2
	s_waitcnt vmcnt(0)
	v_cmp_lt_i16_e32 vcc, -1, v8
	v_cndmask_b32_e32 v9, v39, v40, vcc
	v_lshlrev_b32_e32 v14, 16, v8
	v_xor_b32_sdwa v9, v9, v8 dst_sel:DWORD dst_unused:UNUSED_PAD src0_sel:DWORD src1_sel:WORD_0
	v_cmp_o_f32_e32 vcc, v14, v14
	v_cndmask_b32_e32 v9, v39, v9, vcc
	v_and_b32_e32 v9, v9, v44
	v_cmp_eq_u32_e32 vcc, v9, v45
	s_and_b64 exec, exec, vcc
	s_cbranch_execz .LBB216_299
; %bb.304:                              ;   in Loop: Header=BB216_300 Depth=2
	s_movk_i32 s1, 0x3f80
	v_perm_b32 v8, v8, s1, v43
	ds_write_b32 v15, v8 offset:3072
	s_branch .LBB216_299
.LBB216_305:                            ;   in Loop: Header=BB216_6 Depth=1
	s_or_b64 exec, exec, s[14:15]
	v_lshrrev_b32_e32 v46, 16, v8
	s_and_b64 s[6:7], s[20:21], exec
.LBB216_306:                            ;   in Loop: Header=BB216_6 Depth=1
	s_or_b64 exec, exec, s[12:13]
	s_mov_b64 s[38:39], 0
	s_mov_b64 s[14:15], -1
	s_mov_b64 s[20:21], 0
.LBB216_307:                            ;   in Loop: Header=BB216_6 Depth=1
	s_orn2_b64 s[6:7], s[6:7], exec
.LBB216_308:                            ;   in Loop: Header=BB216_6 Depth=1
	s_or_b64 exec, exec, s[4:5]
                                        ; implicit-def: $vgpr7
                                        ; implicit-def: $vgpr2_vgpr3
                                        ; implicit-def: $vgpr28
                                        ; implicit-def: $vgpr29
                                        ; implicit-def: $vgpr6
	s_and_saveexec_b64 s[34:35], s[6:7]
	s_cbranch_execz .LBB216_471
; %bb.309:                              ;   in Loop: Header=BB216_6 Depth=1
	v_mov_b32_e32 v2, 1
	s_xor_b64 s[12:13], s[36:37], -1
	s_mov_b64 s[6:7], 0
	v_mov_b32_e32 v3, 0
	v_mov_b32_e32 v7, 1
	s_and_saveexec_b64 s[4:5], s[12:13]
	s_cbranch_execz .LBB216_319
; %bb.310:                              ;   in Loop: Header=BB216_6 Depth=1
	v_cmp_ge_u64_e32 vcc, s[24:25], v[26:27]
                                        ; implicit-def: $sgpr1
                                        ; implicit-def: $sgpr6_sgpr7
	s_and_saveexec_b64 s[12:13], vcc
	s_xor_b64 s[12:13], exec, s[12:13]
	s_cbranch_execz .LBB216_316
; %bb.311:                              ;   in Loop: Header=BB216_6 Depth=1
	ds_read_b64 v[2:3], v15 offset:5120
	s_waitcnt lgkmcnt(0)
	v_cmp_ne_u64_e32 vcc, 0, v[2:3]
	s_cbranch_vccnz .LBB216_315
; %bb.312:                              ;   in Loop: Header=BB216_6 Depth=1
	s_mov_b64 s[6:7], exec
	v_readlane_b32 s36, v56, 8
	v_readlane_b32 s37, v56, 9
	s_and_b64 s[36:37], s[6:7], s[36:37]
	s_mov_b64 exec, s[36:37]
	s_cbranch_execz .LBB216_314
; %bb.313:                              ;   in Loop: Header=BB216_6 Depth=1
	v_pk_mov_b32 v[2:3], s[24:25], s[24:25] op_sel:[0,1]
	ds_write_b64 v15, v[2:3] offset:5128
.LBB216_314:                            ;   in Loop: Header=BB216_6 Depth=1
	s_or_b64 exec, exec, s[6:7]
	s_waitcnt lgkmcnt(0)
	s_barrier
.LBB216_315:                            ;   in Loop: Header=BB216_6 Depth=1
	v_or_b32_e32 v45, s82, v45
	v_or_b32_e32 v44, s82, v44
	s_mov_b64 s[6:7], 0
	s_mov_b32 s1, 5
.LBB216_316:                            ;   in Loop: Header=BB216_6 Depth=1
	s_or_saveexec_b64 s[12:13], s[12:13]
	v_mov_b32_e32 v7, s1
	s_xor_b64 exec, exec, s[12:13]
; %bb.317:                              ;   in Loop: Header=BB216_6 Depth=1
	v_mov_b32_e32 v2, s25
	v_subrev_co_u32_e32 v26, vcc, s24, v26
	v_subb_co_u32_e32 v27, vcc, v27, v2, vcc
	v_mov_b32_e32 v7, 0
	s_or_b64 s[6:7], s[6:7], exec
; %bb.318:                              ;   in Loop: Header=BB216_6 Depth=1
	s_or_b64 exec, exec, s[12:13]
	s_and_b64 s[6:7], s[6:7], exec
	v_pk_mov_b32 v[2:3], v[26:27], v[26:27] op_sel:[0,1]
.LBB216_319:                            ;   in Loop: Header=BB216_6 Depth=1
	s_or_b64 exec, exec, s[4:5]
	s_mov_b64 s[40:41], -1
                                        ; implicit-def: $sgpr4_sgpr5
                                        ; implicit-def: $sgpr12_sgpr13
                                        ; implicit-def: $sgpr36_sgpr37
	s_and_saveexec_b64 s[24:25], s[6:7]
	s_xor_b64 s[24:25], exec, s[24:25]
	s_cbranch_execz .LBB216_468
; %bb.320:                              ;   in Loop: Header=BB216_6 Depth=1
	s_cmp_eq_u64 s[22:23], 1
	s_cselect_b64 s[4:5], -1, 0
	v_cmp_eq_u64_e32 vcc, 1, v[2:3]
	s_and_b64 s[4:5], s[4:5], vcc
	s_mov_b64 s[12:13], -1
                                        ; implicit-def: $sgpr36_sgpr37
                                        ; implicit-def: $sgpr40_sgpr41
                                        ; implicit-def: $sgpr42_sgpr43
	s_and_saveexec_b64 s[44:45], s[4:5]
	s_cbranch_execz .LBB216_354
; %bb.321:                              ;   in Loop: Header=BB216_6 Depth=1
	ds_read_b64 v[4:5], v15 offset:5120
	s_waitcnt lgkmcnt(0)
	s_barrier
	v_readfirstlane_b32 s12, v4
	v_readfirstlane_b32 s13, v5
	s_mov_b64 s[6:7], exec
	v_readlane_b32 s36, v56, 24
	v_readlane_b32 s37, v56, 25
	s_and_b64 s[36:37], s[6:7], s[36:37]
	s_mov_b64 exec, s[36:37]
	s_cbranch_execz .LBB216_323
; %bb.322:                              ;   in Loop: Header=BB216_6 Depth=1
	ds_write_b16 v36, v15
.LBB216_323:                            ;   in Loop: Header=BB216_6 Depth=1
	s_or_b64 exec, exec, s[6:7]
	v_and_b32_e32 v4, s90, v45
	v_lshl_or_b32 v45, 2, s91, v4
	v_or_b32_e32 v44, s82, v44
	s_cmp_eq_u64 s[12:13], 0
	s_waitcnt lgkmcnt(0)
	s_barrier
	s_cbranch_scc1 .LBB216_337
; %bb.324:                              ;   in Loop: Header=BB216_6 Depth=1
	v_readlane_b32 s1, v56, 28
	s_add_u32 s1, s1, s12
	v_readlane_b32 s6, v56, 30
	s_addc_u32 s7, s6, s13
	s_mov_b32 s6, s83
	s_cmp_lg_u64 s[6:7], 0
	s_cbranch_scc0 .LBB216_381
; %bb.325:                              ;   in Loop: Header=BB216_6 Depth=1
	v_cvt_f32_u32_e32 v4, s33
	s_sub_u32 s6, 0, s33
	s_subb_u32 s36, 0, 0
	v_mac_f32_e32 v4, 0, v41
	v_rcp_f32_e32 v4, v4
	v_mul_f32_e32 v4, 0x5f7ffffc, v4
	v_mul_f32_e32 v5, 0x2f800000, v4
	v_trunc_f32_e32 v5, v5
	v_mac_f32_e32 v4, 0xcf800000, v5
	v_cvt_u32_f32_e32 v5, v5
	v_cvt_u32_f32_e32 v4, v4
	v_readfirstlane_b32 s37, v5
	v_readfirstlane_b32 s40, v4
	s_mul_i32 s41, s6, s37
	s_mul_hi_u32 s43, s6, s40
	s_mul_i32 s42, s36, s40
	s_add_i32 s41, s43, s41
	s_mul_i32 s46, s6, s40
	s_add_i32 s41, s41, s42
	s_mul_hi_u32 s43, s40, s46
	s_mul_hi_u32 s42, s40, s41
	s_mul_i32 s40, s40, s41
	s_add_u32 s40, s43, s40
	s_addc_u32 s42, 0, s42
	s_mul_hi_u32 s47, s37, s46
	s_mul_i32 s46, s37, s46
	s_add_u32 s40, s40, s46
	s_mul_hi_u32 s43, s37, s41
	s_addc_u32 s40, s42, s47
	s_addc_u32 s42, s43, 0
	s_mul_i32 s41, s37, s41
	s_add_u32 s40, s40, s41
	s_addc_u32 s41, 0, s42
	v_add_co_u32_e32 v4, vcc, s40, v4
	s_cmp_lg_u64 vcc, 0
	s_addc_u32 s37, s37, s41
	v_readfirstlane_b32 s41, v4
	s_mul_i32 s40, s6, s37
	s_mul_hi_u32 s42, s6, s41
	s_add_i32 s40, s42, s40
	s_mul_i32 s36, s36, s41
	s_add_i32 s40, s40, s36
	s_mul_i32 s6, s6, s41
	s_mul_hi_u32 s42, s37, s6
	s_mul_i32 s43, s37, s6
	s_mul_i32 s47, s41, s40
	s_mul_hi_u32 s6, s41, s6
	s_mul_hi_u32 s46, s41, s40
	s_add_u32 s6, s6, s47
	s_addc_u32 s41, 0, s46
	s_add_u32 s6, s6, s43
	s_mul_hi_u32 s36, s37, s40
	s_addc_u32 s6, s41, s42
	s_addc_u32 s36, s36, 0
	s_mul_i32 s40, s37, s40
	s_add_u32 s6, s6, s40
	s_addc_u32 s36, 0, s36
	v_add_co_u32_e32 v4, vcc, s6, v4
	s_cmp_lg_u64 vcc, 0
	s_addc_u32 s6, s37, s36
	v_readfirstlane_b32 s40, v4
	s_mul_i32 s37, s1, s6
	s_mul_hi_u32 s41, s1, s40
	s_mul_hi_u32 s36, s1, s6
	s_add_u32 s37, s41, s37
	s_addc_u32 s36, 0, s36
	s_mul_hi_u32 s42, s7, s40
	s_mul_i32 s40, s7, s40
	s_add_u32 s37, s37, s40
	s_mul_hi_u32 s41, s7, s6
	s_addc_u32 s36, s36, s42
	s_addc_u32 s37, s41, 0
	s_mul_i32 s6, s7, s6
	s_add_u32 s6, s36, s6
	s_addc_u32 s36, 0, s37
	s_mul_hi_u32 s37, s33, s6
	s_mul_i32 s6, s33, s6
	s_mul_i32 s36, s33, s36
	v_mov_b32_e32 v4, s6
	s_add_i32 s37, s37, s36
	v_sub_co_u32_e32 v4, vcc, s1, v4
	s_cmp_lg_u64 vcc, 0
	s_subb_u32 s6, s7, s37
	v_subrev_co_u32_e32 v5, vcc, s33, v4
	s_cmp_lg_u64 vcc, 0
	s_subb_u32 s36, s6, 0
	v_subrev_co_u32_e32 v6, vcc, s33, v5
	s_cmp_lg_u64 vcc, 0
	s_subb_u32 s37, s36, 0
	v_cmp_le_u32_e32 vcc, s33, v5
	s_cmp_eq_u32 s36, 0
	v_cndmask_b32_e64 v7, 0, -1, vcc
	s_cselect_b64 vcc, -1, 0
	v_cndmask_b32_e32 v7, -1, v7, vcc
	v_mov_b32_e32 v8, s36
	v_mov_b32_e32 v9, s37
	v_cmp_ne_u32_e32 vcc, 0, v7
	v_cndmask_b32_e32 v7, v8, v9, vcc
	v_cndmask_b32_e32 v6, v5, v6, vcc
	v_cmp_le_u32_e32 vcc, s33, v4
	s_cmp_eq_u32 s6, 0
	v_cndmask_b32_e64 v5, 0, -1, vcc
	s_cselect_b64 vcc, -1, 0
	v_cndmask_b32_e32 v5, -1, v5, vcc
	v_mov_b32_e32 v8, s6
	v_cmp_ne_u32_e32 vcc, 0, v5
	v_cndmask_b32_e32 v5, v8, v7, vcc
	v_cndmask_b32_e32 v4, v4, v6, vcc
	s_cbranch_execnz .LBB216_327
.LBB216_326:                            ;   in Loop: Header=BB216_6 Depth=1
	v_cvt_f32_u32_e32 v4, s33
	s_sub_i32 s6, 0, s33
	v_rcp_iflag_f32_e32 v4, v4
	v_mul_f32_e32 v4, 0x4f7ffffe, v4
	v_cvt_u32_f32_e32 v4, v4
	v_mul_lo_u32 v5, s6, v4
	v_mul_hi_u32 v5, v4, v5
	v_add_u32_e32 v4, v4, v5
	v_mul_hi_u32 v4, s1, v4
	v_mul_lo_u32 v4, v4, s33
	v_sub_u32_e32 v4, s1, v4
	v_subrev_u32_e32 v5, s33, v4
	v_cmp_le_u32_e32 vcc, s33, v4
	v_cndmask_b32_e32 v4, v4, v5, vcc
	v_subrev_u32_e32 v5, s33, v4
	v_cmp_le_u32_e32 vcc, s33, v4
	v_cndmask_b32_e32 v14, v4, v5, vcc
	v_pk_mov_b32 v[4:5], v[14:15], v[14:15] op_sel:[0,1]
.LBB216_327:                            ;   in Loop: Header=BB216_6 Depth=1
	v_mov_b32_e32 v6, s7
	v_sub_co_u32_e32 v4, vcc, s1, v4
	v_subb_co_u32_e32 v5, vcc, v6, v5, vcc
	v_cmp_gt_u64_e32 vcc, v[4:5], v[0:1]
	s_mov_b64 s[6:7], 0
                                        ; implicit-def: $vgpr46
	s_and_saveexec_b64 s[36:37], vcc
	s_cbranch_execz .LBB216_339
; %bb.328:                              ;   in Loop: Header=BB216_6 Depth=1
	s_mov_b64 s[40:41], 0
	v_mov_b32_e32 v8, v35
	v_pk_mov_b32 v[6:7], v[0:1], v[0:1] op_sel:[0,1]
                                        ; implicit-def: $sgpr42_sgpr43
	s_branch .LBB216_330
.LBB216_329:                            ;   in Loop: Header=BB216_330 Depth=2
	s_or_b64 exec, exec, s[6:7]
	s_waitcnt lgkmcnt(0)
	s_barrier
	ds_read_b32 v9, v15 offset:3072
	v_add_co_u32_e64 v6, s[6:7], s33, v6
	v_add_u32_e32 v8, s0, v8
	s_waitcnt lgkmcnt(0)
	v_and_b32_e32 v14, 0x7fff, v9
	v_cmp_ne_u16_e32 vcc, 0, v14
	v_mov_b32_e32 v14, s88
	v_addc_co_u32_e64 v7, s[6:7], v7, v14, s[6:7]
	v_cmp_ge_u64_e64 s[6:7], v[6:7], v[4:5]
	s_or_b64 s[6:7], s[6:7], vcc
	s_and_b64 s[6:7], exec, s[6:7]
	s_or_b64 s[40:41], s[6:7], s[40:41]
	s_andn2_b64 s[6:7], s[42:43], exec
	s_and_b64 s[42:43], vcc, exec
	s_or_b64 s[42:43], s[6:7], s[42:43]
	s_barrier
	s_andn2_b64 exec, exec, s[40:41]
	s_cbranch_execz .LBB216_338
.LBB216_330:                            ;   Parent Loop BB216_6 Depth=1
                                        ; =>  This Inner Loop Header: Depth=2
	v_cmp_gt_u64_e32 vcc, s[12:13], v[6:7]
	v_mov_b32_e32 v9, 0
	s_and_saveexec_b64 s[6:7], vcc
	s_cbranch_execz .LBB216_332
; %bb.331:                              ;   in Loop: Header=BB216_330 Depth=2
	ds_read_u16 v9, v8
.LBB216_332:                            ;   in Loop: Header=BB216_330 Depth=2
	s_or_b64 exec, exec, s[6:7]
	s_and_saveexec_b64 s[6:7], vcc
	s_cbranch_execz .LBB216_329
; %bb.333:                              ;   in Loop: Header=BB216_330 Depth=2
	s_waitcnt lgkmcnt(0)
	v_cmp_lt_i16_e32 vcc, -1, v9
	v_cndmask_b32_e32 v14, v39, v40, vcc
	v_lshlrev_b32_e32 v26, 16, v9
	v_xor_b32_sdwa v14, v14, v9 dst_sel:DWORD dst_unused:UNUSED_PAD src0_sel:DWORD src1_sel:WORD_0
	v_cmp_o_f32_e32 vcc, v26, v26
	v_cndmask_b32_e32 v14, v39, v14, vcc
	v_and_b32_e32 v14, v14, v44
	v_cmp_eq_u32_e32 vcc, v14, v45
	s_and_b64 exec, exec, vcc
	s_cbranch_execz .LBB216_329
; %bb.334:                              ;   in Loop: Header=BB216_330 Depth=2
	s_movk_i32 s1, 0x3f80
	v_perm_b32 v9, v9, s1, v43
	ds_write_b32 v15, v9 offset:3072
	s_branch .LBB216_329
.LBB216_335:                            ;   in Loop: Header=BB216_6 Depth=1
                                        ; implicit-def: $vgpr2_vgpr3
	s_branch .LBB216_282
.LBB216_336:                            ;   in Loop: Header=BB216_6 Depth=1
                                        ; implicit-def: $vgpr2_vgpr3
	s_branch .LBB216_296
.LBB216_337:                            ;   in Loop: Header=BB216_6 Depth=1
	s_mov_b64 s[36:37], -1
	s_mov_b64 s[6:7], 0
                                        ; implicit-def: $sgpr40_sgpr41
                                        ; implicit-def: $vgpr46
	s_mov_b64 s[42:43], s[36:37]
	s_cbranch_execnz .LBB216_340
	s_branch .LBB216_353
.LBB216_338:                            ;   in Loop: Header=BB216_6 Depth=1
	s_or_b64 exec, exec, s[40:41]
	v_lshrrev_b32_e32 v46, 16, v9
	s_and_b64 s[6:7], s[42:43], exec
.LBB216_339:                            ;   in Loop: Header=BB216_6 Depth=1
	s_or_b64 exec, exec, s[36:37]
	s_mov_b64 s[36:37], 0
	s_mov_b64 s[40:41], -1
	s_mov_b64 s[42:43], s[36:37]
	s_branch .LBB216_353
.LBB216_340:                            ;   in Loop: Header=BB216_6 Depth=1
	v_readlane_b32 s42, v56, 31
	v_readlane_b32 s43, v56, 32
	s_mov_b32 s42, s83
	s_cmp_lg_u64 s[42:43], 0
	v_writelane_b32 v56, s42, 31
	v_writelane_b32 v56, s43, 32
	s_cbranch_scc0 .LBB216_382
; %bb.341:                              ;   in Loop: Header=BB216_6 Depth=1
	v_cvt_f32_u32_e32 v4, s33
	s_sub_u32 s1, 0, s33
	s_subb_u32 s6, 0, 0
	v_mac_f32_e32 v4, 0, v41
	v_rcp_f32_e32 v4, v4
	v_mul_f32_e32 v4, 0x5f7ffffc, v4
	v_mul_f32_e32 v5, 0x2f800000, v4
	v_trunc_f32_e32 v5, v5
	v_mac_f32_e32 v4, 0xcf800000, v5
	v_cvt_u32_f32_e32 v5, v5
	v_cvt_u32_f32_e32 v4, v4
	v_readfirstlane_b32 s7, v5
	v_readfirstlane_b32 s12, v4
	s_mul_i32 s13, s1, s7
	s_mul_hi_u32 s37, s1, s12
	s_mul_i32 s36, s6, s12
	s_add_i32 s13, s37, s13
	s_mul_i32 s40, s1, s12
	s_add_i32 s13, s13, s36
	s_mul_hi_u32 s37, s12, s40
	s_mul_hi_u32 s36, s12, s13
	s_mul_i32 s12, s12, s13
	s_add_u32 s12, s37, s12
	s_addc_u32 s36, 0, s36
	s_mul_hi_u32 s41, s7, s40
	s_mul_i32 s40, s7, s40
	s_add_u32 s12, s12, s40
	s_mul_hi_u32 s37, s7, s13
	s_addc_u32 s12, s36, s41
	s_addc_u32 s36, s37, 0
	s_mul_i32 s13, s7, s13
	s_add_u32 s12, s12, s13
	s_addc_u32 s13, 0, s36
	v_add_co_u32_e32 v4, vcc, s12, v4
	s_cmp_lg_u64 vcc, 0
	s_addc_u32 s7, s7, s13
	v_readfirstlane_b32 s13, v4
	s_mul_i32 s12, s1, s7
	s_mul_hi_u32 s36, s1, s13
	s_add_i32 s12, s36, s12
	s_mul_i32 s6, s6, s13
	s_add_i32 s12, s12, s6
	s_mul_i32 s1, s1, s13
	s_mul_hi_u32 s36, s7, s1
	s_mul_i32 s37, s7, s1
	s_mul_i32 s41, s13, s12
	s_mul_hi_u32 s1, s13, s1
	s_mul_hi_u32 s40, s13, s12
	s_add_u32 s1, s1, s41
	s_addc_u32 s13, 0, s40
	s_add_u32 s1, s1, s37
	s_mul_hi_u32 s6, s7, s12
	s_addc_u32 s1, s13, s36
	s_addc_u32 s6, s6, 0
	s_mul_i32 s12, s7, s12
	s_add_u32 s1, s1, s12
	s_addc_u32 s6, 0, s6
	v_add_co_u32_e32 v4, vcc, s1, v4
	s_cmp_lg_u64 vcc, 0
	s_addc_u32 s1, s7, s6
	v_readlane_b32 s37, v56, 29
	v_readfirstlane_b32 s12, v4
	s_mul_i32 s7, s37, s1
	s_mul_hi_u32 s13, s37, s12
	s_mul_hi_u32 s6, s37, s1
	s_add_u32 s7, s13, s7
	s_addc_u32 s6, 0, s6
	s_mul_hi_u32 s36, s43, s12
	s_mul_i32 s12, s43, s12
	s_add_u32 s7, s7, s12
	s_mul_hi_u32 s13, s43, s1
	s_addc_u32 s6, s6, s36
	s_addc_u32 s7, s13, 0
	s_mul_i32 s1, s43, s1
	s_add_u32 s1, s6, s1
	s_addc_u32 s6, 0, s7
	s_mul_hi_u32 s7, s33, s1
	s_mul_i32 s1, s33, s1
	s_mul_i32 s6, s33, s6
	v_mov_b32_e32 v4, s1
	s_add_i32 s7, s7, s6
	v_sub_co_u32_e32 v4, vcc, s37, v4
	s_cmp_lg_u64 vcc, 0
	s_subb_u32 s1, s43, s7
	v_subrev_co_u32_e32 v5, vcc, s33, v4
	s_cmp_lg_u64 vcc, 0
	s_subb_u32 s6, s1, 0
	v_subrev_co_u32_e32 v6, vcc, s33, v5
	s_cmp_lg_u64 vcc, 0
	s_subb_u32 s7, s6, 0
	v_cmp_le_u32_e32 vcc, s33, v5
	s_cmp_eq_u32 s6, 0
	v_cndmask_b32_e64 v7, 0, -1, vcc
	s_cselect_b64 vcc, -1, 0
	v_cndmask_b32_e32 v7, -1, v7, vcc
	v_mov_b32_e32 v8, s6
	v_mov_b32_e32 v9, s7
	v_cmp_ne_u32_e32 vcc, 0, v7
	v_cndmask_b32_e32 v7, v8, v9, vcc
	v_cndmask_b32_e32 v6, v5, v6, vcc
	v_cmp_le_u32_e32 vcc, s33, v4
	s_cmp_eq_u32 s1, 0
	v_cndmask_b32_e64 v5, 0, -1, vcc
	s_cselect_b64 vcc, -1, 0
	v_cndmask_b32_e32 v5, -1, v5, vcc
	v_mov_b32_e32 v8, s1
	v_cmp_ne_u32_e32 vcc, 0, v5
	v_cndmask_b32_e32 v5, v8, v7, vcc
	v_cndmask_b32_e32 v4, v4, v6, vcc
	s_cbranch_execnz .LBB216_343
.LBB216_342:                            ;   in Loop: Header=BB216_6 Depth=1
	v_cvt_f32_u32_e32 v4, s33
	s_sub_i32 s1, 0, s33
	v_rcp_iflag_f32_e32 v4, v4
	v_mul_f32_e32 v4, 0x4f7ffffe, v4
	v_cvt_u32_f32_e32 v4, v4
	v_mul_lo_u32 v5, s1, v4
	v_mul_hi_u32 v5, v4, v5
	v_add_u32_e32 v4, v4, v5
	v_readlane_b32 s1, v56, 29
	v_mul_hi_u32 v4, s1, v4
	v_mul_lo_u32 v4, v4, s33
	v_sub_u32_e32 v4, s1, v4
	v_subrev_u32_e32 v5, s33, v4
	v_cmp_le_u32_e32 vcc, s33, v4
	v_cndmask_b32_e32 v4, v4, v5, vcc
	v_subrev_u32_e32 v5, s33, v4
	v_cmp_le_u32_e32 vcc, s33, v4
	v_cndmask_b32_e32 v14, v4, v5, vcc
	v_pk_mov_b32 v[4:5], v[14:15], v[14:15] op_sel:[0,1]
.LBB216_343:                            ;   in Loop: Header=BB216_6 Depth=1
	v_readlane_b32 s6, v56, 31
	v_readlane_b32 s7, v56, 32
	;; [unrolled: 1-line block ×3, first 2 shown]
	v_mov_b32_e32 v6, s7
	v_sub_co_u32_e32 v4, vcc, s1, v4
	v_subb_co_u32_e32 v5, vcc, v6, v5, vcc
	v_cmp_gt_u64_e32 vcc, v[4:5], v[0:1]
	s_mov_b64 s[6:7], 0
                                        ; implicit-def: $vgpr46
	s_and_saveexec_b64 s[12:13], vcc
	s_cbranch_execz .LBB216_352
; %bb.344:                              ;   in Loop: Header=BB216_6 Depth=1
	s_mov_b64 s[36:37], 0
	v_pk_mov_b32 v[6:7], v[12:13], v[12:13] op_sel:[0,1]
	v_pk_mov_b32 v[8:9], v[0:1], v[0:1] op_sel:[0,1]
                                        ; implicit-def: $sgpr40_sgpr41
	s_branch .LBB216_346
.LBB216_345:                            ;   in Loop: Header=BB216_346 Depth=2
	s_or_b64 exec, exec, s[6:7]
	s_waitcnt lgkmcnt(0)
	s_barrier
	s_waitcnt vmcnt(0)
	ds_read_b32 v14, v15 offset:3072
	v_add_co_u32_e64 v8, s[6:7], s33, v8
	s_waitcnt lgkmcnt(0)
	s_barrier
	v_and_b32_e32 v26, 0x7fff, v14
	v_cmp_ne_u16_e32 vcc, 0, v26
	v_mov_b32_e32 v26, s88
	v_addc_co_u32_e64 v9, s[6:7], v9, v26, s[6:7]
	v_cmp_ge_u64_e64 s[6:7], v[8:9], v[4:5]
	s_or_b64 s[42:43], s[6:7], vcc
	v_mov_b32_e32 v26, s61
	v_add_co_u32_e64 v6, s[6:7], s60, v6
	v_addc_co_u32_e64 v7, s[6:7], v7, v26, s[6:7]
	s_and_b64 s[6:7], exec, s[42:43]
	s_or_b64 s[36:37], s[6:7], s[36:37]
	s_andn2_b64 s[6:7], s[40:41], exec
	s_and_b64 s[40:41], vcc, exec
	s_or_b64 s[40:41], s[6:7], s[40:41]
	s_andn2_b64 exec, exec, s[36:37]
	s_cbranch_execz .LBB216_351
.LBB216_346:                            ;   Parent Loop BB216_6 Depth=1
                                        ; =>  This Inner Loop Header: Depth=2
	v_cmp_gt_u64_e32 vcc, s[56:57], v[8:9]
	v_mov_b32_e32 v14, 0
	s_and_saveexec_b64 s[6:7], vcc
	s_cbranch_execz .LBB216_348
; %bb.347:                              ;   in Loop: Header=BB216_346 Depth=2
	global_load_ushort v14, v[6:7], off
.LBB216_348:                            ;   in Loop: Header=BB216_346 Depth=2
	s_or_b64 exec, exec, s[6:7]
	s_and_saveexec_b64 s[6:7], vcc
	s_cbranch_execz .LBB216_345
; %bb.349:                              ;   in Loop: Header=BB216_346 Depth=2
	s_waitcnt vmcnt(0)
	v_cmp_lt_i16_e32 vcc, -1, v14
	v_cndmask_b32_e32 v26, v39, v40, vcc
	v_lshlrev_b32_e32 v27, 16, v14
	v_xor_b32_sdwa v26, v26, v14 dst_sel:DWORD dst_unused:UNUSED_PAD src0_sel:DWORD src1_sel:WORD_0
	v_cmp_o_f32_e32 vcc, v27, v27
	v_cndmask_b32_e32 v26, v39, v26, vcc
	v_and_b32_e32 v26, v26, v44
	v_cmp_eq_u32_e32 vcc, v26, v45
	s_and_b64 exec, exec, vcc
	s_cbranch_execz .LBB216_345
; %bb.350:                              ;   in Loop: Header=BB216_346 Depth=2
	s_movk_i32 s1, 0x3f80
	v_perm_b32 v14, v14, s1, v43
	ds_write_b32 v15, v14 offset:3072
	s_branch .LBB216_345
.LBB216_351:                            ;   in Loop: Header=BB216_6 Depth=1
	s_or_b64 exec, exec, s[36:37]
	v_lshrrev_b32_e32 v46, 16, v14
	s_and_b64 s[6:7], s[40:41], exec
.LBB216_352:                            ;   in Loop: Header=BB216_6 Depth=1
	s_or_b64 exec, exec, s[12:13]
	s_mov_b64 s[40:41], 0
	s_mov_b64 s[36:37], -1
	s_mov_b64 s[42:43], 0
.LBB216_353:                            ;   in Loop: Header=BB216_6 Depth=1
	s_orn2_b64 s[12:13], s[6:7], exec
.LBB216_354:                            ;   in Loop: Header=BB216_6 Depth=1
	s_or_b64 exec, exec, s[44:45]
	s_mov_b64 s[6:7], 0
                                        ; implicit-def: $vgpr7
	s_and_saveexec_b64 s[44:45], s[12:13]
	s_cbranch_execz .LBB216_467
; %bb.355:                              ;   in Loop: Header=BB216_6 Depth=1
	v_mov_b32_e32 v4, 1
	s_xor_b64 s[6:7], s[4:5], -1
	s_mov_b64 s[12:13], 0
	v_mov_b32_e32 v5, 0
	v_mov_b32_e32 v7, 1
	s_and_saveexec_b64 s[4:5], s[6:7]
	s_cbranch_execz .LBB216_365
; %bb.356:                              ;   in Loop: Header=BB216_6 Depth=1
	v_cmp_ge_u64_e32 vcc, s[22:23], v[2:3]
                                        ; implicit-def: $sgpr1
                                        ; implicit-def: $sgpr6_sgpr7
	s_and_saveexec_b64 s[12:13], vcc
	s_xor_b64 s[12:13], exec, s[12:13]
	s_cbranch_execz .LBB216_362
; %bb.357:                              ;   in Loop: Header=BB216_6 Depth=1
	ds_read_b64 v[4:5], v15 offset:5120
	s_waitcnt lgkmcnt(0)
	v_cmp_ne_u64_e32 vcc, 0, v[4:5]
	s_cbranch_vccnz .LBB216_361
; %bb.358:                              ;   in Loop: Header=BB216_6 Depth=1
	s_mov_b64 s[6:7], exec
	v_readlane_b32 s46, v56, 8
	v_readlane_b32 s47, v56, 9
	s_and_b64 s[46:47], s[6:7], s[46:47]
	s_mov_b64 exec, s[46:47]
	s_cbranch_execz .LBB216_360
; %bb.359:                              ;   in Loop: Header=BB216_6 Depth=1
	v_pk_mov_b32 v[4:5], s[22:23], s[22:23] op_sel:[0,1]
	ds_write_b64 v15, v[4:5] offset:5128
.LBB216_360:                            ;   in Loop: Header=BB216_6 Depth=1
	s_or_b64 exec, exec, s[6:7]
	s_waitcnt lgkmcnt(0)
	s_barrier
.LBB216_361:                            ;   in Loop: Header=BB216_6 Depth=1
	v_and_b32_e32 v4, s90, v45
	v_lshl_or_b32 v45, 2, s91, v4
	v_or_b32_e32 v44, s82, v44
	s_mov_b64 s[6:7], 0
	s_mov_b32 s1, 5
.LBB216_362:                            ;   in Loop: Header=BB216_6 Depth=1
	s_or_saveexec_b64 s[12:13], s[12:13]
	v_mov_b32_e32 v7, s1
	s_xor_b64 exec, exec, s[12:13]
; %bb.363:                              ;   in Loop: Header=BB216_6 Depth=1
	v_mov_b32_e32 v4, s23
	v_subrev_co_u32_e32 v2, vcc, s22, v2
	v_subb_co_u32_e32 v3, vcc, v3, v4, vcc
	v_mov_b32_e32 v7, 0
	s_or_b64 s[6:7], s[6:7], exec
; %bb.364:                              ;   in Loop: Header=BB216_6 Depth=1
	s_or_b64 exec, exec, s[12:13]
	s_and_b64 s[12:13], s[6:7], exec
	v_pk_mov_b32 v[4:5], v[2:3], v[2:3] op_sel:[0,1]
.LBB216_365:                            ;   in Loop: Header=BB216_6 Depth=1
	s_or_b64 exec, exec, s[4:5]
	s_mov_b64 s[4:5], -1
                                        ; implicit-def: $sgpr6_sgpr7
                                        ; implicit-def: $sgpr46_sgpr47
                                        ; implicit-def: $sgpr52_sgpr53
	s_and_saveexec_b64 s[22:23], s[12:13]
	s_cbranch_execz .LBB216_466
; %bb.366:                              ;   in Loop: Header=BB216_6 Depth=1
	s_cmp_eq_u64 s[18:19], 1
	s_cselect_b64 s[4:5], -1, 0
	v_cmp_eq_u64_e32 vcc, 1, v[4:5]
	s_and_b64 s[4:5], s[4:5], vcc
	s_mov_b64 s[6:7], -1
                                        ; implicit-def: $sgpr46_sgpr47
                                        ; implicit-def: $sgpr48_sgpr49
                                        ; implicit-def: $sgpr50_sgpr51
	s_and_saveexec_b64 s[52:53], s[4:5]
	s_cbranch_execz .LBB216_400
; %bb.367:                              ;   in Loop: Header=BB216_6 Depth=1
	ds_read_b64 v[2:3], v15 offset:5120
	s_waitcnt lgkmcnt(0)
	s_barrier
	v_readfirstlane_b32 s12, v2
	v_readfirstlane_b32 s13, v3
	s_mov_b64 s[6:7], exec
	v_readlane_b32 s46, v56, 24
	v_readlane_b32 s47, v56, 25
	s_and_b64 s[46:47], s[6:7], s[46:47]
	s_mov_b64 exec, s[46:47]
	s_cbranch_execz .LBB216_369
; %bb.368:                              ;   in Loop: Header=BB216_6 Depth=1
	ds_write_b16 v36, v15
.LBB216_369:                            ;   in Loop: Header=BB216_6 Depth=1
	s_or_b64 exec, exec, s[6:7]
	v_and_b32_e32 v2, s90, v45
	v_lshl_or_b32 v45, 1, s91, v2
	v_or_b32_e32 v44, s82, v44
	s_cmp_eq_u64 s[12:13], 0
	s_waitcnt lgkmcnt(0)
	s_barrier
	s_cbranch_scc1 .LBB216_383
; %bb.370:                              ;   in Loop: Header=BB216_6 Depth=1
	v_readlane_b32 s1, v56, 28
	s_add_u32 s1, s1, s12
	v_readlane_b32 s6, v56, 30
	s_addc_u32 s7, s6, s13
	s_mov_b32 s6, s83
	s_cmp_lg_u64 s[6:7], 0
	s_cbranch_scc0 .LBB216_418
; %bb.371:                              ;   in Loop: Header=BB216_6 Depth=1
	v_cvt_f32_u32_e32 v2, s33
	s_sub_u32 s6, 0, s33
	s_subb_u32 s46, 0, 0
	v_mac_f32_e32 v2, 0, v41
	v_rcp_f32_e32 v2, v2
	v_mul_f32_e32 v2, 0x5f7ffffc, v2
	v_mul_f32_e32 v3, 0x2f800000, v2
	v_trunc_f32_e32 v3, v3
	v_mac_f32_e32 v2, 0xcf800000, v3
	v_cvt_u32_f32_e32 v3, v3
	v_cvt_u32_f32_e32 v2, v2
	v_readfirstlane_b32 s47, v3
	v_readfirstlane_b32 s48, v2
	s_mul_i32 s49, s6, s47
	s_mul_hi_u32 s51, s6, s48
	s_mul_i32 s50, s46, s48
	s_add_i32 s49, s51, s49
	s_mul_i32 s54, s6, s48
	s_add_i32 s49, s49, s50
	s_mul_hi_u32 s51, s48, s54
	s_mul_hi_u32 s50, s48, s49
	s_mul_i32 s48, s48, s49
	s_add_u32 s48, s51, s48
	s_addc_u32 s50, 0, s50
	s_mul_hi_u32 s55, s47, s54
	s_mul_i32 s54, s47, s54
	s_add_u32 s48, s48, s54
	s_mul_hi_u32 s51, s47, s49
	s_addc_u32 s48, s50, s55
	s_addc_u32 s50, s51, 0
	s_mul_i32 s49, s47, s49
	s_add_u32 s48, s48, s49
	s_addc_u32 s49, 0, s50
	v_add_co_u32_e32 v2, vcc, s48, v2
	s_cmp_lg_u64 vcc, 0
	s_addc_u32 s47, s47, s49
	v_readfirstlane_b32 s49, v2
	s_mul_i32 s48, s6, s47
	s_mul_hi_u32 s50, s6, s49
	s_add_i32 s48, s50, s48
	s_mul_i32 s46, s46, s49
	s_add_i32 s48, s48, s46
	s_mul_i32 s6, s6, s49
	s_mul_hi_u32 s50, s47, s6
	s_mul_i32 s51, s47, s6
	s_mul_i32 s55, s49, s48
	s_mul_hi_u32 s6, s49, s6
	s_mul_hi_u32 s54, s49, s48
	s_add_u32 s6, s6, s55
	s_addc_u32 s49, 0, s54
	s_add_u32 s6, s6, s51
	s_mul_hi_u32 s46, s47, s48
	s_addc_u32 s6, s49, s50
	s_addc_u32 s46, s46, 0
	s_mul_i32 s48, s47, s48
	s_add_u32 s6, s6, s48
	s_addc_u32 s46, 0, s46
	v_add_co_u32_e32 v2, vcc, s6, v2
	s_cmp_lg_u64 vcc, 0
	s_addc_u32 s6, s47, s46
	v_readfirstlane_b32 s48, v2
	s_mul_i32 s47, s1, s6
	s_mul_hi_u32 s49, s1, s48
	s_mul_hi_u32 s46, s1, s6
	s_add_u32 s47, s49, s47
	s_addc_u32 s46, 0, s46
	s_mul_hi_u32 s50, s7, s48
	s_mul_i32 s48, s7, s48
	s_add_u32 s47, s47, s48
	s_mul_hi_u32 s49, s7, s6
	s_addc_u32 s46, s46, s50
	s_addc_u32 s47, s49, 0
	s_mul_i32 s6, s7, s6
	s_add_u32 s6, s46, s6
	s_addc_u32 s46, 0, s47
	s_mul_hi_u32 s47, s33, s6
	s_mul_i32 s6, s33, s6
	s_mul_i32 s46, s33, s46
	v_mov_b32_e32 v2, s6
	s_add_i32 s47, s47, s46
	v_sub_co_u32_e32 v2, vcc, s1, v2
	s_cmp_lg_u64 vcc, 0
	s_subb_u32 s6, s7, s47
	v_subrev_co_u32_e32 v3, vcc, s33, v2
	s_cmp_lg_u64 vcc, 0
	s_subb_u32 s46, s6, 0
	v_subrev_co_u32_e32 v6, vcc, s33, v3
	s_cmp_lg_u64 vcc, 0
	s_subb_u32 s47, s46, 0
	v_cmp_le_u32_e32 vcc, s33, v3
	s_cmp_eq_u32 s46, 0
	v_cndmask_b32_e64 v7, 0, -1, vcc
	s_cselect_b64 vcc, -1, 0
	v_cndmask_b32_e32 v7, -1, v7, vcc
	v_mov_b32_e32 v8, s46
	v_mov_b32_e32 v9, s47
	v_cmp_ne_u32_e32 vcc, 0, v7
	v_cndmask_b32_e32 v7, v8, v9, vcc
	v_cndmask_b32_e32 v6, v3, v6, vcc
	v_cmp_le_u32_e32 vcc, s33, v2
	s_cmp_eq_u32 s6, 0
	v_cndmask_b32_e64 v3, 0, -1, vcc
	s_cselect_b64 vcc, -1, 0
	v_cndmask_b32_e32 v3, -1, v3, vcc
	v_mov_b32_e32 v8, s6
	v_cmp_ne_u32_e32 vcc, 0, v3
	v_cndmask_b32_e32 v3, v8, v7, vcc
	v_cndmask_b32_e32 v2, v2, v6, vcc
	s_cbranch_execnz .LBB216_373
.LBB216_372:                            ;   in Loop: Header=BB216_6 Depth=1
	v_cvt_f32_u32_e32 v2, s33
	s_sub_i32 s6, 0, s33
	v_rcp_iflag_f32_e32 v2, v2
	v_mul_f32_e32 v2, 0x4f7ffffe, v2
	v_cvt_u32_f32_e32 v2, v2
	v_mul_lo_u32 v3, s6, v2
	v_mul_hi_u32 v3, v2, v3
	v_add_u32_e32 v2, v2, v3
	v_mul_hi_u32 v2, s1, v2
	v_mul_lo_u32 v2, v2, s33
	v_sub_u32_e32 v2, s1, v2
	v_subrev_u32_e32 v3, s33, v2
	v_cmp_le_u32_e32 vcc, s33, v2
	v_cndmask_b32_e32 v2, v2, v3, vcc
	v_subrev_u32_e32 v3, s33, v2
	v_cmp_le_u32_e32 vcc, s33, v2
	v_cndmask_b32_e32 v14, v2, v3, vcc
	v_pk_mov_b32 v[2:3], v[14:15], v[14:15] op_sel:[0,1]
.LBB216_373:                            ;   in Loop: Header=BB216_6 Depth=1
	v_mov_b32_e32 v6, s7
	v_sub_co_u32_e32 v2, vcc, s1, v2
	v_subb_co_u32_e32 v3, vcc, v6, v3, vcc
	v_cmp_gt_u64_e32 vcc, v[2:3], v[0:1]
	s_mov_b64 s[6:7], 0
                                        ; implicit-def: $vgpr46
	s_and_saveexec_b64 s[46:47], vcc
	s_cbranch_execz .LBB216_385
; %bb.374:                              ;   in Loop: Header=BB216_6 Depth=1
	s_mov_b64 s[48:49], 0
	v_mov_b32_e32 v8, v35
	v_pk_mov_b32 v[6:7], v[0:1], v[0:1] op_sel:[0,1]
                                        ; implicit-def: $sgpr50_sgpr51
	s_branch .LBB216_376
.LBB216_375:                            ;   in Loop: Header=BB216_376 Depth=2
	s_or_b64 exec, exec, s[6:7]
	s_waitcnt lgkmcnt(0)
	s_barrier
	ds_read_b32 v9, v15 offset:3072
	v_add_co_u32_e64 v6, s[6:7], s33, v6
	v_add_u32_e32 v8, s0, v8
	s_waitcnt lgkmcnt(0)
	v_and_b32_e32 v14, 0x7fff, v9
	v_cmp_ne_u16_e32 vcc, 0, v14
	v_mov_b32_e32 v14, s88
	v_addc_co_u32_e64 v7, s[6:7], v7, v14, s[6:7]
	v_cmp_ge_u64_e64 s[6:7], v[6:7], v[2:3]
	s_or_b64 s[6:7], s[6:7], vcc
	s_and_b64 s[6:7], exec, s[6:7]
	s_or_b64 s[48:49], s[6:7], s[48:49]
	s_andn2_b64 s[6:7], s[50:51], exec
	s_and_b64 s[50:51], vcc, exec
	s_or_b64 s[50:51], s[6:7], s[50:51]
	s_barrier
	s_andn2_b64 exec, exec, s[48:49]
	s_cbranch_execz .LBB216_384
.LBB216_376:                            ;   Parent Loop BB216_6 Depth=1
                                        ; =>  This Inner Loop Header: Depth=2
	v_cmp_gt_u64_e32 vcc, s[12:13], v[6:7]
	v_mov_b32_e32 v9, 0
	s_and_saveexec_b64 s[6:7], vcc
	s_cbranch_execz .LBB216_378
; %bb.377:                              ;   in Loop: Header=BB216_376 Depth=2
	ds_read_u16 v9, v8
.LBB216_378:                            ;   in Loop: Header=BB216_376 Depth=2
	s_or_b64 exec, exec, s[6:7]
	s_and_saveexec_b64 s[6:7], vcc
	s_cbranch_execz .LBB216_375
; %bb.379:                              ;   in Loop: Header=BB216_376 Depth=2
	s_waitcnt lgkmcnt(0)
	v_cmp_lt_i16_e32 vcc, -1, v9
	v_cndmask_b32_e32 v14, v39, v40, vcc
	v_lshlrev_b32_e32 v26, 16, v9
	v_xor_b32_sdwa v14, v14, v9 dst_sel:DWORD dst_unused:UNUSED_PAD src0_sel:DWORD src1_sel:WORD_0
	v_cmp_o_f32_e32 vcc, v26, v26
	v_cndmask_b32_e32 v14, v39, v14, vcc
	v_and_b32_e32 v14, v14, v44
	v_cmp_eq_u32_e32 vcc, v14, v45
	s_and_b64 exec, exec, vcc
	s_cbranch_execz .LBB216_375
; %bb.380:                              ;   in Loop: Header=BB216_376 Depth=2
	s_movk_i32 s1, 0x3f80
	v_perm_b32 v9, v9, s1, v43
	ds_write_b32 v15, v9 offset:3072
	s_branch .LBB216_375
.LBB216_381:                            ;   in Loop: Header=BB216_6 Depth=1
                                        ; implicit-def: $vgpr4_vgpr5
	s_branch .LBB216_326
.LBB216_382:                            ;   in Loop: Header=BB216_6 Depth=1
                                        ; implicit-def: $vgpr4_vgpr5
	s_branch .LBB216_342
.LBB216_383:                            ;   in Loop: Header=BB216_6 Depth=1
	s_mov_b64 s[46:47], -1
	s_mov_b64 s[6:7], 0
                                        ; implicit-def: $sgpr48_sgpr49
                                        ; implicit-def: $vgpr46
	s_mov_b64 s[50:51], s[46:47]
	s_cbranch_execnz .LBB216_386
	s_branch .LBB216_399
.LBB216_384:                            ;   in Loop: Header=BB216_6 Depth=1
	s_or_b64 exec, exec, s[48:49]
	v_lshrrev_b32_e32 v46, 16, v9
	s_and_b64 s[6:7], s[50:51], exec
.LBB216_385:                            ;   in Loop: Header=BB216_6 Depth=1
	s_or_b64 exec, exec, s[46:47]
	s_mov_b64 s[46:47], 0
	s_mov_b64 s[48:49], -1
	s_mov_b64 s[50:51], s[46:47]
	s_branch .LBB216_399
.LBB216_386:                            ;   in Loop: Header=BB216_6 Depth=1
	v_readlane_b32 s50, v56, 31
	v_readlane_b32 s51, v56, 32
	s_mov_b32 s50, s83
	s_cmp_lg_u64 s[50:51], 0
	v_writelane_b32 v56, s50, 31
	v_writelane_b32 v56, s51, 32
	s_cbranch_scc0 .LBB216_419
; %bb.387:                              ;   in Loop: Header=BB216_6 Depth=1
	v_cvt_f32_u32_e32 v2, s33
	s_sub_u32 s1, 0, s33
	s_subb_u32 s6, 0, 0
	v_mac_f32_e32 v2, 0, v41
	v_rcp_f32_e32 v2, v2
	v_mul_f32_e32 v2, 0x5f7ffffc, v2
	v_mul_f32_e32 v3, 0x2f800000, v2
	v_trunc_f32_e32 v3, v3
	v_mac_f32_e32 v2, 0xcf800000, v3
	v_cvt_u32_f32_e32 v3, v3
	v_cvt_u32_f32_e32 v2, v2
	v_readfirstlane_b32 s7, v3
	v_readfirstlane_b32 s12, v2
	s_mul_i32 s13, s1, s7
	s_mul_hi_u32 s47, s1, s12
	s_mul_i32 s46, s6, s12
	s_add_i32 s13, s47, s13
	s_mul_i32 s48, s1, s12
	s_add_i32 s13, s13, s46
	s_mul_hi_u32 s47, s12, s48
	s_mul_hi_u32 s46, s12, s13
	s_mul_i32 s12, s12, s13
	s_add_u32 s12, s47, s12
	s_addc_u32 s46, 0, s46
	s_mul_hi_u32 s49, s7, s48
	s_mul_i32 s48, s7, s48
	s_add_u32 s12, s12, s48
	s_mul_hi_u32 s47, s7, s13
	s_addc_u32 s12, s46, s49
	s_addc_u32 s46, s47, 0
	s_mul_i32 s13, s7, s13
	s_add_u32 s12, s12, s13
	s_addc_u32 s13, 0, s46
	v_add_co_u32_e32 v2, vcc, s12, v2
	s_cmp_lg_u64 vcc, 0
	s_addc_u32 s7, s7, s13
	v_readfirstlane_b32 s13, v2
	s_mul_i32 s12, s1, s7
	s_mul_hi_u32 s46, s1, s13
	s_add_i32 s12, s46, s12
	s_mul_i32 s6, s6, s13
	s_add_i32 s12, s12, s6
	s_mul_i32 s1, s1, s13
	s_mul_hi_u32 s46, s7, s1
	s_mul_i32 s47, s7, s1
	s_mul_i32 s49, s13, s12
	s_mul_hi_u32 s1, s13, s1
	s_mul_hi_u32 s48, s13, s12
	s_add_u32 s1, s1, s49
	s_addc_u32 s13, 0, s48
	s_add_u32 s1, s1, s47
	s_mul_hi_u32 s6, s7, s12
	s_addc_u32 s1, s13, s46
	s_addc_u32 s6, s6, 0
	s_mul_i32 s12, s7, s12
	s_add_u32 s1, s1, s12
	s_addc_u32 s6, 0, s6
	v_add_co_u32_e32 v2, vcc, s1, v2
	s_cmp_lg_u64 vcc, 0
	s_addc_u32 s1, s7, s6
	v_readlane_b32 s47, v56, 29
	v_readfirstlane_b32 s12, v2
	s_mul_i32 s7, s47, s1
	s_mul_hi_u32 s13, s47, s12
	s_mul_hi_u32 s6, s47, s1
	s_add_u32 s7, s13, s7
	s_addc_u32 s6, 0, s6
	s_mul_hi_u32 s46, s51, s12
	s_mul_i32 s12, s51, s12
	s_add_u32 s7, s7, s12
	s_mul_hi_u32 s13, s51, s1
	s_addc_u32 s6, s6, s46
	s_addc_u32 s7, s13, 0
	s_mul_i32 s1, s51, s1
	s_add_u32 s1, s6, s1
	s_addc_u32 s6, 0, s7
	s_mul_hi_u32 s7, s33, s1
	s_mul_i32 s1, s33, s1
	s_mul_i32 s6, s33, s6
	v_mov_b32_e32 v2, s1
	s_add_i32 s7, s7, s6
	v_sub_co_u32_e32 v2, vcc, s47, v2
	s_cmp_lg_u64 vcc, 0
	s_subb_u32 s1, s51, s7
	v_subrev_co_u32_e32 v3, vcc, s33, v2
	s_cmp_lg_u64 vcc, 0
	s_subb_u32 s6, s1, 0
	v_subrev_co_u32_e32 v6, vcc, s33, v3
	s_cmp_lg_u64 vcc, 0
	s_subb_u32 s7, s6, 0
	v_cmp_le_u32_e32 vcc, s33, v3
	s_cmp_eq_u32 s6, 0
	v_cndmask_b32_e64 v7, 0, -1, vcc
	s_cselect_b64 vcc, -1, 0
	v_cndmask_b32_e32 v7, -1, v7, vcc
	v_mov_b32_e32 v8, s6
	v_mov_b32_e32 v9, s7
	v_cmp_ne_u32_e32 vcc, 0, v7
	v_cndmask_b32_e32 v7, v8, v9, vcc
	v_cndmask_b32_e32 v6, v3, v6, vcc
	v_cmp_le_u32_e32 vcc, s33, v2
	s_cmp_eq_u32 s1, 0
	v_cndmask_b32_e64 v3, 0, -1, vcc
	s_cselect_b64 vcc, -1, 0
	v_cndmask_b32_e32 v3, -1, v3, vcc
	v_mov_b32_e32 v8, s1
	v_cmp_ne_u32_e32 vcc, 0, v3
	v_cndmask_b32_e32 v3, v8, v7, vcc
	v_cndmask_b32_e32 v2, v2, v6, vcc
	s_cbranch_execnz .LBB216_389
.LBB216_388:                            ;   in Loop: Header=BB216_6 Depth=1
	v_cvt_f32_u32_e32 v2, s33
	s_sub_i32 s1, 0, s33
	v_rcp_iflag_f32_e32 v2, v2
	v_mul_f32_e32 v2, 0x4f7ffffe, v2
	v_cvt_u32_f32_e32 v2, v2
	v_mul_lo_u32 v3, s1, v2
	v_mul_hi_u32 v3, v2, v3
	v_add_u32_e32 v2, v2, v3
	v_readlane_b32 s1, v56, 29
	v_mul_hi_u32 v2, s1, v2
	v_mul_lo_u32 v2, v2, s33
	v_sub_u32_e32 v2, s1, v2
	v_subrev_u32_e32 v3, s33, v2
	v_cmp_le_u32_e32 vcc, s33, v2
	v_cndmask_b32_e32 v2, v2, v3, vcc
	v_subrev_u32_e32 v3, s33, v2
	v_cmp_le_u32_e32 vcc, s33, v2
	v_cndmask_b32_e32 v14, v2, v3, vcc
	v_pk_mov_b32 v[2:3], v[14:15], v[14:15] op_sel:[0,1]
.LBB216_389:                            ;   in Loop: Header=BB216_6 Depth=1
	v_readlane_b32 s6, v56, 31
	v_readlane_b32 s7, v56, 32
	;; [unrolled: 1-line block ×3, first 2 shown]
	v_mov_b32_e32 v6, s7
	v_sub_co_u32_e32 v2, vcc, s1, v2
	v_subb_co_u32_e32 v3, vcc, v6, v3, vcc
	v_cmp_gt_u64_e32 vcc, v[2:3], v[0:1]
	s_mov_b64 s[6:7], 0
                                        ; implicit-def: $vgpr46
	s_and_saveexec_b64 s[12:13], vcc
	s_cbranch_execz .LBB216_398
; %bb.390:                              ;   in Loop: Header=BB216_6 Depth=1
	s_mov_b64 s[46:47], 0
	v_pk_mov_b32 v[6:7], v[12:13], v[12:13] op_sel:[0,1]
	v_pk_mov_b32 v[8:9], v[0:1], v[0:1] op_sel:[0,1]
                                        ; implicit-def: $sgpr48_sgpr49
	s_branch .LBB216_392
.LBB216_391:                            ;   in Loop: Header=BB216_392 Depth=2
	s_or_b64 exec, exec, s[6:7]
	s_waitcnt lgkmcnt(0)
	s_barrier
	s_waitcnt vmcnt(0)
	ds_read_b32 v14, v15 offset:3072
	v_add_co_u32_e64 v8, s[6:7], s33, v8
	s_waitcnt lgkmcnt(0)
	s_barrier
	v_and_b32_e32 v26, 0x7fff, v14
	v_cmp_ne_u16_e32 vcc, 0, v26
	v_mov_b32_e32 v26, s88
	v_addc_co_u32_e64 v9, s[6:7], v9, v26, s[6:7]
	v_cmp_ge_u64_e64 s[6:7], v[8:9], v[2:3]
	s_or_b64 s[50:51], s[6:7], vcc
	v_mov_b32_e32 v26, s61
	v_add_co_u32_e64 v6, s[6:7], s60, v6
	v_addc_co_u32_e64 v7, s[6:7], v7, v26, s[6:7]
	s_and_b64 s[6:7], exec, s[50:51]
	s_or_b64 s[46:47], s[6:7], s[46:47]
	s_andn2_b64 s[6:7], s[48:49], exec
	s_and_b64 s[48:49], vcc, exec
	s_or_b64 s[48:49], s[6:7], s[48:49]
	s_andn2_b64 exec, exec, s[46:47]
	s_cbranch_execz .LBB216_397
.LBB216_392:                            ;   Parent Loop BB216_6 Depth=1
                                        ; =>  This Inner Loop Header: Depth=2
	v_cmp_gt_u64_e32 vcc, s[56:57], v[8:9]
	v_mov_b32_e32 v14, 0
	s_and_saveexec_b64 s[6:7], vcc
	s_cbranch_execz .LBB216_394
; %bb.393:                              ;   in Loop: Header=BB216_392 Depth=2
	global_load_ushort v14, v[6:7], off
.LBB216_394:                            ;   in Loop: Header=BB216_392 Depth=2
	s_or_b64 exec, exec, s[6:7]
	s_and_saveexec_b64 s[6:7], vcc
	s_cbranch_execz .LBB216_391
; %bb.395:                              ;   in Loop: Header=BB216_392 Depth=2
	s_waitcnt vmcnt(0)
	v_cmp_lt_i16_e32 vcc, -1, v14
	v_cndmask_b32_e32 v26, v39, v40, vcc
	v_lshlrev_b32_e32 v27, 16, v14
	v_xor_b32_sdwa v26, v26, v14 dst_sel:DWORD dst_unused:UNUSED_PAD src0_sel:DWORD src1_sel:WORD_0
	v_cmp_o_f32_e32 vcc, v27, v27
	v_cndmask_b32_e32 v26, v39, v26, vcc
	v_and_b32_e32 v26, v26, v44
	v_cmp_eq_u32_e32 vcc, v26, v45
	s_and_b64 exec, exec, vcc
	s_cbranch_execz .LBB216_391
; %bb.396:                              ;   in Loop: Header=BB216_392 Depth=2
	s_movk_i32 s1, 0x3f80
	v_perm_b32 v14, v14, s1, v43
	ds_write_b32 v15, v14 offset:3072
	s_branch .LBB216_391
.LBB216_397:                            ;   in Loop: Header=BB216_6 Depth=1
	s_or_b64 exec, exec, s[46:47]
	v_lshrrev_b32_e32 v46, 16, v14
	s_and_b64 s[6:7], s[48:49], exec
.LBB216_398:                            ;   in Loop: Header=BB216_6 Depth=1
	s_or_b64 exec, exec, s[12:13]
	s_mov_b64 s[48:49], 0
	s_mov_b64 s[46:47], -1
	s_mov_b64 s[50:51], 0
.LBB216_399:                            ;   in Loop: Header=BB216_6 Depth=1
	s_orn2_b64 s[6:7], s[6:7], exec
.LBB216_400:                            ;   in Loop: Header=BB216_6 Depth=1
	s_or_b64 exec, exec, s[52:53]
	s_mov_b64 s[12:13], 0
                                        ; implicit-def: $vgpr7
	s_and_saveexec_b64 s[52:53], s[6:7]
	s_cbranch_execz .LBB216_465
; %bb.401:                              ;   in Loop: Header=BB216_6 Depth=1
	v_mov_b32_e32 v2, 1
	s_xor_b64 s[6:7], s[4:5], -1
	s_mov_b64 s[54:55], 0
	v_mov_b32_e32 v3, 0
	v_mov_b32_e32 v7, 1
	s_and_saveexec_b64 s[4:5], s[6:7]
	s_cbranch_execz .LBB216_411
; %bb.402:                              ;   in Loop: Header=BB216_6 Depth=1
	v_cmp_ge_u64_e32 vcc, s[18:19], v[4:5]
                                        ; implicit-def: $sgpr1
                                        ; implicit-def: $sgpr6_sgpr7
	s_and_saveexec_b64 s[12:13], vcc
	s_xor_b64 s[12:13], exec, s[12:13]
	s_cbranch_execz .LBB216_408
; %bb.403:                              ;   in Loop: Header=BB216_6 Depth=1
	ds_read_b64 v[2:3], v15 offset:5120
	s_waitcnt lgkmcnt(0)
	v_cmp_ne_u64_e32 vcc, 0, v[2:3]
	s_cbranch_vccnz .LBB216_407
; %bb.404:                              ;   in Loop: Header=BB216_6 Depth=1
	s_mov_b64 s[6:7], exec
	v_readlane_b32 s54, v56, 8
	v_readlane_b32 s55, v56, 9
	s_and_b64 s[54:55], s[6:7], s[54:55]
	s_mov_b64 exec, s[54:55]
	s_cbranch_execz .LBB216_406
; %bb.405:                              ;   in Loop: Header=BB216_6 Depth=1
	v_pk_mov_b32 v[2:3], s[18:19], s[18:19] op_sel:[0,1]
	ds_write_b64 v15, v[2:3] offset:5128
.LBB216_406:                            ;   in Loop: Header=BB216_6 Depth=1
	s_or_b64 exec, exec, s[6:7]
	s_waitcnt lgkmcnt(0)
	s_barrier
.LBB216_407:                            ;   in Loop: Header=BB216_6 Depth=1
	v_and_b32_e32 v2, s90, v45
	v_lshl_or_b32 v45, 1, s91, v2
	v_or_b32_e32 v44, s82, v44
	s_mov_b64 s[6:7], 0
	s_mov_b32 s1, 5
.LBB216_408:                            ;   in Loop: Header=BB216_6 Depth=1
	s_or_saveexec_b64 s[12:13], s[12:13]
	v_mov_b32_e32 v7, s1
	s_xor_b64 exec, exec, s[12:13]
; %bb.409:                              ;   in Loop: Header=BB216_6 Depth=1
	v_mov_b32_e32 v2, s19
	v_subrev_co_u32_e32 v4, vcc, s18, v4
	v_subb_co_u32_e32 v5, vcc, v5, v2, vcc
	v_mov_b32_e32 v7, 0
	s_or_b64 s[6:7], s[6:7], exec
; %bb.410:                              ;   in Loop: Header=BB216_6 Depth=1
	s_or_b64 exec, exec, s[12:13]
	s_and_b64 s[54:55], s[6:7], exec
	v_pk_mov_b32 v[2:3], v[4:5], v[4:5] op_sel:[0,1]
.LBB216_411:                            ;   in Loop: Header=BB216_6 Depth=1
	s_or_b64 exec, exec, s[4:5]
	s_mov_b64 s[4:5], -1
                                        ; implicit-def: $sgpr6_sgpr7
                                        ; implicit-def: $sgpr12_sgpr13
                                        ; implicit-def: $sgpr70_sgpr71
	s_and_saveexec_b64 s[18:19], s[54:55]
	s_cbranch_execz .LBB216_464
; %bb.412:                              ;   in Loop: Header=BB216_6 Depth=1
	s_cmp_eq_u64 s[16:17], 1
	s_cselect_b64 s[4:5], -1, 0
	v_cmp_eq_u64_e32 vcc, 1, v[2:3]
	s_and_b64 s[4:5], s[4:5], vcc
	s_mov_b64 s[78:79], -1
                                        ; implicit-def: $sgpr6_sgpr7
                                        ; implicit-def: $sgpr12_sgpr13
                                        ; implicit-def: $sgpr70_sgpr71
	s_and_saveexec_b64 s[54:55], s[4:5]
	s_cbranch_execz .LBB216_451
; %bb.413:                              ;   in Loop: Header=BB216_6 Depth=1
	ds_read_b64 v[4:5], v15 offset:5120
	v_readlane_b32 s68, v56, 24
	v_readlane_b32 s69, v56, 25
	s_waitcnt lgkmcnt(0)
	s_barrier
	v_readfirstlane_b32 s12, v4
	v_readfirstlane_b32 s13, v5
	s_and_saveexec_b64 s[6:7], s[68:69]
	s_cbranch_execz .LBB216_415
; %bb.414:                              ;   in Loop: Header=BB216_6 Depth=1
	ds_write_b16 v36, v15
.LBB216_415:                            ;   in Loop: Header=BB216_6 Depth=1
	s_or_b64 exec, exec, s[6:7]
	v_and_b32_e32 v45, s90, v45
	v_or_b32_e32 v44, s82, v44
	s_cmp_eq_u64 s[12:13], 0
	s_waitcnt lgkmcnt(0)
	s_barrier
	s_cbranch_scc1 .LBB216_420
; %bb.416:                              ;   in Loop: Header=BB216_6 Depth=1
	v_readlane_b32 s1, v56, 28
	s_add_u32 s1, s1, s12
	v_readlane_b32 s6, v56, 30
	s_addc_u32 s7, s6, s13
	s_mov_b32 s6, s83
	s_cmp_lg_u64 s[6:7], 0
	s_cbranch_scc0 .LBB216_421
; %bb.417:                              ;   in Loop: Header=BB216_6 Depth=1
	v_cvt_f32_u32_e32 v4, s33
	s_sub_u32 s6, 0, s33
	s_subb_u32 s70, 0, 0
	v_mac_f32_e32 v4, 0, v41
	v_rcp_f32_e32 v4, v4
	v_mul_f32_e32 v4, 0x5f7ffffc, v4
	v_mul_f32_e32 v5, 0x2f800000, v4
	v_trunc_f32_e32 v5, v5
	v_mac_f32_e32 v4, 0xcf800000, v5
	v_cvt_u32_f32_e32 v5, v5
	v_cvt_u32_f32_e32 v4, v4
	v_readfirstlane_b32 s71, v5
	v_readfirstlane_b32 s78, v4
	s_mul_i32 s79, s6, s71
	s_mul_hi_u32 s81, s6, s78
	s_mul_i32 s80, s70, s78
	s_add_i32 s79, s81, s79
	s_mul_i32 s84, s6, s78
	s_add_i32 s79, s79, s80
	s_mul_hi_u32 s81, s78, s84
	s_mul_hi_u32 s80, s78, s79
	s_mul_i32 s78, s78, s79
	s_add_u32 s78, s81, s78
	s_addc_u32 s80, 0, s80
	s_mul_hi_u32 s85, s71, s84
	s_mul_i32 s84, s71, s84
	s_add_u32 s78, s78, s84
	s_mul_hi_u32 s81, s71, s79
	s_addc_u32 s78, s80, s85
	s_addc_u32 s80, s81, 0
	s_mul_i32 s79, s71, s79
	s_add_u32 s78, s78, s79
	s_addc_u32 s79, 0, s80
	v_add_co_u32_e32 v4, vcc, s78, v4
	s_cmp_lg_u64 vcc, 0
	s_addc_u32 s71, s71, s79
	v_readfirstlane_b32 s79, v4
	s_mul_i32 s78, s6, s71
	s_mul_hi_u32 s80, s6, s79
	s_add_i32 s78, s80, s78
	s_mul_i32 s70, s70, s79
	s_add_i32 s78, s78, s70
	s_mul_i32 s6, s6, s79
	s_mul_hi_u32 s80, s71, s6
	s_mul_i32 s81, s71, s6
	s_mul_i32 s85, s79, s78
	s_mul_hi_u32 s6, s79, s6
	s_mul_hi_u32 s84, s79, s78
	s_add_u32 s6, s6, s85
	s_addc_u32 s79, 0, s84
	s_add_u32 s6, s6, s81
	s_mul_hi_u32 s70, s71, s78
	s_addc_u32 s6, s79, s80
	s_addc_u32 s70, s70, 0
	s_mul_i32 s78, s71, s78
	s_add_u32 s6, s6, s78
	s_addc_u32 s70, 0, s70
	v_add_co_u32_e32 v4, vcc, s6, v4
	s_cmp_lg_u64 vcc, 0
	s_addc_u32 s6, s71, s70
	v_readfirstlane_b32 s78, v4
	s_mul_i32 s71, s1, s6
	s_mul_hi_u32 s79, s1, s78
	s_mul_hi_u32 s70, s1, s6
	s_add_u32 s71, s79, s71
	s_addc_u32 s70, 0, s70
	s_mul_hi_u32 s80, s7, s78
	s_mul_i32 s78, s7, s78
	s_add_u32 s71, s71, s78
	s_mul_hi_u32 s79, s7, s6
	s_addc_u32 s70, s70, s80
	s_addc_u32 s71, s79, 0
	s_mul_i32 s6, s7, s6
	s_add_u32 s6, s70, s6
	s_addc_u32 s70, 0, s71
	s_mul_hi_u32 s71, s33, s6
	s_mul_i32 s6, s33, s6
	s_mul_i32 s70, s33, s70
	v_mov_b32_e32 v4, s6
	s_add_i32 s71, s71, s70
	v_sub_co_u32_e32 v4, vcc, s1, v4
	s_cmp_lg_u64 vcc, 0
	s_subb_u32 s6, s7, s71
	v_subrev_co_u32_e32 v5, vcc, s33, v4
	s_cmp_lg_u64 vcc, 0
	s_subb_u32 s70, s6, 0
	v_subrev_co_u32_e32 v6, vcc, s33, v5
	s_cmp_lg_u64 vcc, 0
	s_subb_u32 s71, s70, 0
	v_cmp_le_u32_e32 vcc, s33, v5
	s_cmp_eq_u32 s70, 0
	v_cndmask_b32_e64 v7, 0, -1, vcc
	s_cselect_b64 vcc, -1, 0
	v_cndmask_b32_e32 v7, -1, v7, vcc
	v_mov_b32_e32 v8, s70
	v_mov_b32_e32 v9, s71
	v_cmp_ne_u32_e32 vcc, 0, v7
	v_cndmask_b32_e32 v7, v8, v9, vcc
	v_cndmask_b32_e32 v6, v5, v6, vcc
	v_cmp_le_u32_e32 vcc, s33, v4
	s_cmp_eq_u32 s6, 0
	v_cndmask_b32_e64 v5, 0, -1, vcc
	s_cselect_b64 vcc, -1, 0
	v_cndmask_b32_e32 v5, -1, v5, vcc
	v_mov_b32_e32 v8, s6
	v_cmp_ne_u32_e32 vcc, 0, v5
	v_cndmask_b32_e32 v5, v8, v7, vcc
	v_cndmask_b32_e32 v4, v4, v6, vcc
	s_mov_b64 s[70:71], 0
	s_branch .LBB216_422
.LBB216_418:                            ;   in Loop: Header=BB216_6 Depth=1
                                        ; implicit-def: $vgpr2_vgpr3
	s_branch .LBB216_372
.LBB216_419:                            ;   in Loop: Header=BB216_6 Depth=1
                                        ; implicit-def: $vgpr2_vgpr3
	s_branch .LBB216_388
.LBB216_420:                            ;   in Loop: Header=BB216_6 Depth=1
	s_mov_b64 s[6:7], -1
	s_mov_b64 s[78:79], 0
                                        ; implicit-def: $sgpr12_sgpr13
                                        ; implicit-def: $vgpr46
	s_branch .LBB216_434
.LBB216_421:                            ;   in Loop: Header=BB216_6 Depth=1
	s_mov_b64 s[70:71], -1
                                        ; implicit-def: $vgpr4_vgpr5
.LBB216_422:                            ;   in Loop: Header=BB216_6 Depth=1
	s_andn2_b64 vcc, exec, s[70:71]
	s_cbranch_vccnz .LBB216_424
; %bb.423:                              ;   in Loop: Header=BB216_6 Depth=1
	v_cvt_f32_u32_e32 v4, s33
	s_sub_i32 s6, 0, s33
	v_rcp_iflag_f32_e32 v4, v4
	v_mul_f32_e32 v4, 0x4f7ffffe, v4
	v_cvt_u32_f32_e32 v4, v4
	v_mul_lo_u32 v5, s6, v4
	v_mul_hi_u32 v5, v4, v5
	v_add_u32_e32 v4, v4, v5
	v_mul_hi_u32 v4, s1, v4
	v_mul_lo_u32 v4, v4, s33
	v_sub_u32_e32 v4, s1, v4
	v_subrev_u32_e32 v5, s33, v4
	v_cmp_le_u32_e32 vcc, s33, v4
	v_cndmask_b32_e32 v4, v4, v5, vcc
	v_subrev_u32_e32 v5, s33, v4
	v_cmp_le_u32_e32 vcc, s33, v4
	v_cndmask_b32_e32 v14, v4, v5, vcc
	v_pk_mov_b32 v[4:5], v[14:15], v[14:15] op_sel:[0,1]
.LBB216_424:                            ;   in Loop: Header=BB216_6 Depth=1
	v_mov_b32_e32 v6, s7
	v_sub_co_u32_e32 v4, vcc, s1, v4
	v_subb_co_u32_e32 v5, vcc, v6, v5, vcc
	v_cmp_gt_u64_e32 vcc, v[4:5], v[0:1]
	s_mov_b64 s[78:79], 0
                                        ; implicit-def: $vgpr46
	s_and_saveexec_b64 s[70:71], vcc
	s_cbranch_execz .LBB216_433
; %bb.425:                              ;   in Loop: Header=BB216_6 Depth=1
	v_mov_b32_e32 v8, v35
	v_pk_mov_b32 v[6:7], v[0:1], v[0:1] op_sel:[0,1]
                                        ; implicit-def: $sgpr80_sgpr81
	s_branch .LBB216_427
.LBB216_426:                            ;   in Loop: Header=BB216_427 Depth=2
	s_or_b64 exec, exec, s[6:7]
	s_waitcnt lgkmcnt(0)
	s_barrier
	ds_read_b32 v9, v15 offset:3072
	v_add_co_u32_e64 v6, s[6:7], s33, v6
	v_add_u32_e32 v8, s0, v8
	s_waitcnt lgkmcnt(0)
	v_and_b32_e32 v14, 0x7fff, v9
	v_cmp_ne_u16_e32 vcc, 0, v14
	v_mov_b32_e32 v14, s88
	v_addc_co_u32_e64 v7, s[6:7], v7, v14, s[6:7]
	v_cmp_ge_u64_e64 s[6:7], v[6:7], v[4:5]
	s_or_b64 s[6:7], s[6:7], vcc
	s_and_b64 s[6:7], exec, s[6:7]
	s_or_b64 s[78:79], s[6:7], s[78:79]
	s_andn2_b64 s[6:7], s[80:81], exec
	s_and_b64 s[80:81], vcc, exec
	s_or_b64 s[80:81], s[6:7], s[80:81]
	s_barrier
	s_andn2_b64 exec, exec, s[78:79]
	s_cbranch_execz .LBB216_432
.LBB216_427:                            ;   Parent Loop BB216_6 Depth=1
                                        ; =>  This Inner Loop Header: Depth=2
	v_cmp_gt_u64_e32 vcc, s[12:13], v[6:7]
	v_mov_b32_e32 v9, 0
	s_and_saveexec_b64 s[6:7], vcc
	s_cbranch_execz .LBB216_429
; %bb.428:                              ;   in Loop: Header=BB216_427 Depth=2
	ds_read_u16 v9, v8
.LBB216_429:                            ;   in Loop: Header=BB216_427 Depth=2
	s_or_b64 exec, exec, s[6:7]
	s_and_saveexec_b64 s[6:7], vcc
	s_cbranch_execz .LBB216_426
; %bb.430:                              ;   in Loop: Header=BB216_427 Depth=2
	s_waitcnt lgkmcnt(0)
	v_cmp_lt_i16_e32 vcc, -1, v9
	v_cndmask_b32_e32 v14, v39, v40, vcc
	v_lshlrev_b32_e32 v26, 16, v9
	v_xor_b32_sdwa v14, v14, v9 dst_sel:DWORD dst_unused:UNUSED_PAD src0_sel:DWORD src1_sel:WORD_0
	v_cmp_o_f32_e32 vcc, v26, v26
	v_cndmask_b32_e32 v14, v39, v14, vcc
	v_and_b32_e32 v14, v14, v44
	v_cmp_eq_u32_e32 vcc, v14, v45
	s_and_b64 exec, exec, vcc
	s_cbranch_execz .LBB216_426
; %bb.431:                              ;   in Loop: Header=BB216_427 Depth=2
	s_movk_i32 s1, 0x3f80
	v_perm_b32 v9, v9, s1, v43
	ds_write_b32 v15, v9 offset:3072
	s_branch .LBB216_426
.LBB216_432:                            ;   in Loop: Header=BB216_6 Depth=1
	s_or_b64 exec, exec, s[78:79]
	v_lshrrev_b32_e32 v46, 16, v9
	s_and_b64 s[78:79], s[80:81], exec
.LBB216_433:                            ;   in Loop: Header=BB216_6 Depth=1
	s_or_b64 exec, exec, s[70:71]
	v_readlane_b32 s84, v56, 46
	v_readlane_b32 s85, v56, 47
	s_mov_b64 s[6:7], 0
	s_mov_b64 s[12:13], -1
.LBB216_434:                            ;   in Loop: Header=BB216_6 Depth=1
	s_and_b64 vcc, exec, s[6:7]
	s_mov_b64 s[70:71], s[6:7]
	s_cbranch_vccz .LBB216_450
; %bb.435:                              ;   in Loop: Header=BB216_6 Depth=1
	v_readlane_b32 s68, v56, 31
	v_readlane_b32 s69, v56, 32
	s_mov_b32 s68, s83
	s_cmp_lg_u64 s[68:69], 0
	v_writelane_b32 v56, s68, 31
	v_writelane_b32 v56, s69, 32
	s_cbranch_scc0 .LBB216_437
; %bb.436:                              ;   in Loop: Header=BB216_6 Depth=1
	v_cvt_f32_u32_e32 v4, s33
	s_sub_u32 s1, 0, s33
	s_subb_u32 s6, 0, 0
	v_readlane_b32 s68, v56, 29
	v_mac_f32_e32 v4, 0, v41
	v_rcp_f32_e32 v4, v4
	v_mul_f32_e32 v4, 0x5f7ffffc, v4
	v_mul_f32_e32 v5, 0x2f800000, v4
	v_trunc_f32_e32 v5, v5
	v_mac_f32_e32 v4, 0xcf800000, v5
	v_cvt_u32_f32_e32 v5, v5
	v_cvt_u32_f32_e32 v4, v4
	v_readfirstlane_b32 s7, v5
	v_readfirstlane_b32 s12, v4
	s_mul_i32 s13, s1, s7
	s_mul_hi_u32 s71, s1, s12
	s_mul_i32 s70, s6, s12
	s_add_i32 s13, s71, s13
	s_mul_i32 s78, s1, s12
	s_add_i32 s13, s13, s70
	s_mul_hi_u32 s71, s12, s78
	s_mul_hi_u32 s70, s12, s13
	s_mul_i32 s12, s12, s13
	s_add_u32 s12, s71, s12
	s_addc_u32 s70, 0, s70
	s_mul_hi_u32 s79, s7, s78
	s_mul_i32 s78, s7, s78
	s_add_u32 s12, s12, s78
	s_mul_hi_u32 s71, s7, s13
	s_addc_u32 s12, s70, s79
	s_addc_u32 s70, s71, 0
	s_mul_i32 s13, s7, s13
	s_add_u32 s12, s12, s13
	s_addc_u32 s13, 0, s70
	v_add_co_u32_e32 v4, vcc, s12, v4
	s_cmp_lg_u64 vcc, 0
	s_addc_u32 s7, s7, s13
	v_readfirstlane_b32 s13, v4
	s_mul_i32 s12, s1, s7
	s_mul_hi_u32 s70, s1, s13
	s_add_i32 s12, s70, s12
	s_mul_i32 s6, s6, s13
	s_add_i32 s12, s12, s6
	s_mul_i32 s1, s1, s13
	s_mul_hi_u32 s70, s7, s1
	s_mul_i32 s71, s7, s1
	s_mul_i32 s79, s13, s12
	s_mul_hi_u32 s1, s13, s1
	s_mul_hi_u32 s78, s13, s12
	s_add_u32 s1, s1, s79
	s_addc_u32 s13, 0, s78
	s_add_u32 s1, s1, s71
	s_mul_hi_u32 s6, s7, s12
	s_addc_u32 s1, s13, s70
	s_addc_u32 s6, s6, 0
	s_mul_i32 s12, s7, s12
	s_add_u32 s1, s1, s12
	s_addc_u32 s6, 0, s6
	v_add_co_u32_e32 v4, vcc, s1, v4
	s_cmp_lg_u64 vcc, 0
	s_addc_u32 s1, s7, s6
	v_readfirstlane_b32 s12, v4
	s_mul_i32 s7, s68, s1
	s_mul_hi_u32 s13, s68, s12
	s_mul_hi_u32 s6, s68, s1
	s_add_u32 s7, s13, s7
	s_addc_u32 s6, 0, s6
	s_mul_hi_u32 s70, s69, s12
	s_mul_i32 s12, s69, s12
	s_add_u32 s7, s7, s12
	s_mul_hi_u32 s13, s69, s1
	s_addc_u32 s6, s6, s70
	s_addc_u32 s7, s13, 0
	s_mul_i32 s1, s69, s1
	s_add_u32 s1, s6, s1
	s_addc_u32 s6, 0, s7
	s_mul_hi_u32 s7, s33, s1
	s_mul_i32 s1, s33, s1
	s_mul_i32 s6, s33, s6
	v_mov_b32_e32 v4, s1
	s_add_i32 s7, s7, s6
	v_sub_co_u32_e32 v4, vcc, s68, v4
	s_cmp_lg_u64 vcc, 0
	s_subb_u32 s1, s69, s7
	v_subrev_co_u32_e32 v5, vcc, s33, v4
	s_cmp_lg_u64 vcc, 0
	s_subb_u32 s6, s1, 0
	v_subrev_co_u32_e32 v6, vcc, s33, v5
	s_cmp_lg_u64 vcc, 0
	s_subb_u32 s7, s6, 0
	v_cmp_le_u32_e32 vcc, s33, v5
	s_cmp_eq_u32 s6, 0
	v_cndmask_b32_e64 v7, 0, -1, vcc
	s_cselect_b64 vcc, -1, 0
	v_cndmask_b32_e32 v7, -1, v7, vcc
	v_mov_b32_e32 v8, s6
	v_mov_b32_e32 v9, s7
	v_cmp_ne_u32_e32 vcc, 0, v7
	v_cndmask_b32_e32 v7, v8, v9, vcc
	v_cndmask_b32_e32 v6, v5, v6, vcc
	v_cmp_le_u32_e32 vcc, s33, v4
	s_cmp_eq_u32 s1, 0
	v_cndmask_b32_e64 v5, 0, -1, vcc
	s_cselect_b64 vcc, -1, 0
	v_cndmask_b32_e32 v5, -1, v5, vcc
	v_mov_b32_e32 v8, s1
	v_cmp_ne_u32_e32 vcc, 0, v5
	v_cndmask_b32_e32 v5, v8, v7, vcc
	v_cndmask_b32_e32 v4, v4, v6, vcc
	s_mov_b64 s[6:7], 0
	s_branch .LBB216_438
.LBB216_437:                            ;   in Loop: Header=BB216_6 Depth=1
	s_mov_b64 s[6:7], -1
                                        ; implicit-def: $vgpr4_vgpr5
.LBB216_438:                            ;   in Loop: Header=BB216_6 Depth=1
	s_andn2_b64 vcc, exec, s[6:7]
	s_cbranch_vccnz .LBB216_440
; %bb.439:                              ;   in Loop: Header=BB216_6 Depth=1
	v_cvt_f32_u32_e32 v4, s33
	s_sub_i32 s1, 0, s33
	v_rcp_iflag_f32_e32 v4, v4
	v_mul_f32_e32 v4, 0x4f7ffffe, v4
	v_cvt_u32_f32_e32 v4, v4
	v_mul_lo_u32 v5, s1, v4
	v_mul_hi_u32 v5, v4, v5
	v_add_u32_e32 v4, v4, v5
	v_readlane_b32 s1, v56, 29
	v_mul_hi_u32 v4, s1, v4
	v_mul_lo_u32 v4, v4, s33
	v_sub_u32_e32 v4, s1, v4
	v_subrev_u32_e32 v5, s33, v4
	v_cmp_le_u32_e32 vcc, s33, v4
	v_cndmask_b32_e32 v4, v4, v5, vcc
	v_subrev_u32_e32 v5, s33, v4
	v_cmp_le_u32_e32 vcc, s33, v4
	v_cndmask_b32_e32 v14, v4, v5, vcc
	v_pk_mov_b32 v[4:5], v[14:15], v[14:15] op_sel:[0,1]
.LBB216_440:                            ;   in Loop: Header=BB216_6 Depth=1
	v_readlane_b32 s6, v56, 31
	v_readlane_b32 s7, v56, 32
	;; [unrolled: 1-line block ×3, first 2 shown]
	v_mov_b32_e32 v6, s7
	v_sub_co_u32_e32 v4, vcc, s1, v4
	v_subb_co_u32_e32 v5, vcc, v6, v5, vcc
	v_cmp_gt_u64_e32 vcc, v[4:5], v[0:1]
	s_mov_b64 s[78:79], 0
                                        ; implicit-def: $vgpr46
	s_and_saveexec_b64 s[12:13], vcc
	s_cbranch_execz .LBB216_449
; %bb.441:                              ;   in Loop: Header=BB216_6 Depth=1
	s_mov_b64 s[70:71], 0
	v_pk_mov_b32 v[6:7], v[12:13], v[12:13] op_sel:[0,1]
	v_pk_mov_b32 v[8:9], v[0:1], v[0:1] op_sel:[0,1]
                                        ; implicit-def: $sgpr78_sgpr79
	s_branch .LBB216_443
.LBB216_442:                            ;   in Loop: Header=BB216_443 Depth=2
	s_or_b64 exec, exec, s[6:7]
	s_waitcnt lgkmcnt(0)
	s_barrier
	s_waitcnt vmcnt(0)
	ds_read_b32 v14, v15 offset:3072
	v_add_co_u32_e64 v8, s[6:7], s33, v8
	s_waitcnt lgkmcnt(0)
	s_barrier
	v_and_b32_e32 v26, 0x7fff, v14
	v_cmp_ne_u16_e32 vcc, 0, v26
	v_mov_b32_e32 v26, s88
	v_addc_co_u32_e64 v9, s[6:7], v9, v26, s[6:7]
	v_cmp_ge_u64_e64 s[6:7], v[8:9], v[4:5]
	s_or_b64 s[80:81], s[6:7], vcc
	v_mov_b32_e32 v26, s61
	v_add_co_u32_e64 v6, s[6:7], s60, v6
	v_addc_co_u32_e64 v7, s[6:7], v7, v26, s[6:7]
	s_and_b64 s[6:7], exec, s[80:81]
	s_or_b64 s[70:71], s[6:7], s[70:71]
	s_andn2_b64 s[6:7], s[78:79], exec
	s_and_b64 s[78:79], vcc, exec
	s_or_b64 s[78:79], s[6:7], s[78:79]
	s_andn2_b64 exec, exec, s[70:71]
	s_cbranch_execz .LBB216_448
.LBB216_443:                            ;   Parent Loop BB216_6 Depth=1
                                        ; =>  This Inner Loop Header: Depth=2
	v_cmp_gt_u64_e32 vcc, s[56:57], v[8:9]
	v_mov_b32_e32 v14, 0
	s_and_saveexec_b64 s[6:7], vcc
	s_cbranch_execz .LBB216_445
; %bb.444:                              ;   in Loop: Header=BB216_443 Depth=2
	global_load_ushort v14, v[6:7], off
.LBB216_445:                            ;   in Loop: Header=BB216_443 Depth=2
	s_or_b64 exec, exec, s[6:7]
	s_and_saveexec_b64 s[6:7], vcc
	s_cbranch_execz .LBB216_442
; %bb.446:                              ;   in Loop: Header=BB216_443 Depth=2
	s_waitcnt vmcnt(0)
	v_cmp_lt_i16_e32 vcc, -1, v14
	v_cndmask_b32_e32 v26, v39, v40, vcc
	v_lshlrev_b32_e32 v27, 16, v14
	v_xor_b32_sdwa v26, v26, v14 dst_sel:DWORD dst_unused:UNUSED_PAD src0_sel:DWORD src1_sel:WORD_0
	v_cmp_o_f32_e32 vcc, v27, v27
	v_cndmask_b32_e32 v26, v39, v26, vcc
	v_and_b32_e32 v26, v26, v44
	v_cmp_eq_u32_e32 vcc, v26, v45
	s_and_b64 exec, exec, vcc
	s_cbranch_execz .LBB216_442
; %bb.447:                              ;   in Loop: Header=BB216_443 Depth=2
	s_movk_i32 s1, 0x3f80
	v_perm_b32 v14, v14, s1, v43
	ds_write_b32 v15, v14 offset:3072
	s_branch .LBB216_442
.LBB216_448:                            ;   in Loop: Header=BB216_6 Depth=1
	s_or_b64 exec, exec, s[70:71]
	v_lshrrev_b32_e32 v46, 16, v14
	s_and_b64 s[78:79], s[78:79], exec
.LBB216_449:                            ;   in Loop: Header=BB216_6 Depth=1
	s_or_b64 exec, exec, s[12:13]
	s_mov_b64 s[12:13], 0
	s_mov_b64 s[6:7], -1
	s_mov_b64 s[70:71], 0
.LBB216_450:                            ;   in Loop: Header=BB216_6 Depth=1
	s_orn2_b64 s[78:79], s[78:79], exec
.LBB216_451:                            ;   in Loop: Header=BB216_6 Depth=1
	s_or_b64 exec, exec, s[54:55]
	s_mov_b64 s[80:81], 0
                                        ; implicit-def: $vgpr7
                                        ; implicit-def: $vgpr4_vgpr5
	s_and_saveexec_b64 s[54:55], s[78:79]
	s_cbranch_execz .LBB216_463
; %bb.452:                              ;   in Loop: Header=BB216_6 Depth=1
	v_mov_b32_e32 v4, 1
	s_xor_b64 s[78:79], s[4:5], -1
	v_mov_b32_e32 v7, 1
	v_mov_b32_e32 v5, 0
	s_and_saveexec_b64 s[4:5], s[78:79]
	s_cbranch_execz .LBB216_462
; %bb.453:                              ;   in Loop: Header=BB216_6 Depth=1
	v_cmp_ge_u64_e32 vcc, s[16:17], v[2:3]
                                        ; implicit-def: $sgpr1
	s_and_saveexec_b64 s[78:79], vcc
	s_xor_b64 s[78:79], exec, s[78:79]
	s_cbranch_execz .LBB216_459
; %bb.454:                              ;   in Loop: Header=BB216_6 Depth=1
	ds_read_b64 v[4:5], v15 offset:5120
	s_waitcnt lgkmcnt(0)
	v_cmp_ne_u64_e32 vcc, 0, v[4:5]
	s_cbranch_vccnz .LBB216_458
; %bb.455:                              ;   in Loop: Header=BB216_6 Depth=1
	v_readlane_b32 s68, v56, 8
	v_readlane_b32 s69, v56, 9
	s_and_saveexec_b64 s[80:81], s[68:69]
	s_cbranch_execz .LBB216_457
; %bb.456:                              ;   in Loop: Header=BB216_6 Depth=1
	v_pk_mov_b32 v[4:5], s[16:17], s[16:17] op_sel:[0,1]
	ds_write_b64 v15, v[4:5] offset:5128
.LBB216_457:                            ;   in Loop: Header=BB216_6 Depth=1
	s_or_b64 exec, exec, s[80:81]
	v_readlane_b32 s84, v56, 46
	v_readlane_b32 s85, v56, 47
	s_waitcnt lgkmcnt(0)
	s_barrier
.LBB216_458:                            ;   in Loop: Header=BB216_6 Depth=1
	v_and_b32_e32 v45, s90, v45
	v_or_b32_e32 v44, s82, v44
	s_mov_b32 s1, 5
.LBB216_459:                            ;   in Loop: Header=BB216_6 Depth=1
	s_or_saveexec_b64 s[78:79], s[78:79]
	v_mov_b32_e32 v7, s1
	s_xor_b64 exec, exec, s[78:79]
; %bb.460:                              ;   in Loop: Header=BB216_6 Depth=1
	v_mov_b32_e32 v4, s17
	v_subrev_co_u32_e32 v2, vcc, s16, v2
	v_subb_co_u32_e32 v3, vcc, v3, v4, vcc
	v_mov_b32_e32 v7, 5
; %bb.461:                              ;   in Loop: Header=BB216_6 Depth=1
	s_or_b64 exec, exec, s[78:79]
	v_pk_mov_b32 v[4:5], v[2:3], v[2:3] op_sel:[0,1]
.LBB216_462:                            ;   in Loop: Header=BB216_6 Depth=1
	s_or_b64 exec, exec, s[4:5]
	s_mov_b64 s[80:81], exec
.LBB216_463:                            ;   in Loop: Header=BB216_6 Depth=1
	s_or_b64 exec, exec, s[54:55]
	s_orn2_b64 s[4:5], s[80:81], exec
	v_pk_mov_b32 v[2:3], v[4:5], v[4:5] op_sel:[0,1]
.LBB216_464:                            ;   in Loop: Header=BB216_6 Depth=1
	s_or_b64 exec, exec, s[18:19]
	s_andn2_b64 s[16:17], s[46:47], exec
	s_and_b64 s[6:7], s[6:7], exec
	s_or_b64 s[46:47], s[16:17], s[6:7]
	s_andn2_b64 s[6:7], s[48:49], exec
	s_and_b64 s[12:13], s[12:13], exec
	s_or_b64 s[48:49], s[6:7], s[12:13]
	;; [unrolled: 3-line block ×3, first 2 shown]
	s_and_b64 s[12:13], s[4:5], exec
	v_pk_mov_b32 v[4:5], v[2:3], v[2:3] op_sel:[0,1]
.LBB216_465:                            ;   in Loop: Header=BB216_6 Depth=1
	s_or_b64 exec, exec, s[52:53]
	s_and_b64 s[52:53], s[46:47], exec
	s_and_b64 s[46:47], s[48:49], exec
	;; [unrolled: 1-line block ×3, first 2 shown]
	s_orn2_b64 s[4:5], s[12:13], exec
.LBB216_466:                            ;   in Loop: Header=BB216_6 Depth=1
	s_or_b64 exec, exec, s[22:23]
	s_andn2_b64 s[12:13], s[36:37], exec
	s_and_b64 s[16:17], s[52:53], exec
	s_or_b64 s[36:37], s[12:13], s[16:17]
	s_andn2_b64 s[12:13], s[40:41], exec
	s_and_b64 s[16:17], s[46:47], exec
	s_or_b64 s[40:41], s[12:13], s[16:17]
	;; [unrolled: 3-line block ×3, first 2 shown]
	s_and_b64 s[6:7], s[4:5], exec
	v_pk_mov_b32 v[2:3], v[4:5], v[4:5] op_sel:[0,1]
.LBB216_467:                            ;   in Loop: Header=BB216_6 Depth=1
	s_or_b64 exec, exec, s[44:45]
	s_and_b64 s[36:37], s[36:37], exec
	s_and_b64 s[12:13], s[40:41], exec
	;; [unrolled: 1-line block ×3, first 2 shown]
	s_orn2_b64 s[40:41], s[6:7], exec
.LBB216_468:                            ;   in Loop: Header=BB216_6 Depth=1
	s_or_b64 exec, exec, s[24:25]
	s_mov_b64 s[6:7], s[28:29]
	s_mov_b64 s[16:17], s[26:27]
	s_and_saveexec_b64 s[18:19], s[40:41]
; %bb.469:                              ;   in Loop: Header=BB216_6 Depth=1
	v_cmp_ne_u32_e64 s[6:7], 5, v7
	v_cmp_eq_u32_e32 vcc, 5, v7
	s_andn2_b64 s[16:17], s[26:27], exec
	s_and_b64 s[6:7], s[6:7], exec
	s_or_b64 s[16:17], s[16:17], s[6:7]
	s_andn2_b64 s[6:7], s[28:29], exec
	s_and_b64 s[22:23], vcc, exec
	s_andn2_b64 s[36:37], s[36:37], exec
	s_andn2_b64 s[12:13], s[12:13], exec
	s_andn2_b64 s[4:5], s[4:5], exec
	s_or_b64 s[6:7], s[6:7], s[22:23]
; %bb.470:                              ;   in Loop: Header=BB216_6 Depth=1
	s_or_b64 exec, exec, s[18:19]
	s_andn2_b64 s[14:15], s[14:15], exec
	s_and_b64 s[18:19], s[36:37], exec
	s_or_b64 s[14:15], s[14:15], s[18:19]
	s_andn2_b64 s[18:19], s[38:39], exec
	s_and_b64 s[12:13], s[12:13], exec
	s_or_b64 s[38:39], s[18:19], s[12:13]
	;; [unrolled: 3-line block ×5, first 2 shown]
	v_mov_b32_e32 v28, v45
	v_mov_b32_e32 v29, v44
	;; [unrolled: 1-line block ×3, first 2 shown]
.LBB216_471:                            ;   in Loop: Header=BB216_6 Depth=1
	s_or_b64 exec, exec, s[34:35]
	s_mov_b64 s[36:37], s[20:21]
	s_mov_b64 s[34:35], s[20:21]
	s_and_saveexec_b64 s[4:5], s[28:29]
.LBB216_472:                            ;   in Loop: Header=BB216_6 Depth=1
	v_mov_b32_e32 v7, 0
	s_andn2_b64 s[20:21], s[20:21], exec
	s_andn2_b64 s[14:15], s[14:15], exec
	;; [unrolled: 1-line block ×5, first 2 shown]
	s_or_b64 s[26:27], s[26:27], exec
.LBB216_473:                            ;   in Loop: Header=BB216_6 Depth=1
	s_or_b64 exec, exec, s[4:5]
	s_andn2_b64 s[4:5], s[10:11], exec
	s_and_b64 s[10:11], s[20:21], exec
	s_or_b64 s[10:11], s[4:5], s[10:11]
	s_andn2_b64 s[4:5], s[8:9], exec
	s_and_b64 s[8:9], s[14:15], exec
	s_or_b64 s[8:9], s[4:5], s[8:9]
	;; [unrolled: 3-line block ×3, first 2 shown]
	v_readlane_b32 s4, v56, 50
	v_readlane_b32 s5, v56, 51
	s_andn2_b64 s[4:5], s[4:5], exec
	s_and_b64 s[12:13], s[36:37], exec
	s_or_b64 s[24:25], s[4:5], s[12:13]
	v_readlane_b32 s4, v56, 48
	v_readlane_b32 s5, v56, 49
	s_andn2_b64 s[4:5], s[4:5], exec
	s_and_b64 s[12:13], s[34:35], exec
	s_mov_b64 s[6:7], -1
	s_or_b64 s[22:23], s[4:5], s[12:13]
                                        ; implicit-def: $vgpr44
                                        ; implicit-def: $vgpr45
                                        ; implicit-def: $vgpr26_vgpr27
                                        ; implicit-def: $vgpr46
	s_and_saveexec_b64 s[4:5], s[26:27]
	s_xor_b64 s[4:5], exec, s[4:5]
	s_cbranch_execz .LBB216_5
; %bb.474:                              ;   in Loop: Header=BB216_6 Depth=1
	v_cmp_eq_u32_e32 vcc, 0, v7
	s_mov_b64 s[12:13], -1
	s_and_saveexec_b64 s[14:15], vcc
	s_cbranch_execz .LBB216_4
; %bb.475:                              ;   in Loop: Header=BB216_6 Depth=1
	v_readlane_b32 s1, v56, 45
	s_xor_b32 s1, s1, 1
	v_writelane_b32 v56, s1, 45
	v_readlane_b32 s6, v56, 44
	s_add_i32 s1, s6, -2
	s_cmp_eq_u32 s6, 0
	s_cselect_b64 s[6:7], -1, 0
	s_xor_b64 s[12:13], exec, -1
	s_orn2_b64 s[6:7], s[6:7], exec
	v_writelane_b32 v56, s1, 44
	s_branch .LBB216_4
.LBB216_476:
	s_or_b64 exec, exec, s[74:75]
	s_xor_b64 s[4:5], s[92:93], -1
	s_xor_b64 s[12:13], s[76:77], -1
	;; [unrolled: 1-line block ×5, first 2 shown]
	s_mov_b64 s[6:7], 0
	s_and_saveexec_b64 s[8:9], s[0:1]
	s_xor_b64 s[8:9], exec, s[8:9]
	s_cbranch_execnz .LBB216_481
; %bb.477:
	s_andn2_saveexec_b64 s[0:1], s[8:9]
	s_cbranch_execnz .LBB216_500
.LBB216_478:
	s_or_b64 exec, exec, s[0:1]
	s_and_saveexec_b64 s[0:1], s[6:7]
.LBB216_479:
	; divergent unreachable
.LBB216_480:
	s_endpgm
.LBB216_481:
	s_and_saveexec_b64 s[0:1], s[10:11]
	s_xor_b64 s[10:11], exec, s[0:1]
	s_cbranch_execz .LBB216_498
; %bb.482:
	s_and_saveexec_b64 s[0:1], s[12:13]
	s_xor_b64 s[12:13], exec, s[0:1]
	s_cbranch_execz .LBB216_496
; %bb.483:
	;; [unrolled: 4-line block ×3, first 2 shown]
	s_and_saveexec_b64 s[0:1], s[2:3]
	s_xor_b64 s[2:3], exec, s[0:1]
; %bb.485:
	v_and_b32_e32 v2, 0x8000, v28
	v_mov_b32_e32 v3, 0x8000
	v_mov_b32_e32 v4, 0xffff
	v_cmp_eq_u32_e32 vcc, 0, v2
	v_cndmask_b32_e32 v2, v3, v4, vcc
	v_xor_b32_e32 v6, v2, v28
; %bb.486:
	s_or_b64 exec, exec, s[2:3]
	s_mov_b64 s[2:3], exec
	v_readlane_b32 s4, v56, 10
	v_readlane_b32 s5, v56, 11
	s_load_dwordx2 s[42:43], s[4:5], 0x0
	v_readlane_b32 s0, v56, 8
	v_readlane_b32 s1, v56, 9
	;; [unrolled: 1-line block ×3, first 2 shown]
	s_and_b64 s[0:1], s[2:3], s[0:1]
	v_readlane_b32 s45, v56, 17
	v_readlane_b32 s6, v56, 12
	;; [unrolled: 1-line block ×3, first 2 shown]
	s_mov_b64 exec, s[0:1]
	s_cbranch_execz .LBB216_488
; %bb.487:
	v_mov_b32_e32 v2, 0
	v_mov_b32_e32 v3, v2
	ds_write_b64 v2, v[2:3] offset:5136
.LBB216_488:
	s_or_b64 exec, exec, s[2:3]
	v_mov_b32_e32 v21, 0
	s_waitcnt lgkmcnt(0)
	s_barrier
	s_mov_b64 s[2:3], exec
	v_readlane_b32 s0, v56, 22
	v_readlane_b32 s1, v56, 23
	s_and_b64 s[0:1], s[2:3], s[0:1]
	s_mov_b64 exec, s[0:1]
	s_cbranch_execz .LBB216_490
; %bb.489:
	global_load_ushort v21, v[12:13], off
.LBB216_490:
	s_or_b64 exec, exec, s[2:3]
	v_readlane_b32 s2, v56, 4
	s_add_u32 s0, s56, 63
	v_readlane_b32 s3, v56, 5
	v_readlane_b32 s18, v56, 0
	s_addc_u32 s17, s57, 0
	s_and_b32 s16, s0, 0xffffffc0
	s_mul_i32 s0, s3, s6
	s_mul_hi_u32 s1, s2, s6
	v_readlane_b32 s19, v56, 1
	s_add_i32 s1, s1, s0
	s_mul_i32 s0, s2, s6
	s_mul_i32 s2, s19, s6
	s_mul_hi_u32 s3, s18, s6
	s_add_i32 s3, s3, s2
	s_mul_i32 s2, s18, s6
	s_lshl_b64 s[0:1], s[0:1], 1
	v_readlane_b32 s6, v56, 6
	s_load_dwordx2 s[18:19], s[4:5], 0x368
	s_load_dwordx2 s[20:21], s[4:5], 0x510
	v_mov_b32_e32 v19, 0xffff
	v_mov_b32_e32 v20, 0x8000
	v_cmp_lt_i16_e32 vcc, -1, v6
	v_readlane_b32 s7, v56, 7
	s_add_u32 s0, s6, s0
	v_cndmask_b32_e32 v2, v19, v20, vcc
	v_lshlrev_b32_e32 v3, 16, v6
	s_addc_u32 s1, s7, s1
	s_lshl_b64 s[2:3], s[2:3], 3
	v_readlane_b32 s6, v56, 2
	v_xor_b32_sdwa v2, v2, v6 dst_sel:DWORD dst_unused:UNUSED_PAD src0_sel:DWORD src1_sel:WORD_0
	v_cmp_o_f32_e32 vcc, v3, v3
	v_readlane_b32 s7, v56, 3
	s_add_u32 s38, s6, s2
	v_cndmask_b32_e32 v18, v19, v2, vcc
	s_addc_u32 s39, s7, s3
	v_cmp_gt_u64_e32 vcc, s[16:17], v[0:1]
	s_mov_b64 s[24:25], -1
	s_mov_b64 s[2:3], 0
	s_mov_b64 s[4:5], 0
	s_and_saveexec_b64 s[22:23], vcc
	s_cbranch_execnz .LBB216_501
; %bb.491:
	s_or_b64 exec, exec, s[22:23]
	s_and_saveexec_b64 s[6:7], s[24:25]
	s_cbranch_execnz .LBB216_518
.LBB216_492:
	s_or_b64 exec, exec, s[6:7]
	s_and_saveexec_b64 s[0:1], s[4:5]
	s_xor_b64 s[0:1], exec, s[0:1]
	s_cbranch_execnz .LBB216_543
.LBB216_493:
	s_or_b64 exec, exec, s[0:1]
	s_and_b64 s[6:7], s[2:3], exec
.LBB216_494:
	s_andn2_saveexec_b64 s[0:1], s[14:15]
	s_cbranch_execnz .LBB216_545
.LBB216_495:
	s_or_b64 exec, exec, s[0:1]
	s_and_b64 s[6:7], s[6:7], exec
.LBB216_496:
	s_andn2_saveexec_b64 s[0:1], s[12:13]
	s_cbranch_execnz .LBB216_544
.LBB216_497:
	s_or_b64 exec, exec, s[0:1]
	s_and_b64 s[6:7], s[6:7], exec
.LBB216_498:
	s_andn2_saveexec_b64 s[0:1], s[10:11]
	s_cbranch_execnz .LBB216_539
.LBB216_499:
	s_or_b64 exec, exec, s[0:1]
	s_and_b64 s[6:7], s[6:7], exec
	s_andn2_saveexec_b64 s[0:1], s[8:9]
	s_cbranch_execz .LBB216_478
.LBB216_500:
	s_or_b64 s[6:7], s[6:7], exec
	s_trap 2
	s_or_b64 exec, exec, s[0:1]
	s_and_saveexec_b64 s[0:1], s[6:7]
	s_cbranch_execnz .LBB216_479
	s_branch .LBB216_480
.LBB216_501:
	v_add_u32_e32 v5, s33, v0
	v_mad_u64_u32 v[2:3], s[4:5], s62, v5, 0
	v_mov_b32_e32 v4, v3
	v_mad_u64_u32 v[4:5], s[4:5], s63, v5, v[4:5]
	v_readlane_b32 s4, v56, 14
	v_mov_b32_e32 v3, v4
	v_readlane_b32 s5, v56, 15
	s_add_u32 s4, s42, s4
	v_lshlrev_b64 v[2:3], 1, v[2:3]
	s_addc_u32 s5, s43, s5
	v_mov_b32_e32 v4, s5
	v_add_co_u32_e64 v2, s[4:5], s4, v2
	v_addc_co_u32_e64 v3, s[4:5], v4, v3, s[4:5]
	s_mov_b64 s[24:25], 0
	v_mov_b32_e32 v22, s88
	v_mov_b32_e32 v5, 0
	v_pk_mov_b32 v[14:15], v[0:1], v[0:1] op_sel:[0,1]
                                        ; implicit-def: $sgpr26_sgpr27
                                        ; implicit-def: $vgpr8_vgpr9
	s_branch .LBB216_503
.LBB216_502:                            ;   in Loop: Header=BB216_503 Depth=1
	s_or_b64 exec, exec, s[28:29]
	s_xor_b64 s[4:5], s[34:35], -1
	s_and_b64 s[6:7], exec, s[6:7]
	s_or_b64 s[24:25], s[6:7], s[24:25]
	s_andn2_b64 s[6:7], s[26:27], exec
	s_and_b64 s[4:5], s[4:5], exec
	s_or_b64 s[26:27], s[6:7], s[4:5]
	v_pk_mov_b32 v[14:15], v[6:7], v[6:7] op_sel:[0,1]
	s_waitcnt vmcnt(0)
	v_mov_b32_e32 v21, v23
	s_andn2_b64 exec, exec, s[24:25]
	s_cbranch_execz .LBB216_517
.LBB216_503:                            ; =>This Inner Loop Header: Depth=1
	v_add_co_u32_e64 v6, s[4:5], s33, v14
	v_addc_co_u32_e64 v7, s[4:5], v15, v22, s[4:5]
	v_cmp_gt_u64_e64 s[4:5], s[56:57], v[6:7]
	v_mov_b32_e32 v23, 0
	s_and_saveexec_b64 s[6:7], s[4:5]
	s_cbranch_execz .LBB216_505
; %bb.504:                              ;   in Loop: Header=BB216_503 Depth=1
	global_load_ushort v23, v[2:3], off
.LBB216_505:                            ;   in Loop: Header=BB216_503 Depth=1
	s_or_b64 exec, exec, s[6:7]
	v_cmp_gt_u64_e64 s[4:5], s[56:57], v[14:15]
	s_mov_b64 s[28:29], 0
	s_and_saveexec_b64 s[6:7], s[4:5]
	s_cbranch_execz .LBB216_507
; %bb.506:                              ;   in Loop: Header=BB216_503 Depth=1
	s_waitcnt vmcnt(0)
	v_cmp_lt_i16_e64 s[4:5], -1, v21
	v_cndmask_b32_e64 v4, v19, v20, s[4:5]
	v_lshlrev_b32_e32 v16, 16, v21
	v_xor_b32_sdwa v4, v4, v21 dst_sel:DWORD dst_unused:UNUSED_PAD src0_sel:DWORD src1_sel:WORD_0
	v_cmp_o_f32_e64 s[4:5], v16, v16
	v_cndmask_b32_e64 v4, v19, v4, s[4:5]
	v_cmp_gt_u32_e64 s[4:5], v4, v18
	v_cndmask_b32_e64 v16, 0, 1, s[4:5]
	v_cmp_lt_u32_e64 s[4:5], v4, v18
	v_cndmask_b32_e64 v4, 0, 1, s[4:5]
	v_cndmask_b32_e64 v4, v4, v16, s[44:45]
	v_and_b32_e32 v4, 1, v4
	v_cmp_eq_u32_e64 s[4:5], 1, v4
	s_and_b64 s[28:29], s[4:5], exec
.LBB216_507:                            ;   in Loop: Header=BB216_503 Depth=1
	s_or_b64 exec, exec, s[6:7]
	v_cndmask_b32_e64 v4, 0, 1, s[28:29]
	v_cmp_ne_u32_e64 s[4:5], 0, v4
	s_cmp_lg_u64 s[4:5], 0
	s_cselect_b64 s[6:7], -1, 0
	s_and_b64 s[6:7], s[94:95], s[6:7]
	s_and_saveexec_b64 s[30:31], s[6:7]
	s_cbranch_execz .LBB216_511
; %bb.508:                              ;   in Loop: Header=BB216_503 Depth=1
	s_mov_b64 s[36:37], exec
	v_mbcnt_lo_u32_b32 v4, s36, 0
	v_mbcnt_hi_u32_b32 v16, s37, v4
	s_bcnt1_i32_b64 s40, s[4:5]
	v_cmp_eq_u32_e64 s[6:7], 0, v16
                                        ; implicit-def: $vgpr8_vgpr9
	s_and_saveexec_b64 s[34:35], s[6:7]
	s_cbranch_execz .LBB216_510
; %bb.509:                              ;   in Loop: Header=BB216_503 Depth=1
	s_bcnt1_i32_b64 s6, s[36:37]
	s_mul_i32 s6, s40, s6
	v_mov_b32_e32 v4, s6
	s_waitcnt lgkmcnt(0)
	ds_add_rtn_u64 v[8:9], v5, v[4:5] offset:5136
.LBB216_510:                            ;   in Loop: Header=BB216_503 Depth=1
	s_or_b64 exec, exec, s[34:35]
	s_waitcnt lgkmcnt(0)
	v_readfirstlane_b32 s6, v9
	v_readfirstlane_b32 s7, v8
	v_mov_b32_e32 v8, s7
	v_mov_b32_e32 v9, s6
	v_mad_u64_u32 v[8:9], s[6:7], s40, v16, v[8:9]
.LBB216_511:                            ;   in Loop: Header=BB216_503 Depth=1
	s_or_b64 exec, exec, s[30:31]
	s_waitcnt lgkmcnt(0)
	ds_bpermute_b32 v8, v32, v8
	ds_bpermute_b32 v9, v32, v9
	s_mov_b64 s[6:7], -1
	s_mov_b64 s[36:37], -1
                                        ; implicit-def: $sgpr34_sgpr35
	s_and_saveexec_b64 s[30:31], s[28:29]
	s_cbranch_execz .LBB216_515
; %bb.512:                              ;   in Loop: Header=BB216_503 Depth=1
	v_and_b32_e32 v16, s4, v10
	v_and_b32_e32 v4, s5, v11
	v_bcnt_u32_b32 v16, v16, 0
	v_bcnt_u32_b32 v4, v4, v16
	s_waitcnt lgkmcnt(0)
	v_add_co_u32_e64 v16, s[4:5], v8, v4
	v_addc_co_u32_e64 v17, s[4:5], 0, v9, s[4:5]
	v_cmp_gt_u64_e64 s[4:5], s[58:59], v[16:17]
	s_mov_b64 s[28:29], 0
	s_and_saveexec_b64 s[34:35], s[4:5]
	s_cbranch_execz .LBB216_514
; %bb.513:                              ;   in Loop: Header=BB216_503 Depth=1
	v_mul_lo_u32 v4, v17, s18
	v_mul_lo_u32 v26, v16, s19
	v_mad_u64_u32 v[24:25], s[4:5], v16, s18, 0
	v_add3_u32 v25, v25, v26, v4
	v_mul_lo_u32 v4, v17, s20
	v_mul_lo_u32 v26, v16, s21
	v_mad_u64_u32 v[16:17], s[4:5], v16, s20, 0
	v_lshlrev_b64 v[24:25], 1, v[24:25]
	v_add3_u32 v17, v17, v26, v4
	v_mov_b32_e32 v4, s1
	v_add_co_u32_e64 v24, s[4:5], s0, v24
	v_addc_co_u32_e64 v25, s[4:5], v4, v25, s[4:5]
	v_lshlrev_b64 v[16:17], 3, v[16:17]
	v_mov_b32_e32 v4, s39
	v_add_co_u32_e64 v16, s[4:5], s38, v16
	s_mov_b64 s[28:29], exec
	v_addc_co_u32_e64 v17, s[4:5], v4, v17, s[4:5]
	s_waitcnt vmcnt(0)
	global_store_short v[24:25], v21, off
	global_store_dwordx2 v[16:17], v[14:15], off
.LBB216_514:                            ;   in Loop: Header=BB216_503 Depth=1
	s_or_b64 exec, exec, s[34:35]
	s_mov_b64 s[34:35], -1
	s_orn2_b64 s[36:37], s[28:29], exec
.LBB216_515:                            ;   in Loop: Header=BB216_503 Depth=1
	s_or_b64 exec, exec, s[30:31]
	s_and_saveexec_b64 s[28:29], s[36:37]
	s_cbranch_execz .LBB216_502
; %bb.516:                              ;   in Loop: Header=BB216_503 Depth=1
	v_mov_b32_e32 v4, s61
	v_add_co_u32_e64 v2, s[4:5], s60, v2
	v_addc_co_u32_e64 v3, s[4:5], v3, v4, s[4:5]
	v_cmp_le_u64_e64 s[4:5], s[16:17], v[6:7]
	s_andn2_b64 s[34:35], s[34:35], exec
	s_orn2_b64 s[6:7], s[4:5], exec
	s_branch .LBB216_502
.LBB216_517:
	s_or_b64 exec, exec, s[24:25]
	s_mov_b64 s[4:5], exec
	s_orn2_b64 s[24:25], s[26:27], exec
	s_or_b64 exec, exec, s[22:23]
	s_and_saveexec_b64 s[6:7], s[24:25]
	s_cbranch_execz .LBB216_492
.LBB216_518:
	v_mov_b32_e32 v17, 0
	s_waitcnt lgkmcnt(0)
	s_barrier
	s_mov_b64 s[2:3], exec
	v_readlane_b32 s22, v56, 22
	v_readlane_b32 s23, v56, 23
	s_and_b64 s[22:23], s[2:3], s[22:23]
	s_mov_b64 exec, s[22:23]
	s_cbranch_execz .LBB216_520
; %bb.519:
	global_load_ushort v17, v[12:13], off
.LBB216_520:
	s_or_b64 exec, exec, s[2:3]
	s_mov_b64 s[2:3], 0
	s_and_saveexec_b64 s[22:23], vcc
	s_cbranch_execz .LBB216_542
; %bb.521:
	v_add_u32_e32 v5, s33, v0
	v_mad_u64_u32 v[2:3], s[2:3], s62, v5, 0
	v_mov_b32_e32 v4, v3
	v_mad_u64_u32 v[4:5], s[2:3], s63, v5, v[4:5]
	v_readlane_b32 s2, v56, 14
	v_mov_b32_e32 v3, v4
	v_readlane_b32 s3, v56, 15
	s_add_u32 s2, s42, s2
	v_lshlrev_b64 v[2:3], 1, v[2:3]
	s_addc_u32 s3, s43, s3
	v_mov_b32_e32 v4, s3
	v_add_co_u32_e32 v2, vcc, s2, v2
	v_addc_co_u32_e32 v3, vcc, v4, v3, vcc
	s_mov_b64 s[24:25], 0
	v_mov_b32_e32 v14, s88
	v_mov_b32_e32 v5, 0
	;; [unrolled: 1-line block ×4, first 2 shown]
                                        ; implicit-def: $sgpr26_sgpr27
                                        ; implicit-def: $vgpr6_vgpr7
	s_branch .LBB216_524
.LBB216_522:                            ;   in Loop: Header=BB216_524 Depth=1
	s_or_b64 exec, exec, s[30:31]
	s_orn2_b64 s[34:35], s[34:35], exec
	s_orn2_b64 s[30:31], s[28:29], exec
	s_waitcnt vmcnt(0)
	v_mov_b32_e32 v17, v19
	v_pk_mov_b32 v[0:1], v[8:9], v[8:9] op_sel:[0,1]
.LBB216_523:                            ;   in Loop: Header=BB216_524 Depth=1
	s_or_b64 exec, exec, s[2:3]
	s_xor_b64 s[2:3], s[34:35], -1
	s_and_b64 s[28:29], exec, s[30:31]
	s_or_b64 s[24:25], s[28:29], s[24:25]
	s_andn2_b64 s[26:27], s[26:27], exec
	s_and_b64 s[2:3], s[2:3], exec
	s_or_b64 s[26:27], s[26:27], s[2:3]
	s_andn2_b64 exec, exec, s[24:25]
	s_cbranch_execz .LBB216_540
.LBB216_524:                            ; =>This Inner Loop Header: Depth=1
	v_add_co_u32_e32 v8, vcc, s33, v0
	v_addc_co_u32_e32 v9, vcc, v1, v14, vcc
	v_cmp_gt_u64_e32 vcc, s[56:57], v[8:9]
	s_waitcnt vmcnt(0)
	v_mov_b32_e32 v19, 0
	s_and_saveexec_b64 s[2:3], vcc
	s_cbranch_execz .LBB216_526
; %bb.525:                              ;   in Loop: Header=BB216_524 Depth=1
	global_load_ushort v19, v[2:3], off
.LBB216_526:                            ;   in Loop: Header=BB216_524 Depth=1
	s_or_b64 exec, exec, s[2:3]
	v_cmp_gt_u64_e32 vcc, s[56:57], v[0:1]
	s_mov_b64 s[28:29], 0
	s_and_saveexec_b64 s[2:3], vcc
	s_cbranch_execz .LBB216_528
; %bb.527:                              ;   in Loop: Header=BB216_524 Depth=1
	s_waitcnt vmcnt(0)
	v_cmp_lt_i16_e32 vcc, -1, v17
	v_cndmask_b32_e32 v4, v15, v16, vcc
	v_lshlrev_b32_e32 v12, 16, v17
	v_xor_b32_sdwa v4, v4, v17 dst_sel:DWORD dst_unused:UNUSED_PAD src0_sel:DWORD src1_sel:WORD_0
	v_cmp_o_f32_e32 vcc, v12, v12
	v_cndmask_b32_e32 v4, v15, v4, vcc
	v_cmp_eq_u32_e32 vcc, v4, v18
	s_and_b64 s[28:29], vcc, exec
.LBB216_528:                            ;   in Loop: Header=BB216_524 Depth=1
	s_or_b64 exec, exec, s[2:3]
	v_cndmask_b32_e64 v4, 0, 1, s[28:29]
	v_cmp_ne_u32_e32 vcc, 0, v4
	s_cmp_lg_u64 vcc, 0
	s_cselect_b64 s[2:3], -1, 0
	s_and_b64 s[2:3], s[94:95], s[2:3]
	s_and_saveexec_b64 s[30:31], s[2:3]
	s_cbranch_execz .LBB216_532
; %bb.529:                              ;   in Loop: Header=BB216_524 Depth=1
	s_mov_b64 s[36:37], exec
	v_mbcnt_lo_u32_b32 v4, s36, 0
	v_mbcnt_hi_u32_b32 v12, s37, v4
	s_bcnt1_i32_b64 s40, vcc
	v_cmp_eq_u32_e64 s[2:3], 0, v12
                                        ; implicit-def: $vgpr6_vgpr7
	s_and_saveexec_b64 s[34:35], s[2:3]
	s_cbranch_execz .LBB216_531
; %bb.530:                              ;   in Loop: Header=BB216_524 Depth=1
	s_bcnt1_i32_b64 s2, s[36:37]
	s_mul_i32 s2, s40, s2
	v_mov_b32_e32 v4, s2
	ds_add_rtn_u64 v[6:7], v5, v[4:5] offset:5136
.LBB216_531:                            ;   in Loop: Header=BB216_524 Depth=1
	s_or_b64 exec, exec, s[34:35]
	s_waitcnt lgkmcnt(0)
	v_readfirstlane_b32 s2, v7
	v_readfirstlane_b32 s3, v6
	v_mov_b32_e32 v6, s3
	v_mov_b32_e32 v7, s2
	v_mad_u64_u32 v[6:7], s[2:3], s40, v12, v[6:7]
.LBB216_532:                            ;   in Loop: Header=BB216_524 Depth=1
	s_or_b64 exec, exec, s[30:31]
	ds_bpermute_b32 v6, v32, v6
	ds_bpermute_b32 v7, v32, v7
	s_cmp_eq_u64 vcc, 0
	s_cselect_b64 s[34:35], -1, 0
	s_mov_b64 s[30:31], -1
	s_waitcnt lgkmcnt(0)
	v_cmp_gt_u64_e64 s[2:3], s[58:59], v[6:7]
	s_or_b64 s[36:37], s[34:35], s[2:3]
	s_mov_b64 s[34:35], -1
	s_and_saveexec_b64 s[2:3], s[36:37]
	s_cbranch_execz .LBB216_523
; %bb.533:                              ;   in Loop: Header=BB216_524 Depth=1
	v_and_b32_e32 v12, vcc_lo, v10
	v_and_b32_e32 v4, vcc_hi, v11
	v_bcnt_u32_b32 v12, v12, 0
	v_bcnt_u32_b32 v4, v4, v12
	v_mov_b32_e32 v13, s59
	v_sub_co_u32_e32 v12, vcc, s58, v6
	v_subb_co_u32_e32 v13, vcc, v13, v7, vcc
	v_cmp_gt_u64_e32 vcc, v[12:13], v[4:5]
	s_and_b64 s[40:41], s[28:29], vcc
	s_mov_b64 s[28:29], -1
	s_mov_b64 s[36:37], -1
	s_and_saveexec_b64 s[30:31], s[40:41]
	s_cbranch_execz .LBB216_537
; %bb.534:                              ;   in Loop: Header=BB216_524 Depth=1
	v_add_co_u32_e32 v12, vcc, v6, v4
	v_addc_co_u32_e32 v13, vcc, 0, v7, vcc
	v_cmp_gt_u64_e32 vcc, s[58:59], v[12:13]
	s_mov_b64 s[36:37], 0
	s_and_saveexec_b64 s[34:35], vcc
	s_cbranch_execz .LBB216_536
; %bb.535:                              ;   in Loop: Header=BB216_524 Depth=1
	v_mul_lo_u32 v4, v13, s18
	v_mul_lo_u32 v22, v12, s19
	s_waitcnt vmcnt(0)
	v_mad_u64_u32 v[20:21], s[40:41], v12, s18, 0
	v_add3_u32 v21, v21, v22, v4
	v_mul_lo_u32 v4, v13, s20
	v_mul_lo_u32 v22, v12, s21
	v_mad_u64_u32 v[12:13], s[40:41], v12, s20, 0
	v_lshlrev_b64 v[20:21], 1, v[20:21]
	v_add3_u32 v13, v13, v22, v4
	v_mov_b32_e32 v4, s1
	v_add_co_u32_e32 v20, vcc, s0, v20
	v_addc_co_u32_e32 v21, vcc, v4, v21, vcc
	v_lshlrev_b64 v[12:13], 3, v[12:13]
	v_mov_b32_e32 v4, s39
	v_add_co_u32_e32 v12, vcc, s38, v12
	s_mov_b64 s[36:37], exec
	v_addc_co_u32_e32 v13, vcc, v4, v13, vcc
	global_store_short v[20:21], v17, off
	global_store_dwordx2 v[12:13], v[0:1], off
.LBB216_536:                            ;   in Loop: Header=BB216_524 Depth=1
	s_or_b64 exec, exec, s[34:35]
	s_xor_b64 s[34:35], exec, -1
	s_orn2_b64 s[36:37], s[36:37], exec
.LBB216_537:                            ;   in Loop: Header=BB216_524 Depth=1
	s_or_b64 exec, exec, s[30:31]
	s_and_saveexec_b64 s[30:31], s[36:37]
	s_cbranch_execz .LBB216_522
; %bb.538:                              ;   in Loop: Header=BB216_524 Depth=1
	v_mov_b32_e32 v0, s61
	v_add_co_u32_e32 v2, vcc, s60, v2
	v_addc_co_u32_e32 v3, vcc, v3, v0, vcc
	v_cmp_le_u64_e32 vcc, s[16:17], v[8:9]
	s_or_b64 s[34:35], s[34:35], exec
	s_orn2_b64 s[28:29], vcc, exec
	s_branch .LBB216_522
.LBB216_539:
	s_or_b64 s[6:7], s[6:7], exec
	s_trap 2
	s_branch .LBB216_499
.LBB216_540:
	s_or_b64 exec, exec, s[24:25]
	s_mov_b64 s[0:1], 0
	s_and_saveexec_b64 s[2:3], s[26:27]
	s_xor_b64 s[2:3], exec, s[2:3]
	s_cbranch_execnz .LBB216_546
.LBB216_541:
	s_or_b64 exec, exec, s[2:3]
	s_and_b64 s[2:3], s[0:1], exec
.LBB216_542:
	s_or_b64 exec, exec, s[22:23]
	s_and_b64 s[2:3], s[2:3], exec
	s_andn2_b64 s[4:5], s[4:5], exec
	s_or_b64 exec, exec, s[6:7]
	s_and_saveexec_b64 s[0:1], s[4:5]
	s_xor_b64 s[0:1], exec, s[0:1]
	s_cbranch_execz .LBB216_493
.LBB216_543:
	s_trap 2
	s_or_b64 s[2:3], s[2:3], exec
	s_branch .LBB216_493
.LBB216_544:
	s_or_b64 s[6:7], s[6:7], exec
	s_trap 2
	s_branch .LBB216_497
.LBB216_545:
	s_trap 2
	s_or_b64 s[6:7], s[6:7], exec
	s_branch .LBB216_495
.LBB216_546:
	s_mov_b64 s[0:1], exec
	s_trap 2
	s_branch .LBB216_541
	.section	.rodata,"a",@progbits
	.p2align	6, 0x0
	.amdhsa_kernel _ZN2at6native6sbtopk10gatherTopKIN3c108BFloat16EmLi1ELb0EEEvNS_4cuda6detail10TensorInfoIKT_T0_EESA_SA_bSA_SA_NS7_IS8_SA_EESA_NS7_IlSA_EESA_PS8_
		.amdhsa_group_segment_fixed_size 5152
		.amdhsa_private_segment_fixed_size 0
		.amdhsa_kernarg_size 1568
		.amdhsa_user_sgpr_count 6
		.amdhsa_user_sgpr_private_segment_buffer 1
		.amdhsa_user_sgpr_dispatch_ptr 0
		.amdhsa_user_sgpr_queue_ptr 0
		.amdhsa_user_sgpr_kernarg_segment_ptr 1
		.amdhsa_user_sgpr_dispatch_id 0
		.amdhsa_user_sgpr_flat_scratch_init 0
		.amdhsa_user_sgpr_kernarg_preload_length 0
		.amdhsa_user_sgpr_kernarg_preload_offset 0
		.amdhsa_user_sgpr_private_segment_size 0
		.amdhsa_uses_dynamic_stack 0
		.amdhsa_system_sgpr_private_segment_wavefront_offset 0
		.amdhsa_system_sgpr_workgroup_id_x 1
		.amdhsa_system_sgpr_workgroup_id_y 1
		.amdhsa_system_sgpr_workgroup_id_z 1
		.amdhsa_system_sgpr_workgroup_info 0
		.amdhsa_system_vgpr_workitem_id 0
		.amdhsa_next_free_vgpr 57
		.amdhsa_next_free_sgpr 96
		.amdhsa_accum_offset 60
		.amdhsa_reserve_vcc 1
		.amdhsa_reserve_flat_scratch 0
		.amdhsa_float_round_mode_32 0
		.amdhsa_float_round_mode_16_64 0
		.amdhsa_float_denorm_mode_32 3
		.amdhsa_float_denorm_mode_16_64 3
		.amdhsa_dx10_clamp 1
		.amdhsa_ieee_mode 1
		.amdhsa_fp16_overflow 0
		.amdhsa_tg_split 0
		.amdhsa_exception_fp_ieee_invalid_op 0
		.amdhsa_exception_fp_denorm_src 0
		.amdhsa_exception_fp_ieee_div_zero 0
		.amdhsa_exception_fp_ieee_overflow 0
		.amdhsa_exception_fp_ieee_underflow 0
		.amdhsa_exception_fp_ieee_inexact 0
		.amdhsa_exception_int_div_zero 0
	.end_amdhsa_kernel
	.section	.text._ZN2at6native6sbtopk10gatherTopKIN3c108BFloat16EmLi1ELb0EEEvNS_4cuda6detail10TensorInfoIKT_T0_EESA_SA_bSA_SA_NS7_IS8_SA_EESA_NS7_IlSA_EESA_PS8_,"axG",@progbits,_ZN2at6native6sbtopk10gatherTopKIN3c108BFloat16EmLi1ELb0EEEvNS_4cuda6detail10TensorInfoIKT_T0_EESA_SA_bSA_SA_NS7_IS8_SA_EESA_NS7_IlSA_EESA_PS8_,comdat
.Lfunc_end216:
	.size	_ZN2at6native6sbtopk10gatherTopKIN3c108BFloat16EmLi1ELb0EEEvNS_4cuda6detail10TensorInfoIKT_T0_EESA_SA_bSA_SA_NS7_IS8_SA_EESA_NS7_IlSA_EESA_PS8_, .Lfunc_end216-_ZN2at6native6sbtopk10gatherTopKIN3c108BFloat16EmLi1ELb0EEEvNS_4cuda6detail10TensorInfoIKT_T0_EESA_SA_bSA_SA_NS7_IS8_SA_EESA_NS7_IlSA_EESA_PS8_
                                        ; -- End function
	.section	.AMDGPU.csdata,"",@progbits
; Kernel info:
; codeLenInByte = 27936
; NumSgprs: 100
; NumVgprs: 57
; NumAgprs: 0
; TotalNumVgprs: 57
; ScratchSize: 0
; MemoryBound: 0
; FloatMode: 240
; IeeeMode: 1
; LDSByteSize: 5152 bytes/workgroup (compile time only)
; SGPRBlocks: 12
; VGPRBlocks: 7
; NumSGPRsForWavesPerEU: 100
; NumVGPRsForWavesPerEU: 57
; AccumOffset: 60
; Occupancy: 8
; WaveLimiterHint : 1
; COMPUTE_PGM_RSRC2:SCRATCH_EN: 0
; COMPUTE_PGM_RSRC2:USER_SGPR: 6
; COMPUTE_PGM_RSRC2:TRAP_HANDLER: 0
; COMPUTE_PGM_RSRC2:TGID_X_EN: 1
; COMPUTE_PGM_RSRC2:TGID_Y_EN: 1
; COMPUTE_PGM_RSRC2:TGID_Z_EN: 1
; COMPUTE_PGM_RSRC2:TIDIG_COMP_CNT: 0
; COMPUTE_PGM_RSRC3_GFX90A:ACCUM_OFFSET: 14
; COMPUTE_PGM_RSRC3_GFX90A:TG_SPLIT: 0
	.section	.text._ZN2at6native6mbtopk23computeBlockDigitCountsIN3c108BFloat16EmjLi2EEEvNS_4cuda6detail10TensorInfoIKT_T0_EEjPjjSA_iijT1_PSD_Ps,"axG",@progbits,_ZN2at6native6mbtopk23computeBlockDigitCountsIN3c108BFloat16EmjLi2EEEvNS_4cuda6detail10TensorInfoIKT_T0_EEjPjjSA_iijT1_PSD_Ps,comdat
	.protected	_ZN2at6native6mbtopk23computeBlockDigitCountsIN3c108BFloat16EmjLi2EEEvNS_4cuda6detail10TensorInfoIKT_T0_EEjPjjSA_iijT1_PSD_Ps ; -- Begin function _ZN2at6native6mbtopk23computeBlockDigitCountsIN3c108BFloat16EmjLi2EEEvNS_4cuda6detail10TensorInfoIKT_T0_EEjPjjSA_iijT1_PSD_Ps
	.globl	_ZN2at6native6mbtopk23computeBlockDigitCountsIN3c108BFloat16EmjLi2EEEvNS_4cuda6detail10TensorInfoIKT_T0_EEjPjjSA_iijT1_PSD_Ps
	.p2align	8
	.type	_ZN2at6native6mbtopk23computeBlockDigitCountsIN3c108BFloat16EmjLi2EEEvNS_4cuda6detail10TensorInfoIKT_T0_EEjPjjSA_iijT1_PSD_Ps,@function
_ZN2at6native6mbtopk23computeBlockDigitCountsIN3c108BFloat16EmjLi2EEEvNS_4cuda6detail10TensorInfoIKT_T0_EEjPjjSA_iijT1_PSD_Ps: ; @_ZN2at6native6mbtopk23computeBlockDigitCountsIN3c108BFloat16EmjLi2EEEvNS_4cuda6detail10TensorInfoIKT_T0_EEjPjjSA_iijT1_PSD_Ps
; %bb.0:
	s_load_dwordx4 s[12:15], s[4:5], 0x1c0
	s_load_dword s2, s[4:5], 0x1b0
	s_load_dwordx2 s[0:1], s[4:5], 0x1e0
	s_waitcnt lgkmcnt(0)
	v_cvt_f32_u32_e32 v1, s14
	s_sub_i32 s3, 0, s14
	s_mul_i32 s1, s1, s8
	s_add_i32 s1, s1, s7
	v_rcp_iflag_f32_e32 v1, v1
	s_mul_i32 s18, s1, s0
	s_add_i32 s18, s18, s6
	s_mov_b32 s7, 0
	v_mul_f32_e32 v1, 0x4f7ffffe, v1
	v_cvt_u32_f32_e32 v1, v1
	v_readfirstlane_b32 s0, v1
	s_mul_i32 s3, s3, s0
	s_mul_hi_u32 s1, s0, s3
	s_add_i32 s0, s0, s1
	s_mul_hi_u32 s0, s18, s0
	s_mul_i32 s1, s0, s14
	s_sub_i32 s1, s18, s1
	s_add_i32 s3, s0, 1
	s_sub_i32 s6, s1, s14
	s_cmp_ge_u32 s1, s14
	s_cselect_b32 s0, s3, s0
	s_cselect_b32 s1, s6, s1
	s_add_i32 s3, s0, 1
	s_cmp_ge_u32 s1, s14
	s_cselect_b32 s6, s3, s0
	s_cmp_ge_u32 s6, s2
	s_cbranch_scc1 .LBB217_25
; %bb.1:
	s_load_dwordx4 s[0:3], s[4:5], 0x1d0
	s_load_dwordx2 s[8:9], s[4:5], 0x10
	s_lshl_b64 s[10:11], s[6:7], 2
	s_waitcnt lgkmcnt(0)
	s_add_u32 s0, s0, s10
	v_pk_mov_b32 v[2:3], s[8:9], s[8:9] op_sel:[0,1]
	v_cmp_lt_u64_e32 vcc, s[6:7], v[2:3]
	s_addc_u32 s1, s1, s11
	s_mov_b64 s[10:11], 0
	s_cbranch_vccnz .LBB217_3
; %bb.2:
	v_cvt_f32_u32_e32 v1, s8
	s_sub_i32 s7, 0, s8
	v_rcp_iflag_f32_e32 v1, v1
	v_mul_f32_e32 v1, 0x4f7ffffe, v1
	v_cvt_u32_f32_e32 v1, v1
	v_readfirstlane_b32 s10, v1
	s_mul_i32 s7, s7, s10
	s_mul_hi_u32 s7, s10, s7
	s_add_i32 s10, s10, s7
	s_mul_hi_u32 s7, s6, s10
	s_mul_i32 s11, s7, s8
	s_sub_i32 s11, s6, s11
	s_add_i32 s10, s7, 1
	s_sub_i32 s16, s11, s8
	s_cmp_ge_u32 s11, s8
	s_cselect_b32 s7, s10, s7
	s_cselect_b32 s11, s16, s11
	s_add_i32 s10, s7, 1
	s_cmp_ge_u32 s11, s8
	s_cselect_b32 s10, s10, s7
.LBB217_3:
	s_movk_i32 s7, 0x100
	v_cmp_gt_u32_e32 vcc, s7, v0
	v_lshlrev_b32_e32 v1, 2, v0
	s_and_saveexec_b64 s[16:17], vcc
	s_cbranch_execz .LBB217_5
; %bb.4:
	v_mov_b32_e32 v2, 0
	ds_write_b32 v1, v2
.LBB217_5:
	s_or_b64 exec, exec, s[16:17]
	s_load_dword s16, s[4:5], 0x1a0
	s_mul_i32 s7, s6, s14
	s_sub_i32 s7, s18, s7
	s_add_i32 s11, s7, 1
	s_mul_i32 s7, s13, s7
	s_lshl_b32 s17, s7, 8
	s_waitcnt lgkmcnt(0)
	s_sub_i32 s7, s16, s17
	s_add_u32 s7, s7, 0xff
	s_addc_u32 s19, 0, 0
	v_mov_b32_e32 v2, s7
	v_alignbit_b32 v2, s19, v2, 8
	s_cmp_lt_u32 s11, s14
	v_readfirstlane_b32 s7, v2
	s_cselect_b32 s13, s13, s7
	s_cmp_lt_i32 s13, 1
	s_mov_b32 s7, 0
	s_barrier
	s_cbranch_scc1 .LBB217_21
; %bb.6:
	s_load_dwordx2 s[24:25], s[4:5], 0x0
	s_load_dwordx4 s[20:23], s[4:5], 0xd0
	s_load_dword s11, s[0:1], 0x0
	s_mul_i32 s0, s10, s9
	s_mul_hi_u32 s1, s10, s8
	s_add_i32 s1, s1, s0
	s_mul_i32 s0, s10, s8
	s_sub_u32 s0, s6, s0
	s_subb_u32 s1, 0, s1
	s_waitcnt lgkmcnt(0)
	s_mul_i32 s6, s0, s23
	s_mul_hi_u32 s8, s0, s22
	s_add_i32 s6, s8, s6
	s_mul_i32 s1, s1, s22
	s_add_i32 s1, s6, s1
	s_mul_i32 s6, s10, s21
	s_mul_hi_u32 s8, s10, s20
	s_add_i32 s9, s8, s6
	s_mul_i32 s8, s10, s20
	s_lshl_b64 s[8:9], s[8:9], 1
	s_mul_i32 s0, s0, s22
	s_add_u32 s6, s24, s8
	s_load_dwordx2 s[4:5], s[4:5], 0x1b8
	s_addc_u32 s8, s25, s9
	s_lshl_b64 s[0:1], s[0:1], 1
	s_add_u32 s9, s6, s0
	s_addc_u32 s10, s8, s1
	s_and_b32 s8, s12, 0xff
	s_cmp_eq_u32 s13, 1
	v_add_u32_e32 v2, s17, v0
	s_cbranch_scc1 .LBB217_16
; %bb.7:
	s_and_b32 s12, s13, 0x7ffffffe
	s_mov_b32 s14, 0
	v_mov_b32_e32 v3, 1
	v_mov_b32_e32 v4, 0xffff
	;; [unrolled: 1-line block ×4, first 2 shown]
	s_branch .LBB217_9
.LBB217_8:                              ;   in Loop: Header=BB217_9 Depth=1
	s_or_b64 exec, exec, s[6:7]
	s_add_i32 s14, s14, 2
	s_cmp_eq_u32 s12, s14
	v_add_u32_e32 v6, 0x200, v6
	s_cbranch_scc1 .LBB217_15
.LBB217_9:                              ; =>This Inner Loop Header: Depth=1
	v_cmp_gt_u32_e64 s[0:1], s16, v6
	s_and_saveexec_b64 s[6:7], s[0:1]
	s_cbranch_execz .LBB217_12
; %bb.10:                               ;   in Loop: Header=BB217_9 Depth=1
	s_waitcnt lgkmcnt(0)
	v_mad_u64_u32 v[8:9], s[0:1], v6, s4, 0
	v_mov_b32_e32 v10, v9
	v_mad_u64_u32 v[10:11], s[0:1], v6, s5, v[10:11]
	v_mov_b32_e32 v9, v10
	v_lshlrev_b64 v[8:9], 1, v[8:9]
	v_mov_b32_e32 v7, s10
	v_add_co_u32_e64 v8, s[0:1], s9, v8
	v_addc_co_u32_e64 v9, s[0:1], v7, v9, s[0:1]
	global_load_ushort v7, v[8:9], off
	s_waitcnt vmcnt(0)
	v_cmp_lt_i16_e64 s[0:1], -1, v7
	v_cndmask_b32_e64 v8, v4, v5, s[0:1]
	v_lshlrev_b32_e32 v9, 16, v7
	v_xor_b32_sdwa v7, v8, v7 dst_sel:DWORD dst_unused:UNUSED_PAD src0_sel:DWORD src1_sel:WORD_0
	v_cmp_o_f32_e64 s[0:1], v9, v9
	v_cndmask_b32_e64 v7, v4, v7, s[0:1]
	v_xor_b32_e32 v8, s11, v7
	v_and_b32_e32 v8, s15, v8
	v_cmp_eq_u32_e64 s[0:1], 0, v8
	s_and_b64 exec, exec, s[0:1]
	s_cbranch_execz .LBB217_12
; %bb.11:                               ;   in Loop: Header=BB217_9 Depth=1
	v_bfe_u32 v7, v7, s8, 8
	v_lshlrev_b32_e32 v7, 2, v7
	ds_add_u32 v7, v3
.LBB217_12:                             ;   in Loop: Header=BB217_9 Depth=1
	s_or_b64 exec, exec, s[6:7]
	v_add_u32_e32 v7, 0x100, v6
	v_cmp_gt_u32_e64 s[0:1], s16, v7
	s_and_saveexec_b64 s[6:7], s[0:1]
	s_cbranch_execz .LBB217_8
; %bb.13:                               ;   in Loop: Header=BB217_9 Depth=1
	s_waitcnt lgkmcnt(0)
	v_mad_u64_u32 v[8:9], s[0:1], v7, s4, 0
	v_mov_b32_e32 v10, v9
	v_mad_u64_u32 v[10:11], s[0:1], v7, s5, v[10:11]
	v_mov_b32_e32 v9, v10
	v_lshlrev_b64 v[8:9], 1, v[8:9]
	v_mov_b32_e32 v7, s10
	v_add_co_u32_e64 v8, s[0:1], s9, v8
	v_addc_co_u32_e64 v9, s[0:1], v7, v9, s[0:1]
	global_load_ushort v7, v[8:9], off
	s_waitcnt vmcnt(0)
	v_cmp_lt_i16_e64 s[0:1], -1, v7
	v_cndmask_b32_e64 v8, v4, v5, s[0:1]
	v_lshlrev_b32_e32 v9, 16, v7
	v_xor_b32_sdwa v7, v8, v7 dst_sel:DWORD dst_unused:UNUSED_PAD src0_sel:DWORD src1_sel:WORD_0
	v_cmp_o_f32_e64 s[0:1], v9, v9
	v_cndmask_b32_e64 v7, v4, v7, s[0:1]
	v_xor_b32_e32 v8, s11, v7
	v_and_b32_e32 v8, s15, v8
	v_cmp_eq_u32_e64 s[0:1], 0, v8
	s_and_b64 exec, exec, s[0:1]
	s_cbranch_execz .LBB217_8
; %bb.14:                               ;   in Loop: Header=BB217_9 Depth=1
	v_bfe_u32 v7, v7, s8, 8
	v_lshlrev_b32_e32 v7, 2, v7
	ds_add_u32 v7, v3
	s_branch .LBB217_8
.LBB217_15:
	s_lshl_b32 s7, s12, 8
.LBB217_16:
	s_bitcmp0_b32 s13, 0
	s_cbranch_scc1 .LBB217_21
; %bb.17:
	v_add_u32_e32 v2, s7, v2
	v_cmp_gt_u32_e64 s[0:1], s16, v2
	s_and_saveexec_b64 s[6:7], s[0:1]
	s_cbranch_execz .LBB217_20
; %bb.18:
	s_waitcnt lgkmcnt(0)
	v_mad_u64_u32 v[4:5], s[0:1], v2, s4, 0
	v_mov_b32_e32 v6, v5
	v_mad_u64_u32 v[2:3], s[0:1], v2, s5, v[6:7]
	v_mov_b32_e32 v5, v2
	v_lshlrev_b64 v[2:3], 1, v[4:5]
	v_mov_b32_e32 v4, s10
	v_add_co_u32_e64 v2, s[0:1], s9, v2
	v_addc_co_u32_e64 v3, s[0:1], v4, v3, s[0:1]
	global_load_ushort v2, v[2:3], off
	v_mov_b32_e32 v3, 0xffff
	v_mov_b32_e32 v4, 0x8000
	s_waitcnt vmcnt(0)
	v_cmp_lt_i16_e64 s[0:1], -1, v2
	v_cndmask_b32_e64 v4, v3, v4, s[0:1]
	v_lshlrev_b32_e32 v5, 16, v2
	v_xor_b32_sdwa v2, v4, v2 dst_sel:DWORD dst_unused:UNUSED_PAD src0_sel:DWORD src1_sel:WORD_0
	v_cmp_o_f32_e64 s[0:1], v5, v5
	v_cndmask_b32_e64 v2, v3, v2, s[0:1]
	v_xor_b32_e32 v3, s11, v2
	v_and_b32_e32 v3, s15, v3
	v_cmp_eq_u32_e64 s[0:1], 0, v3
	s_and_b64 exec, exec, s[0:1]
	s_cbranch_execz .LBB217_20
; %bb.19:
	v_bfe_u32 v2, v2, s8, 8
	v_lshlrev_b32_e32 v2, 2, v2
	v_mov_b32_e32 v3, 1
	ds_add_u32 v2, v3
.LBB217_20:
	s_or_b64 exec, exec, s[6:7]
.LBB217_21:
	v_mov_b32_e32 v2, 0
	s_waitcnt lgkmcnt(0)
	s_barrier
	s_and_saveexec_b64 s[0:1], vcc
	s_cbranch_execz .LBB217_23
; %bb.22:
	ds_read_b32 v2, v1
.LBB217_23:
	s_or_b64 exec, exec, s[0:1]
	s_and_saveexec_b64 s[0:1], vcc
	s_cbranch_execz .LBB217_25
; %bb.24:
	v_lshl_or_b32 v0, s18, 8, v0
	v_mov_b32_e32 v1, 0
	v_lshlrev_b64 v[0:1], 1, v[0:1]
	v_mov_b32_e32 v3, s3
	v_add_co_u32_e32 v0, vcc, s2, v0
	v_addc_co_u32_e32 v1, vcc, v3, v1, vcc
	s_waitcnt lgkmcnt(0)
	global_store_short v[0:1], v2, off
.LBB217_25:
	s_endpgm
	.section	.rodata,"a",@progbits
	.p2align	6, 0x0
	.amdhsa_kernel _ZN2at6native6mbtopk23computeBlockDigitCountsIN3c108BFloat16EmjLi2EEEvNS_4cuda6detail10TensorInfoIKT_T0_EEjPjjSA_iijT1_PSD_Ps
		.amdhsa_group_segment_fixed_size 1024
		.amdhsa_private_segment_fixed_size 0
		.amdhsa_kernarg_size 736
		.amdhsa_user_sgpr_count 6
		.amdhsa_user_sgpr_private_segment_buffer 1
		.amdhsa_user_sgpr_dispatch_ptr 0
		.amdhsa_user_sgpr_queue_ptr 0
		.amdhsa_user_sgpr_kernarg_segment_ptr 1
		.amdhsa_user_sgpr_dispatch_id 0
		.amdhsa_user_sgpr_flat_scratch_init 0
		.amdhsa_user_sgpr_kernarg_preload_length 0
		.amdhsa_user_sgpr_kernarg_preload_offset 0
		.amdhsa_user_sgpr_private_segment_size 0
		.amdhsa_uses_dynamic_stack 0
		.amdhsa_system_sgpr_private_segment_wavefront_offset 0
		.amdhsa_system_sgpr_workgroup_id_x 1
		.amdhsa_system_sgpr_workgroup_id_y 1
		.amdhsa_system_sgpr_workgroup_id_z 1
		.amdhsa_system_sgpr_workgroup_info 0
		.amdhsa_system_vgpr_workitem_id 0
		.amdhsa_next_free_vgpr 12
		.amdhsa_next_free_sgpr 26
		.amdhsa_accum_offset 12
		.amdhsa_reserve_vcc 1
		.amdhsa_reserve_flat_scratch 0
		.amdhsa_float_round_mode_32 0
		.amdhsa_float_round_mode_16_64 0
		.amdhsa_float_denorm_mode_32 3
		.amdhsa_float_denorm_mode_16_64 3
		.amdhsa_dx10_clamp 1
		.amdhsa_ieee_mode 1
		.amdhsa_fp16_overflow 0
		.amdhsa_tg_split 0
		.amdhsa_exception_fp_ieee_invalid_op 0
		.amdhsa_exception_fp_denorm_src 0
		.amdhsa_exception_fp_ieee_div_zero 0
		.amdhsa_exception_fp_ieee_overflow 0
		.amdhsa_exception_fp_ieee_underflow 0
		.amdhsa_exception_fp_ieee_inexact 0
		.amdhsa_exception_int_div_zero 0
	.end_amdhsa_kernel
	.section	.text._ZN2at6native6mbtopk23computeBlockDigitCountsIN3c108BFloat16EmjLi2EEEvNS_4cuda6detail10TensorInfoIKT_T0_EEjPjjSA_iijT1_PSD_Ps,"axG",@progbits,_ZN2at6native6mbtopk23computeBlockDigitCountsIN3c108BFloat16EmjLi2EEEvNS_4cuda6detail10TensorInfoIKT_T0_EEjPjjSA_iijT1_PSD_Ps,comdat
.Lfunc_end217:
	.size	_ZN2at6native6mbtopk23computeBlockDigitCountsIN3c108BFloat16EmjLi2EEEvNS_4cuda6detail10TensorInfoIKT_T0_EEjPjjSA_iijT1_PSD_Ps, .Lfunc_end217-_ZN2at6native6mbtopk23computeBlockDigitCountsIN3c108BFloat16EmjLi2EEEvNS_4cuda6detail10TensorInfoIKT_T0_EEjPjjSA_iijT1_PSD_Ps
                                        ; -- End function
	.section	.AMDGPU.csdata,"",@progbits
; Kernel info:
; codeLenInByte = 1268
; NumSgprs: 30
; NumVgprs: 12
; NumAgprs: 0
; TotalNumVgprs: 12
; ScratchSize: 0
; MemoryBound: 0
; FloatMode: 240
; IeeeMode: 1
; LDSByteSize: 1024 bytes/workgroup (compile time only)
; SGPRBlocks: 3
; VGPRBlocks: 1
; NumSGPRsForWavesPerEU: 30
; NumVGPRsForWavesPerEU: 12
; AccumOffset: 12
; Occupancy: 8
; WaveLimiterHint : 1
; COMPUTE_PGM_RSRC2:SCRATCH_EN: 0
; COMPUTE_PGM_RSRC2:USER_SGPR: 6
; COMPUTE_PGM_RSRC2:TRAP_HANDLER: 0
; COMPUTE_PGM_RSRC2:TGID_X_EN: 1
; COMPUTE_PGM_RSRC2:TGID_Y_EN: 1
; COMPUTE_PGM_RSRC2:TGID_Z_EN: 1
; COMPUTE_PGM_RSRC2:TIDIG_COMP_CNT: 0
; COMPUTE_PGM_RSRC3_GFX90A:ACCUM_OFFSET: 2
; COMPUTE_PGM_RSRC3_GFX90A:TG_SPLIT: 0
	.section	.text._ZN2at6native6mbtopk10gatherTopKIN3c108BFloat16EmLi2EEEvNS_4cuda6detail10TensorInfoIKT_T0_EESA_SA_bjSA_NS7_IS8_SA_EESA_NS7_IlSA_EESA_jjPS8_PjSF_j,"axG",@progbits,_ZN2at6native6mbtopk10gatherTopKIN3c108BFloat16EmLi2EEEvNS_4cuda6detail10TensorInfoIKT_T0_EESA_SA_bjSA_NS7_IS8_SA_EESA_NS7_IlSA_EESA_jjPS8_PjSF_j,comdat
	.protected	_ZN2at6native6mbtopk10gatherTopKIN3c108BFloat16EmLi2EEEvNS_4cuda6detail10TensorInfoIKT_T0_EESA_SA_bjSA_NS7_IS8_SA_EESA_NS7_IlSA_EESA_jjPS8_PjSF_j ; -- Begin function _ZN2at6native6mbtopk10gatherTopKIN3c108BFloat16EmLi2EEEvNS_4cuda6detail10TensorInfoIKT_T0_EESA_SA_bjSA_NS7_IS8_SA_EESA_NS7_IlSA_EESA_jjPS8_PjSF_j
	.globl	_ZN2at6native6mbtopk10gatherTopKIN3c108BFloat16EmLi2EEEvNS_4cuda6detail10TensorInfoIKT_T0_EESA_SA_bjSA_NS7_IS8_SA_EESA_NS7_IlSA_EESA_jjPS8_PjSF_j
	.p2align	8
	.type	_ZN2at6native6mbtopk10gatherTopKIN3c108BFloat16EmLi2EEEvNS_4cuda6detail10TensorInfoIKT_T0_EESA_SA_bjSA_NS7_IS8_SA_EESA_NS7_IlSA_EESA_jjPS8_PjSF_j,@function
_ZN2at6native6mbtopk10gatherTopKIN3c108BFloat16EmLi2EEEvNS_4cuda6detail10TensorInfoIKT_T0_EESA_SA_bjSA_NS7_IS8_SA_EESA_NS7_IlSA_EESA_jjPS8_PjSF_j: ; @_ZN2at6native6mbtopk10gatherTopKIN3c108BFloat16EmLi2EEEvNS_4cuda6detail10TensorInfoIKT_T0_EESA_SA_bjSA_NS7_IS8_SA_EESA_NS7_IlSA_EESA_jjPS8_PjSF_j
; %bb.0:
	s_load_dwordx2 s[0:1], s[4:5], 0x538
	s_load_dword s2, s[4:5], 0x530
	s_waitcnt lgkmcnt(0)
	s_mul_i32 s1, s1, s8
	s_add_i32 s1, s1, s7
	s_mul_i32 s0, s1, s0
	s_add_i32 s0, s0, s6
	s_cmp_ge_u32 s0, s2
	s_cbranch_scc1 .LBB218_48
; %bb.1:
	s_load_dwordx2 s[34:35], s[4:5], 0x510
	s_load_dwordx2 s[38:39], s[4:5], 0x1d0
	s_load_dwordx4 s[8:11], s[4:5], 0x1a0
	s_load_dwordx2 s[36:37], s[4:5], 0x10
	s_mov_b32 s7, 0
	s_waitcnt lgkmcnt(0)
	v_cvt_f32_u32_e32 v1, s35
	s_sub_i32 s2, 0, s35
	s_lshl_b32 s1, s34, 8
	v_rcp_iflag_f32_e32 v1, v1
	v_mul_f32_e32 v1, 0x4f7ffffe, v1
	v_cvt_u32_f32_e32 v1, v1
	v_readfirstlane_b32 s3, v1
	s_mul_i32 s2, s2, s3
	s_mul_hi_u32 s2, s3, s2
	s_add_i32 s3, s3, s2
	s_mul_hi_u32 s2, s0, s3
	s_mul_i32 s3, s2, s35
	s_sub_i32 s3, s0, s3
	s_add_i32 s6, s2, 1
	s_sub_i32 s12, s3, s35
	s_cmp_ge_u32 s3, s35
	s_cselect_b32 s2, s6, s2
	s_cselect_b32 s3, s12, s3
	s_add_i32 s6, s2, 1
	s_cmp_ge_u32 s3, s35
	s_cselect_b32 s6, s6, s2
	s_mul_i32 s20, s6, s35
	s_sub_i32 s28, s0, s20
	s_add_i32 s0, s28, 1
	s_cmp_lt_u32 s0, s35
	s_mul_i32 s33, s28, s1
	s_cbranch_scc1 .LBB218_3
; %bb.2:
	s_sub_u32 s0, s8, s33
	s_subb_u32 s1, s9, 0
	s_add_u32 s0, s0, 0xff
	s_addc_u32 s1, s1, 0
	s_ashr_i32 s2, s1, 31
	s_lshr_b32 s2, s2, 24
	s_add_u32 s0, s0, s2
	s_addc_u32 s1, s1, 0
	v_mov_b32_e32 v1, s0
	v_alignbit_b32 v1, s1, v1, 8
	v_readfirstlane_b32 s34, v1
.LBB218_3:
	s_load_dwordx2 s[40:41], s[4:5], 0x378
	v_pk_mov_b32 v[2:3], s[36:37], s[36:37] op_sel:[0,1]
	v_cmp_lt_u64_e32 vcc, s[6:7], v[2:3]
	s_mov_b64 s[44:45], 0
	s_mov_b64 s[42:43], 0
	s_cbranch_vccnz .LBB218_5
; %bb.4:
	v_cvt_f32_u32_e32 v1, s36
	s_sub_i32 s0, 0, s36
	v_rcp_iflag_f32_e32 v1, v1
	v_mul_f32_e32 v1, 0x4f7ffffe, v1
	v_cvt_u32_f32_e32 v1, v1
	v_readfirstlane_b32 s1, v1
	s_mul_i32 s0, s0, s1
	s_mul_hi_u32 s0, s1, s0
	s_add_i32 s1, s1, s0
	s_mul_hi_u32 s0, s6, s1
	s_mul_i32 s2, s0, s36
	s_sub_i32 s2, s6, s2
	s_add_i32 s1, s0, 1
	s_sub_i32 s3, s2, s36
	s_cmp_ge_u32 s2, s36
	s_cselect_b32 s0, s1, s0
	s_cselect_b32 s2, s3, s2
	s_add_i32 s1, s0, 1
	s_cmp_ge_u32 s2, s36
	s_cselect_b32 s42, s1, s0
.LBB218_5:
	v_pk_mov_b32 v[2:3], s[38:39], s[38:39] op_sel:[0,1]
	v_cmp_lt_u64_e32 vcc, s[6:7], v[2:3]
	s_cbranch_vccnz .LBB218_7
; %bb.6:
	v_cvt_f32_u32_e32 v1, s38
	s_sub_i32 s0, 0, s38
	v_rcp_iflag_f32_e32 v1, v1
	v_mul_f32_e32 v1, 0x4f7ffffe, v1
	v_cvt_u32_f32_e32 v1, v1
	v_readfirstlane_b32 s1, v1
	s_mul_i32 s0, s0, s1
	s_mul_hi_u32 s0, s1, s0
	s_add_i32 s1, s1, s0
	s_mul_hi_u32 s0, s6, s1
	s_mul_i32 s2, s0, s38
	s_sub_i32 s2, s6, s2
	s_add_i32 s1, s0, 1
	s_sub_i32 s3, s2, s38
	s_cmp_ge_u32 s2, s38
	s_cselect_b32 s0, s1, s0
	s_cselect_b32 s2, s3, s2
	s_add_i32 s1, s0, 1
	s_cmp_ge_u32 s2, s38
	s_cselect_b32 s44, s1, s0
.LBB218_7:
	s_waitcnt lgkmcnt(0)
	v_pk_mov_b32 v[2:3], s[40:41], s[40:41] op_sel:[0,1]
	v_cmp_lt_u64_e32 vcc, s[6:7], v[2:3]
	s_mov_b64 s[46:47], 0
	s_cbranch_vccnz .LBB218_9
; %bb.8:
	v_cvt_f32_u32_e32 v1, s40
	s_sub_i32 s0, 0, s40
	v_rcp_iflag_f32_e32 v1, v1
	v_mul_f32_e32 v1, 0x4f7ffffe, v1
	v_cvt_u32_f32_e32 v1, v1
	v_readfirstlane_b32 s1, v1
	s_mul_i32 s0, s0, s1
	s_mul_hi_u32 s0, s1, s0
	s_add_i32 s1, s1, s0
	s_mul_hi_u32 s0, s6, s1
	s_mul_i32 s2, s0, s40
	s_sub_i32 s2, s6, s2
	s_add_i32 s1, s0, 1
	s_sub_i32 s3, s2, s40
	s_cmp_ge_u32 s2, s40
	s_cselect_b32 s0, s1, s0
	s_cselect_b32 s2, s3, s2
	s_add_i32 s1, s0, 1
	s_cmp_ge_u32 s2, s40
	s_cselect_b32 s46, s1, s0
.LBB218_9:
	s_load_dwordx4 s[12:15], s[4:5], 0x518
	s_load_dwordx2 s[48:49], s[4:5], 0x0
	s_lshl_b64 s[0:1], s[6:7], 1
	v_mov_b32_e32 v1, 0
	s_mov_b32 s21, 0
	s_waitcnt lgkmcnt(0)
	s_add_u32 s0, s12, s0
	s_addc_u32 s1, s13, s1
	global_load_ushort v1, v1, s[0:1]
	v_cmp_ne_u32_e64 s[0:1], 0, v0
	v_cmp_eq_u32_e64 s[2:3], 0, v0
	s_waitcnt vmcnt(0)
	v_readfirstlane_b32 s7, v1
	s_and_saveexec_b64 s[12:13], s[2:3]
	s_cbranch_execz .LBB218_25
; %bb.10:
	s_load_dwordx2 s[22:23], s[4:5], 0x528
	s_lshl_b64 s[24:25], s[20:21], 2
	s_add_u32 s16, s14, s24
	s_addc_u32 s17, s15, s25
	s_mov_b32 s20, 0
	s_waitcnt lgkmcnt(0)
	s_add_u32 s18, s22, s24
	s_addc_u32 s19, s23, s25
	s_mov_b32 s29, 0
	s_cmp_lt_u32 s35, 4
	s_cbranch_scc1 .LBB218_22
; %bb.11:
	s_mov_b32 s30, 0
.LBB218_12:                             ; =>This Inner Loop Header: Depth=1
	s_add_u32 s16, s14, s24
	s_addc_u32 s17, s15, s25
	s_load_dwordx4 s[16:19], s[16:17], 0x0
	s_add_u32 s26, s22, s24
	s_addc_u32 s27, s23, s25
	s_cmp_ge_u32 s30, s28
	s_cbranch_scc0 .LBB218_19
; %bb.13:                               ;   in Loop: Header=BB218_12 Depth=1
	s_add_i32 s31, s30, 1
	s_cmp_ge_u32 s31, s28
	s_cbranch_scc0 .LBB218_20
.LBB218_14:                             ;   in Loop: Header=BB218_12 Depth=1
	s_add_i32 s31, s31, 1
	s_cmp_ge_u32 s31, s28
	s_cbranch_scc0 .LBB218_21
.LBB218_15:                             ;   in Loop: Header=BB218_12 Depth=1
	s_add_i32 s31, s31, 1
	s_cmp_ge_u32 s31, s28
	s_cbranch_scc1 .LBB218_17
.LBB218_16:                             ;   in Loop: Header=BB218_12 Depth=1
	s_load_dword s26, s[26:27], 0xc
	s_waitcnt lgkmcnt(0)
	s_add_i32 s21, s21, s19
	s_add_i32 s20, s26, s20
.LBB218_17:                             ;   in Loop: Header=BB218_12 Depth=1
	s_waitcnt lgkmcnt(0)
	s_add_i32 s16, s16, s29
	s_add_i32 s16, s16, s17
	;; [unrolled: 1-line block ×4, first 2 shown]
	s_add_u32 s14, s14, 16
	s_addc_u32 s15, s15, 0
	s_add_u32 s22, s22, 16
	s_addc_u32 s23, s23, 0
	s_add_i32 s27, s31, 4
	s_add_u32 s18, s22, s24
	s_addc_u32 s19, s23, s25
	s_add_u32 s16, s14, s24
	s_addc_u32 s17, s15, s25
	s_add_i32 s26, s31, 1
	s_cmp_ge_u32 s27, s35
	s_cbranch_scc1 .LBB218_23
; %bb.18:                               ;   in Loop: Header=BB218_12 Depth=1
	s_mov_b32 s30, s26
	s_branch .LBB218_12
.LBB218_19:                             ;   in Loop: Header=BB218_12 Depth=1
	s_load_dword s31, s[26:27], 0x0
	s_waitcnt lgkmcnt(0)
	s_add_i32 s21, s16, s21
	s_add_i32 s20, s31, s20
	;; [unrolled: 1-line block ×3, first 2 shown]
	s_cmp_ge_u32 s31, s28
	s_cbranch_scc1 .LBB218_14
.LBB218_20:                             ;   in Loop: Header=BB218_12 Depth=1
	s_load_dword s43, s[26:27], 0x4
	s_waitcnt lgkmcnt(0)
	s_add_i32 s21, s21, s17
	s_add_i32 s20, s43, s20
	;; [unrolled: 1-line block ×3, first 2 shown]
	s_cmp_ge_u32 s31, s28
	s_cbranch_scc1 .LBB218_15
.LBB218_21:                             ;   in Loop: Header=BB218_12 Depth=1
	s_load_dword s43, s[26:27], 0x8
	s_waitcnt lgkmcnt(0)
	s_add_i32 s21, s21, s18
	s_add_i32 s20, s43, s20
	;; [unrolled: 1-line block ×3, first 2 shown]
	s_cmp_ge_u32 s31, s28
	s_cbranch_scc0 .LBB218_16
	s_branch .LBB218_17
.LBB218_22:
	s_mov_b32 s14, 0
	s_cmp_ge_u32 s14, s35
	s_cbranch_scc0 .LBB218_46
	s_branch .LBB218_24
.LBB218_23:
	s_add_i32 s14, s30, 4
	s_cmp_ge_u32 s14, s35
	s_cbranch_scc0 .LBB218_46
.LBB218_24:
	v_mov_b32_e32 v2, s20
	v_mov_b32_e32 v3, s29
	;; [unrolled: 1-line block ×4, first 2 shown]
	ds_write_b96 v1, v[2:4] offset:1056
.LBB218_25:
	s_or_b64 exec, exec, s[12:13]
	s_load_dwordx4 s[12:15], s[4:5], 0x1b8
	s_load_dwordx4 s[24:27], s[4:5], 0xd0
	;; [unrolled: 1-line block ×5, first 2 shown]
	s_cmp_eq_u32 s34, 0
	s_waitcnt lgkmcnt(0)
	s_barrier
	s_cbranch_scc1 .LBB218_48
; %bb.26:
	s_mul_i32 s35, s44, s39
	s_mul_hi_u32 s39, s44, s38
	s_add_i32 s39, s39, s35
	s_mul_i32 s35, s44, s38
	s_sub_u32 s35, s6, s35
	s_subb_u32 s38, 0, s39
	s_mul_i32 s31, s35, s31
	s_mul_hi_u32 s39, s35, s30
	s_mul_i32 s38, s38, s30
	s_mul_i32 s30, s35, s30
	;; [unrolled: 1-line block ×3, first 2 shown]
	s_mul_hi_u32 s35, s44, s28
	s_add_i32 s31, s39, s31
	s_add_i32 s29, s35, s29
	s_mul_i32 s35, s42, s37
	s_mul_hi_u32 s37, s42, s36
	s_add_i32 s31, s31, s38
	s_add_i32 s37, s37, s35
	s_mul_i32 s35, s42, s36
	s_sub_u32 s35, s6, s35
	s_subb_u32 s36, 0, s37
	s_mul_i32 s27, s35, s27
	s_mul_hi_u32 s37, s35, s26
	s_add_i32 s27, s37, s27
	s_mul_i32 s36, s36, s26
	s_mul_i32 s26, s35, s26
	;; [unrolled: 1-line block ×3, first 2 shown]
	s_mul_hi_u32 s35, s42, s24
	s_add_i32 s27, s27, s36
	s_add_i32 s25, s35, s25
	s_mul_i32 s35, s46, s41
	s_mul_hi_u32 s36, s46, s40
	s_add_i32 s36, s36, s35
	s_mul_i32 s35, s46, s40
	s_sub_u32 s6, s6, s35
	s_subb_u32 s35, 0, s36
	s_mul_i32 s23, s6, s23
	s_mul_hi_u32 s36, s6, s22
	s_mul_i32 s24, s42, s24
	s_add_i32 s23, s36, s23
	s_mul_i32 s35, s35, s22
	s_mul_i32 s36, s6, s22
	;; [unrolled: 1-line block ×3, first 2 shown]
	s_mul_hi_u32 s21, s46, s20
	s_add_i32 s37, s23, s35
	s_add_i32 s39, s21, s6
	s_mul_i32 s38, s46, s20
	s_lshl_b64 s[20:21], s[24:25], 1
	s_add_u32 s6, s48, s20
	s_addc_u32 s22, s49, s21
	s_lshl_b64 s[20:21], s[26:27], 1
	s_mul_i32 s28, s44, s28
	s_add_u32 s20, s6, s20
	s_addc_u32 s21, s22, s21
	s_lshl_b64 s[22:23], s[28:29], 1
	s_add_u32 s6, s14, s22
	s_addc_u32 s23, s15, s23
	s_lshl_b64 s[14:15], s[30:31], 1
	;; [unrolled: 3-line block ×4, first 2 shown]
	s_add_u32 s24, s6, s14
	v_mov_b32_e32 v1, 0
	s_addc_u32 s25, s18, s15
	s_and_b32 s14, 0xffff, s7
	s_sext_i32_i16 s6, s7
	ds_read_b96 v[2:4], v1 offset:1056
	s_cmp_gt_i32 s6, -1
	s_mov_b32 s6, 0x8000
	s_cselect_b32 s15, s6, 0xffff
	s_lshl_b32 s6, s7, 16
	v_cmp_o_f32_e64 s[6:7], s6, s6
	s_xor_b32 s14, s15, s14
	s_and_b64 s[6:7], s[6:7], exec
	s_load_dword s6, s[4:5], 0x1b0
	s_waitcnt lgkmcnt(0)
	v_add_u32_e32 v2, v2, v3
	v_lshrrev_b32_e32 v3, 5, v0
	v_add_lshl_u32 v5, v3, v0, 2
	v_lshlrev_b32_e32 v3, 2, v0
	v_lshrrev_b32_e32 v6, 3, v0
	s_cselect_b32 s26, s14, 0xffff
	s_load_dwordx2 s[14:15], s[4:5], 0x508
	v_add_lshl_u32 v8, v6, v3, 2
	v_add_u32_e32 v3, -1, v0
	v_lshrrev_b32_e32 v6, 5, v3
	v_add_lshl_u32 v9, v6, v3, 2
	v_mbcnt_lo_u32_b32 v3, -1, 0
	s_bitcmp1_b32 s6, 0
	v_mbcnt_hi_u32_b32 v12, -1, v3
	s_cselect_b64 s[4:5], -1, 0
	v_cmp_gt_u32_e64 s[6:7], 64, v0
	v_add_u32_e32 v0, s33, v0
	v_mov_b32_e32 v10, 0xffff
	v_mov_b32_e32 v11, 0x8000
	v_and_b32_e32 v13, 15, v12
	v_bfe_i32 v14, v12, 4, 1
	v_add_u32_e32 v15, -1, v12
	v_and_b32_e32 v16, 64, v12
                                        ; implicit-def: $vgpr17
	s_branch .LBB218_29
.LBB218_27:                             ;   in Loop: Header=BB218_29 Depth=1
	s_or_b64 exec, exec, s[18:19]
	v_add_u32_e32 v2, v3, v2
.LBB218_28:                             ;   in Loop: Header=BB218_29 Depth=1
	s_add_i32 s34, s34, -1
	v_add_u32_e32 v4, v18, v4
	s_cmp_lg_u32 s34, 0
	v_add_u32_e32 v0, 0x100, v0
	s_cbranch_scc0 .LBB218_48
.LBB218_29:                             ; =>This Inner Loop Header: Depth=1
	v_cmp_gt_u64_e32 vcc, s[8:9], v[0:1]
	v_mov_b32_e32 v3, v1
	v_mov_b32_e32 v6, v1
	s_and_saveexec_b64 s[18:19], vcc
	s_cbranch_execz .LBB218_31
; %bb.30:                               ;   in Loop: Header=BB218_29 Depth=1
	v_mad_u64_u32 v[6:7], s[28:29], v0, s12, 0
	v_mov_b32_e32 v18, v7
	v_mad_u64_u32 v[18:19], s[28:29], v0, s13, v[18:19]
	v_mov_b32_e32 v7, v18
	v_lshlrev_b64 v[6:7], 1, v[6:7]
	v_mov_b32_e32 v3, s21
	v_add_co_u32_e32 v6, vcc, s20, v6
	v_addc_co_u32_e32 v7, vcc, v3, v7, vcc
	global_load_ushort v17, v[6:7], off
	s_waitcnt vmcnt(0)
	v_cmp_lt_i16_e32 vcc, -1, v17
	v_cndmask_b32_e32 v3, v10, v11, vcc
	v_lshlrev_b32_e32 v6, 16, v17
	v_xor_b32_sdwa v3, v3, v17 dst_sel:DWORD dst_unused:UNUSED_PAD src0_sel:DWORD src1_sel:WORD_0
	v_cmp_o_f32_e32 vcc, v6, v6
	v_cndmask_b32_e32 v6, v10, v3, vcc
	v_cmp_lt_u32_e32 vcc, s26, v6
	v_cndmask_b32_e64 v3, 0, 1, vcc
	v_cmp_gt_u32_e32 vcc, s26, v6
	v_cndmask_b32_e64 v7, 0, 1, vcc
	v_cndmask_b32_e64 v3, v7, v3, s[4:5]
	v_cmp_eq_u32_e32 vcc, s26, v6
	v_and_b32_e32 v3, 1, v3
	v_cndmask_b32_e64 v6, 0, 1, vcc
.LBB218_31:                             ;   in Loop: Header=BB218_29 Depth=1
	s_or_b64 exec, exec, s[18:19]
	ds_write_b32 v5, v3
	s_waitcnt lgkmcnt(0)
	s_barrier
	s_and_saveexec_b64 s[18:19], s[6:7]
	s_cbranch_execz .LBB218_33
; %bb.32:                               ;   in Loop: Header=BB218_29 Depth=1
	ds_read2_b32 v[18:19], v8 offset1:1
	ds_read2_b32 v[20:21], v8 offset0:2 offset1:3
	v_cmp_ne_u32_e32 vcc, 0, v13
	; wave barrier
	s_waitcnt lgkmcnt(1)
	v_add_u32_e32 v7, v19, v18
	s_waitcnt lgkmcnt(0)
	v_add3_u32 v7, v7, v20, v21
	s_nop 1
	v_mov_b32_dpp v19, v7 row_shr:1 row_mask:0xf bank_mask:0xf
	v_cndmask_b32_e32 v19, 0, v19, vcc
	v_add_u32_e32 v7, v19, v7
	v_cmp_lt_u32_e32 vcc, 1, v13
	s_nop 0
	v_mov_b32_dpp v19, v7 row_shr:2 row_mask:0xf bank_mask:0xf
	v_cndmask_b32_e32 v19, 0, v19, vcc
	v_add_u32_e32 v7, v7, v19
	v_cmp_lt_u32_e32 vcc, 3, v13
	;; [unrolled: 5-line block ×4, first 2 shown]
	s_nop 0
	v_mov_b32_dpp v19, v7 row_bcast:15 row_mask:0xf bank_mask:0xf
	v_and_b32_e32 v19, v14, v19
	v_add_u32_e32 v7, v7, v19
	s_nop 1
	v_mov_b32_dpp v19, v7 row_bcast:31 row_mask:0xf bank_mask:0xf
	v_cndmask_b32_e32 v19, 0, v19, vcc
	v_cmp_lt_i32_e32 vcc, v15, v16
	v_add_u32_e32 v7, v7, v19
	v_cndmask_b32_e32 v19, v15, v12, vcc
	v_lshlrev_b32_e32 v19, 2, v19
	ds_bpermute_b32 v7, v19, v7
	s_waitcnt lgkmcnt(0)
	v_add_u32_e32 v7, v7, v18
	v_cndmask_b32_e64 v7, v7, v3, s[2:3]
	ds_write_b32 v8, v7
	; wave barrier
	ds_read2_b32 v[18:19], v8 offset0:1 offset1:2
	ds_read_b32 v20, v8 offset:12
	s_waitcnt lgkmcnt(1)
	v_add_u32_e32 v7, v18, v7
	v_add_u32_e32 v18, v19, v7
	ds_write2_b32 v8, v7, v18 offset0:1 offset1:2
	s_waitcnt lgkmcnt(1)
	v_add_u32_e32 v7, v20, v18
	ds_write_b32 v8, v7 offset:12
.LBB218_33:                             ;   in Loop: Header=BB218_29 Depth=1
	s_or_b64 exec, exec, s[18:19]
	v_mov_b32_e32 v7, 0
	s_waitcnt lgkmcnt(0)
	s_barrier
	s_and_saveexec_b64 s[18:19], s[0:1]
	s_cbranch_execz .LBB218_35
; %bb.34:                               ;   in Loop: Header=BB218_29 Depth=1
	ds_read_b32 v7, v9
.LBB218_35:                             ;   in Loop: Header=BB218_29 Depth=1
	s_or_b64 exec, exec, s[18:19]
	ds_read_b32 v18, v1 offset:1048
	v_cmp_ne_u32_e32 vcc, 0, v3
	s_waitcnt lgkmcnt(0)
	s_barrier
	s_and_saveexec_b64 s[18:19], vcc
	s_cbranch_execz .LBB218_37
; %bb.36:                               ;   in Loop: Header=BB218_29 Depth=1
	v_add_u32_e32 v3, v7, v4
	v_mad_u64_u32 v[20:21], s[28:29], v3, s16, 0
	v_mov_b32_e32 v22, v21
	v_mad_u64_u32 v[22:23], s[28:29], v3, s17, v[22:23]
	v_mov_b32_e32 v21, v22
	v_lshlrev_b64 v[20:21], 1, v[20:21]
	v_mov_b32_e32 v7, s23
	v_add_co_u32_e32 v20, vcc, s22, v20
	v_addc_co_u32_e32 v21, vcc, v7, v21, vcc
	global_store_short v[20:21], v17, off
	v_mad_u64_u32 v[20:21], s[28:29], v3, s14, 0
	v_mov_b32_e32 v22, v21
	v_mad_u64_u32 v[22:23], s[28:29], v3, s15, v[22:23]
	v_mov_b32_e32 v21, v22
	v_lshlrev_b64 v[20:21], 3, v[20:21]
	v_mov_b32_e32 v3, s25
	v_add_co_u32_e32 v20, vcc, s24, v20
	v_addc_co_u32_e32 v21, vcc, v3, v21, vcc
	global_store_dwordx2 v[20:21], v[0:1], off
.LBB218_37:                             ;   in Loop: Header=BB218_29 Depth=1
	s_or_b64 exec, exec, s[18:19]
	v_mov_b32_e32 v3, v1
	v_cmp_le_u64_e32 vcc, s[10:11], v[2:3]
	s_cbranch_vccnz .LBB218_28
; %bb.38:                               ;   in Loop: Header=BB218_29 Depth=1
	ds_write_b32 v5, v6
	s_waitcnt lgkmcnt(0)
	s_barrier
	s_and_saveexec_b64 s[18:19], s[6:7]
	s_cbranch_execz .LBB218_40
; %bb.39:                               ;   in Loop: Header=BB218_29 Depth=1
	ds_read2_b32 v[20:21], v8 offset1:1
	ds_read2_b32 v[22:23], v8 offset0:2 offset1:3
	v_cmp_ne_u32_e32 vcc, 0, v13
	; wave barrier
	s_waitcnt lgkmcnt(1)
	v_add_u32_e32 v3, v21, v20
	s_waitcnt lgkmcnt(0)
	v_add3_u32 v3, v3, v22, v23
	s_nop 1
	v_mov_b32_dpp v7, v3 row_shr:1 row_mask:0xf bank_mask:0xf
	v_cndmask_b32_e32 v7, 0, v7, vcc
	v_add_u32_e32 v3, v7, v3
	v_cmp_lt_u32_e32 vcc, 1, v13
	s_nop 0
	v_mov_b32_dpp v7, v3 row_shr:2 row_mask:0xf bank_mask:0xf
	v_cndmask_b32_e32 v7, 0, v7, vcc
	v_add_u32_e32 v3, v3, v7
	v_cmp_lt_u32_e32 vcc, 3, v13
	;; [unrolled: 5-line block ×4, first 2 shown]
	s_nop 0
	v_mov_b32_dpp v7, v3 row_bcast:15 row_mask:0xf bank_mask:0xf
	v_and_b32_e32 v7, v14, v7
	v_add_u32_e32 v3, v3, v7
	s_nop 1
	v_mov_b32_dpp v7, v3 row_bcast:31 row_mask:0xf bank_mask:0xf
	v_cndmask_b32_e32 v7, 0, v7, vcc
	v_cmp_lt_i32_e32 vcc, v15, v16
	v_add_u32_e32 v3, v3, v7
	v_cndmask_b32_e32 v7, v15, v12, vcc
	v_lshlrev_b32_e32 v7, 2, v7
	ds_bpermute_b32 v3, v7, v3
	s_waitcnt lgkmcnt(0)
	v_add_u32_e32 v3, v3, v20
	v_cndmask_b32_e64 v3, v3, v6, s[2:3]
	ds_write_b32 v8, v3
	; wave barrier
	ds_read2_b32 v[20:21], v8 offset0:1 offset1:2
	ds_read_b32 v7, v8 offset:12
	s_waitcnt lgkmcnt(1)
	v_add_u32_e32 v3, v20, v3
	v_add_u32_e32 v19, v21, v3
	ds_write2_b32 v8, v3, v19 offset0:1 offset1:2
	s_waitcnt lgkmcnt(1)
	v_add_u32_e32 v3, v7, v19
	ds_write_b32 v8, v3 offset:12
.LBB218_40:                             ;   in Loop: Header=BB218_29 Depth=1
	s_or_b64 exec, exec, s[18:19]
	v_mov_b32_e32 v7, 0
	s_waitcnt lgkmcnt(0)
	s_barrier
	s_and_saveexec_b64 s[18:19], s[0:1]
	s_cbranch_execz .LBB218_42
; %bb.41:                               ;   in Loop: Header=BB218_29 Depth=1
	ds_read_b32 v7, v9
.LBB218_42:                             ;   in Loop: Header=BB218_29 Depth=1
	s_or_b64 exec, exec, s[18:19]
	ds_read_b32 v3, v1 offset:1048
	v_cmp_ne_u32_e32 vcc, 0, v6
	s_waitcnt lgkmcnt(0)
	s_barrier
	s_and_saveexec_b64 s[18:19], vcc
	s_cbranch_execz .LBB218_27
; %bb.43:                               ;   in Loop: Header=BB218_29 Depth=1
	v_add_u32_e32 v6, v7, v2
	v_mov_b32_e32 v7, v1
	v_cmp_gt_u64_e32 vcc, s[10:11], v[6:7]
	s_and_b64 exec, exec, vcc
	s_cbranch_execz .LBB218_27
; %bb.44:                               ;   in Loop: Header=BB218_29 Depth=1
	v_mad_u64_u32 v[20:21], s[28:29], v6, s16, 0
	v_mov_b32_e32 v22, v21
	v_mad_u64_u32 v[22:23], s[28:29], v6, s17, v[22:23]
	v_mov_b32_e32 v21, v22
	v_lshlrev_b64 v[20:21], 1, v[20:21]
	v_mov_b32_e32 v7, s23
	v_add_co_u32_e32 v20, vcc, s22, v20
	v_addc_co_u32_e32 v21, vcc, v7, v21, vcc
	global_store_short v[20:21], v17, off
	v_mad_u64_u32 v[20:21], s[28:29], v6, s14, 0
	v_mov_b32_e32 v22, v21
	v_mad_u64_u32 v[6:7], s[28:29], v6, s15, v[22:23]
	v_mov_b32_e32 v21, v6
	v_lshlrev_b64 v[6:7], 3, v[20:21]
	v_mov_b32_e32 v19, s25
	v_add_co_u32_e32 v6, vcc, s24, v6
	v_addc_co_u32_e32 v7, vcc, v19, v7, vcc
	global_store_dwordx2 v[6:7], v[0:1], off
	s_branch .LBB218_27
.LBB218_45:                             ;   in Loop: Header=BB218_46 Depth=1
	s_add_u32 s16, s16, 4
	s_addc_u32 s17, s17, 0
	s_waitcnt lgkmcnt(0)
	s_add_i32 s29, s15, s29
	s_add_u32 s18, s18, 4
	s_addc_u32 s19, s19, 0
	s_add_i32 s14, s14, 1
	s_cmp_lt_u32 s14, s35
	s_cbranch_scc0 .LBB218_24
.LBB218_46:                             ; =>This Inner Loop Header: Depth=1
	s_load_dword s15, s[16:17], 0x0
	s_cmp_ge_u32 s14, s28
	s_cbranch_scc1 .LBB218_45
; %bb.47:                               ;   in Loop: Header=BB218_46 Depth=1
	s_load_dword s22, s[18:19], 0x0
	s_waitcnt lgkmcnt(0)
	s_add_i32 s21, s15, s21
	s_add_i32 s20, s22, s20
	s_branch .LBB218_45
.LBB218_48:
	s_endpgm
	.section	.rodata,"a",@progbits
	.p2align	6, 0x0
	.amdhsa_kernel _ZN2at6native6mbtopk10gatherTopKIN3c108BFloat16EmLi2EEEvNS_4cuda6detail10TensorInfoIKT_T0_EESA_SA_bjSA_NS7_IS8_SA_EESA_NS7_IlSA_EESA_jjPS8_PjSF_j
		.amdhsa_group_segment_fixed_size 1068
		.amdhsa_private_segment_fixed_size 0
		.amdhsa_kernarg_size 1592
		.amdhsa_user_sgpr_count 6
		.amdhsa_user_sgpr_private_segment_buffer 1
		.amdhsa_user_sgpr_dispatch_ptr 0
		.amdhsa_user_sgpr_queue_ptr 0
		.amdhsa_user_sgpr_kernarg_segment_ptr 1
		.amdhsa_user_sgpr_dispatch_id 0
		.amdhsa_user_sgpr_flat_scratch_init 0
		.amdhsa_user_sgpr_kernarg_preload_length 0
		.amdhsa_user_sgpr_kernarg_preload_offset 0
		.amdhsa_user_sgpr_private_segment_size 0
		.amdhsa_uses_dynamic_stack 0
		.amdhsa_system_sgpr_private_segment_wavefront_offset 0
		.amdhsa_system_sgpr_workgroup_id_x 1
		.amdhsa_system_sgpr_workgroup_id_y 1
		.amdhsa_system_sgpr_workgroup_id_z 1
		.amdhsa_system_sgpr_workgroup_info 0
		.amdhsa_system_vgpr_workitem_id 0
		.amdhsa_next_free_vgpr 24
		.amdhsa_next_free_sgpr 50
		.amdhsa_accum_offset 24
		.amdhsa_reserve_vcc 1
		.amdhsa_reserve_flat_scratch 0
		.amdhsa_float_round_mode_32 0
		.amdhsa_float_round_mode_16_64 0
		.amdhsa_float_denorm_mode_32 3
		.amdhsa_float_denorm_mode_16_64 3
		.amdhsa_dx10_clamp 1
		.amdhsa_ieee_mode 1
		.amdhsa_fp16_overflow 0
		.amdhsa_tg_split 0
		.amdhsa_exception_fp_ieee_invalid_op 0
		.amdhsa_exception_fp_denorm_src 0
		.amdhsa_exception_fp_ieee_div_zero 0
		.amdhsa_exception_fp_ieee_overflow 0
		.amdhsa_exception_fp_ieee_underflow 0
		.amdhsa_exception_fp_ieee_inexact 0
		.amdhsa_exception_int_div_zero 0
	.end_amdhsa_kernel
	.section	.text._ZN2at6native6mbtopk10gatherTopKIN3c108BFloat16EmLi2EEEvNS_4cuda6detail10TensorInfoIKT_T0_EESA_SA_bjSA_NS7_IS8_SA_EESA_NS7_IlSA_EESA_jjPS8_PjSF_j,"axG",@progbits,_ZN2at6native6mbtopk10gatherTopKIN3c108BFloat16EmLi2EEEvNS_4cuda6detail10TensorInfoIKT_T0_EESA_SA_bjSA_NS7_IS8_SA_EESA_NS7_IlSA_EESA_jjPS8_PjSF_j,comdat
.Lfunc_end218:
	.size	_ZN2at6native6mbtopk10gatherTopKIN3c108BFloat16EmLi2EEEvNS_4cuda6detail10TensorInfoIKT_T0_EESA_SA_bjSA_NS7_IS8_SA_EESA_NS7_IlSA_EESA_jjPS8_PjSF_j, .Lfunc_end218-_ZN2at6native6mbtopk10gatherTopKIN3c108BFloat16EmLi2EEEvNS_4cuda6detail10TensorInfoIKT_T0_EESA_SA_bjSA_NS7_IS8_SA_EESA_NS7_IlSA_EESA_jjPS8_PjSF_j
                                        ; -- End function
	.section	.AMDGPU.csdata,"",@progbits
; Kernel info:
; codeLenInByte = 2800
; NumSgprs: 54
; NumVgprs: 24
; NumAgprs: 0
; TotalNumVgprs: 24
; ScratchSize: 0
; MemoryBound: 0
; FloatMode: 240
; IeeeMode: 1
; LDSByteSize: 1068 bytes/workgroup (compile time only)
; SGPRBlocks: 6
; VGPRBlocks: 2
; NumSGPRsForWavesPerEU: 54
; NumVGPRsForWavesPerEU: 24
; AccumOffset: 24
; Occupancy: 8
; WaveLimiterHint : 1
; COMPUTE_PGM_RSRC2:SCRATCH_EN: 0
; COMPUTE_PGM_RSRC2:USER_SGPR: 6
; COMPUTE_PGM_RSRC2:TRAP_HANDLER: 0
; COMPUTE_PGM_RSRC2:TGID_X_EN: 1
; COMPUTE_PGM_RSRC2:TGID_Y_EN: 1
; COMPUTE_PGM_RSRC2:TGID_Z_EN: 1
; COMPUTE_PGM_RSRC2:TIDIG_COMP_CNT: 0
; COMPUTE_PGM_RSRC3_GFX90A:ACCUM_OFFSET: 5
; COMPUTE_PGM_RSRC3_GFX90A:TG_SPLIT: 0
	.section	.text._ZN2at6native6sbtopk10gatherTopKIN3c108BFloat16EmLi2ELb0EEEvNS_4cuda6detail10TensorInfoIKT_T0_EESA_SA_bSA_SA_NS7_IS8_SA_EESA_NS7_IlSA_EESA_PS8_,"axG",@progbits,_ZN2at6native6sbtopk10gatherTopKIN3c108BFloat16EmLi2ELb0EEEvNS_4cuda6detail10TensorInfoIKT_T0_EESA_SA_bSA_SA_NS7_IS8_SA_EESA_NS7_IlSA_EESA_PS8_,comdat
	.protected	_ZN2at6native6sbtopk10gatherTopKIN3c108BFloat16EmLi2ELb0EEEvNS_4cuda6detail10TensorInfoIKT_T0_EESA_SA_bSA_SA_NS7_IS8_SA_EESA_NS7_IlSA_EESA_PS8_ ; -- Begin function _ZN2at6native6sbtopk10gatherTopKIN3c108BFloat16EmLi2ELb0EEEvNS_4cuda6detail10TensorInfoIKT_T0_EESA_SA_bSA_SA_NS7_IS8_SA_EESA_NS7_IlSA_EESA_PS8_
	.globl	_ZN2at6native6sbtopk10gatherTopKIN3c108BFloat16EmLi2ELb0EEEvNS_4cuda6detail10TensorInfoIKT_T0_EESA_SA_bSA_SA_NS7_IS8_SA_EESA_NS7_IlSA_EESA_PS8_
	.p2align	8
	.type	_ZN2at6native6sbtopk10gatherTopKIN3c108BFloat16EmLi2ELb0EEEvNS_4cuda6detail10TensorInfoIKT_T0_EESA_SA_bSA_SA_NS7_IS8_SA_EESA_NS7_IlSA_EESA_PS8_,@function
_ZN2at6native6sbtopk10gatherTopKIN3c108BFloat16EmLi2ELb0EEEvNS_4cuda6detail10TensorInfoIKT_T0_EESA_SA_bSA_SA_NS7_IS8_SA_EESA_NS7_IlSA_EESA_PS8_: ; @_ZN2at6native6sbtopk10gatherTopKIN3c108BFloat16EmLi2ELb0EEEvNS_4cuda6detail10TensorInfoIKT_T0_EESA_SA_bSA_SA_NS7_IS8_SA_EESA_NS7_IlSA_EESA_PS8_
; %bb.0:
	s_load_dwordx4 s[56:59], s[4:5], 0x1b8
	s_load_dwordx2 s[10:11], s[4:5], 0x520
	s_add_u32 s20, s4, 0x520
	s_addc_u32 s21, s5, 0
	s_mov_b32 s23, 0
	s_waitcnt lgkmcnt(0)
	v_mov_b32_e32 v2, s56
	s_mul_i32 s0, s11, s8
	s_add_i32 s0, s0, s7
	s_mul_i32 s0, s0, s10
	v_mov_b32_e32 v3, s57
	s_add_i32 s22, s0, s6
	v_cmp_ge_u64_e32 vcc, s[22:23], v[2:3]
	s_cbranch_vccnz .LBB219_486
; %bb.1:
	s_load_dwordx2 s[8:9], s[4:5], 0x10
	s_load_dwordx2 s[16:17], s[4:5], 0x380
	;; [unrolled: 1-line block ×3, first 2 shown]
	s_mov_b64 s[0:1], 0
                                        ; implicit-def: $vgpr48 : SGPR spill to VGPR lane
	s_mov_b64 s[12:13], 0
	s_waitcnt lgkmcnt(0)
	v_pk_mov_b32 v[2:3], s[8:9], s[8:9] op_sel:[0,1]
	v_cmp_lt_u64_e32 vcc, s[22:23], v[2:3]
	v_writelane_b32 v48, s0, 0
	v_writelane_b32 v48, s1, 1
	s_cbranch_vccnz .LBB219_3
; %bb.2:
	v_cvt_f32_u32_e32 v1, s8
	s_sub_i32 s0, 0, s8
	v_rcp_iflag_f32_e32 v1, v1
	v_mul_f32_e32 v1, 0x4f7ffffe, v1
	v_cvt_u32_f32_e32 v1, v1
	v_readfirstlane_b32 s1, v1
	s_mul_i32 s0, s0, s1
	s_mul_hi_u32 s0, s1, s0
	s_add_i32 s1, s1, s0
	s_mul_hi_u32 s0, s22, s1
	s_mul_i32 s2, s0, s8
	s_sub_i32 s2, s22, s2
	s_add_i32 s1, s0, 1
	s_sub_i32 s3, s2, s8
	s_cmp_ge_u32 s2, s8
	s_cselect_b32 s0, s1, s0
	s_cselect_b32 s2, s3, s2
	s_add_i32 s1, s0, 1
	s_cmp_ge_u32 s2, s8
	s_cselect_b32 s12, s1, s0
.LBB219_3:
	v_pk_mov_b32 v[2:3], s[14:15], s[14:15] op_sel:[0,1]
	v_cmp_lt_u64_e32 vcc, s[22:23], v[2:3]
	s_cbranch_vccnz .LBB219_5
; %bb.4:
	v_cvt_f32_u32_e32 v1, s14
	s_sub_i32 s0, 0, s14
	v_rcp_iflag_f32_e32 v1, v1
	v_mul_f32_e32 v1, 0x4f7ffffe, v1
	v_cvt_u32_f32_e32 v1, v1
	v_readfirstlane_b32 s1, v1
	s_mul_i32 s0, s0, s1
	s_mul_hi_u32 s0, s1, s0
	s_add_i32 s1, s1, s0
	s_mul_hi_u32 s0, s22, s1
	s_mul_i32 s2, s0, s14
	s_sub_i32 s2, s22, s2
	s_add_i32 s1, s0, 1
	s_sub_i32 s3, s2, s14
	s_cmp_ge_u32 s2, s14
	s_cselect_b32 s0, s1, s0
	s_cselect_b32 s2, s3, s2
	s_add_i32 s1, s0, 1
	s_cmp_ge_u32 s2, s14
	s_cselect_b32 s0, s1, s0
	v_writelane_b32 v48, s0, 0
	v_writelane_b32 v48, s1, 1
.LBB219_5:
	v_writelane_b32 v48, s14, 2
	v_writelane_b32 v48, s15, 3
	s_load_dwordx2 s[14:15], s[4:5], 0x0
	v_pk_mov_b32 v[2:3], s[16:17], s[16:17] op_sel:[0,1]
	v_cmp_lt_u64_e32 vcc, s[22:23], v[2:3]
	s_mov_b64 s[0:1], 0
	v_writelane_b32 v48, s0, 4
	v_writelane_b32 v48, s1, 5
	s_cbranch_vccnz .LBB219_7
; %bb.6:
	v_cvt_f32_u32_e32 v1, s16
	s_sub_i32 s0, 0, s16
	v_rcp_iflag_f32_e32 v1, v1
	v_mul_f32_e32 v1, 0x4f7ffffe, v1
	v_cvt_u32_f32_e32 v1, v1
	v_readfirstlane_b32 s1, v1
	s_mul_i32 s0, s0, s1
	s_mul_hi_u32 s0, s1, s0
	s_add_i32 s1, s1, s0
	s_mul_hi_u32 s0, s22, s1
	s_mul_i32 s2, s0, s16
	s_sub_i32 s2, s22, s2
	s_add_i32 s1, s0, 1
	s_sub_i32 s3, s2, s16
	s_cmp_ge_u32 s2, s16
	s_cselect_b32 s0, s1, s0
	s_cselect_b32 s2, s3, s2
	s_add_i32 s1, s0, 1
	s_cmp_ge_u32 s2, s16
	s_cselect_b32 s0, s1, s0
	v_writelane_b32 v48, s0, 4
	v_writelane_b32 v48, s1, 5
.LBB219_7:
	s_load_dwordx2 s[0:1], s[4:5], 0x370
	v_writelane_b32 v48, s16, 6
	v_writelane_b32 v48, s17, 7
	s_mov_b32 s85, 0
	v_cmp_eq_u32_e64 s[18:19], 0, v0
	s_waitcnt lgkmcnt(0)
	v_writelane_b32 v48, s0, 8
	v_writelane_b32 v48, s1, 9
	s_load_dwordx2 s[0:1], s[4:5], 0x1c8
	s_waitcnt lgkmcnt(0)
	v_writelane_b32 v48, s0, 10
	v_writelane_b32 v48, s1, 11
	s_load_dwordx4 s[0:3], s[4:5], 0xd0
	s_load_dwordx4 s[60:63], s[4:5], 0x1a0
	s_mov_b64 s[16:17], exec
	v_writelane_b32 v48, s18, 12
	v_writelane_b32 v48, s19, 13
	s_and_b64 s[18:19], s[16:17], s[18:19]
	s_mov_b64 exec, s[18:19]
	s_cbranch_execz .LBB219_9
; %bb.8:
	v_mov_b32_e32 v2, 0
	s_waitcnt lgkmcnt(0)
	v_mov_b32_e32 v4, s60
	v_mov_b32_e32 v5, s61
	;; [unrolled: 1-line block ×3, first 2 shown]
	ds_write_b32 v2, v2 offset:5144
	ds_write_b128 v2, v[2:5] offset:5120
.LBB219_9:
	s_or_b64 exec, exec, s[16:17]
	s_mul_i32 s7, s12, s9
	s_mul_hi_u32 s9, s12, s8
	s_add_i32 s9, s9, s7
	s_mul_i32 s7, s12, s8
	s_mov_b32 s8, s22
	v_writelane_b32 v48, s8, 14
	s_sub_u32 s7, s22, s7
	v_writelane_b32 v48, s9, 15
	s_subb_u32 s8, 0, s9
	s_waitcnt lgkmcnt(0)
	s_mul_i32 s3, s7, s3
	s_mul_hi_u32 s9, s7, s2
	s_mul_i32 s8, s8, s2
	s_mul_i32 s2, s7, s2
	;; [unrolled: 1-line block ×3, first 2 shown]
	s_mul_hi_u32 s7, s12, s0
	s_add_i32 s3, s9, s3
	s_add_i32 s1, s7, s1
	s_mul_i32 s0, s12, s0
	s_add_i32 s3, s3, s8
	s_lshl_b64 s[0:1], s[0:1], 1
	s_add_u32 s7, s14, s0
	s_addc_u32 s8, s15, s1
	s_lshl_b64 s[0:1], s[2:3], 1
	s_add_u32 s33, s7, s0
	s_load_dword s9, s[4:5], 0x1b0
	s_addc_u32 s86, s8, s1
	s_load_dwordx4 s[0:3], s[4:5], 0x298
	v_mbcnt_lo_u32_b32 v1, -1, 0
	v_mbcnt_hi_u32_b32 v25, -1, v1
	s_waitcnt lgkmcnt(0)
	s_bitcmp1_b32 s9, 0
	v_cmp_gt_u32_e32 vcc, 64, v0
	v_writelane_b32 v48, s0, 16
	v_writelane_b32 v48, s1, 17
	;; [unrolled: 1-line block ×4, first 2 shown]
	s_cselect_b64 s[0:1], -1, 0
	v_writelane_b32 v48, s0, 20
	v_writelane_b32 v48, s1, 21
	s_xor_b64 s[0:1], s[0:1], -1
	v_writelane_b32 v48, s0, 22
	v_cmp_gt_i32_e64 s[2:3], 4, v25
	v_writelane_b32 v48, s1, 23
	s_and_b64 s[2:3], vcc, s[2:3]
	v_mov_b32_e32 v2, 0x600
	v_writelane_b32 v48, s2, 24
	v_mov_b32_e32 v3, 0
	v_writelane_b32 v48, s3, 25
	v_cmp_gt_u64_e64 s[2:3], s[60:61], v[2:3]
	v_writelane_b32 v48, s2, 26
	v_writelane_b32 v48, s3, 27
	v_mad_u64_u32 v[2:3], s[2:3], v0, s58, 0
	v_mov_b32_e32 v15, 0
	v_mov_b32_e32 v4, v3
	;; [unrolled: 1-line block ×3, first 2 shown]
	v_mad_u64_u32 v[4:5], s[2:3], v0, s59, v[4:5]
	v_cmp_gt_u64_e64 s[2:3], s[60:61], v[0:1]
	v_writelane_b32 v48, s2, 28
	v_writelane_b32 v48, s3, 29
	v_cmp_gt_u32_e64 s[2:3], 2, v0
	v_writelane_b32 v48, s2, 30
	s_barrier
	v_writelane_b32 v48, s3, 31
	s_load_dword s2, s[20:21], 0xc
	v_mov_b32_e32 v3, v4
	v_lshlrev_b64 v[2:3], 1, v[2:3]
	v_add_co_u32_e32 v12, vcc, s33, v2
	s_waitcnt lgkmcnt(0)
	s_and_b32 s87, s2, 0xffff
	s_bfe_u32 s3, s2, 0xa0006
	v_cmp_gt_u16_e64 s[8:9], s2, 63
	v_writelane_b32 v48, s8, 32
	s_add_u32 s2, s87, -1
	v_writelane_b32 v48, s9, 33
	s_addc_u32 s7, 0, -1
	v_writelane_b32 v48, s2, 34
	s_add_u32 s2, s2, s60
	s_addc_u32 s93, s7, s61
	s_cmp_lt_u32 s6, s10
	v_writelane_b32 v48, s2, 35
	s_cselect_b32 s2, 12, 18
	s_add_u32 s6, s20, s2
	v_writelane_b32 v48, s7, 36
	s_addc_u32 s7, s21, 0
	v_writelane_b32 v48, s6, 37
	v_writelane_b32 v48, s7, 38
	s_add_i32 s2, s3, -1
	s_bfe_u32 s6, s87, 0x30006
	s_cmp_gt_u32 s2, 6
	s_cselect_b64 s[8:9], -1, 0
	v_writelane_b32 v48, s8, 39
	s_and_b32 s94, s3, 0x3f8
	v_writelane_b32 v48, s9, 40
	s_cmp_lg_u32 s6, 0
	v_writelane_b32 v48, s6, 41
	s_cselect_b64 s[2:3], -1, 0
	v_writelane_b32 v48, s2, 42
	v_writelane_b32 v48, s3, 43
	;; [unrolled: 1-line block ×4, first 2 shown]
	s_load_dwordx4 s[4:7], s[4:5], 0x440
	v_lshrrev_b32_e32 v2, 4, v0
	v_mov_b32_e32 v26, s86
	v_and_b32_e32 v27, 60, v2
	v_lshlrev_b32_e32 v2, 2, v25
	s_waitcnt lgkmcnt(0)
	v_writelane_b32 v48, s4, 46
	v_addc_co_u32_e32 v13, vcc, v26, v3, vcc
	v_and_b32_e32 v24, 0x100, v2
	v_lshlrev_b64 v[2:3], v25, -1
	v_writelane_b32 v48, s5, 47
	v_lshlrev_b32_e32 v28, 1, v0
	v_not_b32_e32 v10, v2
	v_mov_b32_e32 v2, 0xc00
	v_writelane_b32 v48, s6, 48
	v_cmp_eq_u32_e64 s[0:1], 0, v25
	v_lshlrev_b32_e32 v16, 2, v0
	v_mov_b32_e32 v17, v15
	v_add_u32_e32 v29, 0xc00, v28
	v_not_b32_e32 v11, v3
	s_mov_b32 s88, s85
	v_lshlrev_b32_e32 v30, 3, v0
	v_lshl_or_b32 v31, v25, 3, v2
	s_lshl_b32 s95, s87, 1
	s_mov_b32 s89, 14
	s_mov_b64 s[64:65], 0
	v_pk_mov_b32 v[18:19], s[62:63], s[62:63] op_sel:[0,1]
	v_mov_b32_e32 v32, 0xffff
	v_mov_b32_e32 v33, 0x8000
	;; [unrolled: 1-line block ×3, first 2 shown]
	v_mov_b32_e32 v35, -1
	v_mov_b32_e32 v36, 0x5040100
	v_writelane_b32 v48, s7, 49
	v_mov_b32_e32 v39, 0
	s_mov_b32 s2, 0
	v_mov_b32_e32 v38, 0
	v_mov_b32_e32 v37, 0
                                        ; implicit-def: $sgpr68_sgpr69
                                        ; implicit-def: $sgpr70_sgpr71
                                        ; implicit-def: $sgpr78_sgpr79
                                        ; implicit-def: $sgpr30_sgpr31
                                        ; implicit-def: $sgpr76_sgpr77
                                        ; implicit-def: $sgpr72_sgpr73
                                        ; implicit-def: $sgpr74_sgpr75
                                        ; implicit-def: $sgpr66_sgpr67
                                        ; implicit-def: $sgpr80_sgpr81
                                        ; implicit-def: $sgpr82_sgpr83
	v_writelane_b32 v48, s2, 50
	s_branch .LBB219_12
.LBB219_10:                             ;   in Loop: Header=BB219_12 Depth=1
	s_or_b64 exec, exec, s[8:9]
	s_andn2_b64 s[8:9], s[82:83], exec
	s_and_b64 s[6:7], s[6:7], exec
	s_or_b64 s[82:83], s[8:9], s[6:7]
	s_andn2_b64 s[80:81], s[80:81], exec
	s_andn2_b64 s[66:67], s[66:67], exec
	;; [unrolled: 1-line block ×4, first 2 shown]
	s_orn2_b64 s[4:5], s[4:5], exec
	v_mov_b32_e32 v37, v9
	v_mov_b32_e32 v38, v8
	v_pk_mov_b32 v[18:19], v[2:3], v[2:3] op_sel:[0,1]
	v_mov_b32_e32 v39, v6
.LBB219_11:                             ;   in Loop: Header=BB219_12 Depth=1
	s_or_b64 exec, exec, s[2:3]
	s_and_b64 s[2:3], exec, s[4:5]
	s_or_b64 s[64:65], s[2:3], s[64:65]
	s_andn2_b64 s[2:3], s[76:77], exec
	s_and_b64 s[4:5], s[82:83], exec
	s_or_b64 s[76:77], s[2:3], s[4:5]
	s_andn2_b64 s[2:3], s[30:31], exec
	s_and_b64 s[4:5], s[80:81], exec
	;; [unrolled: 3-line block ×5, first 2 shown]
	s_or_b64 s[68:69], s[2:3], s[4:5]
	s_andn2_b64 exec, exec, s[64:65]
	s_cbranch_execz .LBB219_482
.LBB219_12:                             ; =>This Loop Header: Depth=1
                                        ;     Child Loop BB219_17 Depth 2
                                        ;     Child Loop BB219_32 Depth 2
	;; [unrolled: 1-line block ×24, first 2 shown]
	ds_read_b128 v[2:5], v15 offset:5120
	s_waitcnt lgkmcnt(0)
	v_readfirstlane_b32 s3, v3
	v_readfirstlane_b32 s2, v2
	s_cmp_lg_u64 s[2:3], 0
	s_cbranch_scc1 .LBB219_39
; %bb.13:                               ;   in Loop: Header=BB219_12 Depth=1
	v_readlane_b32 s2, v48, 26
	v_readlane_b32 s3, v48, 27
	s_and_b64 vcc, exec, s[2:3]
	s_cbranch_vccz .LBB219_25
; %bb.14:                               ;   in Loop: Header=BB219_12 Depth=1
	s_mov_b64 s[2:3], 0x601
	v_cmp_gt_u64_e32 vcc, s[2:3], v[4:5]
	s_mov_b64 s[2:3], 0
	s_mov_b64 s[4:5], 0
	s_cbranch_vccz .LBB219_26
; %bb.15:                               ;   in Loop: Header=BB219_12 Depth=1
	v_readlane_b32 s4, v48, 37
	v_readlane_b32 s5, v48, 38
	global_load_ushort v5, v[12:13], off
	v_pk_mov_b32 v[2:3], v[0:1], v[0:1] op_sel:[0,1]
	s_nop 2
	global_load_ushort v4, v15, s[4:5]
	s_mov_b64 s[4:5], 0
	s_branch .LBB219_17
.LBB219_16:                             ;   in Loop: Header=BB219_17 Depth=2
	s_or_b64 exec, exec, s[6:7]
	s_waitcnt vmcnt(0)
	v_mov_b32_e32 v5, v6
	s_andn2_b64 exec, exec, s[4:5]
	s_cbranch_execz .LBB219_98
.LBB219_17:                             ;   Parent Loop BB219_12 Depth=1
                                        ; =>  This Inner Loop Header: Depth=2
	s_waitcnt vmcnt(0)
	v_add_co_u32_sdwa v2, vcc, v2, v4 dst_sel:DWORD dst_unused:UNUSED_PAD src0_sel:DWORD src1_sel:WORD_0
	v_addc_co_u32_e32 v3, vcc, 0, v3, vcc
	v_cmp_gt_u64_e64 s[6:7], s[60:61], v[2:3]
	v_cmp_le_u64_e32 vcc, s[60:61], v[2:3]
	s_waitcnt lgkmcnt(0)
	v_mov_b32_e32 v7, 0
	v_mov_b32_e32 v6, 0
	s_and_saveexec_b64 s[8:9], s[6:7]
	s_cbranch_execz .LBB219_19
; %bb.18:                               ;   in Loop: Header=BB219_17 Depth=2
	v_mul_lo_u32 v6, v3, s58
	v_mul_lo_u32 v14, v2, s59
	v_mad_u64_u32 v[8:9], s[6:7], v2, s58, 0
	v_add3_u32 v9, v9, v14, v6
	v_lshlrev_b64 v[8:9], 1, v[8:9]
	v_add_co_u32_e64 v8, s[6:7], s33, v8
	v_addc_co_u32_e64 v9, s[6:7], v26, v9, s[6:7]
	global_load_ushort v6, v[8:9], off
.LBB219_19:                             ;   in Loop: Header=BB219_17 Depth=2
	s_or_b64 exec, exec, s[8:9]
	v_cmp_lt_i16_e64 s[6:7], -1, v5
	v_cndmask_b32_e64 v8, v32, v33, s[6:7]
	v_lshlrev_b32_e32 v9, 16, v5
	v_xor_b32_sdwa v8, v8, v5 dst_sel:DWORD dst_unused:UNUSED_PAD src0_sel:DWORD src1_sel:WORD_0
	v_cmp_o_f32_e64 s[6:7], v9, v9
	v_cndmask_b32_e64 v8, v32, v8, s[6:7]
	v_and_b32_e32 v8, v8, v37
	v_cmp_eq_u32_e64 s[14:15], v8, v38
	s_cmp_lg_u64 s[14:15], 0
	s_cselect_b64 s[6:7], -1, 0
	s_and_b64 s[6:7], s[0:1], s[6:7]
	s_and_saveexec_b64 s[8:9], s[6:7]
	s_cbranch_execz .LBB219_23
; %bb.20:                               ;   in Loop: Header=BB219_17 Depth=2
	s_mov_b64 s[12:13], exec
	v_mbcnt_lo_u32_b32 v7, s12, 0
	v_mbcnt_hi_u32_b32 v7, s13, v7
	s_bcnt1_i32_b64 s16, s[14:15]
	v_cmp_eq_u32_e64 s[6:7], 0, v7
                                        ; implicit-def: $vgpr8
	s_and_saveexec_b64 s[10:11], s[6:7]
	s_cbranch_execz .LBB219_22
; %bb.21:                               ;   in Loop: Header=BB219_17 Depth=2
	s_bcnt1_i32_b64 s6, s[12:13]
	s_mul_i32 s6, s16, s6
	v_mov_b32_e32 v8, s6
	ds_add_rtn_u32 v8, v15, v8 offset:5144
.LBB219_22:                             ;   in Loop: Header=BB219_17 Depth=2
	s_or_b64 exec, exec, s[10:11]
	s_waitcnt lgkmcnt(0)
	v_readfirstlane_b32 s6, v8
	v_mov_b32_e32 v8, s6
	v_mad_u32_u24 v7, s16, v7, v8
.LBB219_23:                             ;   in Loop: Header=BB219_17 Depth=2
	s_or_b64 exec, exec, s[8:9]
	ds_bpermute_b32 v7, v24, v7
	s_and_b64 s[6:7], exec, vcc
	s_or_b64 s[4:5], s[6:7], s[4:5]
	s_and_saveexec_b64 s[6:7], s[14:15]
	s_cbranch_execz .LBB219_16
; %bb.24:                               ;   in Loop: Header=BB219_17 Depth=2
	v_and_b32_e32 v9, s14, v10
	v_and_b32_e32 v8, s15, v11
	v_bcnt_u32_b32 v9, v9, 0
	v_bcnt_u32_b32 v8, v8, v9
	v_lshlrev_b32_e32 v8, 1, v8
	s_waitcnt lgkmcnt(0)
	v_lshl_add_u32 v7, v7, 1, v8
	ds_write_b16 v7, v5
	s_branch .LBB219_16
.LBB219_25:                             ;   in Loop: Header=BB219_12 Depth=1
	s_mov_b64 s[2:3], -1
	s_mov_b64 s[4:5], 0
.LBB219_26:                             ;   in Loop: Header=BB219_12 Depth=1
	s_and_b64 vcc, exec, s[2:3]
	s_cbranch_vccz .LBB219_37
.LBB219_27:                             ;   in Loop: Header=BB219_12 Depth=1
	v_mov_b32_e32 v4, 0
	s_mov_b64 s[2:3], exec
	v_readlane_b32 s4, v48, 28
	v_readlane_b32 s5, v48, 29
	s_and_b64 s[4:5], s[2:3], s[4:5]
	s_mov_b64 exec, s[4:5]
	s_cbranch_execz .LBB219_29
; %bb.28:                               ;   in Loop: Header=BB219_12 Depth=1
	global_load_ushort v4, v[12:13], off
.LBB219_29:                             ;   in Loop: Header=BB219_12 Depth=1
	s_or_b64 exec, exec, s[2:3]
	s_mov_b64 s[2:3], exec
	v_readlane_b32 s4, v48, 28
	v_readlane_b32 s5, v48, 29
	s_and_b64 s[4:5], s[2:3], s[4:5]
	s_mov_b64 exec, s[4:5]
	s_cbranch_execz .LBB219_34
; %bb.30:                               ;   in Loop: Header=BB219_12 Depth=1
	v_readlane_b32 s4, v48, 37
	v_readlane_b32 s5, v48, 38
	v_mov_b32_e32 v5, v28
	s_nop 3
	global_load_ushort v2, v15, s[4:5]
	s_mov_b64 s[4:5], 0
	s_waitcnt vmcnt(0)
	v_and_b32_e32 v6, 0xffff, v2
	v_lshlrev_b32_e32 v7, 1, v6
	v_pk_mov_b32 v[2:3], v[0:1], v[0:1] op_sel:[0,1]
	s_branch .LBB219_32
.LBB219_31:                             ;   in Loop: Header=BB219_32 Depth=2
	s_or_b64 exec, exec, s[8:9]
	s_and_b64 s[6:7], exec, vcc
	s_or_b64 s[4:5], s[6:7], s[4:5]
	ds_write_b16 v5, v4
	v_add_u32_e32 v5, v5, v7
	s_waitcnt vmcnt(0)
	v_mov_b32_e32 v4, v8
	s_andn2_b64 exec, exec, s[4:5]
	s_cbranch_execz .LBB219_34
.LBB219_32:                             ;   Parent Loop BB219_12 Depth=1
                                        ; =>  This Inner Loop Header: Depth=2
	v_add_co_u32_e32 v2, vcc, v2, v6
	v_addc_co_u32_e32 v3, vcc, 0, v3, vcc
	v_cmp_gt_u64_e64 s[6:7], s[60:61], v[2:3]
	v_cmp_le_u64_e32 vcc, s[60:61], v[2:3]
	v_mov_b32_e32 v8, 0
	s_and_saveexec_b64 s[8:9], s[6:7]
	s_cbranch_execz .LBB219_31
; %bb.33:                               ;   in Loop: Header=BB219_32 Depth=2
	v_mul_lo_u32 v14, v3, s58
	v_mul_lo_u32 v20, v2, s59
	v_mad_u64_u32 v[8:9], s[6:7], v2, s58, 0
	v_add3_u32 v9, v9, v20, v14
	v_lshlrev_b64 v[8:9], 1, v[8:9]
	v_mov_b32_e32 v14, s86
	v_add_co_u32_e64 v8, s[6:7], s33, v8
	v_addc_co_u32_e64 v9, s[6:7], v14, v9, s[6:7]
	global_load_ushort v8, v[8:9], off
	s_branch .LBB219_31
.LBB219_34:                             ;   in Loop: Header=BB219_12 Depth=1
	s_or_b64 exec, exec, s[2:3]
	s_waitcnt lgkmcnt(0)
	s_barrier
	s_mov_b64 s[2:3], exec
	v_readlane_b32 s4, v48, 12
	v_readlane_b32 s5, v48, 13
	s_and_b64 s[4:5], s[2:3], s[4:5]
	s_mov_b64 exec, s[4:5]
	s_cbranch_execz .LBB219_36
; %bb.35:                               ;   in Loop: Header=BB219_12 Depth=1
	v_pk_mov_b32 v[2:3], s[60:61], s[60:61] op_sel:[0,1]
	ds_write_b64 v15, v[2:3] offset:5120
.LBB219_36:                             ;   in Loop: Header=BB219_12 Depth=1
	s_or_b64 exec, exec, s[2:3]
	s_mov_b64 s[4:5], -1
	s_waitcnt lgkmcnt(0)
	s_barrier
                                        ; implicit-def: $sgpr2_sgpr3
.LBB219_37:                             ;   in Loop: Header=BB219_12 Depth=1
	s_and_b64 vcc, exec, s[4:5]
	s_cbranch_vccz .LBB219_39
; %bb.38:                               ;   in Loop: Header=BB219_12 Depth=1
	ds_read_b64 v[2:3], v15 offset:5120
	s_waitcnt lgkmcnt(0)
	v_readfirstlane_b32 s2, v2
.LBB219_39:                             ;   in Loop: Header=BB219_12 Depth=1
	s_cmp_lt_i32 s2, 1
	s_cbranch_scc0 .LBB219_54
; %bb.40:                               ;   in Loop: Header=BB219_12 Depth=1
	v_readlane_b32 s4, v48, 37
	v_readlane_b32 s5, v48, 38
	s_nop 4
	global_load_ushort v40, v15, s[4:5]
	s_mov_b32 s4, s85
	s_mov_b32 s5, s61
	s_waitcnt vmcnt(0)
	v_readfirstlane_b32 s3, v40
	s_and_b32 s3, 0xffff, s3
	s_lshl_b32 s3, s3, 2
	s_cmp_lg_u64 s[4:5], 0
	s_cbranch_scc0 .LBB219_74
; %bb.41:                               ;   in Loop: Header=BB219_12 Depth=1
	v_cvt_f32_u32_e32 v2, s3
	s_sub_u32 s4, 0, s3
	s_subb_u32 s5, 0, 0
	v_mac_f32_e32 v2, 0, v34
	v_rcp_f32_e32 v2, v2
	v_mul_f32_e32 v2, 0x5f7ffffc, v2
	v_mul_f32_e32 v3, 0x2f800000, v2
	v_trunc_f32_e32 v3, v3
	v_mac_f32_e32 v2, 0xcf800000, v3
	v_cvt_u32_f32_e32 v3, v3
	v_cvt_u32_f32_e32 v2, v2
	v_readfirstlane_b32 s6, v3
	v_readfirstlane_b32 s7, v2
	s_mul_i32 s8, s4, s6
	s_mul_hi_u32 s10, s4, s7
	s_mul_i32 s9, s5, s7
	s_add_i32 s8, s10, s8
	s_mul_i32 s11, s4, s7
	s_add_i32 s8, s8, s9
	s_mul_hi_u32 s10, s7, s11
	s_mul_hi_u32 s9, s7, s8
	s_mul_i32 s7, s7, s8
	s_add_u32 s7, s10, s7
	s_addc_u32 s9, 0, s9
	s_mul_hi_u32 s12, s6, s11
	s_mul_i32 s11, s6, s11
	s_add_u32 s7, s7, s11
	s_mul_hi_u32 s10, s6, s8
	s_addc_u32 s7, s9, s12
	s_addc_u32 s9, s10, 0
	s_mul_i32 s8, s6, s8
	s_add_u32 s7, s7, s8
	s_addc_u32 s8, 0, s9
	v_add_co_u32_e32 v2, vcc, s7, v2
	s_cmp_lg_u64 vcc, 0
	s_addc_u32 s6, s6, s8
	v_readfirstlane_b32 s8, v2
	s_mul_i32 s7, s4, s6
	s_mul_hi_u32 s9, s4, s8
	s_add_i32 s7, s9, s7
	s_mul_i32 s5, s5, s8
	s_add_i32 s7, s7, s5
	s_mul_i32 s4, s4, s8
	s_mul_hi_u32 s9, s6, s4
	s_mul_i32 s10, s6, s4
	s_mul_i32 s12, s8, s7
	s_mul_hi_u32 s4, s8, s4
	s_mul_hi_u32 s11, s8, s7
	s_add_u32 s4, s4, s12
	s_addc_u32 s8, 0, s11
	s_add_u32 s4, s4, s10
	s_mul_hi_u32 s5, s6, s7
	s_addc_u32 s4, s8, s9
	s_addc_u32 s5, s5, 0
	s_mul_i32 s7, s6, s7
	s_add_u32 s4, s4, s7
	s_addc_u32 s5, 0, s5
	v_add_co_u32_e32 v2, vcc, s4, v2
	s_cmp_lg_u64 vcc, 0
	s_addc_u32 s4, s6, s5
	v_readfirstlane_b32 s7, v2
	s_mul_i32 s6, s60, s4
	s_mul_hi_u32 s8, s60, s7
	s_mul_hi_u32 s5, s60, s4
	s_add_u32 s6, s8, s6
	s_addc_u32 s5, 0, s5
	s_mul_hi_u32 s9, s61, s7
	s_mul_i32 s7, s61, s7
	s_add_u32 s6, s6, s7
	s_mul_hi_u32 s8, s61, s4
	s_addc_u32 s5, s5, s9
	s_addc_u32 s6, s8, 0
	s_mul_i32 s4, s61, s4
	s_add_u32 s4, s5, s4
	s_addc_u32 s5, 0, s6
	s_mul_hi_u32 s6, s3, s4
	s_mul_i32 s4, s3, s4
	s_mul_i32 s5, s3, s5
	v_mov_b32_e32 v2, s4
	s_add_i32 s6, s6, s5
	v_sub_co_u32_e32 v2, vcc, s60, v2
	s_cmp_lg_u64 vcc, 0
	s_subb_u32 s4, s61, s6
	v_subrev_co_u32_e32 v3, vcc, s3, v2
	s_cmp_lg_u64 vcc, 0
	s_subb_u32 s5, s4, 0
	v_subrev_co_u32_e32 v4, vcc, s3, v3
	s_cmp_lg_u64 vcc, 0
	s_subb_u32 s6, s5, 0
	v_cmp_le_u32_e32 vcc, s3, v3
	s_cmp_eq_u32 s5, 0
	v_cndmask_b32_e64 v5, 0, -1, vcc
	s_cselect_b64 vcc, -1, 0
	v_cndmask_b32_e32 v5, -1, v5, vcc
	v_mov_b32_e32 v6, s5
	v_mov_b32_e32 v7, s6
	v_cmp_ne_u32_e32 vcc, 0, v5
	v_cndmask_b32_e32 v5, v6, v7, vcc
	v_cndmask_b32_e32 v4, v3, v4, vcc
	v_cmp_le_u32_e32 vcc, s3, v2
	s_cmp_eq_u32 s4, 0
	v_cndmask_b32_e64 v3, 0, -1, vcc
	s_cselect_b64 vcc, -1, 0
	v_cndmask_b32_e32 v3, -1, v3, vcc
	v_mov_b32_e32 v6, s4
	v_cmp_ne_u32_e32 vcc, 0, v3
	v_cndmask_b32_e32 v3, v6, v5, vcc
	v_cndmask_b32_e32 v2, v2, v4, vcc
	s_cbranch_execnz .LBB219_43
.LBB219_42:                             ;   in Loop: Header=BB219_12 Depth=1
	v_cvt_f32_u32_e32 v2, s3
	s_sub_i32 s4, 0, s3
	v_rcp_iflag_f32_e32 v2, v2
	v_mul_f32_e32 v2, 0x4f7ffffe, v2
	v_cvt_u32_f32_e32 v2, v2
	v_mul_lo_u32 v3, s4, v2
	v_mul_hi_u32 v3, v2, v3
	v_add_u32_e32 v2, v2, v3
	v_mul_hi_u32 v2, s60, v2
	v_mul_lo_u32 v2, v2, s3
	v_sub_u32_e32 v2, s60, v2
	v_subrev_u32_e32 v3, s3, v2
	v_cmp_le_u32_e32 vcc, s3, v2
	v_cndmask_b32_e32 v2, v2, v3, vcc
	v_subrev_u32_e32 v3, s3, v2
	v_cmp_le_u32_e32 vcc, s3, v2
	v_cndmask_b32_e32 v14, v2, v3, vcc
	v_pk_mov_b32 v[2:3], v[14:15], v[14:15] op_sel:[0,1]
.LBB219_43:                             ;   in Loop: Header=BB219_12 Depth=1
	v_mov_b32_e32 v4, s61
	v_sub_co_u32_e32 v20, vcc, s60, v2
	v_subb_co_u32_e32 v21, vcc, v4, v3, vcc
	v_pk_mov_b32 v[2:3], 0, 0
	v_cmp_gt_u64_e32 vcc, v[20:21], v[16:17]
	s_mov_b64 s[54:55], 0
	v_pk_mov_b32 v[4:5], v[2:3], v[2:3] op_sel:[0,1]
	v_pk_mov_b32 v[6:7], v[2:3], v[2:3] op_sel:[0,1]
	;; [unrolled: 1-line block ×3, first 2 shown]
	s_and_saveexec_b64 s[8:9], vcc
	s_cbranch_execz .LBB219_47
; %bb.44:                               ;   in Loop: Header=BB219_12 Depth=1
	s_and_b32 s84, s89, 0xfe
	s_mov_b64 s[10:11], 0
	s_mov_b64 s[56:57], 0
	;; [unrolled: 1-line block ×4, first 2 shown]
	v_pk_mov_b32 v[22:23], v[16:17], v[16:17] op_sel:[0,1]
.LBB219_45:                             ;   Parent Loop BB219_12 Depth=1
                                        ; =>  This Inner Loop Header: Depth=2
	v_mul_lo_u32 v4, v23, s58
	v_mul_lo_u32 v5, v22, s59
	v_mad_u64_u32 v[2:3], s[4:5], v22, s58, 0
	v_add3_u32 v3, v3, v5, v4
	v_lshlrev_b64 v[2:3], 1, v[2:3]
	v_mov_b32_e32 v6, s86
	v_add_co_u32_e64 v2, s[6:7], s33, v2
	s_lshl_b64 s[4:5], s[58:59], 1
	v_addc_co_u32_e64 v3, s[6:7], v6, v3, s[6:7]
	v_mov_b32_e32 v4, s5
	global_load_ushort v5, v[2:3], off
	v_add_co_u32_e64 v2, s[6:7], s4, v2
	v_addc_co_u32_e64 v3, s[6:7], v3, v4, s[6:7]
	global_load_ushort v6, v[2:3], off
	v_add_co_u32_e64 v2, s[6:7], s4, v2
	v_addc_co_u32_e64 v3, s[6:7], v3, v4, s[6:7]
	;; [unrolled: 3-line block ×3, first 2 shown]
	global_load_ushort v2, v[2:3], off
	v_add_co_u32_e32 v22, vcc, s3, v22
	v_addc_co_u32_e32 v23, vcc, 0, v23, vcc
	v_cmp_ge_u64_e32 vcc, v[22:23], v[20:21]
	s_waitcnt vmcnt(3)
	v_cmp_lt_i16_e64 s[6:7], -1, v5
	v_lshlrev_b32_e32 v3, 16, v5
	v_cndmask_b32_e64 v4, v32, v33, s[6:7]
	v_xor_b32_sdwa v4, v4, v5 dst_sel:DWORD dst_unused:UNUSED_PAD src0_sel:DWORD src1_sel:WORD_0
	s_waitcnt vmcnt(2)
	v_cmp_lt_i16_e64 s[6:7], -1, v6
	v_cndmask_b32_e64 v5, v32, v33, s[6:7]
	v_cmp_o_f32_e64 s[6:7], v3, v3
	v_lshlrev_b32_e32 v8, 16, v6
	v_cndmask_b32_e64 v4, v32, v4, s[6:7]
	s_waitcnt vmcnt(1)
	v_cmp_lt_i16_e64 s[6:7], -1, v7
	v_xor_b32_sdwa v5, v5, v6 dst_sel:DWORD dst_unused:UNUSED_PAD src0_sel:DWORD src1_sel:WORD_0
	v_cndmask_b32_e64 v6, v32, v33, s[6:7]
	v_cmp_o_f32_e64 s[6:7], v8, v8
	v_lshlrev_b32_e32 v3, 16, v7
	v_cndmask_b32_e64 v5, v32, v5, s[6:7]
	s_waitcnt vmcnt(0)
	v_cmp_lt_i16_e64 s[6:7], -1, v2
	v_lshlrev_b32_e32 v8, 16, v2
	v_xor_b32_sdwa v6, v6, v7 dst_sel:DWORD dst_unused:UNUSED_PAD src0_sel:DWORD src1_sel:WORD_0
	v_cndmask_b32_e64 v7, v32, v33, s[6:7]
	v_and_b32_e32 v9, v4, v37
	v_bfe_u32 v4, v4, s84, 2
	v_cmp_o_f32_e64 s[6:7], v3, v3
	v_cndmask_b32_e64 v3, v32, v6, s[6:7]
	v_xor_b32_sdwa v2, v7, v2 dst_sel:DWORD dst_unused:UNUSED_PAD src0_sel:DWORD src1_sel:WORD_0
	v_cmp_eq_u32_e64 s[14:15], v9, v38
	v_and_b32_e32 v6, v5, v37
	v_bfe_u32 v5, v5, s84, 2
	v_cmp_eq_u32_e64 s[6:7], 0, v4
	v_cmp_o_f32_e64 s[16:17], v8, v8
	v_cmp_eq_u32_e64 s[34:35], 1, v4
	v_cmp_eq_u32_e64 s[36:37], 2, v4
	v_cmp_eq_u32_e64 s[18:19], 3, v4
	v_cndmask_b32_e64 v2, v32, v2, s[16:17]
	v_cmp_eq_u32_e64 s[16:17], v6, v38
	v_and_b32_e32 v4, v3, v37
	v_bfe_u32 v3, v3, s84, 2
	v_cmp_eq_u32_e64 s[26:27], 0, v5
	s_and_b64 s[4:5], s[14:15], s[6:7]
	v_cmp_eq_u32_e64 s[38:39], 1, v5
	v_cmp_eq_u32_e64 s[40:41], 2, v5
	;; [unrolled: 1-line block ×3, first 2 shown]
	v_cndmask_b32_e64 v5, 0, 1, s[4:5]
	v_cmp_eq_u32_e64 s[22:23], v4, v38
	v_and_b32_e32 v4, v2, v37
	v_bfe_u32 v2, v2, s84, 2
	v_cmp_eq_u32_e64 s[6:7], 0, v3
	s_and_b64 s[4:5], s[16:17], s[26:27]
	v_cmp_eq_u32_e64 s[42:43], 1, v3
	v_cmp_eq_u32_e64 s[44:45], 2, v3
	;; [unrolled: 1-line block ×3, first 2 shown]
	v_cndmask_b32_e64 v3, 0, 1, s[4:5]
	v_cmp_eq_u32_e64 s[26:27], v4, v38
	v_cmp_eq_u32_e64 s[48:49], 0, v2
	s_and_b64 s[4:5], s[22:23], s[6:7]
	v_cmp_eq_u32_e64 s[50:51], 1, v2
	v_cmp_eq_u32_e64 s[52:53], 2, v2
	;; [unrolled: 1-line block ×3, first 2 shown]
	v_cndmask_b32_e64 v2, 0, 1, s[4:5]
	s_and_b64 s[4:5], s[26:27], s[48:49]
	v_cmp_ne_u32_e64 s[46:47], 0, v5
	v_cmp_ne_u32_e64 s[6:7], 0, v2
	v_cndmask_b32_e64 v2, 0, 1, s[4:5]
	s_bcnt1_i32_b64 s92, s[46:47]
	v_cmp_ne_u32_e64 s[46:47], 0, v3
	s_bcnt1_i32_b64 s4, s[6:7]
	v_cmp_ne_u32_e64 s[6:7], 0, v2
	s_bcnt1_i32_b64 s46, s[46:47]
	s_bcnt1_i32_b64 s5, s[6:7]
	s_add_u32 s6, s92, s12
	s_addc_u32 s7, 0, s13
	s_add_u32 s6, s6, s46
	s_addc_u32 s7, s7, 0
	s_add_u32 s4, s6, s4
	s_addc_u32 s6, s7, 0
	s_add_u32 s12, s4, s5
	s_addc_u32 s13, s6, 0
	s_and_b64 s[4:5], s[14:15], s[34:35]
	v_cndmask_b32_e64 v4, 0, 1, s[4:5]
	s_and_b64 s[4:5], s[16:17], s[38:39]
	v_cndmask_b32_e64 v5, 0, 1, s[4:5]
	s_and_b64 s[4:5], s[22:23], s[42:43]
	v_cndmask_b32_e64 v6, 0, 1, s[4:5]
	s_and_b64 s[4:5], s[26:27], s[50:51]
	v_cndmask_b32_e64 v7, 0, 1, s[4:5]
	v_cmp_ne_u32_e64 s[6:7], 0, v4
	v_cmp_ne_u32_e64 s[34:35], 0, v5
	v_cmp_ne_u32_e64 s[38:39], 0, v6
	v_cmp_ne_u32_e64 s[42:43], 0, v7
	s_bcnt1_i32_b64 s4, s[6:7]
	s_bcnt1_i32_b64 s5, s[34:35]
	s_bcnt1_i32_b64 s6, s[38:39]
	s_bcnt1_i32_b64 s7, s[42:43]
	s_add_u32 s4, s4, s90
	s_addc_u32 s34, 0, s91
	s_add_u32 s4, s4, s5
	s_addc_u32 s5, s34, 0
	s_add_u32 s4, s4, s6
	s_addc_u32 s5, s5, 0
	s_add_u32 s90, s4, s7
	s_addc_u32 s91, s5, 0
	s_and_b64 s[4:5], s[14:15], s[36:37]
	v_cndmask_b32_e64 v6, 0, 1, s[4:5]
	s_and_b64 s[4:5], s[16:17], s[40:41]
	v_cndmask_b32_e64 v7, 0, 1, s[4:5]
	s_and_b64 s[4:5], s[22:23], s[44:45]
	v_cndmask_b32_e64 v8, 0, 1, s[4:5]
	s_and_b64 s[4:5], s[26:27], s[52:53]
	v_cndmask_b32_e64 v9, 0, 1, s[4:5]
	v_cmp_ne_u32_e64 s[6:7], 0, v6
	v_cmp_ne_u32_e64 s[34:35], 0, v7
	v_cmp_ne_u32_e64 s[36:37], 0, v8
	v_cmp_ne_u32_e64 s[38:39], 0, v9
	s_bcnt1_i32_b64 s4, s[6:7]
	s_bcnt1_i32_b64 s5, s[34:35]
	s_bcnt1_i32_b64 s6, s[36:37]
	s_bcnt1_i32_b64 s7, s[38:39]
	s_add_u32 s4, s4, s56
	s_addc_u32 s34, 0, s57
	s_add_u32 s4, s4, s5
	s_addc_u32 s5, s34, 0
	s_add_u32 s4, s4, s6
	s_addc_u32 s5, s5, 0
	s_add_u32 s56, s4, s7
	s_addc_u32 s57, s5, 0
	s_and_b64 s[4:5], s[14:15], s[18:19]
	v_cndmask_b32_e64 v8, 0, 1, s[4:5]
	s_and_b64 s[4:5], s[16:17], s[20:21]
	v_cndmask_b32_e64 v9, 0, 1, s[4:5]
	s_and_b64 s[4:5], s[22:23], s[24:25]
	v_cndmask_b32_e64 v14, 0, 1, s[4:5]
	s_and_b64 s[4:5], s[26:27], s[28:29]
	v_cndmask_b32_e64 v41, 0, 1, s[4:5]
	v_cmp_ne_u32_e64 s[6:7], 0, v8
	v_cmp_ne_u32_e64 s[14:15], 0, v9
	v_cmp_ne_u32_e64 s[16:17], 0, v14
	v_cmp_ne_u32_e64 s[18:19], 0, v41
	s_bcnt1_i32_b64 s4, s[6:7]
	s_bcnt1_i32_b64 s5, s[14:15]
	s_bcnt1_i32_b64 s6, s[16:17]
	s_bcnt1_i32_b64 s7, s[18:19]
	s_add_u32 s4, s4, s10
	s_addc_u32 s10, 0, s11
	s_add_u32 s4, s4, s5
	s_addc_u32 s5, s10, 0
	;; [unrolled: 2-line block ×4, first 2 shown]
	v_pk_mov_b32 v[2:3], s[12:13], s[12:13] op_sel:[0,1]
	v_pk_mov_b32 v[4:5], s[90:91], s[90:91] op_sel:[0,1]
	;; [unrolled: 1-line block ×3, first 2 shown]
	s_or_b64 s[54:55], vcc, s[54:55]
	v_pk_mov_b32 v[8:9], s[10:11], s[10:11] op_sel:[0,1]
	s_andn2_b64 exec, exec, s[54:55]
	s_cbranch_execnz .LBB219_45
; %bb.46:                               ;   in Loop: Header=BB219_12 Depth=1
	s_or_b64 exec, exec, s[54:55]
.LBB219_47:                             ;   in Loop: Header=BB219_12 Depth=1
	s_or_b64 exec, exec, s[8:9]
	v_add_co_u32_e32 v20, vcc, v20, v0
	v_addc_co_u32_e32 v21, vcc, 0, v21, vcc
	v_cmp_gt_u64_e32 vcc, s[60:61], v[20:21]
	v_mov_b32_e32 v14, 0
	s_and_saveexec_b64 s[4:5], vcc
	s_cbranch_execz .LBB219_49
; %bb.48:                               ;   in Loop: Header=BB219_12 Depth=1
	v_mul_lo_u32 v14, v21, s58
	v_mul_lo_u32 v41, v20, s59
	v_mad_u64_u32 v[22:23], s[6:7], v20, s58, 0
	v_add3_u32 v23, v23, v41, v14
	v_lshlrev_b64 v[22:23], 1, v[22:23]
	v_mov_b32_e32 v14, s86
	v_add_co_u32_e64 v22, s[6:7], s33, v22
	v_addc_co_u32_e64 v23, s[6:7], v14, v23, s[6:7]
	global_load_ushort v14, v[22:23], off
.LBB219_49:                             ;   in Loop: Header=BB219_12 Depth=1
	s_or_b64 exec, exec, s[4:5]
	s_and_saveexec_b64 s[4:5], vcc
	s_cbranch_execz .LBB219_56
; %bb.50:                               ;   in Loop: Header=BB219_12 Depth=1
	s_and_b32 s3, s89, 0xfe
	s_mov_b64 s[8:9], 0
	s_branch .LBB219_52
.LBB219_51:                             ;   in Loop: Header=BB219_52 Depth=2
	s_or_b64 exec, exec, s[10:11]
	s_and_b64 s[6:7], exec, vcc
	s_waitcnt vmcnt(0)
	v_cmp_lt_i16_e32 vcc, -1, v14
	v_cndmask_b32_e32 v23, v32, v33, vcc
	v_lshlrev_b32_e32 v41, 16, v14
	v_xor_b32_sdwa v14, v23, v14 dst_sel:DWORD dst_unused:UNUSED_PAD src0_sel:DWORD src1_sel:WORD_0
	v_cmp_o_f32_e32 vcc, v41, v41
	v_cndmask_b32_e32 v14, v32, v14, vcc
	v_and_b32_e32 v23, v14, v37
	v_bfe_u32 v14, v14, s3, 2
	s_or_b64 s[8:9], s[6:7], s[8:9]
	v_cmp_eq_u32_e32 vcc, v23, v38
	v_cmp_eq_u32_e64 s[6:7], 0, v14
	s_and_b64 s[6:7], vcc, s[6:7]
	v_cndmask_b32_e64 v23, 0, 1, s[6:7]
	v_cmp_ne_u32_e64 s[6:7], 0, v23
	s_bcnt1_i32_b64 s6, s[6:7]
	v_add_co_u32_e64 v2, s[6:7], s6, v2
	v_addc_co_u32_e64 v3, s[6:7], 0, v3, s[6:7]
	v_cmp_eq_u32_e64 s[6:7], 1, v14
	s_and_b64 s[6:7], vcc, s[6:7]
	v_cndmask_b32_e64 v23, 0, 1, s[6:7]
	v_cmp_ne_u32_e64 s[6:7], 0, v23
	s_bcnt1_i32_b64 s6, s[6:7]
	v_add_co_u32_e64 v4, s[6:7], s6, v4
	v_addc_co_u32_e64 v5, s[6:7], 0, v5, s[6:7]
	;; [unrolled: 7-line block ×3, first 2 shown]
	v_cmp_eq_u32_e64 s[6:7], 3, v14
	s_and_b64 s[6:7], vcc, s[6:7]
	v_cndmask_b32_e64 v14, 0, 1, s[6:7]
	v_cmp_ne_u32_e32 vcc, 0, v14
	s_bcnt1_i32_b64 s6, vcc
	v_add_co_u32_e32 v8, vcc, s6, v8
	v_addc_co_u32_e32 v9, vcc, 0, v9, vcc
	v_mov_b32_e32 v14, v22
	s_andn2_b64 exec, exec, s[8:9]
	s_cbranch_execz .LBB219_55
.LBB219_52:                             ;   Parent Loop BB219_12 Depth=1
                                        ; =>  This Inner Loop Header: Depth=2
	v_add_co_u32_sdwa v20, vcc, v20, v40 dst_sel:DWORD dst_unused:UNUSED_PAD src0_sel:DWORD src1_sel:WORD_0
	v_addc_co_u32_e32 v21, vcc, 0, v21, vcc
	v_cmp_gt_u64_e64 s[6:7], s[60:61], v[20:21]
	v_cmp_le_u64_e32 vcc, s[60:61], v[20:21]
	v_mov_b32_e32 v22, 0
	s_and_saveexec_b64 s[10:11], s[6:7]
	s_cbranch_execz .LBB219_51
; %bb.53:                               ;   in Loop: Header=BB219_52 Depth=2
	v_mul_lo_u32 v41, v21, s58
	v_mul_lo_u32 v42, v20, s59
	v_mad_u64_u32 v[22:23], s[6:7], v20, s58, 0
	v_add3_u32 v23, v23, v42, v41
	v_lshlrev_b64 v[22:23], 1, v[22:23]
	v_mov_b32_e32 v41, s86
	v_add_co_u32_e64 v22, s[6:7], s33, v22
	v_addc_co_u32_e64 v23, s[6:7], v41, v23, s[6:7]
	global_load_ushort v22, v[22:23], off
	s_branch .LBB219_51
.LBB219_54:                             ;   in Loop: Header=BB219_12 Depth=1
                                        ; implicit-def: $vgpr8_vgpr9
                                        ; implicit-def: $vgpr4_vgpr5
	s_cbranch_execnz .LBB219_57
	s_branch .LBB219_66
.LBB219_55:                             ;   in Loop: Header=BB219_12 Depth=1
	s_or_b64 exec, exec, s[8:9]
.LBB219_56:                             ;   in Loop: Header=BB219_12 Depth=1
	s_or_b64 exec, exec, s[4:5]
	s_branch .LBB219_66
.LBB219_57:                             ;   in Loop: Header=BB219_12 Depth=1
	v_readlane_b32 s4, v48, 37
	v_readlane_b32 s5, v48, 38
	s_mov_b64 s[8:9], 0
	s_nop 3
	global_load_ushort v8, v15, s[4:5]
	s_waitcnt vmcnt(0)
	v_readfirstlane_b32 s3, v8
	s_and_b32 s3, 0xffff, s3
	s_lshl_b32 s3, s3, 2
	v_cvt_f32_u32_e32 v2, s3
	s_sub_i32 s4, 0, s3
	v_and_b32_e32 v22, 0xffff, v8
	v_rcp_iflag_f32_e32 v6, v2
	v_pk_mov_b32 v[2:3], 0, 0
	v_pk_mov_b32 v[4:5], v[2:3], v[2:3] op_sel:[0,1]
	v_mul_f32_e32 v6, 0x4f7ffffe, v6
	v_cvt_u32_f32_e32 v9, v6
	v_pk_mov_b32 v[6:7], v[2:3], v[2:3] op_sel:[0,1]
	v_readfirstlane_b32 s5, v9
	s_mul_i32 s4, s4, s5
	s_mul_hi_u32 s4, s5, s4
	s_add_i32 s5, s5, s4
	s_mul_hi_u32 s4, s2, s5
	s_mul_i32 s4, s4, s3
	s_sub_i32 s4, s2, s4
	s_sub_i32 s5, s4, s3
	s_cmp_ge_u32 s4, s3
	s_cselect_b32 s4, s5, s4
	s_sub_i32 s5, s4, s3
	s_cmp_ge_u32 s4, s3
	s_cselect_b32 s4, s5, s4
	s_sub_i32 s84, s2, s4
	v_cmp_gt_u32_e32 vcc, s84, v16
	v_pk_mov_b32 v[8:9], v[2:3], v[2:3] op_sel:[0,1]
	s_and_saveexec_b64 s[10:11], vcc
	s_cbranch_execz .LBB219_61
; %bb.58:                               ;   in Loop: Header=BB219_12 Depth=1
	s_and_b32 s92, s89, 0xfe
	v_lshlrev_b32_e32 v14, 3, v22
	v_mov_b32_e32 v23, v30
	s_mov_b64 s[12:13], 0
	s_mov_b64 s[56:57], 0
	;; [unrolled: 1-line block ×4, first 2 shown]
	v_pk_mov_b32 v[20:21], v[16:17], v[16:17] op_sel:[0,1]
.LBB219_59:                             ;   Parent Loop BB219_12 Depth=1
                                        ; =>  This Inner Loop Header: Depth=2
	ds_read_b64 v[2:3], v23
	v_add_co_u32_e32 v20, vcc, s3, v20
	v_addc_co_u32_e32 v21, vcc, 0, v21, vcc
	s_waitcnt lgkmcnt(0)
	v_cmp_lt_i16_e64 s[6:7], -1, v2
	v_cndmask_b32_e64 v8, v32, v33, s[6:7]
	v_cmp_gt_i16_sdwa s[6:7], v2, v35 src0_sel:WORD_1 src1_sel:DWORD
	v_lshlrev_b32_e32 v4, 16, v2
	v_cndmask_b32_e64 v9, v32, v33, s[6:7]
	v_cmp_lt_i16_e64 s[6:7], -1, v3
	v_and_b32_e32 v5, 0xffff0000, v2
	v_cndmask_b32_e64 v40, v32, v33, s[6:7]
	v_cmp_gt_i16_sdwa s[6:7], v3, v35 src0_sel:WORD_1 src1_sel:DWORD
	v_xor_b32_sdwa v9, v9, v2 dst_sel:DWORD dst_unused:UNUSED_PAD src0_sel:DWORD src1_sel:WORD_1
	v_xor_b32_sdwa v2, v8, v2 dst_sel:DWORD dst_unused:UNUSED_PAD src0_sel:DWORD src1_sel:WORD_0
	v_cmp_o_f32_e64 s[18:19], v4, v4
	v_lshlrev_b32_e32 v6, 16, v3
	v_cndmask_b32_e64 v41, v32, v33, s[6:7]
	v_cmp_o_f32_e64 s[6:7], v5, v5
	v_cndmask_b32_e64 v2, v32, v2, s[18:19]
	v_and_b32_e32 v7, 0xffff0000, v3
	v_xor_b32_sdwa v5, v40, v3 dst_sel:DWORD dst_unused:UNUSED_PAD src0_sel:DWORD src1_sel:WORD_0
	v_cmp_o_f32_e64 s[14:15], v6, v6
	v_cndmask_b32_e64 v4, v32, v9, s[6:7]
	v_and_b32_e32 v6, v2, v37
	v_bfe_u32 v2, v2, s92, 2
	v_xor_b32_sdwa v3, v41, v3 dst_sel:DWORD dst_unused:UNUSED_PAD src0_sel:DWORD src1_sel:WORD_1
	v_cmp_o_f32_e64 s[16:17], v7, v7
	v_cndmask_b32_e64 v5, v32, v5, s[14:15]
	v_and_b32_e32 v7, v4, v37
	v_bfe_u32 v4, v4, s92, 2
	v_cmp_eq_u32_e64 s[20:21], v6, v38
	v_cmp_eq_u32_e64 s[6:7], 0, v2
	v_cndmask_b32_e64 v3, v32, v3, s[16:17]
	v_and_b32_e32 v8, v5, v37
	v_bfe_u32 v5, v5, s92, 2
	v_cmp_eq_u32_e64 s[18:19], v7, v38
	v_cmp_eq_u32_e64 s[34:35], 0, v4
	s_and_b64 s[6:7], s[20:21], s[6:7]
	v_and_b32_e32 v9, v3, v37
	v_bfe_u32 v3, v3, s92, 2
	v_cmp_eq_u32_e64 s[16:17], v8, v38
	v_cmp_eq_u32_e64 s[36:37], 0, v5
	;; [unrolled: 1-line block ×5, first 2 shown]
	v_cndmask_b32_e64 v2, 0, 1, s[6:7]
	s_and_b64 s[6:7], s[18:19], s[34:35]
	v_cmp_eq_u32_e64 s[14:15], v9, v38
	v_cmp_eq_u32_e64 s[38:39], 0, v3
	;; [unrolled: 1-line block ×5, first 2 shown]
	v_cndmask_b32_e64 v3, 0, 1, s[6:7]
	s_and_b64 s[6:7], s[16:17], s[36:37]
	v_cmp_eq_u32_e64 s[42:43], 1, v4
	v_cmp_eq_u32_e64 s[50:51], 2, v4
	;; [unrolled: 1-line block ×3, first 2 shown]
	v_cndmask_b32_e64 v4, 0, 1, s[6:7]
	s_and_b64 s[6:7], s[14:15], s[38:39]
	v_cmp_eq_u32_e64 s[44:45], 1, v5
	v_cmp_eq_u32_e64 s[52:53], 2, v5
	;; [unrolled: 1-line block ×3, first 2 shown]
	v_cndmask_b32_e64 v5, 0, 1, s[6:7]
	v_cmp_ne_u32_e64 s[6:7], 0, v2
	v_cmp_ne_u32_e64 s[34:35], 0, v3
	v_cmp_ne_u32_e64 s[36:37], 0, v4
	v_cmp_ne_u32_e64 s[38:39], 0, v5
	s_bcnt1_i32_b64 s6, s[6:7]
	s_bcnt1_i32_b64 s7, s[34:35]
	s_bcnt1_i32_b64 s34, s[36:37]
	s_bcnt1_i32_b64 s35, s[38:39]
	s_add_u32 s4, s6, s4
	s_addc_u32 s5, 0, s5
	s_add_u32 s4, s4, s7
	s_addc_u32 s5, s5, 0
	s_add_u32 s4, s4, s34
	s_addc_u32 s5, s5, 0
	s_add_u32 s4, s4, s35
	s_addc_u32 s5, s5, 0
	s_and_b64 s[6:7], s[20:21], s[40:41]
	v_cndmask_b32_e64 v4, 0, 1, s[6:7]
	s_and_b64 s[6:7], s[18:19], s[42:43]
	v_cndmask_b32_e64 v5, 0, 1, s[6:7]
	s_and_b64 s[6:7], s[16:17], s[44:45]
	v_cndmask_b32_e64 v6, 0, 1, s[6:7]
	s_and_b64 s[6:7], s[14:15], s[46:47]
	v_cndmask_b32_e64 v7, 0, 1, s[6:7]
	v_cmp_ne_u32_e64 s[6:7], 0, v4
	v_cmp_ne_u32_e64 s[34:35], 0, v5
	v_cmp_ne_u32_e64 s[36:37], 0, v6
	v_cmp_ne_u32_e64 s[38:39], 0, v7
	s_bcnt1_i32_b64 s6, s[6:7]
	s_bcnt1_i32_b64 s7, s[34:35]
	s_bcnt1_i32_b64 s34, s[36:37]
	s_bcnt1_i32_b64 s35, s[38:39]
	s_add_u32 s6, s6, s90
	s_addc_u32 s36, 0, s91
	s_add_u32 s6, s6, s7
	s_addc_u32 s7, s36, 0
	s_add_u32 s6, s6, s34
	s_addc_u32 s7, s7, 0
	s_add_u32 s90, s6, s35
	s_addc_u32 s91, s7, 0
	s_and_b64 s[6:7], s[20:21], s[48:49]
	v_cndmask_b32_e64 v6, 0, 1, s[6:7]
	s_and_b64 s[6:7], s[18:19], s[50:51]
	v_cndmask_b32_e64 v7, 0, 1, s[6:7]
	s_and_b64 s[6:7], s[16:17], s[52:53]
	v_cndmask_b32_e64 v8, 0, 1, s[6:7]
	s_and_b64 s[6:7], s[14:15], s[54:55]
	;; [unrolled: 24-line block ×3, first 2 shown]
	v_cndmask_b32_e64 v41, 0, 1, s[6:7]
	v_cmp_ne_u32_e64 s[6:7], 0, v8
	v_cmp_ne_u32_e64 s[14:15], 0, v9
	;; [unrolled: 1-line block ×4, first 2 shown]
	s_bcnt1_i32_b64 s6, s[6:7]
	s_bcnt1_i32_b64 s7, s[14:15]
	;; [unrolled: 1-line block ×4, first 2 shown]
	s_add_u32 s6, s6, s12
	s_addc_u32 s12, 0, s13
	s_add_u32 s6, s6, s7
	s_addc_u32 s7, s12, 0
	;; [unrolled: 2-line block ×3, first 2 shown]
	s_add_u32 s12, s6, s15
	v_cmp_le_u64_e32 vcc, s[84:85], v[20:21]
	s_addc_u32 s13, s7, 0
	v_add_u32_e32 v23, v23, v14
	v_pk_mov_b32 v[2:3], s[4:5], s[4:5] op_sel:[0,1]
	v_pk_mov_b32 v[4:5], s[90:91], s[90:91] op_sel:[0,1]
	;; [unrolled: 1-line block ×3, first 2 shown]
	s_or_b64 s[8:9], vcc, s[8:9]
	v_pk_mov_b32 v[8:9], s[12:13], s[12:13] op_sel:[0,1]
	s_andn2_b64 exec, exec, s[8:9]
	s_cbranch_execnz .LBB219_59
; %bb.60:                               ;   in Loop: Header=BB219_12 Depth=1
	s_or_b64 exec, exec, s[8:9]
.LBB219_61:                             ;   in Loop: Header=BB219_12 Depth=1
	s_or_b64 exec, exec, s[10:11]
	v_add_u32_e32 v14, s84, v0
	v_cmp_gt_u32_e32 vcc, s2, v14
	s_and_saveexec_b64 s[4:5], vcc
	s_cbranch_execz .LBB219_65
; %bb.62:                               ;   in Loop: Header=BB219_12 Depth=1
	s_and_b32 s84, s2, 0x7fffffff
	s_and_b32 s8, s89, 0xfe
	v_lshlrev_b32_e32 v23, 1, v14
	v_lshlrev_b32_e32 v40, 1, v22
	s_mov_b64 s[2:3], 0
	v_pk_mov_b32 v[20:21], v[14:15], v[14:15] op_sel:[0,1]
.LBB219_63:                             ;   Parent Loop BB219_12 Depth=1
                                        ; =>  This Inner Loop Header: Depth=2
	ds_read_u16 v14, v23
	v_add_co_u32_e32 v20, vcc, v20, v22
	v_addc_co_u32_e32 v21, vcc, 0, v21, vcc
	s_waitcnt lgkmcnt(0)
	v_cmp_lt_i16_e64 s[6:7], -1, v14
	v_lshlrev_b32_e32 v41, 16, v14
	v_cndmask_b32_e64 v42, v32, v33, s[6:7]
	v_xor_b32_sdwa v14, v42, v14 dst_sel:DWORD dst_unused:UNUSED_PAD src0_sel:DWORD src1_sel:WORD_0
	v_cmp_o_f32_e64 s[6:7], v41, v41
	v_cndmask_b32_e64 v14, v32, v14, s[6:7]
	v_and_b32_e32 v41, v14, v37
	v_bfe_u32 v14, v14, s8, 2
	v_cmp_eq_u32_e64 s[6:7], v41, v38
	v_cmp_eq_u32_e64 s[14:15], 0, v14
	;; [unrolled: 1-line block ×3, first 2 shown]
	s_and_b64 s[10:11], s[6:7], s[14:15]
	v_cmp_eq_u32_e64 s[18:19], 2, v14
	v_cmp_eq_u32_e64 s[20:21], 3, v14
	v_cndmask_b32_e64 v14, 0, 1, s[10:11]
	s_and_b64 s[10:11], s[6:7], s[16:17]
	v_cndmask_b32_e64 v41, 0, 1, s[10:11]
	s_and_b64 s[10:11], s[6:7], s[18:19]
	s_and_b64 s[6:7], s[6:7], s[20:21]
	v_cndmask_b32_e64 v42, 0, 1, s[10:11]
	v_cndmask_b32_e64 v43, 0, 1, s[6:7]
	v_cmp_ne_u32_e64 s[6:7], 0, v14
	v_cmp_ne_u32_e64 s[14:15], 0, v41
	;; [unrolled: 1-line block ×4, first 2 shown]
	v_cmp_le_u64_e32 vcc, s[84:85], v[20:21]
	s_bcnt1_i32_b64 s6, s[6:7]
	s_bcnt1_i32_b64 s7, s[14:15]
	;; [unrolled: 1-line block ×4, first 2 shown]
	s_or_b64 s[2:3], vcc, s[2:3]
	v_add_co_u32_e32 v2, vcc, s6, v2
	v_addc_co_u32_e32 v3, vcc, 0, v3, vcc
	v_add_co_u32_e32 v4, vcc, s7, v4
	v_addc_co_u32_e32 v5, vcc, 0, v5, vcc
	;; [unrolled: 2-line block ×3, first 2 shown]
	v_add_co_u32_e32 v8, vcc, s10, v8
	v_add_u32_e32 v23, v23, v40
	v_addc_co_u32_e32 v9, vcc, 0, v9, vcc
	s_andn2_b64 exec, exec, s[2:3]
	s_cbranch_execnz .LBB219_63
; %bb.64:                               ;   in Loop: Header=BB219_12 Depth=1
	s_or_b64 exec, exec, s[2:3]
.LBB219_65:                             ;   in Loop: Header=BB219_12 Depth=1
	s_or_b64 exec, exec, s[4:5]
.LBB219_66:                             ;   in Loop: Header=BB219_12 Depth=1
	v_readlane_b32 s2, v48, 50
	s_lshl_b32 s4, s2, 6
	s_and_saveexec_b64 s[2:3], s[0:1]
	s_cbranch_execz .LBB219_68
; %bb.67:                               ;   in Loop: Header=BB219_12 Depth=1
	s_waitcnt vmcnt(0)
	v_or_b32_e32 v14, s4, v27
	v_lshlrev_b32_e32 v14, 3, v14
	ds_write_b128 v14, v[2:5] offset:3072
	ds_write_b128 v14, v[6:9] offset:3088
.LBB219_68:                             ;   in Loop: Header=BB219_12 Depth=1
	s_or_b64 exec, exec, s[2:3]
	s_waitcnt lgkmcnt(0)
	s_barrier
	s_mov_b64 s[2:3], exec
	v_readlane_b32 s6, v48, 24
	v_readlane_b32 s7, v48, 25
	s_and_b64 s[6:7], s[2:3], s[6:7]
	s_mov_b64 exec, s[6:7]
	s_cbranch_execz .LBB219_80
; %bb.69:                               ;   in Loop: Header=BB219_12 Depth=1
	v_readlane_b32 s6, v48, 32
	v_readlane_b32 s7, v48, 33
	s_andn2_b64 vcc, exec, s[6:7]
	v_pk_mov_b32 v[2:3], 0, 0
	s_cbranch_vccnz .LBB219_79
; %bb.70:                               ;   in Loop: Header=BB219_12 Depth=1
	v_readlane_b32 s6, v48, 39
	v_readlane_b32 s7, v48, 40
	s_andn2_b64 vcc, exec, s[6:7]
	s_cbranch_vccnz .LBB219_75
; %bb.71:                               ;   in Loop: Header=BB219_12 Depth=1
	v_readlane_b32 s5, v48, 50
	s_waitcnt vmcnt(0)
	v_lshl_add_u32 v4, s5, 9, v31
	s_mov_b32 s5, 0
	v_pk_mov_b32 v[2:3], 0, 0
.LBB219_72:                             ;   Parent Loop BB219_12 Depth=1
                                        ; =>  This Inner Loop Header: Depth=2
	ds_read2_b64 v[6:9], v4 offset1:4
	ds_read2_b64 v[20:23], v4 offset0:8 offset1:12
	ds_read2_b64 v[40:43], v4 offset0:16 offset1:20
	;; [unrolled: 1-line block ×3, first 2 shown]
	s_add_i32 s5, s5, 8
	s_waitcnt lgkmcnt(3)
	v_add_co_u32_e32 v2, vcc, v6, v2
	v_addc_co_u32_e32 v3, vcc, v7, v3, vcc
	v_add_co_u32_e32 v2, vcc, v8, v2
	v_addc_co_u32_e32 v3, vcc, v9, v3, vcc
	s_waitcnt lgkmcnt(2)
	v_add_co_u32_e32 v2, vcc, v20, v2
	v_addc_co_u32_e32 v3, vcc, v21, v3, vcc
	v_add_co_u32_e32 v2, vcc, v22, v2
	v_addc_co_u32_e32 v3, vcc, v23, v3, vcc
	;; [unrolled: 5-line block ×3, first 2 shown]
	s_waitcnt lgkmcnt(0)
	v_add_co_u32_e32 v2, vcc, v44, v2
	v_addc_co_u32_e32 v3, vcc, v45, v3, vcc
	v_add_co_u32_e32 v2, vcc, v46, v2
	v_add_u32_e32 v4, 0x100, v4
	s_cmp_eq_u32 s94, s5
	v_addc_co_u32_e32 v3, vcc, v47, v3, vcc
	s_cbranch_scc0 .LBB219_72
; %bb.73:                               ;   in Loop: Header=BB219_12 Depth=1
	s_mov_b32 s5, s94
	s_branch .LBB219_76
.LBB219_74:                             ;   in Loop: Header=BB219_12 Depth=1
                                        ; implicit-def: $vgpr2_vgpr3
	s_branch .LBB219_42
.LBB219_75:                             ;   in Loop: Header=BB219_12 Depth=1
	s_mov_b32 s5, 0
	v_pk_mov_b32 v[2:3], 0, 0
.LBB219_76:                             ;   in Loop: Header=BB219_12 Depth=1
	v_readlane_b32 s6, v48, 42
	v_readlane_b32 s7, v48, 43
	s_andn2_b64 vcc, exec, s[6:7]
	s_cbranch_vccnz .LBB219_79
; %bb.77:                               ;   in Loop: Header=BB219_12 Depth=1
	v_readlane_b32 s6, v48, 50
	s_lshl_b32 s6, s6, 9
	s_lshl_b32 s5, s5, 5
	s_add_i32 s6, s6, s5
	s_waitcnt vmcnt(0)
	v_add_u32_e32 v4, s6, v31
	v_readlane_b32 s5, v48, 41
.LBB219_78:                             ;   Parent Loop BB219_12 Depth=1
                                        ; =>  This Inner Loop Header: Depth=2
	ds_read_b64 v[6:7], v4
	s_add_i32 s5, s5, -1
	v_add_u32_e32 v4, 32, v4
	s_cmp_lg_u32 s5, 0
	s_waitcnt lgkmcnt(0)
	v_add_co_u32_e32 v2, vcc, v6, v2
	v_addc_co_u32_e32 v3, vcc, v7, v3, vcc
	s_cbranch_scc1 .LBB219_78
.LBB219_79:                             ;   in Loop: Header=BB219_12 Depth=1
	s_waitcnt vmcnt(0)
	v_add_lshl_u32 v4, s4, v25, 3
	ds_write_b64 v4, v[2:3] offset:3072
.LBB219_80:                             ;   in Loop: Header=BB219_12 Depth=1
	s_or_b64 exec, exec, s[2:3]
	s_lshl_b32 s2, s4, 3
	v_mov_b32_e32 v6, s2
	s_waitcnt lgkmcnt(0)
	s_barrier
	s_waitcnt vmcnt(0)
	ds_read_b128 v[2:5], v6 offset:3072
	ds_read_b128 v[6:9], v6 offset:3088
	s_and_b32 s49, s89, 0xfe
	v_readlane_b32 s2, v48, 22
	s_lshl_b32 s84, 3, s49
	v_readlane_b32 s3, v48, 23
	s_waitcnt lgkmcnt(1)
	v_readfirstlane_b32 s17, v3
	v_readfirstlane_b32 s16, v2
	;; [unrolled: 1-line block ×4, first 2 shown]
	s_waitcnt lgkmcnt(0)
	v_readfirstlane_b32 s23, v7
	v_readfirstlane_b32 s22, v6
	;; [unrolled: 1-line block ×4, first 2 shown]
	s_not_b32 s48, s84
	s_andn2_b64 vcc, exec, s[2:3]
	v_cmp_eq_u64_e64 s[14:15], 1, v[18:19]
	s_cbranch_vccnz .LBB219_96
; %bb.81:                               ;   in Loop: Header=BB219_12 Depth=1
	s_cmp_eq_u64 s[16:17], 1
	s_cselect_b64 s[2:3], -1, 0
	s_and_b64 s[2:3], s[2:3], s[14:15]
	s_mov_b64 s[4:5], -1
	v_mov_b32_e32 v8, v38
	v_mov_b32_e32 v9, v37
	;; [unrolled: 1-line block ×3, first 2 shown]
                                        ; implicit-def: $sgpr20_sgpr21
                                        ; implicit-def: $sgpr36_sgpr37
                                        ; implicit-def: $sgpr34_sgpr35
	s_and_saveexec_b64 s[8:9], s[2:3]
	s_cbranch_execz .LBB219_118
; %bb.82:                               ;   in Loop: Header=BB219_12 Depth=1
	ds_read_b64 v[2:3], v15 offset:5120
	s_waitcnt lgkmcnt(0)
	s_barrier
	v_readfirstlane_b32 s4, v2
	v_readfirstlane_b32 s5, v3
	s_mov_b64 s[6:7], exec
	v_readlane_b32 s10, v48, 30
	v_readlane_b32 s11, v48, 31
	s_and_b64 s[10:11], s[6:7], s[10:11]
	s_mov_b64 exec, s[10:11]
	s_cbranch_execz .LBB219_84
; %bb.83:                               ;   in Loop: Header=BB219_12 Depth=1
	ds_write_b16 v29, v15
.LBB219_84:                             ;   in Loop: Header=BB219_12 Depth=1
	s_or_b64 exec, exec, s[6:7]
	v_and_b32_e32 v8, s48, v38
	v_or_b32_e32 v9, s84, v37
	s_cmp_eq_u64 s[4:5], 0
	s_waitcnt lgkmcnt(0)
	s_barrier
	s_cbranch_scc1 .LBB219_101
; %bb.85:                               ;   in Loop: Header=BB219_12 Depth=1
	v_readlane_b32 s6, v48, 34
	s_add_u32 s12, s6, s4
	v_readlane_b32 s6, v48, 36
	s_addc_u32 s7, s6, s5
	s_mov_b32 s6, s85
	s_cmp_lg_u64 s[6:7], 0
	s_cbranch_scc0 .LBB219_145
; %bb.86:                               ;   in Loop: Header=BB219_12 Depth=1
	v_cvt_f32_u32_e32 v2, s87
	s_sub_u32 s6, 0, s87
	s_subb_u32 s10, 0, 0
	v_mac_f32_e32 v2, 0, v34
	v_rcp_f32_e32 v2, v2
	v_mul_f32_e32 v2, 0x5f7ffffc, v2
	v_mul_f32_e32 v3, 0x2f800000, v2
	v_trunc_f32_e32 v3, v3
	v_mac_f32_e32 v2, 0xcf800000, v3
	v_cvt_u32_f32_e32 v3, v3
	v_cvt_u32_f32_e32 v2, v2
	v_readfirstlane_b32 s11, v3
	v_readfirstlane_b32 s13, v2
	s_mul_i32 s20, s6, s11
	s_mul_hi_u32 s26, s6, s13
	s_mul_i32 s21, s10, s13
	s_add_i32 s20, s26, s20
	s_mul_i32 s27, s6, s13
	s_add_i32 s20, s20, s21
	s_mul_hi_u32 s26, s13, s27
	s_mul_hi_u32 s21, s13, s20
	s_mul_i32 s13, s13, s20
	s_add_u32 s13, s26, s13
	s_addc_u32 s21, 0, s21
	s_mul_hi_u32 s28, s11, s27
	s_mul_i32 s27, s11, s27
	s_add_u32 s13, s13, s27
	s_mul_hi_u32 s26, s11, s20
	s_addc_u32 s13, s21, s28
	s_addc_u32 s21, s26, 0
	s_mul_i32 s20, s11, s20
	s_add_u32 s13, s13, s20
	s_addc_u32 s20, 0, s21
	v_add_co_u32_e32 v2, vcc, s13, v2
	s_cmp_lg_u64 vcc, 0
	s_addc_u32 s11, s11, s20
	v_readfirstlane_b32 s20, v2
	s_mul_i32 s13, s6, s11
	s_mul_hi_u32 s21, s6, s20
	s_add_i32 s13, s21, s13
	s_mul_i32 s10, s10, s20
	s_add_i32 s13, s13, s10
	s_mul_i32 s6, s6, s20
	s_mul_hi_u32 s21, s11, s6
	s_mul_i32 s26, s11, s6
	s_mul_i32 s28, s20, s13
	s_mul_hi_u32 s6, s20, s6
	s_mul_hi_u32 s27, s20, s13
	s_add_u32 s6, s6, s28
	s_addc_u32 s20, 0, s27
	s_add_u32 s6, s6, s26
	s_mul_hi_u32 s10, s11, s13
	s_addc_u32 s6, s20, s21
	s_addc_u32 s10, s10, 0
	s_mul_i32 s13, s11, s13
	s_add_u32 s6, s6, s13
	s_addc_u32 s10, 0, s10
	v_add_co_u32_e32 v2, vcc, s6, v2
	s_cmp_lg_u64 vcc, 0
	s_addc_u32 s6, s11, s10
	v_readfirstlane_b32 s13, v2
	s_mul_i32 s11, s12, s6
	s_mul_hi_u32 s20, s12, s13
	s_mul_hi_u32 s10, s12, s6
	s_add_u32 s11, s20, s11
	s_addc_u32 s10, 0, s10
	s_mul_hi_u32 s21, s7, s13
	s_mul_i32 s13, s7, s13
	s_add_u32 s11, s11, s13
	s_mul_hi_u32 s20, s7, s6
	s_addc_u32 s10, s10, s21
	s_addc_u32 s11, s20, 0
	s_mul_i32 s6, s7, s6
	s_add_u32 s6, s10, s6
	s_addc_u32 s10, 0, s11
	s_mul_hi_u32 s11, s87, s6
	s_mul_i32 s6, s87, s6
	s_mul_i32 s10, s87, s10
	v_mov_b32_e32 v2, s6
	s_add_i32 s11, s11, s10
	v_sub_co_u32_e32 v2, vcc, s12, v2
	s_cmp_lg_u64 vcc, 0
	s_subb_u32 s6, s7, s11
	v_subrev_co_u32_e32 v3, vcc, s87, v2
	s_cmp_lg_u64 vcc, 0
	s_subb_u32 s10, s6, 0
	v_subrev_co_u32_e32 v4, vcc, s87, v3
	s_cmp_lg_u64 vcc, 0
	s_subb_u32 s11, s10, 0
	v_cmp_le_u32_e32 vcc, s87, v3
	s_cmp_eq_u32 s10, 0
	v_cndmask_b32_e64 v5, 0, -1, vcc
	s_cselect_b64 vcc, -1, 0
	v_cndmask_b32_e32 v5, -1, v5, vcc
	v_mov_b32_e32 v6, s10
	v_mov_b32_e32 v7, s11
	v_cmp_ne_u32_e32 vcc, 0, v5
	v_cndmask_b32_e32 v5, v6, v7, vcc
	v_cndmask_b32_e32 v4, v3, v4, vcc
	v_cmp_le_u32_e32 vcc, s87, v2
	s_cmp_eq_u32 s6, 0
	v_cndmask_b32_e64 v3, 0, -1, vcc
	s_cselect_b64 vcc, -1, 0
	v_cndmask_b32_e32 v3, -1, v3, vcc
	v_mov_b32_e32 v6, s6
	v_cmp_ne_u32_e32 vcc, 0, v3
	v_cndmask_b32_e32 v3, v6, v5, vcc
	v_cndmask_b32_e32 v2, v2, v4, vcc
	s_cbranch_execnz .LBB219_88
.LBB219_87:                             ;   in Loop: Header=BB219_12 Depth=1
	v_cvt_f32_u32_e32 v2, s87
	s_sub_i32 s6, 0, s87
	v_rcp_iflag_f32_e32 v2, v2
	v_mul_f32_e32 v2, 0x4f7ffffe, v2
	v_cvt_u32_f32_e32 v2, v2
	v_mul_lo_u32 v3, s6, v2
	v_mul_hi_u32 v3, v2, v3
	v_add_u32_e32 v2, v2, v3
	v_mul_hi_u32 v2, s12, v2
	v_mul_lo_u32 v2, v2, s87
	v_sub_u32_e32 v2, s12, v2
	v_subrev_u32_e32 v3, s87, v2
	v_cmp_le_u32_e32 vcc, s87, v2
	v_cndmask_b32_e32 v2, v2, v3, vcc
	v_subrev_u32_e32 v3, s87, v2
	v_cmp_le_u32_e32 vcc, s87, v2
	v_cndmask_b32_e32 v14, v2, v3, vcc
	v_pk_mov_b32 v[2:3], v[14:15], v[14:15] op_sel:[0,1]
.LBB219_88:                             ;   in Loop: Header=BB219_12 Depth=1
	v_mov_b32_e32 v4, s7
	v_sub_co_u32_e32 v2, vcc, s12, v2
	v_subb_co_u32_e32 v3, vcc, v4, v3, vcc
	v_cmp_gt_u64_e32 vcc, v[2:3], v[0:1]
	s_mov_b64 s[6:7], 0
                                        ; implicit-def: $vgpr6
	s_and_saveexec_b64 s[10:11], vcc
	s_cbranch_execz .LBB219_103
; %bb.89:                               ;   in Loop: Header=BB219_12 Depth=1
	s_mov_b64 s[12:13], 0
	v_mov_b32_e32 v6, v28
	v_pk_mov_b32 v[4:5], v[0:1], v[0:1] op_sel:[0,1]
                                        ; implicit-def: $sgpr20_sgpr21
	s_branch .LBB219_91
.LBB219_90:                             ;   in Loop: Header=BB219_91 Depth=2
	s_or_b64 exec, exec, s[6:7]
	s_waitcnt lgkmcnt(0)
	s_barrier
	ds_read_b32 v7, v15 offset:3072
	v_add_co_u32_e64 v4, s[6:7], s87, v4
	v_add_u32_e32 v6, s95, v6
	s_waitcnt lgkmcnt(0)
	v_and_b32_e32 v14, 0x7fff, v7
	v_cmp_ne_u16_e32 vcc, 0, v14
	v_mov_b32_e32 v14, s88
	v_addc_co_u32_e64 v5, s[6:7], v5, v14, s[6:7]
	v_cmp_ge_u64_e64 s[6:7], v[4:5], v[2:3]
	s_or_b64 s[6:7], s[6:7], vcc
	s_and_b64 s[6:7], exec, s[6:7]
	s_or_b64 s[12:13], s[6:7], s[12:13]
	s_andn2_b64 s[6:7], s[20:21], exec
	s_and_b64 s[20:21], vcc, exec
	s_or_b64 s[20:21], s[6:7], s[20:21]
	s_barrier
	s_andn2_b64 exec, exec, s[12:13]
	s_cbranch_execz .LBB219_102
.LBB219_91:                             ;   Parent Loop BB219_12 Depth=1
                                        ; =>  This Inner Loop Header: Depth=2
	v_cmp_gt_u64_e32 vcc, s[4:5], v[4:5]
	v_mov_b32_e32 v7, 0
	s_and_saveexec_b64 s[6:7], vcc
	s_cbranch_execz .LBB219_93
; %bb.92:                               ;   in Loop: Header=BB219_91 Depth=2
	ds_read_u16 v7, v6
.LBB219_93:                             ;   in Loop: Header=BB219_91 Depth=2
	s_or_b64 exec, exec, s[6:7]
	s_and_saveexec_b64 s[6:7], vcc
	s_cbranch_execz .LBB219_90
; %bb.94:                               ;   in Loop: Header=BB219_91 Depth=2
	s_waitcnt lgkmcnt(0)
	v_cmp_lt_i16_e32 vcc, -1, v7
	v_cndmask_b32_e32 v14, v32, v33, vcc
	v_lshlrev_b32_e32 v20, 16, v7
	v_xor_b32_sdwa v14, v14, v7 dst_sel:DWORD dst_unused:UNUSED_PAD src0_sel:DWORD src1_sel:WORD_0
	v_cmp_o_f32_e32 vcc, v20, v20
	v_cndmask_b32_e32 v14, v32, v14, vcc
	v_and_b32_e32 v14, v14, v9
	v_cmp_eq_u32_e32 vcc, v14, v8
	s_and_b64 exec, exec, vcc
	s_cbranch_execz .LBB219_90
; %bb.95:                               ;   in Loop: Header=BB219_91 Depth=2
	s_movk_i32 s26, 0x3f80
	v_perm_b32 v7, v7, s26, v36
	ds_write_b32 v15, v7 offset:3072
	s_branch .LBB219_90
.LBB219_96:                             ;   in Loop: Header=BB219_12 Depth=1
	s_mov_b64 s[28:29], 0
	s_mov_b64 s[26:27], 0
                                        ; implicit-def: $sgpr34_sgpr35
                                        ; implicit-def: $sgpr36_sgpr37
                                        ; implicit-def: $sgpr20_sgpr21
                                        ; implicit-def: $vgpr7
                                        ; implicit-def: $vgpr2_vgpr3
                                        ; implicit-def: $vgpr8
                                        ; implicit-def: $vgpr9
                                        ; implicit-def: $vgpr6
	s_cbranch_execnz .LBB219_282
.LBB219_97:                             ;   in Loop: Header=BB219_12 Depth=1
	s_mov_b64 s[14:15], s[20:21]
	s_mov_b64 s[38:39], s[20:21]
	s_and_saveexec_b64 s[2:3], s[28:29]
	s_cbranch_execnz .LBB219_478
	s_branch .LBB219_479
.LBB219_98:                             ;   in Loop: Header=BB219_12 Depth=1
	s_or_b64 exec, exec, s[4:5]
	s_waitcnt lgkmcnt(0)
	s_barrier
	s_mov_b64 s[4:5], exec
	v_readlane_b32 s6, v48, 12
	v_readlane_b32 s7, v48, 13
	s_and_b64 s[6:7], s[4:5], s[6:7]
	s_mov_b64 exec, s[6:7]
	s_cbranch_execz .LBB219_100
; %bb.99:                               ;   in Loop: Header=BB219_12 Depth=1
	ds_read_b32 v2, v15 offset:5144
	s_waitcnt lgkmcnt(0)
	v_ashrrev_i32_e32 v3, 31, v2
	ds_write_b64 v15, v[2:3] offset:5120
.LBB219_100:                            ;   in Loop: Header=BB219_12 Depth=1
	s_or_b64 exec, exec, s[4:5]
	s_waitcnt lgkmcnt(0)
	s_barrier
	s_mov_b64 s[4:5], -1
	s_and_b64 vcc, exec, s[2:3]
	s_cbranch_vccnz .LBB219_27
	s_branch .LBB219_37
.LBB219_101:                            ;   in Loop: Header=BB219_12 Depth=1
	s_mov_b64 s[20:21], -1
	s_mov_b64 s[6:7], 0
                                        ; implicit-def: $sgpr34_sgpr35
                                        ; implicit-def: $vgpr6
	s_mov_b64 s[36:37], s[20:21]
	s_cbranch_execnz .LBB219_104
	s_branch .LBB219_117
.LBB219_102:                            ;   in Loop: Header=BB219_12 Depth=1
	s_or_b64 exec, exec, s[12:13]
	v_lshrrev_b32_e32 v6, 16, v7
	s_and_b64 s[6:7], s[20:21], exec
.LBB219_103:                            ;   in Loop: Header=BB219_12 Depth=1
	s_or_b64 exec, exec, s[10:11]
	s_mov_b64 s[34:35], -1
	s_mov_b64 s[20:21], 0
	s_mov_b64 s[36:37], s[20:21]
	s_branch .LBB219_117
.LBB219_104:                            ;   in Loop: Header=BB219_12 Depth=1
	s_mov_b32 s92, s85
	s_cmp_lg_u64 s[92:93], 0
	s_cbranch_scc0 .LBB219_146
; %bb.105:                              ;   in Loop: Header=BB219_12 Depth=1
	v_cvt_f32_u32_e32 v2, s87
	s_sub_u32 s4, 0, s87
	s_subb_u32 s5, 0, 0
	v_mac_f32_e32 v2, 0, v34
	v_rcp_f32_e32 v2, v2
	v_mul_f32_e32 v2, 0x5f7ffffc, v2
	v_mul_f32_e32 v3, 0x2f800000, v2
	v_trunc_f32_e32 v3, v3
	v_mac_f32_e32 v2, 0xcf800000, v3
	v_cvt_u32_f32_e32 v3, v3
	v_cvt_u32_f32_e32 v2, v2
	v_readfirstlane_b32 s6, v3
	v_readfirstlane_b32 s7, v2
	s_mul_i32 s10, s4, s6
	s_mul_hi_u32 s12, s4, s7
	s_mul_i32 s11, s5, s7
	s_add_i32 s10, s12, s10
	s_mul_i32 s13, s4, s7
	s_add_i32 s10, s10, s11
	s_mul_hi_u32 s12, s7, s13
	s_mul_hi_u32 s11, s7, s10
	s_mul_i32 s7, s7, s10
	s_add_u32 s7, s12, s7
	s_addc_u32 s11, 0, s11
	s_mul_hi_u32 s20, s6, s13
	s_mul_i32 s13, s6, s13
	s_add_u32 s7, s7, s13
	s_mul_hi_u32 s12, s6, s10
	s_addc_u32 s7, s11, s20
	s_addc_u32 s11, s12, 0
	s_mul_i32 s10, s6, s10
	s_add_u32 s7, s7, s10
	s_addc_u32 s10, 0, s11
	v_add_co_u32_e32 v2, vcc, s7, v2
	s_cmp_lg_u64 vcc, 0
	s_addc_u32 s6, s6, s10
	v_readfirstlane_b32 s10, v2
	s_mul_i32 s7, s4, s6
	s_mul_hi_u32 s11, s4, s10
	s_add_i32 s7, s11, s7
	s_mul_i32 s5, s5, s10
	s_add_i32 s7, s7, s5
	s_mul_i32 s4, s4, s10
	s_mul_hi_u32 s11, s6, s4
	s_mul_i32 s12, s6, s4
	s_mul_i32 s20, s10, s7
	s_mul_hi_u32 s4, s10, s4
	s_mul_hi_u32 s13, s10, s7
	s_add_u32 s4, s4, s20
	s_addc_u32 s10, 0, s13
	s_add_u32 s4, s4, s12
	s_mul_hi_u32 s5, s6, s7
	s_addc_u32 s4, s10, s11
	s_addc_u32 s5, s5, 0
	s_mul_i32 s7, s6, s7
	s_add_u32 s4, s4, s7
	s_addc_u32 s5, 0, s5
	v_add_co_u32_e32 v2, vcc, s4, v2
	s_cmp_lg_u64 vcc, 0
	s_addc_u32 s4, s6, s5
	v_readlane_b32 s12, v48, 35
	v_readfirstlane_b32 s7, v2
	s_mul_i32 s6, s12, s4
	s_mul_hi_u32 s10, s12, s7
	s_mul_hi_u32 s5, s12, s4
	s_add_u32 s6, s10, s6
	s_addc_u32 s5, 0, s5
	s_mul_hi_u32 s11, s93, s7
	s_mul_i32 s7, s93, s7
	s_add_u32 s6, s6, s7
	s_mul_hi_u32 s10, s93, s4
	s_addc_u32 s5, s5, s11
	s_addc_u32 s6, s10, 0
	s_mul_i32 s4, s93, s4
	s_add_u32 s4, s5, s4
	s_addc_u32 s5, 0, s6
	s_mul_hi_u32 s6, s87, s4
	s_mul_i32 s4, s87, s4
	s_mul_i32 s5, s87, s5
	v_mov_b32_e32 v2, s4
	s_add_i32 s6, s6, s5
	v_sub_co_u32_e32 v2, vcc, s12, v2
	s_cmp_lg_u64 vcc, 0
	s_subb_u32 s4, s93, s6
	v_subrev_co_u32_e32 v3, vcc, s87, v2
	s_cmp_lg_u64 vcc, 0
	s_subb_u32 s5, s4, 0
	v_subrev_co_u32_e32 v4, vcc, s87, v3
	s_cmp_lg_u64 vcc, 0
	s_subb_u32 s6, s5, 0
	v_cmp_le_u32_e32 vcc, s87, v3
	s_cmp_eq_u32 s5, 0
	v_cndmask_b32_e64 v5, 0, -1, vcc
	s_cselect_b64 vcc, -1, 0
	v_cndmask_b32_e32 v5, -1, v5, vcc
	v_mov_b32_e32 v6, s5
	v_mov_b32_e32 v7, s6
	v_cmp_ne_u32_e32 vcc, 0, v5
	v_cndmask_b32_e32 v5, v6, v7, vcc
	v_cndmask_b32_e32 v4, v3, v4, vcc
	v_cmp_le_u32_e32 vcc, s87, v2
	s_cmp_eq_u32 s4, 0
	v_cndmask_b32_e64 v3, 0, -1, vcc
	s_cselect_b64 vcc, -1, 0
	v_cndmask_b32_e32 v3, -1, v3, vcc
	v_mov_b32_e32 v6, s4
	v_cmp_ne_u32_e32 vcc, 0, v3
	v_cndmask_b32_e32 v3, v6, v5, vcc
	v_cndmask_b32_e32 v2, v2, v4, vcc
	s_cbranch_execnz .LBB219_107
.LBB219_106:                            ;   in Loop: Header=BB219_12 Depth=1
	v_cvt_f32_u32_e32 v2, s87
	s_sub_i32 s4, 0, s87
	v_rcp_iflag_f32_e32 v2, v2
	v_mul_f32_e32 v2, 0x4f7ffffe, v2
	v_cvt_u32_f32_e32 v2, v2
	v_mul_lo_u32 v3, s4, v2
	v_mul_hi_u32 v3, v2, v3
	v_add_u32_e32 v2, v2, v3
	v_readlane_b32 s4, v48, 35
	v_mul_hi_u32 v2, s4, v2
	v_mul_lo_u32 v2, v2, s87
	v_sub_u32_e32 v2, s4, v2
	v_subrev_u32_e32 v3, s87, v2
	v_cmp_le_u32_e32 vcc, s87, v2
	v_cndmask_b32_e32 v2, v2, v3, vcc
	v_subrev_u32_e32 v3, s87, v2
	v_cmp_le_u32_e32 vcc, s87, v2
	v_cndmask_b32_e32 v14, v2, v3, vcc
	v_pk_mov_b32 v[2:3], v[14:15], v[14:15] op_sel:[0,1]
.LBB219_107:                            ;   in Loop: Header=BB219_12 Depth=1
	v_readlane_b32 s4, v48, 35
	v_mov_b32_e32 v4, s93
	v_sub_co_u32_e32 v2, vcc, s4, v2
	v_subb_co_u32_e32 v3, vcc, v4, v3, vcc
	v_cmp_gt_u64_e32 vcc, v[2:3], v[0:1]
	s_mov_b64 s[6:7], 0
                                        ; implicit-def: $vgpr6
	s_and_saveexec_b64 s[4:5], vcc
	s_cbranch_execz .LBB219_116
; %bb.108:                              ;   in Loop: Header=BB219_12 Depth=1
	s_mov_b64 s[10:11], 0
	v_pk_mov_b32 v[4:5], v[0:1], v[0:1] op_sel:[0,1]
                                        ; implicit-def: $sgpr12_sgpr13
	s_branch .LBB219_110
.LBB219_109:                            ;   in Loop: Header=BB219_110 Depth=2
	s_or_b64 exec, exec, s[6:7]
	s_waitcnt lgkmcnt(0)
	s_barrier
	s_waitcnt vmcnt(0)
	ds_read_b32 v6, v15 offset:3072
	v_add_co_u32_e64 v4, s[6:7], s87, v4
	s_waitcnt lgkmcnt(0)
	s_barrier
	v_and_b32_e32 v7, 0x7fff, v6
	v_cmp_ne_u16_e32 vcc, 0, v7
	v_mov_b32_e32 v7, s88
	v_addc_co_u32_e64 v5, s[6:7], v5, v7, s[6:7]
	v_cmp_ge_u64_e64 s[6:7], v[4:5], v[2:3]
	s_or_b64 s[6:7], s[6:7], vcc
	s_and_b64 s[6:7], exec, s[6:7]
	s_or_b64 s[10:11], s[6:7], s[10:11]
	s_andn2_b64 s[6:7], s[12:13], exec
	s_and_b64 s[12:13], vcc, exec
	s_or_b64 s[12:13], s[6:7], s[12:13]
	s_andn2_b64 exec, exec, s[10:11]
	s_cbranch_execz .LBB219_115
.LBB219_110:                            ;   Parent Loop BB219_12 Depth=1
                                        ; =>  This Inner Loop Header: Depth=2
	v_cmp_gt_u64_e32 vcc, s[60:61], v[4:5]
	v_mov_b32_e32 v6, 0
	s_and_saveexec_b64 s[20:21], vcc
	s_cbranch_execz .LBB219_112
; %bb.111:                              ;   in Loop: Header=BB219_110 Depth=2
	v_mul_lo_u32 v14, v5, s58
	v_mul_lo_u32 v20, v4, s59
	v_mad_u64_u32 v[6:7], s[6:7], v4, s58, 0
	v_add3_u32 v7, v7, v20, v14
	v_lshlrev_b64 v[6:7], 1, v[6:7]
	v_mov_b32_e32 v14, s86
	v_add_co_u32_e64 v6, s[6:7], s33, v6
	v_addc_co_u32_e64 v7, s[6:7], v14, v7, s[6:7]
	global_load_ushort v6, v[6:7], off
.LBB219_112:                            ;   in Loop: Header=BB219_110 Depth=2
	s_or_b64 exec, exec, s[20:21]
	s_and_saveexec_b64 s[6:7], vcc
	s_cbranch_execz .LBB219_109
; %bb.113:                              ;   in Loop: Header=BB219_110 Depth=2
	s_waitcnt vmcnt(0)
	v_cmp_lt_i16_e32 vcc, -1, v6
	v_cndmask_b32_e32 v7, v32, v33, vcc
	v_lshlrev_b32_e32 v14, 16, v6
	v_xor_b32_sdwa v7, v7, v6 dst_sel:DWORD dst_unused:UNUSED_PAD src0_sel:DWORD src1_sel:WORD_0
	v_cmp_o_f32_e32 vcc, v14, v14
	v_cndmask_b32_e32 v7, v32, v7, vcc
	v_and_b32_e32 v7, v7, v9
	v_cmp_eq_u32_e32 vcc, v7, v8
	s_and_b64 exec, exec, vcc
	s_cbranch_execz .LBB219_109
; %bb.114:                              ;   in Loop: Header=BB219_110 Depth=2
	s_movk_i32 s20, 0x3f80
	v_perm_b32 v6, v6, s20, v36
	ds_write_b32 v15, v6 offset:3072
	s_branch .LBB219_109
.LBB219_115:                            ;   in Loop: Header=BB219_12 Depth=1
	s_or_b64 exec, exec, s[10:11]
	v_lshrrev_b32_e32 v6, 16, v6
	s_and_b64 s[6:7], s[12:13], exec
.LBB219_116:                            ;   in Loop: Header=BB219_12 Depth=1
	s_or_b64 exec, exec, s[4:5]
	s_mov_b64 s[36:37], -1
	s_mov_b64 s[20:21], 0
	s_mov_b64 s[34:35], 0
.LBB219_117:                            ;   in Loop: Header=BB219_12 Depth=1
	s_orn2_b64 s[4:5], s[6:7], exec
.LBB219_118:                            ;   in Loop: Header=BB219_12 Depth=1
	s_or_b64 exec, exec, s[8:9]
	s_mov_b64 s[38:39], 0
	s_mov_b64 s[28:29], 0
	;; [unrolled: 1-line block ×3, first 2 shown]
                                        ; implicit-def: $vgpr7
                                        ; implicit-def: $vgpr2_vgpr3
	s_and_saveexec_b64 s[40:41], s[4:5]
	s_cbranch_execz .LBB219_281
; %bb.119:                              ;   in Loop: Header=BB219_12 Depth=1
	v_mov_b32_e32 v2, 1
	s_xor_b64 s[4:5], s[2:3], -1
	s_mov_b64 s[6:7], 0
	v_mov_b32_e32 v3, 0
	v_mov_b32_e32 v7, 1
	s_and_saveexec_b64 s[2:3], s[4:5]
	s_cbranch_execz .LBB219_129
; %bb.120:                              ;   in Loop: Header=BB219_12 Depth=1
	v_cmp_ge_u64_e32 vcc, s[16:17], v[18:19]
                                        ; implicit-def: $sgpr8
                                        ; implicit-def: $sgpr4_sgpr5
	s_and_saveexec_b64 s[6:7], vcc
	s_xor_b64 s[6:7], exec, s[6:7]
	s_cbranch_execz .LBB219_126
; %bb.121:                              ;   in Loop: Header=BB219_12 Depth=1
	ds_read_b64 v[2:3], v15 offset:5120
	s_waitcnt lgkmcnt(0)
	v_cmp_ne_u64_e32 vcc, 0, v[2:3]
	s_cbranch_vccnz .LBB219_125
; %bb.122:                              ;   in Loop: Header=BB219_12 Depth=1
	s_mov_b64 s[4:5], exec
	v_readlane_b32 s8, v48, 12
	v_readlane_b32 s9, v48, 13
	s_and_b64 s[8:9], s[4:5], s[8:9]
	s_mov_b64 exec, s[8:9]
	s_cbranch_execz .LBB219_124
; %bb.123:                              ;   in Loop: Header=BB219_12 Depth=1
	v_pk_mov_b32 v[2:3], s[16:17], s[16:17] op_sel:[0,1]
	ds_write_b64 v15, v[2:3] offset:5128
.LBB219_124:                            ;   in Loop: Header=BB219_12 Depth=1
	s_or_b64 exec, exec, s[4:5]
	s_waitcnt lgkmcnt(0)
	s_barrier
.LBB219_125:                            ;   in Loop: Header=BB219_12 Depth=1
	v_and_b32_e32 v8, s48, v8
	v_or_b32_e32 v9, s84, v9
	s_mov_b64 s[4:5], 0
	s_mov_b32 s8, 8
.LBB219_126:                            ;   in Loop: Header=BB219_12 Depth=1
	s_or_saveexec_b64 s[6:7], s[6:7]
	v_mov_b32_e32 v7, s8
	v_pk_mov_b32 v[2:3], v[18:19], v[18:19] op_sel:[0,1]
	s_xor_b64 exec, exec, s[6:7]
; %bb.127:                              ;   in Loop: Header=BB219_12 Depth=1
	v_mov_b32_e32 v3, s17
	v_subrev_co_u32_e32 v2, vcc, s16, v18
	v_subb_co_u32_e32 v3, vcc, v19, v3, vcc
	v_mov_b32_e32 v7, 0
	s_or_b64 s[4:5], s[4:5], exec
; %bb.128:                              ;   in Loop: Header=BB219_12 Depth=1
	s_or_b64 exec, exec, s[6:7]
	s_and_b64 s[6:7], s[4:5], exec
.LBB219_129:                            ;   in Loop: Header=BB219_12 Depth=1
	s_or_b64 exec, exec, s[2:3]
	s_mov_b64 s[12:13], -1
                                        ; implicit-def: $sgpr2_sgpr3
                                        ; implicit-def: $sgpr4_sgpr5
                                        ; implicit-def: $sgpr8_sgpr9
	s_and_saveexec_b64 s[10:11], s[6:7]
	s_xor_b64 s[26:27], exec, s[10:11]
	s_cbranch_execz .LBB219_278
; %bb.130:                              ;   in Loop: Header=BB219_12 Depth=1
	s_cmp_eq_u64 s[18:19], 1
	s_cselect_b64 s[2:3], -1, 0
	v_cmp_eq_u64_e32 vcc, 1, v[2:3]
	s_and_b64 s[2:3], s[2:3], vcc
	s_mov_b64 s[4:5], -1
                                        ; implicit-def: $sgpr28_sgpr29
                                        ; implicit-def: $sgpr44_sgpr45
                                        ; implicit-def: $sgpr42_sgpr43
	s_and_saveexec_b64 s[8:9], s[2:3]
	s_cbranch_execz .LBB219_164
; %bb.131:                              ;   in Loop: Header=BB219_12 Depth=1
	ds_read_b64 v[4:5], v15 offset:5120
	s_waitcnt lgkmcnt(0)
	s_barrier
	v_readfirstlane_b32 s4, v4
	v_readfirstlane_b32 s5, v5
	s_mov_b64 s[6:7], exec
	v_readlane_b32 s10, v48, 30
	v_readlane_b32 s11, v48, 31
	s_and_b64 s[10:11], s[6:7], s[10:11]
	s_mov_b64 exec, s[10:11]
	s_cbranch_execz .LBB219_133
; %bb.132:                              ;   in Loop: Header=BB219_12 Depth=1
	ds_write_b16 v29, v15
.LBB219_133:                            ;   in Loop: Header=BB219_12 Depth=1
	s_or_b64 exec, exec, s[6:7]
	v_and_b32_e32 v4, s48, v8
	v_lshl_or_b32 v8, 1, s49, v4
	v_or_b32_e32 v9, s84, v9
	s_cmp_eq_u64 s[4:5], 0
	s_waitcnt lgkmcnt(0)
	s_barrier
	s_cbranch_scc1 .LBB219_147
; %bb.134:                              ;   in Loop: Header=BB219_12 Depth=1
	v_readlane_b32 s6, v48, 34
	s_add_u32 s12, s6, s4
	v_readlane_b32 s6, v48, 36
	s_addc_u32 s7, s6, s5
	s_mov_b32 s6, s85
	s_cmp_lg_u64 s[6:7], 0
	s_cbranch_scc0 .LBB219_191
; %bb.135:                              ;   in Loop: Header=BB219_12 Depth=1
	v_cvt_f32_u32_e32 v4, s87
	s_sub_u32 s6, 0, s87
	s_subb_u32 s10, 0, 0
	v_mac_f32_e32 v4, 0, v34
	v_rcp_f32_e32 v4, v4
	v_mul_f32_e32 v4, 0x5f7ffffc, v4
	v_mul_f32_e32 v5, 0x2f800000, v4
	v_trunc_f32_e32 v5, v5
	v_mac_f32_e32 v4, 0xcf800000, v5
	v_cvt_u32_f32_e32 v5, v5
	v_cvt_u32_f32_e32 v4, v4
	v_readfirstlane_b32 s11, v5
	v_readfirstlane_b32 s13, v4
	s_mul_i32 s28, s6, s11
	s_mul_hi_u32 s42, s6, s13
	s_mul_i32 s29, s10, s13
	s_add_i32 s28, s42, s28
	s_mul_i32 s43, s6, s13
	s_add_i32 s28, s28, s29
	s_mul_hi_u32 s42, s13, s43
	s_mul_hi_u32 s29, s13, s28
	s_mul_i32 s13, s13, s28
	s_add_u32 s13, s42, s13
	s_addc_u32 s29, 0, s29
	s_mul_hi_u32 s44, s11, s43
	s_mul_i32 s43, s11, s43
	s_add_u32 s13, s13, s43
	s_mul_hi_u32 s42, s11, s28
	s_addc_u32 s13, s29, s44
	s_addc_u32 s29, s42, 0
	s_mul_i32 s28, s11, s28
	s_add_u32 s13, s13, s28
	s_addc_u32 s28, 0, s29
	v_add_co_u32_e32 v4, vcc, s13, v4
	s_cmp_lg_u64 vcc, 0
	s_addc_u32 s11, s11, s28
	v_readfirstlane_b32 s28, v4
	s_mul_i32 s13, s6, s11
	s_mul_hi_u32 s29, s6, s28
	s_add_i32 s13, s29, s13
	s_mul_i32 s10, s10, s28
	s_add_i32 s13, s13, s10
	s_mul_i32 s6, s6, s28
	s_mul_hi_u32 s29, s11, s6
	s_mul_i32 s42, s11, s6
	s_mul_i32 s44, s28, s13
	s_mul_hi_u32 s6, s28, s6
	s_mul_hi_u32 s43, s28, s13
	s_add_u32 s6, s6, s44
	s_addc_u32 s28, 0, s43
	s_add_u32 s6, s6, s42
	s_mul_hi_u32 s10, s11, s13
	s_addc_u32 s6, s28, s29
	s_addc_u32 s10, s10, 0
	s_mul_i32 s13, s11, s13
	s_add_u32 s6, s6, s13
	s_addc_u32 s10, 0, s10
	v_add_co_u32_e32 v4, vcc, s6, v4
	s_cmp_lg_u64 vcc, 0
	s_addc_u32 s6, s11, s10
	v_readfirstlane_b32 s13, v4
	s_mul_i32 s11, s12, s6
	s_mul_hi_u32 s28, s12, s13
	s_mul_hi_u32 s10, s12, s6
	s_add_u32 s11, s28, s11
	s_addc_u32 s10, 0, s10
	s_mul_hi_u32 s29, s7, s13
	s_mul_i32 s13, s7, s13
	s_add_u32 s11, s11, s13
	s_mul_hi_u32 s28, s7, s6
	s_addc_u32 s10, s10, s29
	s_addc_u32 s11, s28, 0
	s_mul_i32 s6, s7, s6
	s_add_u32 s6, s10, s6
	s_addc_u32 s10, 0, s11
	s_mul_hi_u32 s11, s87, s6
	s_mul_i32 s6, s87, s6
	s_mul_i32 s10, s87, s10
	v_mov_b32_e32 v4, s6
	s_add_i32 s11, s11, s10
	v_sub_co_u32_e32 v4, vcc, s12, v4
	s_cmp_lg_u64 vcc, 0
	s_subb_u32 s6, s7, s11
	v_subrev_co_u32_e32 v5, vcc, s87, v4
	s_cmp_lg_u64 vcc, 0
	s_subb_u32 s10, s6, 0
	v_subrev_co_u32_e32 v6, vcc, s87, v5
	s_cmp_lg_u64 vcc, 0
	s_subb_u32 s11, s10, 0
	v_cmp_le_u32_e32 vcc, s87, v5
	s_cmp_eq_u32 s10, 0
	v_cndmask_b32_e64 v7, 0, -1, vcc
	s_cselect_b64 vcc, -1, 0
	v_cndmask_b32_e32 v7, -1, v7, vcc
	v_mov_b32_e32 v14, s10
	v_mov_b32_e32 v20, s11
	v_cmp_ne_u32_e32 vcc, 0, v7
	v_cndmask_b32_e32 v7, v14, v20, vcc
	v_cndmask_b32_e32 v6, v5, v6, vcc
	v_cmp_le_u32_e32 vcc, s87, v4
	s_cmp_eq_u32 s6, 0
	v_cndmask_b32_e64 v5, 0, -1, vcc
	s_cselect_b64 vcc, -1, 0
	v_cndmask_b32_e32 v5, -1, v5, vcc
	v_mov_b32_e32 v14, s6
	v_cmp_ne_u32_e32 vcc, 0, v5
	v_cndmask_b32_e32 v5, v14, v7, vcc
	v_cndmask_b32_e32 v4, v4, v6, vcc
	s_cbranch_execnz .LBB219_137
.LBB219_136:                            ;   in Loop: Header=BB219_12 Depth=1
	v_cvt_f32_u32_e32 v4, s87
	s_sub_i32 s6, 0, s87
	v_rcp_iflag_f32_e32 v4, v4
	v_mul_f32_e32 v4, 0x4f7ffffe, v4
	v_cvt_u32_f32_e32 v4, v4
	v_mul_lo_u32 v5, s6, v4
	v_mul_hi_u32 v5, v4, v5
	v_add_u32_e32 v4, v4, v5
	v_mul_hi_u32 v4, s12, v4
	v_mul_lo_u32 v4, v4, s87
	v_sub_u32_e32 v4, s12, v4
	v_subrev_u32_e32 v5, s87, v4
	v_cmp_le_u32_e32 vcc, s87, v4
	v_cndmask_b32_e32 v4, v4, v5, vcc
	v_subrev_u32_e32 v5, s87, v4
	v_cmp_le_u32_e32 vcc, s87, v4
	v_cndmask_b32_e32 v14, v4, v5, vcc
	v_pk_mov_b32 v[4:5], v[14:15], v[14:15] op_sel:[0,1]
.LBB219_137:                            ;   in Loop: Header=BB219_12 Depth=1
	v_mov_b32_e32 v6, s7
	v_sub_co_u32_e32 v4, vcc, s12, v4
	v_subb_co_u32_e32 v5, vcc, v6, v5, vcc
	v_cmp_gt_u64_e32 vcc, v[4:5], v[0:1]
	s_mov_b64 s[6:7], 0
                                        ; implicit-def: $vgpr6
	s_and_saveexec_b64 s[10:11], vcc
	s_cbranch_execz .LBB219_149
; %bb.138:                              ;   in Loop: Header=BB219_12 Depth=1
	s_mov_b64 s[12:13], 0
	v_mov_b32_e32 v14, v28
	v_pk_mov_b32 v[6:7], v[0:1], v[0:1] op_sel:[0,1]
                                        ; implicit-def: $sgpr28_sgpr29
	s_branch .LBB219_140
.LBB219_139:                            ;   in Loop: Header=BB219_140 Depth=2
	s_or_b64 exec, exec, s[6:7]
	s_waitcnt lgkmcnt(0)
	s_barrier
	ds_read_b32 v20, v15 offset:3072
	v_add_co_u32_e64 v6, s[6:7], s87, v6
	v_add_u32_e32 v14, s95, v14
	s_waitcnt lgkmcnt(0)
	v_and_b32_e32 v21, 0x7fff, v20
	v_cmp_ne_u16_e32 vcc, 0, v21
	v_mov_b32_e32 v21, s88
	v_addc_co_u32_e64 v7, s[6:7], v7, v21, s[6:7]
	v_cmp_ge_u64_e64 s[6:7], v[6:7], v[4:5]
	s_or_b64 s[6:7], s[6:7], vcc
	s_and_b64 s[6:7], exec, s[6:7]
	s_or_b64 s[12:13], s[6:7], s[12:13]
	s_andn2_b64 s[6:7], s[28:29], exec
	s_and_b64 s[28:29], vcc, exec
	s_or_b64 s[28:29], s[6:7], s[28:29]
	s_barrier
	s_andn2_b64 exec, exec, s[12:13]
	s_cbranch_execz .LBB219_148
.LBB219_140:                            ;   Parent Loop BB219_12 Depth=1
                                        ; =>  This Inner Loop Header: Depth=2
	v_cmp_gt_u64_e32 vcc, s[4:5], v[6:7]
	v_mov_b32_e32 v20, 0
	s_and_saveexec_b64 s[6:7], vcc
	s_cbranch_execz .LBB219_142
; %bb.141:                              ;   in Loop: Header=BB219_140 Depth=2
	ds_read_u16 v20, v14
.LBB219_142:                            ;   in Loop: Header=BB219_140 Depth=2
	s_or_b64 exec, exec, s[6:7]
	s_and_saveexec_b64 s[6:7], vcc
	s_cbranch_execz .LBB219_139
; %bb.143:                              ;   in Loop: Header=BB219_140 Depth=2
	s_waitcnt lgkmcnt(0)
	v_cmp_lt_i16_e32 vcc, -1, v20
	v_cndmask_b32_e32 v21, v32, v33, vcc
	v_lshlrev_b32_e32 v22, 16, v20
	v_xor_b32_sdwa v21, v21, v20 dst_sel:DWORD dst_unused:UNUSED_PAD src0_sel:DWORD src1_sel:WORD_0
	v_cmp_o_f32_e32 vcc, v22, v22
	v_cndmask_b32_e32 v21, v32, v21, vcc
	v_and_b32_e32 v21, v21, v9
	v_cmp_eq_u32_e32 vcc, v21, v8
	s_and_b64 exec, exec, vcc
	s_cbranch_execz .LBB219_139
; %bb.144:                              ;   in Loop: Header=BB219_140 Depth=2
	s_movk_i32 s42, 0x3f80
	v_perm_b32 v20, v20, s42, v36
	ds_write_b32 v15, v20 offset:3072
	s_branch .LBB219_139
.LBB219_145:                            ;   in Loop: Header=BB219_12 Depth=1
                                        ; implicit-def: $vgpr2_vgpr3
	s_branch .LBB219_87
.LBB219_146:                            ;   in Loop: Header=BB219_12 Depth=1
                                        ; implicit-def: $vgpr2_vgpr3
	s_branch .LBB219_106
.LBB219_147:                            ;   in Loop: Header=BB219_12 Depth=1
	s_mov_b64 s[28:29], -1
	s_mov_b64 s[6:7], 0
                                        ; implicit-def: $sgpr42_sgpr43
                                        ; implicit-def: $vgpr6
	s_mov_b64 s[44:45], s[28:29]
	s_cbranch_execnz .LBB219_150
	s_branch .LBB219_163
.LBB219_148:                            ;   in Loop: Header=BB219_12 Depth=1
	s_or_b64 exec, exec, s[12:13]
	v_lshrrev_b32_e32 v6, 16, v20
	s_and_b64 s[6:7], s[28:29], exec
.LBB219_149:                            ;   in Loop: Header=BB219_12 Depth=1
	s_or_b64 exec, exec, s[10:11]
	s_mov_b64 s[42:43], -1
	s_mov_b64 s[28:29], 0
	s_mov_b64 s[44:45], s[28:29]
	s_branch .LBB219_163
.LBB219_150:                            ;   in Loop: Header=BB219_12 Depth=1
	s_mov_b32 s92, s85
	s_cmp_lg_u64 s[92:93], 0
	s_cbranch_scc0 .LBB219_192
; %bb.151:                              ;   in Loop: Header=BB219_12 Depth=1
	v_cvt_f32_u32_e32 v4, s87
	s_sub_u32 s4, 0, s87
	s_subb_u32 s5, 0, 0
	v_mac_f32_e32 v4, 0, v34
	v_rcp_f32_e32 v4, v4
	v_mul_f32_e32 v4, 0x5f7ffffc, v4
	v_mul_f32_e32 v5, 0x2f800000, v4
	v_trunc_f32_e32 v5, v5
	v_mac_f32_e32 v4, 0xcf800000, v5
	v_cvt_u32_f32_e32 v5, v5
	v_cvt_u32_f32_e32 v4, v4
	v_readfirstlane_b32 s6, v5
	v_readfirstlane_b32 s7, v4
	s_mul_i32 s10, s4, s6
	s_mul_hi_u32 s12, s4, s7
	s_mul_i32 s11, s5, s7
	s_add_i32 s10, s12, s10
	s_mul_i32 s13, s4, s7
	s_add_i32 s10, s10, s11
	s_mul_hi_u32 s12, s7, s13
	s_mul_hi_u32 s11, s7, s10
	s_mul_i32 s7, s7, s10
	s_add_u32 s7, s12, s7
	s_addc_u32 s11, 0, s11
	s_mul_hi_u32 s28, s6, s13
	s_mul_i32 s13, s6, s13
	s_add_u32 s7, s7, s13
	s_mul_hi_u32 s12, s6, s10
	s_addc_u32 s7, s11, s28
	s_addc_u32 s11, s12, 0
	s_mul_i32 s10, s6, s10
	s_add_u32 s7, s7, s10
	s_addc_u32 s10, 0, s11
	v_add_co_u32_e32 v4, vcc, s7, v4
	s_cmp_lg_u64 vcc, 0
	s_addc_u32 s6, s6, s10
	v_readfirstlane_b32 s10, v4
	s_mul_i32 s7, s4, s6
	s_mul_hi_u32 s11, s4, s10
	s_add_i32 s7, s11, s7
	s_mul_i32 s5, s5, s10
	s_add_i32 s7, s7, s5
	s_mul_i32 s4, s4, s10
	s_mul_hi_u32 s11, s6, s4
	s_mul_i32 s12, s6, s4
	s_mul_i32 s28, s10, s7
	s_mul_hi_u32 s4, s10, s4
	s_mul_hi_u32 s13, s10, s7
	s_add_u32 s4, s4, s28
	s_addc_u32 s10, 0, s13
	s_add_u32 s4, s4, s12
	s_mul_hi_u32 s5, s6, s7
	s_addc_u32 s4, s10, s11
	s_addc_u32 s5, s5, 0
	s_mul_i32 s7, s6, s7
	s_add_u32 s4, s4, s7
	s_addc_u32 s5, 0, s5
	v_add_co_u32_e32 v4, vcc, s4, v4
	s_cmp_lg_u64 vcc, 0
	s_addc_u32 s4, s6, s5
	v_readlane_b32 s12, v48, 35
	v_readfirstlane_b32 s7, v4
	s_mul_i32 s6, s12, s4
	s_mul_hi_u32 s10, s12, s7
	s_mul_hi_u32 s5, s12, s4
	s_add_u32 s6, s10, s6
	s_addc_u32 s5, 0, s5
	s_mul_hi_u32 s11, s93, s7
	s_mul_i32 s7, s93, s7
	s_add_u32 s6, s6, s7
	s_mul_hi_u32 s10, s93, s4
	s_addc_u32 s5, s5, s11
	s_addc_u32 s6, s10, 0
	s_mul_i32 s4, s93, s4
	s_add_u32 s4, s5, s4
	s_addc_u32 s5, 0, s6
	s_mul_hi_u32 s6, s87, s4
	s_mul_i32 s4, s87, s4
	s_mul_i32 s5, s87, s5
	v_mov_b32_e32 v4, s4
	s_add_i32 s6, s6, s5
	v_sub_co_u32_e32 v4, vcc, s12, v4
	s_cmp_lg_u64 vcc, 0
	s_subb_u32 s4, s93, s6
	v_subrev_co_u32_e32 v5, vcc, s87, v4
	s_cmp_lg_u64 vcc, 0
	s_subb_u32 s5, s4, 0
	v_subrev_co_u32_e32 v6, vcc, s87, v5
	s_cmp_lg_u64 vcc, 0
	s_subb_u32 s6, s5, 0
	v_cmp_le_u32_e32 vcc, s87, v5
	s_cmp_eq_u32 s5, 0
	v_cndmask_b32_e64 v7, 0, -1, vcc
	s_cselect_b64 vcc, -1, 0
	v_cndmask_b32_e32 v7, -1, v7, vcc
	v_mov_b32_e32 v14, s5
	v_mov_b32_e32 v20, s6
	v_cmp_ne_u32_e32 vcc, 0, v7
	v_cndmask_b32_e32 v7, v14, v20, vcc
	v_cndmask_b32_e32 v6, v5, v6, vcc
	v_cmp_le_u32_e32 vcc, s87, v4
	s_cmp_eq_u32 s4, 0
	v_cndmask_b32_e64 v5, 0, -1, vcc
	s_cselect_b64 vcc, -1, 0
	v_cndmask_b32_e32 v5, -1, v5, vcc
	v_mov_b32_e32 v14, s4
	v_cmp_ne_u32_e32 vcc, 0, v5
	v_cndmask_b32_e32 v5, v14, v7, vcc
	v_cndmask_b32_e32 v4, v4, v6, vcc
	s_cbranch_execnz .LBB219_153
.LBB219_152:                            ;   in Loop: Header=BB219_12 Depth=1
	v_cvt_f32_u32_e32 v4, s87
	s_sub_i32 s4, 0, s87
	v_rcp_iflag_f32_e32 v4, v4
	v_mul_f32_e32 v4, 0x4f7ffffe, v4
	v_cvt_u32_f32_e32 v4, v4
	v_mul_lo_u32 v5, s4, v4
	v_mul_hi_u32 v5, v4, v5
	v_add_u32_e32 v4, v4, v5
	v_readlane_b32 s4, v48, 35
	v_mul_hi_u32 v4, s4, v4
	v_mul_lo_u32 v4, v4, s87
	v_sub_u32_e32 v4, s4, v4
	v_subrev_u32_e32 v5, s87, v4
	v_cmp_le_u32_e32 vcc, s87, v4
	v_cndmask_b32_e32 v4, v4, v5, vcc
	v_subrev_u32_e32 v5, s87, v4
	v_cmp_le_u32_e32 vcc, s87, v4
	v_cndmask_b32_e32 v14, v4, v5, vcc
	v_pk_mov_b32 v[4:5], v[14:15], v[14:15] op_sel:[0,1]
.LBB219_153:                            ;   in Loop: Header=BB219_12 Depth=1
	v_readlane_b32 s4, v48, 35
	v_mov_b32_e32 v6, s93
	v_sub_co_u32_e32 v4, vcc, s4, v4
	v_subb_co_u32_e32 v5, vcc, v6, v5, vcc
	v_cmp_gt_u64_e32 vcc, v[4:5], v[0:1]
	s_mov_b64 s[6:7], 0
                                        ; implicit-def: $vgpr6
	s_and_saveexec_b64 s[4:5], vcc
	s_cbranch_execz .LBB219_162
; %bb.154:                              ;   in Loop: Header=BB219_12 Depth=1
	s_mov_b64 s[10:11], 0
	v_pk_mov_b32 v[6:7], v[0:1], v[0:1] op_sel:[0,1]
                                        ; implicit-def: $sgpr12_sgpr13
	s_branch .LBB219_156
.LBB219_155:                            ;   in Loop: Header=BB219_156 Depth=2
	s_or_b64 exec, exec, s[6:7]
	s_waitcnt lgkmcnt(0)
	s_barrier
	s_waitcnt vmcnt(0)
	ds_read_b32 v14, v15 offset:3072
	v_add_co_u32_e64 v6, s[6:7], s87, v6
	s_waitcnt lgkmcnt(0)
	s_barrier
	v_and_b32_e32 v20, 0x7fff, v14
	v_cmp_ne_u16_e32 vcc, 0, v20
	v_mov_b32_e32 v20, s88
	v_addc_co_u32_e64 v7, s[6:7], v7, v20, s[6:7]
	v_cmp_ge_u64_e64 s[6:7], v[6:7], v[4:5]
	s_or_b64 s[6:7], s[6:7], vcc
	s_and_b64 s[6:7], exec, s[6:7]
	s_or_b64 s[10:11], s[6:7], s[10:11]
	s_andn2_b64 s[6:7], s[12:13], exec
	s_and_b64 s[12:13], vcc, exec
	s_or_b64 s[12:13], s[6:7], s[12:13]
	s_andn2_b64 exec, exec, s[10:11]
	s_cbranch_execz .LBB219_161
.LBB219_156:                            ;   Parent Loop BB219_12 Depth=1
                                        ; =>  This Inner Loop Header: Depth=2
	v_cmp_gt_u64_e32 vcc, s[60:61], v[6:7]
	v_mov_b32_e32 v14, 0
	s_and_saveexec_b64 s[28:29], vcc
	s_cbranch_execz .LBB219_158
; %bb.157:                              ;   in Loop: Header=BB219_156 Depth=2
	v_mul_lo_u32 v14, v7, s58
	v_mul_lo_u32 v22, v6, s59
	v_mad_u64_u32 v[20:21], s[6:7], v6, s58, 0
	v_add3_u32 v21, v21, v22, v14
	v_lshlrev_b64 v[20:21], 1, v[20:21]
	v_mov_b32_e32 v14, s86
	v_add_co_u32_e64 v20, s[6:7], s33, v20
	v_addc_co_u32_e64 v21, s[6:7], v14, v21, s[6:7]
	global_load_ushort v14, v[20:21], off
.LBB219_158:                            ;   in Loop: Header=BB219_156 Depth=2
	s_or_b64 exec, exec, s[28:29]
	s_and_saveexec_b64 s[6:7], vcc
	s_cbranch_execz .LBB219_155
; %bb.159:                              ;   in Loop: Header=BB219_156 Depth=2
	s_waitcnt vmcnt(0)
	v_cmp_lt_i16_e32 vcc, -1, v14
	v_cndmask_b32_e32 v20, v32, v33, vcc
	v_lshlrev_b32_e32 v21, 16, v14
	v_xor_b32_sdwa v20, v20, v14 dst_sel:DWORD dst_unused:UNUSED_PAD src0_sel:DWORD src1_sel:WORD_0
	v_cmp_o_f32_e32 vcc, v21, v21
	v_cndmask_b32_e32 v20, v32, v20, vcc
	v_and_b32_e32 v20, v20, v9
	v_cmp_eq_u32_e32 vcc, v20, v8
	s_and_b64 exec, exec, vcc
	s_cbranch_execz .LBB219_155
; %bb.160:                              ;   in Loop: Header=BB219_156 Depth=2
	s_movk_i32 s28, 0x3f80
	v_perm_b32 v14, v14, s28, v36
	ds_write_b32 v15, v14 offset:3072
	s_branch .LBB219_155
.LBB219_161:                            ;   in Loop: Header=BB219_12 Depth=1
	s_or_b64 exec, exec, s[10:11]
	v_lshrrev_b32_e32 v6, 16, v14
	s_and_b64 s[6:7], s[12:13], exec
.LBB219_162:                            ;   in Loop: Header=BB219_12 Depth=1
	s_or_b64 exec, exec, s[4:5]
	s_mov_b64 s[44:45], -1
	s_mov_b64 s[28:29], 0
	s_mov_b64 s[42:43], 0
.LBB219_163:                            ;   in Loop: Header=BB219_12 Depth=1
	s_orn2_b64 s[4:5], s[6:7], exec
.LBB219_164:                            ;   in Loop: Header=BB219_12 Depth=1
	s_or_b64 exec, exec, s[8:9]
	s_mov_b64 s[6:7], 0
                                        ; implicit-def: $vgpr7
	s_and_saveexec_b64 s[46:47], s[4:5]
	s_cbranch_execz .LBB219_277
; %bb.165:                              ;   in Loop: Header=BB219_12 Depth=1
	v_mov_b32_e32 v4, 1
	s_xor_b64 s[4:5], s[2:3], -1
	v_mov_b32_e32 v5, 0
	v_mov_b32_e32 v7, 1
	s_and_saveexec_b64 s[2:3], s[4:5]
	s_cbranch_execz .LBB219_175
; %bb.166:                              ;   in Loop: Header=BB219_12 Depth=1
	v_cmp_ge_u64_e32 vcc, s[18:19], v[2:3]
                                        ; implicit-def: $sgpr8
                                        ; implicit-def: $sgpr4_sgpr5
	s_and_saveexec_b64 s[6:7], vcc
	s_xor_b64 s[6:7], exec, s[6:7]
	s_cbranch_execz .LBB219_172
; %bb.167:                              ;   in Loop: Header=BB219_12 Depth=1
	ds_read_b64 v[4:5], v15 offset:5120
	s_waitcnt lgkmcnt(0)
	v_cmp_ne_u64_e32 vcc, 0, v[4:5]
	s_cbranch_vccnz .LBB219_171
; %bb.168:                              ;   in Loop: Header=BB219_12 Depth=1
	s_mov_b64 s[4:5], exec
	v_readlane_b32 s8, v48, 12
	v_readlane_b32 s9, v48, 13
	s_and_b64 s[8:9], s[4:5], s[8:9]
	s_mov_b64 exec, s[8:9]
	s_cbranch_execz .LBB219_170
; %bb.169:                              ;   in Loop: Header=BB219_12 Depth=1
	v_pk_mov_b32 v[4:5], s[18:19], s[18:19] op_sel:[0,1]
	ds_write_b64 v15, v[4:5] offset:5128
.LBB219_170:                            ;   in Loop: Header=BB219_12 Depth=1
	s_or_b64 exec, exec, s[4:5]
	s_waitcnt lgkmcnt(0)
	s_barrier
.LBB219_171:                            ;   in Loop: Header=BB219_12 Depth=1
	v_and_b32_e32 v4, s48, v8
	v_lshl_or_b32 v8, 1, s49, v4
	v_or_b32_e32 v9, s84, v9
	s_mov_b64 s[4:5], 0
	s_mov_b32 s8, 8
.LBB219_172:                            ;   in Loop: Header=BB219_12 Depth=1
	s_or_saveexec_b64 s[6:7], s[6:7]
	v_mov_b32_e32 v7, s8
	s_xor_b64 exec, exec, s[6:7]
; %bb.173:                              ;   in Loop: Header=BB219_12 Depth=1
	v_mov_b32_e32 v4, s19
	v_subrev_co_u32_e32 v2, vcc, s18, v2
	v_subb_co_u32_e32 v3, vcc, v3, v4, vcc
	v_mov_b32_e32 v7, 0
	s_or_b64 s[4:5], s[4:5], exec
; %bb.174:                              ;   in Loop: Header=BB219_12 Depth=1
	s_or_b64 exec, exec, s[6:7]
	s_and_b64 s[6:7], s[4:5], exec
	v_pk_mov_b32 v[4:5], v[2:3], v[2:3] op_sel:[0,1]
.LBB219_175:                            ;   in Loop: Header=BB219_12 Depth=1
	s_or_b64 exec, exec, s[2:3]
	s_mov_b64 s[2:3], -1
                                        ; implicit-def: $sgpr4_sgpr5
                                        ; implicit-def: $sgpr8_sgpr9
                                        ; implicit-def: $sgpr10_sgpr11
	s_and_saveexec_b64 s[50:51], s[6:7]
	s_cbranch_execz .LBB219_276
; %bb.176:                              ;   in Loop: Header=BB219_12 Depth=1
	s_cmp_eq_u64 s[22:23], 1
	s_cselect_b64 s[2:3], -1, 0
	v_cmp_eq_u64_e32 vcc, 1, v[4:5]
	s_and_b64 s[8:9], s[2:3], vcc
	s_mov_b64 s[4:5], -1
                                        ; implicit-def: $sgpr2_sgpr3
                                        ; implicit-def: $sgpr52_sgpr53
                                        ; implicit-def: $vcc
	s_and_saveexec_b64 s[54:55], s[8:9]
	s_cbranch_execz .LBB219_210
; %bb.177:                              ;   in Loop: Header=BB219_12 Depth=1
	ds_read_b64 v[2:3], v15 offset:5120
	s_waitcnt lgkmcnt(0)
	s_barrier
	v_readfirstlane_b32 s2, v2
	v_readfirstlane_b32 s3, v3
	s_mov_b64 s[4:5], exec
	v_readlane_b32 s6, v48, 30
	v_readlane_b32 s7, v48, 31
	s_and_b64 s[6:7], s[4:5], s[6:7]
	s_mov_b64 exec, s[6:7]
	s_cbranch_execz .LBB219_179
; %bb.178:                              ;   in Loop: Header=BB219_12 Depth=1
	ds_write_b16 v29, v15
.LBB219_179:                            ;   in Loop: Header=BB219_12 Depth=1
	s_or_b64 exec, exec, s[4:5]
	v_and_b32_e32 v2, s48, v8
	v_lshl_or_b32 v8, 2, s49, v2
	v_or_b32_e32 v9, s84, v9
	s_cmp_eq_u64 s[2:3], 0
	s_waitcnt lgkmcnt(0)
	s_barrier
	s_cbranch_scc1 .LBB219_193
; %bb.180:                              ;   in Loop: Header=BB219_12 Depth=1
	v_readlane_b32 s4, v48, 34
	s_add_u32 s10, s4, s2
	v_readlane_b32 s4, v48, 36
	s_addc_u32 s5, s4, s3
	s_mov_b32 s4, s85
	s_cmp_lg_u64 s[4:5], 0
	s_cbranch_scc0 .LBB219_228
; %bb.181:                              ;   in Loop: Header=BB219_12 Depth=1
	v_cvt_f32_u32_e32 v2, s87
	s_sub_u32 s4, 0, s87
	s_subb_u32 s6, 0, 0
	v_mac_f32_e32 v2, 0, v34
	v_rcp_f32_e32 v2, v2
	v_mul_f32_e32 v2, 0x5f7ffffc, v2
	v_mul_f32_e32 v3, 0x2f800000, v2
	v_trunc_f32_e32 v3, v3
	v_mac_f32_e32 v2, 0xcf800000, v3
	v_cvt_u32_f32_e32 v3, v3
	v_cvt_u32_f32_e32 v2, v2
	v_readfirstlane_b32 s7, v3
	v_readfirstlane_b32 s11, v2
	s_mul_i32 s12, s4, s7
	s_mul_hi_u32 s52, s4, s11
	s_mul_i32 s13, s6, s11
	s_add_i32 s12, s52, s12
	s_mul_i32 s53, s4, s11
	s_add_i32 s12, s12, s13
	s_mul_hi_u32 s52, s11, s53
	s_mul_hi_u32 s13, s11, s12
	s_mul_i32 s11, s11, s12
	s_add_u32 s11, s52, s11
	s_addc_u32 s13, 0, s13
	s_mul_hi_u32 s56, s7, s53
	s_mul_i32 s53, s7, s53
	s_add_u32 s11, s11, s53
	s_mul_hi_u32 s52, s7, s12
	s_addc_u32 s11, s13, s56
	s_addc_u32 s13, s52, 0
	s_mul_i32 s12, s7, s12
	s_add_u32 s11, s11, s12
	s_addc_u32 s12, 0, s13
	v_add_co_u32_e32 v2, vcc, s11, v2
	s_cmp_lg_u64 vcc, 0
	s_addc_u32 s7, s7, s12
	v_readfirstlane_b32 s12, v2
	s_mul_i32 s11, s4, s7
	s_mul_hi_u32 s13, s4, s12
	s_add_i32 s11, s13, s11
	s_mul_i32 s6, s6, s12
	s_add_i32 s11, s11, s6
	s_mul_i32 s4, s4, s12
	s_mul_hi_u32 s13, s7, s4
	s_mul_i32 s52, s7, s4
	s_mul_i32 s56, s12, s11
	s_mul_hi_u32 s4, s12, s4
	s_mul_hi_u32 s53, s12, s11
	s_add_u32 s4, s4, s56
	s_addc_u32 s12, 0, s53
	s_add_u32 s4, s4, s52
	s_mul_hi_u32 s6, s7, s11
	s_addc_u32 s4, s12, s13
	s_addc_u32 s6, s6, 0
	s_mul_i32 s11, s7, s11
	s_add_u32 s4, s4, s11
	s_addc_u32 s6, 0, s6
	v_add_co_u32_e32 v2, vcc, s4, v2
	s_cmp_lg_u64 vcc, 0
	s_addc_u32 s4, s7, s6
	v_readfirstlane_b32 s11, v2
	s_mul_i32 s7, s10, s4
	s_mul_hi_u32 s12, s10, s11
	s_mul_hi_u32 s6, s10, s4
	s_add_u32 s7, s12, s7
	s_addc_u32 s6, 0, s6
	s_mul_hi_u32 s13, s5, s11
	s_mul_i32 s11, s5, s11
	s_add_u32 s7, s7, s11
	s_mul_hi_u32 s12, s5, s4
	s_addc_u32 s6, s6, s13
	s_addc_u32 s7, s12, 0
	s_mul_i32 s4, s5, s4
	s_add_u32 s4, s6, s4
	s_addc_u32 s6, 0, s7
	s_mul_hi_u32 s7, s87, s4
	s_mul_i32 s4, s87, s4
	s_mul_i32 s6, s87, s6
	v_mov_b32_e32 v2, s4
	s_add_i32 s7, s7, s6
	v_sub_co_u32_e32 v2, vcc, s10, v2
	s_cmp_lg_u64 vcc, 0
	s_subb_u32 s4, s5, s7
	v_subrev_co_u32_e32 v3, vcc, s87, v2
	s_cmp_lg_u64 vcc, 0
	s_subb_u32 s6, s4, 0
	v_subrev_co_u32_e32 v6, vcc, s87, v3
	s_cmp_lg_u64 vcc, 0
	s_subb_u32 s7, s6, 0
	v_cmp_le_u32_e32 vcc, s87, v3
	s_cmp_eq_u32 s6, 0
	v_cndmask_b32_e64 v7, 0, -1, vcc
	s_cselect_b64 vcc, -1, 0
	v_cndmask_b32_e32 v7, -1, v7, vcc
	v_mov_b32_e32 v14, s6
	v_mov_b32_e32 v20, s7
	v_cmp_ne_u32_e32 vcc, 0, v7
	v_cndmask_b32_e32 v7, v14, v20, vcc
	v_cndmask_b32_e32 v6, v3, v6, vcc
	v_cmp_le_u32_e32 vcc, s87, v2
	s_cmp_eq_u32 s4, 0
	v_cndmask_b32_e64 v3, 0, -1, vcc
	s_cselect_b64 vcc, -1, 0
	v_cndmask_b32_e32 v3, -1, v3, vcc
	v_mov_b32_e32 v14, s4
	v_cmp_ne_u32_e32 vcc, 0, v3
	v_cndmask_b32_e32 v3, v14, v7, vcc
	v_cndmask_b32_e32 v2, v2, v6, vcc
	s_cbranch_execnz .LBB219_183
.LBB219_182:                            ;   in Loop: Header=BB219_12 Depth=1
	v_cvt_f32_u32_e32 v2, s87
	s_sub_i32 s4, 0, s87
	v_rcp_iflag_f32_e32 v2, v2
	v_mul_f32_e32 v2, 0x4f7ffffe, v2
	v_cvt_u32_f32_e32 v2, v2
	v_mul_lo_u32 v3, s4, v2
	v_mul_hi_u32 v3, v2, v3
	v_add_u32_e32 v2, v2, v3
	v_mul_hi_u32 v2, s10, v2
	v_mul_lo_u32 v2, v2, s87
	v_sub_u32_e32 v2, s10, v2
	v_subrev_u32_e32 v3, s87, v2
	v_cmp_le_u32_e32 vcc, s87, v2
	v_cndmask_b32_e32 v2, v2, v3, vcc
	v_subrev_u32_e32 v3, s87, v2
	v_cmp_le_u32_e32 vcc, s87, v2
	v_cndmask_b32_e32 v14, v2, v3, vcc
	v_pk_mov_b32 v[2:3], v[14:15], v[14:15] op_sel:[0,1]
.LBB219_183:                            ;   in Loop: Header=BB219_12 Depth=1
	v_mov_b32_e32 v6, s5
	v_sub_co_u32_e32 v2, vcc, s10, v2
	v_subb_co_u32_e32 v3, vcc, v6, v3, vcc
	v_cmp_gt_u64_e32 vcc, v[2:3], v[0:1]
	s_mov_b64 s[6:7], 0
                                        ; implicit-def: $vgpr6
	s_and_saveexec_b64 s[4:5], vcc
	s_cbranch_execz .LBB219_195
; %bb.184:                              ;   in Loop: Header=BB219_12 Depth=1
	s_mov_b64 s[10:11], 0
	v_mov_b32_e32 v14, v28
	v_pk_mov_b32 v[6:7], v[0:1], v[0:1] op_sel:[0,1]
                                        ; implicit-def: $sgpr12_sgpr13
	s_branch .LBB219_186
.LBB219_185:                            ;   in Loop: Header=BB219_186 Depth=2
	s_or_b64 exec, exec, s[6:7]
	s_waitcnt lgkmcnt(0)
	s_barrier
	ds_read_b32 v20, v15 offset:3072
	v_add_co_u32_e64 v6, s[6:7], s87, v6
	v_add_u32_e32 v14, s95, v14
	s_waitcnt lgkmcnt(0)
	v_and_b32_e32 v21, 0x7fff, v20
	v_cmp_ne_u16_e32 vcc, 0, v21
	v_mov_b32_e32 v21, s88
	v_addc_co_u32_e64 v7, s[6:7], v7, v21, s[6:7]
	v_cmp_ge_u64_e64 s[6:7], v[6:7], v[2:3]
	s_or_b64 s[6:7], s[6:7], vcc
	s_and_b64 s[6:7], exec, s[6:7]
	s_or_b64 s[10:11], s[6:7], s[10:11]
	s_andn2_b64 s[6:7], s[12:13], exec
	s_and_b64 s[12:13], vcc, exec
	s_or_b64 s[12:13], s[6:7], s[12:13]
	s_barrier
	s_andn2_b64 exec, exec, s[10:11]
	s_cbranch_execz .LBB219_194
.LBB219_186:                            ;   Parent Loop BB219_12 Depth=1
                                        ; =>  This Inner Loop Header: Depth=2
	v_cmp_gt_u64_e32 vcc, s[2:3], v[6:7]
	v_mov_b32_e32 v20, 0
	s_and_saveexec_b64 s[6:7], vcc
	s_cbranch_execz .LBB219_188
; %bb.187:                              ;   in Loop: Header=BB219_186 Depth=2
	ds_read_u16 v20, v14
.LBB219_188:                            ;   in Loop: Header=BB219_186 Depth=2
	s_or_b64 exec, exec, s[6:7]
	s_and_saveexec_b64 s[6:7], vcc
	s_cbranch_execz .LBB219_185
; %bb.189:                              ;   in Loop: Header=BB219_186 Depth=2
	s_waitcnt lgkmcnt(0)
	v_cmp_lt_i16_e32 vcc, -1, v20
	v_cndmask_b32_e32 v21, v32, v33, vcc
	v_lshlrev_b32_e32 v22, 16, v20
	v_xor_b32_sdwa v21, v21, v20 dst_sel:DWORD dst_unused:UNUSED_PAD src0_sel:DWORD src1_sel:WORD_0
	v_cmp_o_f32_e32 vcc, v22, v22
	v_cndmask_b32_e32 v21, v32, v21, vcc
	v_and_b32_e32 v21, v21, v9
	v_cmp_eq_u32_e32 vcc, v21, v8
	s_and_b64 exec, exec, vcc
	s_cbranch_execz .LBB219_185
; %bb.190:                              ;   in Loop: Header=BB219_186 Depth=2
	s_movk_i32 s52, 0x3f80
	v_perm_b32 v20, v20, s52, v36
	ds_write_b32 v15, v20 offset:3072
	s_branch .LBB219_185
.LBB219_191:                            ;   in Loop: Header=BB219_12 Depth=1
                                        ; implicit-def: $vgpr4_vgpr5
	s_branch .LBB219_136
.LBB219_192:                            ;   in Loop: Header=BB219_12 Depth=1
                                        ; implicit-def: $vgpr4_vgpr5
	s_branch .LBB219_152
.LBB219_193:                            ;   in Loop: Header=BB219_12 Depth=1
	s_mov_b64 s[2:3], -1
	s_mov_b64 s[6:7], 0
                                        ; implicit-def: $sgpr10_sgpr11
                                        ; implicit-def: $vgpr6
	s_mov_b64 s[52:53], s[2:3]
	s_cbranch_execnz .LBB219_196
	s_branch .LBB219_209
.LBB219_194:                            ;   in Loop: Header=BB219_12 Depth=1
	s_or_b64 exec, exec, s[10:11]
	v_lshrrev_b32_e32 v6, 16, v20
	s_and_b64 s[6:7], s[12:13], exec
.LBB219_195:                            ;   in Loop: Header=BB219_12 Depth=1
	s_or_b64 exec, exec, s[4:5]
	s_mov_b64 s[10:11], -1
	s_mov_b64 s[2:3], 0
	s_mov_b64 s[52:53], s[2:3]
	s_branch .LBB219_209
.LBB219_196:                            ;   in Loop: Header=BB219_12 Depth=1
	s_mov_b32 s92, s85
	s_cmp_lg_u64 s[92:93], 0
	s_cbranch_scc0 .LBB219_229
; %bb.197:                              ;   in Loop: Header=BB219_12 Depth=1
	v_cvt_f32_u32_e32 v2, s87
	s_sub_u32 s2, 0, s87
	s_subb_u32 s3, 0, 0
	v_mac_f32_e32 v2, 0, v34
	v_rcp_f32_e32 v2, v2
	v_mul_f32_e32 v2, 0x5f7ffffc, v2
	v_mul_f32_e32 v3, 0x2f800000, v2
	v_trunc_f32_e32 v3, v3
	v_mac_f32_e32 v2, 0xcf800000, v3
	v_cvt_u32_f32_e32 v3, v3
	v_cvt_u32_f32_e32 v2, v2
	v_readfirstlane_b32 s4, v3
	v_readfirstlane_b32 s5, v2
	s_mul_i32 s6, s2, s4
	s_mul_hi_u32 s10, s2, s5
	s_mul_i32 s7, s3, s5
	s_add_i32 s6, s10, s6
	s_mul_i32 s11, s2, s5
	s_add_i32 s6, s6, s7
	s_mul_hi_u32 s10, s5, s11
	s_mul_hi_u32 s7, s5, s6
	s_mul_i32 s5, s5, s6
	s_add_u32 s5, s10, s5
	s_addc_u32 s7, 0, s7
	s_mul_hi_u32 s12, s4, s11
	s_mul_i32 s11, s4, s11
	s_add_u32 s5, s5, s11
	s_mul_hi_u32 s10, s4, s6
	s_addc_u32 s5, s7, s12
	s_addc_u32 s7, s10, 0
	s_mul_i32 s6, s4, s6
	s_add_u32 s5, s5, s6
	s_addc_u32 s6, 0, s7
	v_add_co_u32_e32 v2, vcc, s5, v2
	s_cmp_lg_u64 vcc, 0
	s_addc_u32 s4, s4, s6
	v_readfirstlane_b32 s6, v2
	s_mul_i32 s5, s2, s4
	s_mul_hi_u32 s7, s2, s6
	s_add_i32 s5, s7, s5
	s_mul_i32 s3, s3, s6
	s_add_i32 s5, s5, s3
	s_mul_i32 s2, s2, s6
	s_mul_hi_u32 s7, s4, s2
	s_mul_i32 s10, s4, s2
	s_mul_i32 s12, s6, s5
	s_mul_hi_u32 s2, s6, s2
	s_mul_hi_u32 s11, s6, s5
	s_add_u32 s2, s2, s12
	s_addc_u32 s6, 0, s11
	s_add_u32 s2, s2, s10
	s_mul_hi_u32 s3, s4, s5
	s_addc_u32 s2, s6, s7
	s_addc_u32 s3, s3, 0
	s_mul_i32 s5, s4, s5
	s_add_u32 s2, s2, s5
	s_addc_u32 s3, 0, s3
	v_add_co_u32_e32 v2, vcc, s2, v2
	s_cmp_lg_u64 vcc, 0
	s_addc_u32 s2, s4, s3
	v_readlane_b32 s10, v48, 35
	v_readfirstlane_b32 s5, v2
	s_mul_i32 s4, s10, s2
	s_mul_hi_u32 s6, s10, s5
	s_mul_hi_u32 s3, s10, s2
	s_add_u32 s4, s6, s4
	s_addc_u32 s3, 0, s3
	s_mul_hi_u32 s7, s93, s5
	s_mul_i32 s5, s93, s5
	s_add_u32 s4, s4, s5
	s_mul_hi_u32 s6, s93, s2
	s_addc_u32 s3, s3, s7
	s_addc_u32 s4, s6, 0
	s_mul_i32 s2, s93, s2
	s_add_u32 s2, s3, s2
	s_addc_u32 s3, 0, s4
	s_mul_hi_u32 s4, s87, s2
	s_mul_i32 s2, s87, s2
	s_mul_i32 s3, s87, s3
	v_mov_b32_e32 v2, s2
	s_add_i32 s4, s4, s3
	v_sub_co_u32_e32 v2, vcc, s10, v2
	s_cmp_lg_u64 vcc, 0
	s_subb_u32 s2, s93, s4
	v_subrev_co_u32_e32 v3, vcc, s87, v2
	s_cmp_lg_u64 vcc, 0
	s_subb_u32 s3, s2, 0
	v_subrev_co_u32_e32 v6, vcc, s87, v3
	s_cmp_lg_u64 vcc, 0
	s_subb_u32 s4, s3, 0
	v_cmp_le_u32_e32 vcc, s87, v3
	s_cmp_eq_u32 s3, 0
	v_cndmask_b32_e64 v7, 0, -1, vcc
	s_cselect_b64 vcc, -1, 0
	v_cndmask_b32_e32 v7, -1, v7, vcc
	v_mov_b32_e32 v14, s3
	v_mov_b32_e32 v20, s4
	v_cmp_ne_u32_e32 vcc, 0, v7
	v_cndmask_b32_e32 v7, v14, v20, vcc
	v_cndmask_b32_e32 v6, v3, v6, vcc
	v_cmp_le_u32_e32 vcc, s87, v2
	s_cmp_eq_u32 s2, 0
	v_cndmask_b32_e64 v3, 0, -1, vcc
	s_cselect_b64 vcc, -1, 0
	v_cndmask_b32_e32 v3, -1, v3, vcc
	v_mov_b32_e32 v14, s2
	v_cmp_ne_u32_e32 vcc, 0, v3
	v_cndmask_b32_e32 v3, v14, v7, vcc
	v_cndmask_b32_e32 v2, v2, v6, vcc
	s_cbranch_execnz .LBB219_199
.LBB219_198:                            ;   in Loop: Header=BB219_12 Depth=1
	v_cvt_f32_u32_e32 v2, s87
	s_sub_i32 s2, 0, s87
	v_rcp_iflag_f32_e32 v2, v2
	v_mul_f32_e32 v2, 0x4f7ffffe, v2
	v_cvt_u32_f32_e32 v2, v2
	v_mul_lo_u32 v3, s2, v2
	v_mul_hi_u32 v3, v2, v3
	v_add_u32_e32 v2, v2, v3
	v_readlane_b32 s2, v48, 35
	v_mul_hi_u32 v2, s2, v2
	v_mul_lo_u32 v2, v2, s87
	v_sub_u32_e32 v2, s2, v2
	v_subrev_u32_e32 v3, s87, v2
	v_cmp_le_u32_e32 vcc, s87, v2
	v_cndmask_b32_e32 v2, v2, v3, vcc
	v_subrev_u32_e32 v3, s87, v2
	v_cmp_le_u32_e32 vcc, s87, v2
	v_cndmask_b32_e32 v14, v2, v3, vcc
	v_pk_mov_b32 v[2:3], v[14:15], v[14:15] op_sel:[0,1]
.LBB219_199:                            ;   in Loop: Header=BB219_12 Depth=1
	v_readlane_b32 s2, v48, 35
	v_mov_b32_e32 v6, s93
	v_sub_co_u32_e32 v2, vcc, s2, v2
	v_subb_co_u32_e32 v3, vcc, v6, v3, vcc
	v_cmp_gt_u64_e32 vcc, v[2:3], v[0:1]
	s_mov_b64 s[6:7], 0
                                        ; implicit-def: $vgpr6
	s_and_saveexec_b64 s[2:3], vcc
	s_cbranch_execz .LBB219_208
; %bb.200:                              ;   in Loop: Header=BB219_12 Depth=1
	s_mov_b64 s[4:5], 0
	v_pk_mov_b32 v[6:7], v[0:1], v[0:1] op_sel:[0,1]
                                        ; implicit-def: $sgpr10_sgpr11
	s_branch .LBB219_202
.LBB219_201:                            ;   in Loop: Header=BB219_202 Depth=2
	s_or_b64 exec, exec, s[6:7]
	s_waitcnt lgkmcnt(0)
	s_barrier
	s_waitcnt vmcnt(0)
	ds_read_b32 v14, v15 offset:3072
	v_add_co_u32_e64 v6, s[6:7], s87, v6
	s_waitcnt lgkmcnt(0)
	s_barrier
	v_and_b32_e32 v20, 0x7fff, v14
	v_cmp_ne_u16_e32 vcc, 0, v20
	v_mov_b32_e32 v20, s88
	v_addc_co_u32_e64 v7, s[6:7], v7, v20, s[6:7]
	v_cmp_ge_u64_e64 s[6:7], v[6:7], v[2:3]
	s_or_b64 s[6:7], s[6:7], vcc
	s_and_b64 s[6:7], exec, s[6:7]
	s_or_b64 s[4:5], s[6:7], s[4:5]
	s_andn2_b64 s[6:7], s[10:11], exec
	s_and_b64 s[10:11], vcc, exec
	s_or_b64 s[10:11], s[6:7], s[10:11]
	s_andn2_b64 exec, exec, s[4:5]
	s_cbranch_execz .LBB219_207
.LBB219_202:                            ;   Parent Loop BB219_12 Depth=1
                                        ; =>  This Inner Loop Header: Depth=2
	v_cmp_gt_u64_e32 vcc, s[60:61], v[6:7]
	v_mov_b32_e32 v14, 0
	s_and_saveexec_b64 s[12:13], vcc
	s_cbranch_execz .LBB219_204
; %bb.203:                              ;   in Loop: Header=BB219_202 Depth=2
	v_mul_lo_u32 v14, v7, s58
	v_mul_lo_u32 v22, v6, s59
	v_mad_u64_u32 v[20:21], s[6:7], v6, s58, 0
	v_add3_u32 v21, v21, v22, v14
	v_lshlrev_b64 v[20:21], 1, v[20:21]
	v_mov_b32_e32 v14, s86
	v_add_co_u32_e64 v20, s[6:7], s33, v20
	v_addc_co_u32_e64 v21, s[6:7], v14, v21, s[6:7]
	global_load_ushort v14, v[20:21], off
.LBB219_204:                            ;   in Loop: Header=BB219_202 Depth=2
	s_or_b64 exec, exec, s[12:13]
	s_and_saveexec_b64 s[6:7], vcc
	s_cbranch_execz .LBB219_201
; %bb.205:                              ;   in Loop: Header=BB219_202 Depth=2
	s_waitcnt vmcnt(0)
	v_cmp_lt_i16_e32 vcc, -1, v14
	v_cndmask_b32_e32 v20, v32, v33, vcc
	v_lshlrev_b32_e32 v21, 16, v14
	v_xor_b32_sdwa v20, v20, v14 dst_sel:DWORD dst_unused:UNUSED_PAD src0_sel:DWORD src1_sel:WORD_0
	v_cmp_o_f32_e32 vcc, v21, v21
	v_cndmask_b32_e32 v20, v32, v20, vcc
	v_and_b32_e32 v20, v20, v9
	v_cmp_eq_u32_e32 vcc, v20, v8
	s_and_b64 exec, exec, vcc
	s_cbranch_execz .LBB219_201
; %bb.206:                              ;   in Loop: Header=BB219_202 Depth=2
	s_movk_i32 s12, 0x3f80
	v_perm_b32 v14, v14, s12, v36
	ds_write_b32 v15, v14 offset:3072
	s_branch .LBB219_201
.LBB219_207:                            ;   in Loop: Header=BB219_12 Depth=1
	s_or_b64 exec, exec, s[4:5]
	v_lshrrev_b32_e32 v6, 16, v14
	s_and_b64 s[6:7], s[10:11], exec
.LBB219_208:                            ;   in Loop: Header=BB219_12 Depth=1
	s_or_b64 exec, exec, s[2:3]
	s_mov_b64 s[52:53], -1
	s_mov_b64 s[2:3], 0
	s_mov_b64 s[10:11], 0
.LBB219_209:                            ;   in Loop: Header=BB219_12 Depth=1
	s_orn2_b64 s[4:5], s[6:7], exec
	s_mov_b64 vcc, s[10:11]
.LBB219_210:                            ;   in Loop: Header=BB219_12 Depth=1
	s_or_b64 exec, exec, s[54:55]
	s_mov_b64 s[6:7], 0
                                        ; implicit-def: $vgpr7
	s_and_saveexec_b64 s[54:55], s[4:5]
	s_cbranch_execz .LBB219_275
; %bb.211:                              ;   in Loop: Header=BB219_12 Depth=1
	v_mov_b32_e32 v2, 1
	s_xor_b64 s[6:7], s[8:9], -1
	s_mov_b64 s[56:57], 0
	v_mov_b32_e32 v3, 0
	v_mov_b32_e32 v7, 1
	s_and_saveexec_b64 s[4:5], s[6:7]
	s_cbranch_execz .LBB219_221
; %bb.212:                              ;   in Loop: Header=BB219_12 Depth=1
	s_mov_b64 s[90:91], vcc
	v_cmp_ge_u64_e32 vcc, s[22:23], v[4:5]
                                        ; implicit-def: $sgpr10
                                        ; implicit-def: $sgpr6_sgpr7
	s_and_saveexec_b64 s[8:9], vcc
	s_xor_b64 s[8:9], exec, s[8:9]
	s_cbranch_execz .LBB219_218
; %bb.213:                              ;   in Loop: Header=BB219_12 Depth=1
	ds_read_b64 v[2:3], v15 offset:5120
	s_waitcnt lgkmcnt(0)
	v_cmp_ne_u64_e32 vcc, 0, v[2:3]
	s_cbranch_vccnz .LBB219_217
; %bb.214:                              ;   in Loop: Header=BB219_12 Depth=1
	s_mov_b64 s[6:7], exec
	v_readlane_b32 s10, v48, 12
	v_readlane_b32 s11, v48, 13
	s_and_b64 s[10:11], s[6:7], s[10:11]
	s_mov_b64 exec, s[10:11]
	s_cbranch_execz .LBB219_216
; %bb.215:                              ;   in Loop: Header=BB219_12 Depth=1
	v_pk_mov_b32 v[2:3], s[22:23], s[22:23] op_sel:[0,1]
	ds_write_b64 v15, v[2:3] offset:5128
.LBB219_216:                            ;   in Loop: Header=BB219_12 Depth=1
	s_or_b64 exec, exec, s[6:7]
	s_waitcnt lgkmcnt(0)
	s_barrier
.LBB219_217:                            ;   in Loop: Header=BB219_12 Depth=1
	v_and_b32_e32 v2, s48, v8
	v_lshl_or_b32 v8, 2, s49, v2
	v_or_b32_e32 v9, s84, v9
	s_mov_b64 s[6:7], 0
	s_mov_b32 s10, 8
.LBB219_218:                            ;   in Loop: Header=BB219_12 Depth=1
	s_or_saveexec_b64 s[8:9], s[8:9]
	v_mov_b32_e32 v7, s10
	s_xor_b64 exec, exec, s[8:9]
; %bb.219:                              ;   in Loop: Header=BB219_12 Depth=1
	v_mov_b32_e32 v2, s23
	v_subrev_co_u32_e32 v4, vcc, s22, v4
	v_subb_co_u32_e32 v5, vcc, v5, v2, vcc
	v_mov_b32_e32 v7, 0
	s_or_b64 s[6:7], s[6:7], exec
; %bb.220:                              ;   in Loop: Header=BB219_12 Depth=1
	s_or_b64 exec, exec, s[8:9]
	s_and_b64 s[56:57], s[6:7], exec
	v_pk_mov_b32 v[2:3], v[4:5], v[4:5] op_sel:[0,1]
	s_mov_b64 vcc, s[90:91]
.LBB219_221:                            ;   in Loop: Header=BB219_12 Depth=1
	s_or_b64 exec, exec, s[4:5]
	s_mov_b64 s[12:13], -1
                                        ; implicit-def: $sgpr4_sgpr5
                                        ; implicit-def: $sgpr10_sgpr11
                                        ; implicit-def: $sgpr6_sgpr7
	s_and_saveexec_b64 s[8:9], s[56:57]
	s_cbranch_execz .LBB219_274
; %bb.222:                              ;   in Loop: Header=BB219_12 Depth=1
	v_writelane_b32 v48, vcc_lo, 51
	s_cmp_eq_u64 s[24:25], 1
	v_writelane_b32 v48, vcc_hi, 52
	s_cselect_b64 s[4:5], -1, 0
	v_cmp_eq_u64_e32 vcc, 1, v[2:3]
	s_mov_b64 s[56:57], -1
	s_and_b64 s[12:13], s[4:5], vcc
                                        ; implicit-def: $sgpr4_sgpr5
                                        ; implicit-def: $sgpr10_sgpr11
                                        ; implicit-def: $sgpr6_sgpr7
	s_mov_b64 s[90:91], exec
	v_writelane_b32 v48, s12, 53
	v_writelane_b32 v48, s13, 54
	s_and_b64 s[12:13], s[90:91], s[12:13]
	s_mov_b64 exec, s[12:13]
	s_cbranch_execz .LBB219_261
; %bb.223:                              ;   in Loop: Header=BB219_12 Depth=1
	ds_read_b64 v[4:5], v15 offset:5120
	s_waitcnt lgkmcnt(0)
	s_barrier
	v_readfirstlane_b32 s4, v4
	v_readfirstlane_b32 s5, v5
	s_mov_b64 s[6:7], exec
	v_readlane_b32 s10, v48, 30
	v_readlane_b32 s11, v48, 31
	s_and_b64 s[10:11], s[6:7], s[10:11]
	s_mov_b64 exec, s[10:11]
	s_cbranch_execz .LBB219_225
; %bb.224:                              ;   in Loop: Header=BB219_12 Depth=1
	ds_write_b16 v29, v15
.LBB219_225:                            ;   in Loop: Header=BB219_12 Depth=1
	s_or_b64 exec, exec, s[6:7]
	v_or_b32_e32 v8, s84, v8
	v_or_b32_e32 v9, s84, v9
	s_cmp_eq_u64 s[4:5], 0
	v_writelane_b32 v48, s90, 55
	s_waitcnt lgkmcnt(0)
	s_barrier
	v_writelane_b32 v48, s91, 56
	s_cbranch_scc1 .LBB219_230
; %bb.226:                              ;   in Loop: Header=BB219_12 Depth=1
	v_readlane_b32 s6, v48, 34
	s_add_u32 s12, s6, s4
	v_readlane_b32 s6, v48, 36
	s_addc_u32 s7, s6, s5
	s_mov_b32 s6, s85
	s_cmp_lg_u64 s[6:7], 0
	s_cbranch_scc0 .LBB219_231
; %bb.227:                              ;   in Loop: Header=BB219_12 Depth=1
	v_cvt_f32_u32_e32 v4, s87
	s_sub_u32 s6, 0, s87
	s_subb_u32 s10, 0, 0
	v_mac_f32_e32 v4, 0, v34
	v_rcp_f32_e32 v4, v4
	v_mul_f32_e32 v4, 0x5f7ffffc, v4
	v_mul_f32_e32 v5, 0x2f800000, v4
	v_trunc_f32_e32 v5, v5
	v_mac_f32_e32 v4, 0xcf800000, v5
	v_cvt_u32_f32_e32 v5, v5
	v_cvt_u32_f32_e32 v4, v4
	v_readfirstlane_b32 s11, v5
	v_readfirstlane_b32 s13, v4
	s_mul_i32 s56, s6, s11
	s_mul_hi_u32 s90, s6, s13
	s_mul_i32 s57, s10, s13
	s_add_i32 s56, s90, s56
	s_mul_i32 s91, s6, s13
	s_add_i32 s56, s56, s57
	s_mul_hi_u32 s90, s13, s91
	s_mul_hi_u32 s57, s13, s56
	s_mul_i32 s13, s13, s56
	s_add_u32 s13, s90, s13
	s_addc_u32 s57, 0, s57
	s_mul_hi_u32 s92, s11, s91
	s_mul_i32 s91, s11, s91
	s_add_u32 s13, s13, s91
	s_mul_hi_u32 s90, s11, s56
	s_addc_u32 s13, s57, s92
	s_addc_u32 s57, s90, 0
	s_mul_i32 s56, s11, s56
	s_add_u32 s13, s13, s56
	s_addc_u32 s56, 0, s57
	v_add_co_u32_e32 v4, vcc, s13, v4
	s_cmp_lg_u64 vcc, 0
	s_addc_u32 s11, s11, s56
	v_readfirstlane_b32 s56, v4
	s_mul_i32 s13, s6, s11
	s_mul_hi_u32 s57, s6, s56
	s_add_i32 s13, s57, s13
	s_mul_i32 s10, s10, s56
	s_add_i32 s13, s13, s10
	s_mul_i32 s6, s6, s56
	s_mul_hi_u32 s57, s11, s6
	s_mul_i32 s90, s11, s6
	s_mul_i32 s92, s56, s13
	s_mul_hi_u32 s6, s56, s6
	s_mul_hi_u32 s91, s56, s13
	s_add_u32 s6, s6, s92
	s_addc_u32 s56, 0, s91
	s_add_u32 s6, s6, s90
	s_mul_hi_u32 s10, s11, s13
	s_addc_u32 s6, s56, s57
	s_addc_u32 s10, s10, 0
	s_mul_i32 s13, s11, s13
	s_add_u32 s6, s6, s13
	s_addc_u32 s10, 0, s10
	v_add_co_u32_e32 v4, vcc, s6, v4
	s_cmp_lg_u64 vcc, 0
	s_addc_u32 s6, s11, s10
	v_readfirstlane_b32 s13, v4
	s_mul_i32 s11, s12, s6
	s_mul_hi_u32 s56, s12, s13
	s_mul_hi_u32 s10, s12, s6
	s_add_u32 s11, s56, s11
	s_addc_u32 s10, 0, s10
	s_mul_hi_u32 s57, s7, s13
	s_mul_i32 s13, s7, s13
	s_add_u32 s11, s11, s13
	s_mul_hi_u32 s56, s7, s6
	s_addc_u32 s10, s10, s57
	s_addc_u32 s11, s56, 0
	s_mul_i32 s6, s7, s6
	s_add_u32 s6, s10, s6
	s_addc_u32 s10, 0, s11
	s_mul_hi_u32 s11, s87, s6
	s_mul_i32 s6, s87, s6
	s_mul_i32 s10, s87, s10
	v_mov_b32_e32 v4, s6
	s_add_i32 s11, s11, s10
	v_sub_co_u32_e32 v4, vcc, s12, v4
	s_cmp_lg_u64 vcc, 0
	s_subb_u32 s6, s7, s11
	v_subrev_co_u32_e32 v5, vcc, s87, v4
	s_cmp_lg_u64 vcc, 0
	s_subb_u32 s10, s6, 0
	v_subrev_co_u32_e32 v6, vcc, s87, v5
	s_cmp_lg_u64 vcc, 0
	s_subb_u32 s11, s10, 0
	v_cmp_le_u32_e32 vcc, s87, v5
	s_cmp_eq_u32 s10, 0
	v_cndmask_b32_e64 v7, 0, -1, vcc
	s_cselect_b64 vcc, -1, 0
	v_cndmask_b32_e32 v7, -1, v7, vcc
	v_mov_b32_e32 v14, s10
	v_mov_b32_e32 v20, s11
	v_cmp_ne_u32_e32 vcc, 0, v7
	v_cndmask_b32_e32 v7, v14, v20, vcc
	v_cndmask_b32_e32 v6, v5, v6, vcc
	v_cmp_le_u32_e32 vcc, s87, v4
	s_cmp_eq_u32 s6, 0
	v_cndmask_b32_e64 v5, 0, -1, vcc
	s_cselect_b64 vcc, -1, 0
	v_cndmask_b32_e32 v5, -1, v5, vcc
	v_mov_b32_e32 v14, s6
	v_cmp_ne_u32_e32 vcc, 0, v5
	v_cndmask_b32_e32 v5, v14, v7, vcc
	v_cndmask_b32_e32 v4, v4, v6, vcc
	s_mov_b64 s[10:11], 0
	s_branch .LBB219_232
.LBB219_228:                            ;   in Loop: Header=BB219_12 Depth=1
                                        ; implicit-def: $vgpr2_vgpr3
	s_branch .LBB219_182
.LBB219_229:                            ;   in Loop: Header=BB219_12 Depth=1
                                        ; implicit-def: $vgpr2_vgpr3
	s_branch .LBB219_198
.LBB219_230:                            ;   in Loop: Header=BB219_12 Depth=1
	s_mov_b64 s[4:5], -1
	s_mov_b64 s[12:13], 0
                                        ; implicit-def: $sgpr6_sgpr7
                                        ; implicit-def: $vgpr6
	s_branch .LBB219_244
.LBB219_231:                            ;   in Loop: Header=BB219_12 Depth=1
	s_mov_b64 s[10:11], -1
                                        ; implicit-def: $vgpr4_vgpr5
.LBB219_232:                            ;   in Loop: Header=BB219_12 Depth=1
	s_andn2_b64 vcc, exec, s[10:11]
	s_cbranch_vccnz .LBB219_234
; %bb.233:                              ;   in Loop: Header=BB219_12 Depth=1
	v_cvt_f32_u32_e32 v4, s87
	s_sub_i32 s6, 0, s87
	v_rcp_iflag_f32_e32 v4, v4
	v_mul_f32_e32 v4, 0x4f7ffffe, v4
	v_cvt_u32_f32_e32 v4, v4
	v_mul_lo_u32 v5, s6, v4
	v_mul_hi_u32 v5, v4, v5
	v_add_u32_e32 v4, v4, v5
	v_mul_hi_u32 v4, s12, v4
	v_mul_lo_u32 v4, v4, s87
	v_sub_u32_e32 v4, s12, v4
	v_subrev_u32_e32 v5, s87, v4
	v_cmp_le_u32_e32 vcc, s87, v4
	v_cndmask_b32_e32 v4, v4, v5, vcc
	v_subrev_u32_e32 v5, s87, v4
	v_cmp_le_u32_e32 vcc, s87, v4
	v_cndmask_b32_e32 v14, v4, v5, vcc
	v_pk_mov_b32 v[4:5], v[14:15], v[14:15] op_sel:[0,1]
.LBB219_234:                            ;   in Loop: Header=BB219_12 Depth=1
	v_mov_b32_e32 v6, s7
	v_sub_co_u32_e32 v4, vcc, s12, v4
	v_subb_co_u32_e32 v5, vcc, v6, v5, vcc
	v_cmp_gt_u64_e32 vcc, v[4:5], v[0:1]
	s_mov_b64 s[12:13], 0
                                        ; implicit-def: $vgpr6
	s_and_saveexec_b64 s[10:11], vcc
	s_cbranch_execz .LBB219_243
; %bb.235:                              ;   in Loop: Header=BB219_12 Depth=1
	v_mov_b32_e32 v14, v28
	v_pk_mov_b32 v[6:7], v[0:1], v[0:1] op_sel:[0,1]
                                        ; implicit-def: $sgpr56_sgpr57
	s_branch .LBB219_237
.LBB219_236:                            ;   in Loop: Header=BB219_237 Depth=2
	s_or_b64 exec, exec, s[6:7]
	s_waitcnt lgkmcnt(0)
	s_barrier
	ds_read_b32 v20, v15 offset:3072
	v_add_co_u32_e64 v6, s[6:7], s87, v6
	v_add_u32_e32 v14, s95, v14
	s_waitcnt lgkmcnt(0)
	v_and_b32_e32 v21, 0x7fff, v20
	v_cmp_ne_u16_e32 vcc, 0, v21
	v_mov_b32_e32 v21, s88
	v_addc_co_u32_e64 v7, s[6:7], v7, v21, s[6:7]
	v_cmp_ge_u64_e64 s[6:7], v[6:7], v[4:5]
	s_or_b64 s[6:7], s[6:7], vcc
	s_and_b64 s[6:7], exec, s[6:7]
	s_or_b64 s[12:13], s[6:7], s[12:13]
	s_andn2_b64 s[6:7], s[56:57], exec
	s_and_b64 s[56:57], vcc, exec
	s_or_b64 s[56:57], s[6:7], s[56:57]
	s_barrier
	s_andn2_b64 exec, exec, s[12:13]
	s_cbranch_execz .LBB219_242
.LBB219_237:                            ;   Parent Loop BB219_12 Depth=1
                                        ; =>  This Inner Loop Header: Depth=2
	v_cmp_gt_u64_e32 vcc, s[4:5], v[6:7]
	v_mov_b32_e32 v20, 0
	s_and_saveexec_b64 s[6:7], vcc
	s_cbranch_execz .LBB219_239
; %bb.238:                              ;   in Loop: Header=BB219_237 Depth=2
	ds_read_u16 v20, v14
.LBB219_239:                            ;   in Loop: Header=BB219_237 Depth=2
	s_or_b64 exec, exec, s[6:7]
	s_and_saveexec_b64 s[6:7], vcc
	s_cbranch_execz .LBB219_236
; %bb.240:                              ;   in Loop: Header=BB219_237 Depth=2
	s_waitcnt lgkmcnt(0)
	v_cmp_lt_i16_e32 vcc, -1, v20
	v_cndmask_b32_e32 v21, v32, v33, vcc
	v_lshlrev_b32_e32 v22, 16, v20
	v_xor_b32_sdwa v21, v21, v20 dst_sel:DWORD dst_unused:UNUSED_PAD src0_sel:DWORD src1_sel:WORD_0
	v_cmp_o_f32_e32 vcc, v22, v22
	v_cndmask_b32_e32 v21, v32, v21, vcc
	v_and_b32_e32 v21, v21, v9
	v_cmp_eq_u32_e32 vcc, v21, v8
	s_and_b64 exec, exec, vcc
	s_cbranch_execz .LBB219_236
; %bb.241:                              ;   in Loop: Header=BB219_237 Depth=2
	s_movk_i32 s90, 0x3f80
	v_perm_b32 v20, v20, s90, v36
	ds_write_b32 v15, v20 offset:3072
	s_branch .LBB219_236
.LBB219_242:                            ;   in Loop: Header=BB219_12 Depth=1
	s_or_b64 exec, exec, s[12:13]
	v_lshrrev_b32_e32 v6, 16, v20
	s_and_b64 s[12:13], s[56:57], exec
.LBB219_243:                            ;   in Loop: Header=BB219_12 Depth=1
	s_or_b64 exec, exec, s[10:11]
	s_mov_b64 s[6:7], -1
	s_mov_b64 s[4:5], 0
.LBB219_244:                            ;   in Loop: Header=BB219_12 Depth=1
	s_and_b64 vcc, exec, s[4:5]
	s_mov_b64 s[10:11], s[4:5]
	s_cbranch_vccz .LBB219_260
; %bb.245:                              ;   in Loop: Header=BB219_12 Depth=1
	s_mov_b32 s92, s85
	s_cmp_lg_u64 s[92:93], 0
	s_cbranch_scc0 .LBB219_247
; %bb.246:                              ;   in Loop: Header=BB219_12 Depth=1
	v_cvt_f32_u32_e32 v4, s87
	s_sub_u32 s4, 0, s87
	s_subb_u32 s5, 0, 0
	v_mac_f32_e32 v4, 0, v34
	v_rcp_f32_e32 v4, v4
	v_mul_f32_e32 v4, 0x5f7ffffc, v4
	v_mul_f32_e32 v5, 0x2f800000, v4
	v_trunc_f32_e32 v5, v5
	v_mac_f32_e32 v4, 0xcf800000, v5
	v_cvt_u32_f32_e32 v5, v5
	v_cvt_u32_f32_e32 v4, v4
	v_readfirstlane_b32 s6, v5
	v_readfirstlane_b32 s7, v4
	s_mul_i32 s10, s4, s6
	s_mul_hi_u32 s12, s4, s7
	s_mul_i32 s11, s5, s7
	s_add_i32 s10, s12, s10
	s_mul_i32 s13, s4, s7
	s_add_i32 s10, s10, s11
	s_mul_hi_u32 s12, s7, s13
	s_mul_hi_u32 s11, s7, s10
	s_mul_i32 s7, s7, s10
	s_add_u32 s7, s12, s7
	s_addc_u32 s11, 0, s11
	s_mul_hi_u32 s56, s6, s13
	s_mul_i32 s13, s6, s13
	s_add_u32 s7, s7, s13
	s_mul_hi_u32 s12, s6, s10
	s_addc_u32 s7, s11, s56
	s_addc_u32 s11, s12, 0
	s_mul_i32 s10, s6, s10
	s_add_u32 s7, s7, s10
	s_addc_u32 s10, 0, s11
	v_add_co_u32_e32 v4, vcc, s7, v4
	s_cmp_lg_u64 vcc, 0
	s_addc_u32 s6, s6, s10
	v_readfirstlane_b32 s10, v4
	s_mul_i32 s7, s4, s6
	s_mul_hi_u32 s11, s4, s10
	s_add_i32 s7, s11, s7
	s_mul_i32 s5, s5, s10
	s_add_i32 s7, s7, s5
	s_mul_i32 s4, s4, s10
	s_mul_hi_u32 s11, s6, s4
	s_mul_i32 s12, s6, s4
	s_mul_i32 s56, s10, s7
	s_mul_hi_u32 s4, s10, s4
	s_mul_hi_u32 s13, s10, s7
	s_add_u32 s4, s4, s56
	s_addc_u32 s10, 0, s13
	s_add_u32 s4, s4, s12
	s_mul_hi_u32 s5, s6, s7
	s_addc_u32 s4, s10, s11
	s_addc_u32 s5, s5, 0
	s_mul_i32 s7, s6, s7
	s_add_u32 s4, s4, s7
	s_addc_u32 s5, 0, s5
	v_add_co_u32_e32 v4, vcc, s4, v4
	s_cmp_lg_u64 vcc, 0
	s_addc_u32 s4, s6, s5
	v_readlane_b32 s12, v48, 35
	v_readfirstlane_b32 s7, v4
	s_mul_i32 s6, s12, s4
	s_mul_hi_u32 s10, s12, s7
	s_mul_hi_u32 s5, s12, s4
	s_add_u32 s6, s10, s6
	s_addc_u32 s5, 0, s5
	s_mul_hi_u32 s11, s93, s7
	s_mul_i32 s7, s93, s7
	s_add_u32 s6, s6, s7
	s_mul_hi_u32 s10, s93, s4
	s_addc_u32 s5, s5, s11
	s_addc_u32 s6, s10, 0
	s_mul_i32 s4, s93, s4
	s_add_u32 s4, s5, s4
	s_addc_u32 s5, 0, s6
	s_mul_hi_u32 s6, s87, s4
	s_mul_i32 s4, s87, s4
	s_mul_i32 s5, s87, s5
	v_mov_b32_e32 v4, s4
	s_add_i32 s6, s6, s5
	v_sub_co_u32_e32 v4, vcc, s12, v4
	s_cmp_lg_u64 vcc, 0
	s_subb_u32 s4, s93, s6
	v_subrev_co_u32_e32 v5, vcc, s87, v4
	s_cmp_lg_u64 vcc, 0
	s_subb_u32 s5, s4, 0
	v_subrev_co_u32_e32 v6, vcc, s87, v5
	s_cmp_lg_u64 vcc, 0
	s_subb_u32 s6, s5, 0
	v_cmp_le_u32_e32 vcc, s87, v5
	s_cmp_eq_u32 s5, 0
	v_cndmask_b32_e64 v7, 0, -1, vcc
	s_cselect_b64 vcc, -1, 0
	v_cndmask_b32_e32 v7, -1, v7, vcc
	v_mov_b32_e32 v14, s5
	v_mov_b32_e32 v20, s6
	v_cmp_ne_u32_e32 vcc, 0, v7
	v_cndmask_b32_e32 v7, v14, v20, vcc
	v_cndmask_b32_e32 v6, v5, v6, vcc
	v_cmp_le_u32_e32 vcc, s87, v4
	s_cmp_eq_u32 s4, 0
	v_cndmask_b32_e64 v5, 0, -1, vcc
	s_cselect_b64 vcc, -1, 0
	v_cndmask_b32_e32 v5, -1, v5, vcc
	v_mov_b32_e32 v14, s4
	v_cmp_ne_u32_e32 vcc, 0, v5
	v_cndmask_b32_e32 v5, v14, v7, vcc
	v_cndmask_b32_e32 v4, v4, v6, vcc
	s_mov_b64 s[4:5], 0
	s_branch .LBB219_248
.LBB219_247:                            ;   in Loop: Header=BB219_12 Depth=1
	s_mov_b64 s[4:5], -1
                                        ; implicit-def: $vgpr4_vgpr5
.LBB219_248:                            ;   in Loop: Header=BB219_12 Depth=1
	s_andn2_b64 vcc, exec, s[4:5]
	s_cbranch_vccnz .LBB219_250
; %bb.249:                              ;   in Loop: Header=BB219_12 Depth=1
	v_cvt_f32_u32_e32 v4, s87
	s_sub_i32 s4, 0, s87
	v_rcp_iflag_f32_e32 v4, v4
	v_mul_f32_e32 v4, 0x4f7ffffe, v4
	v_cvt_u32_f32_e32 v4, v4
	v_mul_lo_u32 v5, s4, v4
	v_mul_hi_u32 v5, v4, v5
	v_add_u32_e32 v4, v4, v5
	v_readlane_b32 s4, v48, 35
	v_mul_hi_u32 v4, s4, v4
	v_mul_lo_u32 v4, v4, s87
	v_sub_u32_e32 v4, s4, v4
	v_subrev_u32_e32 v5, s87, v4
	v_cmp_le_u32_e32 vcc, s87, v4
	v_cndmask_b32_e32 v4, v4, v5, vcc
	v_subrev_u32_e32 v5, s87, v4
	v_cmp_le_u32_e32 vcc, s87, v4
	v_cndmask_b32_e32 v14, v4, v5, vcc
	v_pk_mov_b32 v[4:5], v[14:15], v[14:15] op_sel:[0,1]
.LBB219_250:                            ;   in Loop: Header=BB219_12 Depth=1
	v_readlane_b32 s4, v48, 35
	v_mov_b32_e32 v6, s93
	v_sub_co_u32_e32 v4, vcc, s4, v4
	v_subb_co_u32_e32 v5, vcc, v6, v5, vcc
	v_cmp_gt_u64_e32 vcc, v[4:5], v[0:1]
	s_mov_b64 s[12:13], 0
                                        ; implicit-def: $vgpr6
	s_and_saveexec_b64 s[4:5], vcc
	s_cbranch_execz .LBB219_259
; %bb.251:                              ;   in Loop: Header=BB219_12 Depth=1
	s_mov_b64 s[10:11], 0
	v_pk_mov_b32 v[6:7], v[0:1], v[0:1] op_sel:[0,1]
                                        ; implicit-def: $sgpr12_sgpr13
	s_branch .LBB219_253
.LBB219_252:                            ;   in Loop: Header=BB219_253 Depth=2
	s_or_b64 exec, exec, s[6:7]
	s_waitcnt lgkmcnt(0)
	s_barrier
	s_waitcnt vmcnt(0)
	ds_read_b32 v14, v15 offset:3072
	v_add_co_u32_e64 v6, s[6:7], s87, v6
	s_waitcnt lgkmcnt(0)
	s_barrier
	v_and_b32_e32 v20, 0x7fff, v14
	v_cmp_ne_u16_e32 vcc, 0, v20
	v_mov_b32_e32 v20, s88
	v_addc_co_u32_e64 v7, s[6:7], v7, v20, s[6:7]
	v_cmp_ge_u64_e64 s[6:7], v[6:7], v[4:5]
	s_or_b64 s[6:7], s[6:7], vcc
	s_and_b64 s[6:7], exec, s[6:7]
	s_or_b64 s[10:11], s[6:7], s[10:11]
	s_andn2_b64 s[6:7], s[12:13], exec
	s_and_b64 s[12:13], vcc, exec
	s_or_b64 s[12:13], s[6:7], s[12:13]
	s_andn2_b64 exec, exec, s[10:11]
	s_cbranch_execz .LBB219_258
.LBB219_253:                            ;   Parent Loop BB219_12 Depth=1
                                        ; =>  This Inner Loop Header: Depth=2
	v_cmp_gt_u64_e32 vcc, s[60:61], v[6:7]
	v_mov_b32_e32 v14, 0
	s_and_saveexec_b64 s[56:57], vcc
	s_cbranch_execz .LBB219_255
; %bb.254:                              ;   in Loop: Header=BB219_253 Depth=2
	v_mul_lo_u32 v14, v7, s58
	v_mul_lo_u32 v22, v6, s59
	v_mad_u64_u32 v[20:21], s[6:7], v6, s58, 0
	v_add3_u32 v21, v21, v22, v14
	v_lshlrev_b64 v[20:21], 1, v[20:21]
	v_mov_b32_e32 v14, s86
	v_add_co_u32_e64 v20, s[6:7], s33, v20
	v_addc_co_u32_e64 v21, s[6:7], v14, v21, s[6:7]
	global_load_ushort v14, v[20:21], off
.LBB219_255:                            ;   in Loop: Header=BB219_253 Depth=2
	s_or_b64 exec, exec, s[56:57]
	s_and_saveexec_b64 s[6:7], vcc
	s_cbranch_execz .LBB219_252
; %bb.256:                              ;   in Loop: Header=BB219_253 Depth=2
	s_waitcnt vmcnt(0)
	v_cmp_lt_i16_e32 vcc, -1, v14
	v_cndmask_b32_e32 v20, v32, v33, vcc
	v_lshlrev_b32_e32 v21, 16, v14
	v_xor_b32_sdwa v20, v20, v14 dst_sel:DWORD dst_unused:UNUSED_PAD src0_sel:DWORD src1_sel:WORD_0
	v_cmp_o_f32_e32 vcc, v21, v21
	v_cndmask_b32_e32 v20, v32, v20, vcc
	v_and_b32_e32 v20, v20, v9
	v_cmp_eq_u32_e32 vcc, v20, v8
	s_and_b64 exec, exec, vcc
	s_cbranch_execz .LBB219_252
; %bb.257:                              ;   in Loop: Header=BB219_253 Depth=2
	s_movk_i32 s56, 0x3f80
	v_perm_b32 v14, v14, s56, v36
	ds_write_b32 v15, v14 offset:3072
	s_branch .LBB219_252
.LBB219_258:                            ;   in Loop: Header=BB219_12 Depth=1
	s_or_b64 exec, exec, s[10:11]
	v_lshrrev_b32_e32 v6, 16, v14
	s_and_b64 s[12:13], s[12:13], exec
.LBB219_259:                            ;   in Loop: Header=BB219_12 Depth=1
	s_or_b64 exec, exec, s[4:5]
	s_mov_b64 s[10:11], -1
	s_mov_b64 s[4:5], 0
	s_mov_b64 s[6:7], 0
.LBB219_260:                            ;   in Loop: Header=BB219_12 Depth=1
	v_readlane_b32 s90, v48, 55
	s_orn2_b64 s[56:57], s[12:13], exec
	v_readlane_b32 s91, v48, 56
.LBB219_261:                            ;   in Loop: Header=BB219_12 Depth=1
	s_or_b64 exec, exec, s[90:91]
	s_mov_b64 s[90:91], 0
                                        ; implicit-def: $vgpr7
                                        ; implicit-def: $vgpr4_vgpr5
	s_and_saveexec_b64 s[12:13], s[56:57]
	v_readlane_b32 vcc_lo, v48, 51
	v_readlane_b32 vcc_hi, v48, 52
	s_cbranch_execz .LBB219_273
; %bb.262:                              ;   in Loop: Header=BB219_12 Depth=1
	v_readlane_b32 s56, v48, 53
	v_readlane_b32 s57, v48, 54
	v_mov_b32_e32 v4, 1
	s_xor_b64 s[90:91], s[56:57], -1
	v_mov_b32_e32 v7, 1
	v_mov_b32_e32 v5, 0
	s_and_saveexec_b64 s[56:57], s[90:91]
	s_cbranch_execz .LBB219_272
; %bb.263:                              ;   in Loop: Header=BB219_12 Depth=1
	v_cmp_ge_u64_e32 vcc, s[24:25], v[2:3]
                                        ; implicit-def: $sgpr92
	s_and_saveexec_b64 s[90:91], vcc
	s_xor_b64 s[90:91], exec, s[90:91]
	s_cbranch_execz .LBB219_269
; %bb.264:                              ;   in Loop: Header=BB219_12 Depth=1
	ds_read_b64 v[4:5], v15 offset:5120
	s_waitcnt lgkmcnt(0)
	v_cmp_ne_u64_e32 vcc, 0, v[4:5]
	s_cbranch_vccnz .LBB219_268
; %bb.265:                              ;   in Loop: Header=BB219_12 Depth=1
	v_writelane_b32 v48, s8, 57
	v_writelane_b32 v48, s9, 58
	s_mov_b64 s[8:9], exec
	v_writelane_b32 v48, s8, 59
	v_writelane_b32 v48, s9, 60
	v_readlane_b32 vcc_lo, v48, 12
	v_readlane_b32 s8, v48, 59
	v_readlane_b32 vcc_hi, v48, 13
	v_readlane_b32 s9, v48, 60
	s_and_b64 vcc, s[8:9], vcc
	s_mov_b64 exec, vcc
	s_cbranch_execz .LBB219_267
; %bb.266:                              ;   in Loop: Header=BB219_12 Depth=1
	v_pk_mov_b32 v[4:5], s[24:25], s[24:25] op_sel:[0,1]
	ds_write_b64 v15, v[4:5] offset:5128
.LBB219_267:                            ;   in Loop: Header=BB219_12 Depth=1
	v_readlane_b32 vcc_lo, v48, 59
	v_readlane_b32 vcc_hi, v48, 60
	s_or_b64 exec, exec, vcc
	v_readlane_b32 s8, v48, 57
	v_readlane_b32 s9, v48, 58
	s_waitcnt lgkmcnt(0)
	s_barrier
.LBB219_268:                            ;   in Loop: Header=BB219_12 Depth=1
	v_or_b32_e32 v8, s84, v8
	v_or_b32_e32 v9, s84, v9
	s_mov_b32 s92, 8
.LBB219_269:                            ;   in Loop: Header=BB219_12 Depth=1
	s_or_saveexec_b64 s[90:91], s[90:91]
	v_mov_b32_e32 v7, s92
	s_xor_b64 exec, exec, s[90:91]
; %bb.270:                              ;   in Loop: Header=BB219_12 Depth=1
	v_mov_b32_e32 v4, s25
	v_subrev_co_u32_e32 v2, vcc, s24, v2
	v_subb_co_u32_e32 v3, vcc, v3, v4, vcc
	v_mov_b32_e32 v7, 8
; %bb.271:                              ;   in Loop: Header=BB219_12 Depth=1
	s_or_b64 exec, exec, s[90:91]
	v_readlane_b32 vcc_lo, v48, 51
	v_pk_mov_b32 v[4:5], v[2:3], v[2:3] op_sel:[0,1]
	v_readlane_b32 vcc_hi, v48, 52
.LBB219_272:                            ;   in Loop: Header=BB219_12 Depth=1
	s_or_b64 exec, exec, s[56:57]
	s_mov_b64 s[90:91], exec
.LBB219_273:                            ;   in Loop: Header=BB219_12 Depth=1
	s_or_b64 exec, exec, s[12:13]
	s_orn2_b64 s[12:13], s[90:91], exec
	v_pk_mov_b32 v[2:3], v[4:5], v[4:5] op_sel:[0,1]
.LBB219_274:                            ;   in Loop: Header=BB219_12 Depth=1
	s_or_b64 exec, exec, s[8:9]
	s_andn2_b64 s[2:3], s[2:3], exec
	s_and_b64 s[4:5], s[4:5], exec
	s_or_b64 s[2:3], s[2:3], s[4:5]
	s_andn2_b64 s[4:5], s[52:53], exec
	s_and_b64 s[8:9], s[10:11], exec
	s_or_b64 s[52:53], s[4:5], s[8:9]
	s_andn2_b64 s[4:5], vcc, exec
	s_and_b64 s[6:7], s[6:7], exec
	s_or_b64 vcc, s[4:5], s[6:7]
	s_and_b64 s[6:7], s[12:13], exec
	v_pk_mov_b32 v[4:5], v[2:3], v[2:3] op_sel:[0,1]
.LBB219_275:                            ;   in Loop: Header=BB219_12 Depth=1
	s_or_b64 exec, exec, s[54:55]
	s_and_b64 s[10:11], s[2:3], exec
	s_and_b64 s[8:9], s[52:53], exec
	s_and_b64 s[4:5], vcc, exec
	s_orn2_b64 s[2:3], s[6:7], exec
.LBB219_276:                            ;   in Loop: Header=BB219_12 Depth=1
	s_or_b64 exec, exec, s[50:51]
	s_andn2_b64 s[6:7], s[28:29], exec
	s_and_b64 s[10:11], s[10:11], exec
	s_or_b64 s[28:29], s[6:7], s[10:11]
	s_andn2_b64 s[6:7], s[44:45], exec
	s_and_b64 s[8:9], s[8:9], exec
	s_or_b64 s[44:45], s[6:7], s[8:9]
	;; [unrolled: 3-line block ×3, first 2 shown]
	s_and_b64 s[6:7], s[2:3], exec
	v_pk_mov_b32 v[2:3], v[4:5], v[4:5] op_sel:[0,1]
.LBB219_277:                            ;   in Loop: Header=BB219_12 Depth=1
	s_or_b64 exec, exec, s[46:47]
	s_and_b64 s[8:9], s[28:29], exec
	s_and_b64 s[4:5], s[44:45], exec
	;; [unrolled: 1-line block ×3, first 2 shown]
	s_orn2_b64 s[12:13], s[6:7], exec
.LBB219_278:                            ;   in Loop: Header=BB219_12 Depth=1
	s_or_b64 exec, exec, s[26:27]
	s_mov_b64 s[6:7], 0
	s_mov_b64 s[10:11], 0
	s_and_saveexec_b64 s[26:27], s[12:13]
	s_xor_b64 s[12:13], exec, s[26:27]
; %bb.279:                              ;   in Loop: Header=BB219_12 Depth=1
	v_cmp_eq_u32_e32 vcc, 8, v7
	v_cmp_ne_u32_e64 s[6:7], 8, v7
	s_andn2_b64 s[8:9], s[8:9], exec
	s_andn2_b64 s[4:5], s[4:5], exec
	;; [unrolled: 1-line block ×3, first 2 shown]
	s_and_b64 s[10:11], s[6:7], exec
	s_and_b64 s[6:7], vcc, exec
; %bb.280:                              ;   in Loop: Header=BB219_12 Depth=1
	s_or_b64 exec, exec, s[12:13]
	s_andn2_b64 s[12:13], s[20:21], exec
	s_and_b64 s[8:9], s[8:9], exec
	s_or_b64 s[20:21], s[12:13], s[8:9]
	s_andn2_b64 s[8:9], s[36:37], exec
	s_and_b64 s[4:5], s[4:5], exec
	s_or_b64 s[36:37], s[8:9], s[4:5]
	s_andn2_b64 s[4:5], s[34:35], exec
	s_and_b64 s[2:3], s[2:3], exec
	s_or_b64 s[34:35], s[4:5], s[2:3]
	s_and_b64 s[26:27], s[10:11], exec
	s_and_b64 s[28:29], s[6:7], exec
.LBB219_281:                            ;   in Loop: Header=BB219_12 Depth=1
	s_or_b64 exec, exec, s[40:41]
	s_and_b64 vcc, exec, s[38:39]
	s_cbranch_vccz .LBB219_97
.LBB219_282:                            ;   in Loop: Header=BB219_12 Depth=1
	s_cmp_eq_u64 s[24:25], 1
	s_cselect_b64 s[2:3], -1, 0
	s_and_b64 s[2:3], s[2:3], s[14:15]
	s_mov_b64 s[4:5], -1
                                        ; implicit-def: $sgpr14_sgpr15
                                        ; implicit-def: $sgpr38_sgpr39
                                        ; implicit-def: $sgpr20_sgpr21
	s_and_saveexec_b64 s[8:9], s[2:3]
	s_cbranch_execz .LBB219_314
; %bb.283:                              ;   in Loop: Header=BB219_12 Depth=1
	ds_read_b64 v[2:3], v15 offset:5120
	s_waitcnt lgkmcnt(0)
	s_barrier
	v_readfirstlane_b32 s4, v2
	v_readfirstlane_b32 s5, v3
	s_mov_b64 s[6:7], exec
	v_readlane_b32 s10, v48, 30
	v_readlane_b32 s11, v48, 31
	s_and_b64 s[10:11], s[6:7], s[10:11]
	s_mov_b64 exec, s[10:11]
	s_cbranch_execz .LBB219_285
; %bb.284:                              ;   in Loop: Header=BB219_12 Depth=1
	ds_write_b16 v29, v15
.LBB219_285:                            ;   in Loop: Header=BB219_12 Depth=1
	s_or_b64 exec, exec, s[6:7]
	v_or_b32_e32 v38, s84, v38
	v_or_b32_e32 v37, s84, v37
	s_cmp_eq_u64 s[4:5], 0
	s_waitcnt lgkmcnt(0)
	s_barrier
	s_cbranch_scc1 .LBB219_297
; %bb.286:                              ;   in Loop: Header=BB219_12 Depth=1
	v_readlane_b32 s6, v48, 34
	s_add_u32 s12, s6, s4
	v_readlane_b32 s6, v48, 36
	s_addc_u32 s7, s6, s5
	s_mov_b32 s6, s85
	s_cmp_lg_u64 s[6:7], 0
	s_cbranch_scc0 .LBB219_341
; %bb.287:                              ;   in Loop: Header=BB219_12 Depth=1
	v_cvt_f32_u32_e32 v2, s87
	s_sub_u32 s6, 0, s87
	s_subb_u32 s10, 0, 0
	v_mac_f32_e32 v2, 0, v34
	v_rcp_f32_e32 v2, v2
	v_mul_f32_e32 v2, 0x5f7ffffc, v2
	v_mul_f32_e32 v3, 0x2f800000, v2
	v_trunc_f32_e32 v3, v3
	v_mac_f32_e32 v2, 0xcf800000, v3
	v_cvt_u32_f32_e32 v3, v3
	v_cvt_u32_f32_e32 v2, v2
	v_readfirstlane_b32 s11, v3
	v_readfirstlane_b32 s13, v2
	s_mul_i32 s14, s6, s11
	s_mul_hi_u32 s20, s6, s13
	s_mul_i32 s15, s10, s13
	s_add_i32 s14, s20, s14
	s_mul_i32 s21, s6, s13
	s_add_i32 s14, s14, s15
	s_mul_hi_u32 s20, s13, s21
	s_mul_hi_u32 s15, s13, s14
	s_mul_i32 s13, s13, s14
	s_add_u32 s13, s20, s13
	s_addc_u32 s15, 0, s15
	s_mul_hi_u32 s34, s11, s21
	s_mul_i32 s21, s11, s21
	s_add_u32 s13, s13, s21
	s_mul_hi_u32 s20, s11, s14
	s_addc_u32 s13, s15, s34
	s_addc_u32 s15, s20, 0
	s_mul_i32 s14, s11, s14
	s_add_u32 s13, s13, s14
	s_addc_u32 s14, 0, s15
	v_add_co_u32_e32 v2, vcc, s13, v2
	s_cmp_lg_u64 vcc, 0
	s_addc_u32 s11, s11, s14
	v_readfirstlane_b32 s14, v2
	s_mul_i32 s13, s6, s11
	s_mul_hi_u32 s15, s6, s14
	s_add_i32 s13, s15, s13
	s_mul_i32 s10, s10, s14
	s_add_i32 s13, s13, s10
	s_mul_i32 s6, s6, s14
	s_mul_hi_u32 s15, s11, s6
	s_mul_i32 s20, s11, s6
	s_mul_i32 s34, s14, s13
	s_mul_hi_u32 s6, s14, s6
	s_mul_hi_u32 s21, s14, s13
	s_add_u32 s6, s6, s34
	s_addc_u32 s14, 0, s21
	s_add_u32 s6, s6, s20
	s_mul_hi_u32 s10, s11, s13
	s_addc_u32 s6, s14, s15
	s_addc_u32 s10, s10, 0
	s_mul_i32 s13, s11, s13
	s_add_u32 s6, s6, s13
	s_addc_u32 s10, 0, s10
	v_add_co_u32_e32 v2, vcc, s6, v2
	s_cmp_lg_u64 vcc, 0
	s_addc_u32 s6, s11, s10
	v_readfirstlane_b32 s13, v2
	s_mul_i32 s11, s12, s6
	s_mul_hi_u32 s14, s12, s13
	s_mul_hi_u32 s10, s12, s6
	s_add_u32 s11, s14, s11
	s_addc_u32 s10, 0, s10
	s_mul_hi_u32 s15, s7, s13
	s_mul_i32 s13, s7, s13
	s_add_u32 s11, s11, s13
	s_mul_hi_u32 s14, s7, s6
	s_addc_u32 s10, s10, s15
	s_addc_u32 s11, s14, 0
	s_mul_i32 s6, s7, s6
	s_add_u32 s6, s10, s6
	s_addc_u32 s10, 0, s11
	s_mul_hi_u32 s11, s87, s6
	s_mul_i32 s6, s87, s6
	s_mul_i32 s10, s87, s10
	v_mov_b32_e32 v2, s6
	s_add_i32 s11, s11, s10
	v_sub_co_u32_e32 v2, vcc, s12, v2
	s_cmp_lg_u64 vcc, 0
	s_subb_u32 s6, s7, s11
	v_subrev_co_u32_e32 v3, vcc, s87, v2
	s_cmp_lg_u64 vcc, 0
	s_subb_u32 s10, s6, 0
	v_subrev_co_u32_e32 v4, vcc, s87, v3
	s_cmp_lg_u64 vcc, 0
	s_subb_u32 s11, s10, 0
	v_cmp_le_u32_e32 vcc, s87, v3
	s_cmp_eq_u32 s10, 0
	v_cndmask_b32_e64 v5, 0, -1, vcc
	s_cselect_b64 vcc, -1, 0
	v_cndmask_b32_e32 v5, -1, v5, vcc
	v_mov_b32_e32 v6, s10
	v_mov_b32_e32 v7, s11
	v_cmp_ne_u32_e32 vcc, 0, v5
	v_cndmask_b32_e32 v5, v6, v7, vcc
	v_cndmask_b32_e32 v4, v3, v4, vcc
	v_cmp_le_u32_e32 vcc, s87, v2
	s_cmp_eq_u32 s6, 0
	v_cndmask_b32_e64 v3, 0, -1, vcc
	s_cselect_b64 vcc, -1, 0
	v_cndmask_b32_e32 v3, -1, v3, vcc
	v_mov_b32_e32 v6, s6
	v_cmp_ne_u32_e32 vcc, 0, v3
	v_cndmask_b32_e32 v3, v6, v5, vcc
	v_cndmask_b32_e32 v2, v2, v4, vcc
	s_cbranch_execnz .LBB219_289
.LBB219_288:                            ;   in Loop: Header=BB219_12 Depth=1
	v_cvt_f32_u32_e32 v2, s87
	s_sub_i32 s6, 0, s87
	v_rcp_iflag_f32_e32 v2, v2
	v_mul_f32_e32 v2, 0x4f7ffffe, v2
	v_cvt_u32_f32_e32 v2, v2
	v_mul_lo_u32 v3, s6, v2
	v_mul_hi_u32 v3, v2, v3
	v_add_u32_e32 v2, v2, v3
	v_mul_hi_u32 v2, s12, v2
	v_mul_lo_u32 v2, v2, s87
	v_sub_u32_e32 v2, s12, v2
	v_subrev_u32_e32 v3, s87, v2
	v_cmp_le_u32_e32 vcc, s87, v2
	v_cndmask_b32_e32 v2, v2, v3, vcc
	v_subrev_u32_e32 v3, s87, v2
	v_cmp_le_u32_e32 vcc, s87, v2
	v_cndmask_b32_e32 v14, v2, v3, vcc
	v_pk_mov_b32 v[2:3], v[14:15], v[14:15] op_sel:[0,1]
.LBB219_289:                            ;   in Loop: Header=BB219_12 Depth=1
	v_mov_b32_e32 v4, s7
	v_sub_co_u32_e32 v2, vcc, s12, v2
	v_subb_co_u32_e32 v3, vcc, v4, v3, vcc
	v_cmp_gt_u64_e32 vcc, v[2:3], v[0:1]
	s_mov_b64 s[6:7], 0
                                        ; implicit-def: $vgpr39
	s_and_saveexec_b64 s[10:11], vcc
	s_cbranch_execz .LBB219_299
; %bb.290:                              ;   in Loop: Header=BB219_12 Depth=1
	s_mov_b64 s[12:13], 0
	v_mov_b32_e32 v6, v28
	v_pk_mov_b32 v[4:5], v[0:1], v[0:1] op_sel:[0,1]
                                        ; implicit-def: $sgpr14_sgpr15
	s_branch .LBB219_292
.LBB219_291:                            ;   in Loop: Header=BB219_292 Depth=2
	s_or_b64 exec, exec, s[6:7]
	s_waitcnt lgkmcnt(0)
	s_barrier
	ds_read_b32 v7, v15 offset:3072
	v_add_co_u32_e64 v4, s[6:7], s87, v4
	v_add_u32_e32 v6, s95, v6
	s_waitcnt lgkmcnt(0)
	v_and_b32_e32 v8, 0x7fff, v7
	v_cmp_ne_u16_e32 vcc, 0, v8
	v_mov_b32_e32 v8, s88
	v_addc_co_u32_e64 v5, s[6:7], v5, v8, s[6:7]
	v_cmp_ge_u64_e64 s[6:7], v[4:5], v[2:3]
	s_or_b64 s[6:7], s[6:7], vcc
	s_and_b64 s[6:7], exec, s[6:7]
	s_or_b64 s[12:13], s[6:7], s[12:13]
	s_andn2_b64 s[6:7], s[14:15], exec
	s_and_b64 s[14:15], vcc, exec
	s_or_b64 s[14:15], s[6:7], s[14:15]
	s_barrier
	s_andn2_b64 exec, exec, s[12:13]
	s_cbranch_execz .LBB219_298
.LBB219_292:                            ;   Parent Loop BB219_12 Depth=1
                                        ; =>  This Inner Loop Header: Depth=2
	v_cmp_gt_u64_e32 vcc, s[4:5], v[4:5]
	v_mov_b32_e32 v7, 0
	s_and_saveexec_b64 s[6:7], vcc
	s_cbranch_execz .LBB219_294
; %bb.293:                              ;   in Loop: Header=BB219_292 Depth=2
	ds_read_u16 v7, v6
.LBB219_294:                            ;   in Loop: Header=BB219_292 Depth=2
	s_or_b64 exec, exec, s[6:7]
	s_and_saveexec_b64 s[6:7], vcc
	s_cbranch_execz .LBB219_291
; %bb.295:                              ;   in Loop: Header=BB219_292 Depth=2
	s_waitcnt lgkmcnt(0)
	v_cmp_lt_i16_e32 vcc, -1, v7
	v_cndmask_b32_e32 v8, v32, v33, vcc
	v_lshlrev_b32_e32 v9, 16, v7
	v_xor_b32_sdwa v8, v8, v7 dst_sel:DWORD dst_unused:UNUSED_PAD src0_sel:DWORD src1_sel:WORD_0
	v_cmp_o_f32_e32 vcc, v9, v9
	v_cndmask_b32_e32 v8, v32, v8, vcc
	v_and_b32_e32 v8, v8, v37
	v_cmp_eq_u32_e32 vcc, v8, v38
	s_and_b64 exec, exec, vcc
	s_cbranch_execz .LBB219_291
; %bb.296:                              ;   in Loop: Header=BB219_292 Depth=2
	s_movk_i32 s20, 0x3f80
	v_perm_b32 v7, v7, s20, v36
	ds_write_b32 v15, v7 offset:3072
	s_branch .LBB219_291
.LBB219_297:                            ;   in Loop: Header=BB219_12 Depth=1
	s_mov_b64 s[14:15], -1
	s_mov_b64 s[6:7], 0
                                        ; implicit-def: $sgpr38_sgpr39
                                        ; implicit-def: $vgpr39
	s_mov_b64 s[20:21], s[14:15]
	s_cbranch_execnz .LBB219_300
	s_branch .LBB219_313
.LBB219_298:                            ;   in Loop: Header=BB219_12 Depth=1
	s_or_b64 exec, exec, s[12:13]
	v_lshrrev_b32_e32 v39, 16, v7
	s_and_b64 s[6:7], s[14:15], exec
.LBB219_299:                            ;   in Loop: Header=BB219_12 Depth=1
	s_or_b64 exec, exec, s[10:11]
	s_mov_b64 s[14:15], 0
	s_mov_b64 s[38:39], -1
	s_mov_b64 s[20:21], s[14:15]
	s_branch .LBB219_313
.LBB219_300:                            ;   in Loop: Header=BB219_12 Depth=1
	s_mov_b32 s92, s85
	s_cmp_lg_u64 s[92:93], 0
	s_cbranch_scc0 .LBB219_342
; %bb.301:                              ;   in Loop: Header=BB219_12 Depth=1
	v_cvt_f32_u32_e32 v2, s87
	s_sub_u32 s4, 0, s87
	s_subb_u32 s5, 0, 0
	v_mac_f32_e32 v2, 0, v34
	v_rcp_f32_e32 v2, v2
	v_mul_f32_e32 v2, 0x5f7ffffc, v2
	v_mul_f32_e32 v3, 0x2f800000, v2
	v_trunc_f32_e32 v3, v3
	v_mac_f32_e32 v2, 0xcf800000, v3
	v_cvt_u32_f32_e32 v3, v3
	v_cvt_u32_f32_e32 v2, v2
	v_readfirstlane_b32 s6, v3
	v_readfirstlane_b32 s7, v2
	s_mul_i32 s10, s4, s6
	s_mul_hi_u32 s12, s4, s7
	s_mul_i32 s11, s5, s7
	s_add_i32 s10, s12, s10
	s_mul_i32 s13, s4, s7
	s_add_i32 s10, s10, s11
	s_mul_hi_u32 s12, s7, s13
	s_mul_hi_u32 s11, s7, s10
	s_mul_i32 s7, s7, s10
	s_add_u32 s7, s12, s7
	s_addc_u32 s11, 0, s11
	s_mul_hi_u32 s14, s6, s13
	s_mul_i32 s13, s6, s13
	s_add_u32 s7, s7, s13
	s_mul_hi_u32 s12, s6, s10
	s_addc_u32 s7, s11, s14
	s_addc_u32 s11, s12, 0
	s_mul_i32 s10, s6, s10
	s_add_u32 s7, s7, s10
	s_addc_u32 s10, 0, s11
	v_add_co_u32_e32 v2, vcc, s7, v2
	s_cmp_lg_u64 vcc, 0
	s_addc_u32 s6, s6, s10
	v_readfirstlane_b32 s10, v2
	s_mul_i32 s7, s4, s6
	s_mul_hi_u32 s11, s4, s10
	s_add_i32 s7, s11, s7
	s_mul_i32 s5, s5, s10
	s_add_i32 s7, s7, s5
	s_mul_i32 s4, s4, s10
	s_mul_hi_u32 s11, s6, s4
	s_mul_i32 s12, s6, s4
	s_mul_i32 s14, s10, s7
	s_mul_hi_u32 s4, s10, s4
	s_mul_hi_u32 s13, s10, s7
	s_add_u32 s4, s4, s14
	s_addc_u32 s10, 0, s13
	s_add_u32 s4, s4, s12
	s_mul_hi_u32 s5, s6, s7
	s_addc_u32 s4, s10, s11
	s_addc_u32 s5, s5, 0
	s_mul_i32 s7, s6, s7
	s_add_u32 s4, s4, s7
	s_addc_u32 s5, 0, s5
	v_add_co_u32_e32 v2, vcc, s4, v2
	s_cmp_lg_u64 vcc, 0
	s_addc_u32 s4, s6, s5
	v_readlane_b32 s12, v48, 35
	v_readfirstlane_b32 s7, v2
	s_mul_i32 s6, s12, s4
	s_mul_hi_u32 s10, s12, s7
	s_mul_hi_u32 s5, s12, s4
	s_add_u32 s6, s10, s6
	s_addc_u32 s5, 0, s5
	s_mul_hi_u32 s11, s93, s7
	s_mul_i32 s7, s93, s7
	s_add_u32 s6, s6, s7
	s_mul_hi_u32 s10, s93, s4
	s_addc_u32 s5, s5, s11
	s_addc_u32 s6, s10, 0
	s_mul_i32 s4, s93, s4
	s_add_u32 s4, s5, s4
	s_addc_u32 s5, 0, s6
	s_mul_hi_u32 s6, s87, s4
	s_mul_i32 s4, s87, s4
	s_mul_i32 s5, s87, s5
	v_mov_b32_e32 v2, s4
	s_add_i32 s6, s6, s5
	v_sub_co_u32_e32 v2, vcc, s12, v2
	s_cmp_lg_u64 vcc, 0
	s_subb_u32 s4, s93, s6
	v_subrev_co_u32_e32 v3, vcc, s87, v2
	s_cmp_lg_u64 vcc, 0
	s_subb_u32 s5, s4, 0
	v_subrev_co_u32_e32 v4, vcc, s87, v3
	s_cmp_lg_u64 vcc, 0
	s_subb_u32 s6, s5, 0
	v_cmp_le_u32_e32 vcc, s87, v3
	s_cmp_eq_u32 s5, 0
	v_cndmask_b32_e64 v5, 0, -1, vcc
	s_cselect_b64 vcc, -1, 0
	v_cndmask_b32_e32 v5, -1, v5, vcc
	v_mov_b32_e32 v6, s5
	v_mov_b32_e32 v7, s6
	v_cmp_ne_u32_e32 vcc, 0, v5
	v_cndmask_b32_e32 v5, v6, v7, vcc
	v_cndmask_b32_e32 v4, v3, v4, vcc
	v_cmp_le_u32_e32 vcc, s87, v2
	s_cmp_eq_u32 s4, 0
	v_cndmask_b32_e64 v3, 0, -1, vcc
	s_cselect_b64 vcc, -1, 0
	v_cndmask_b32_e32 v3, -1, v3, vcc
	v_mov_b32_e32 v6, s4
	v_cmp_ne_u32_e32 vcc, 0, v3
	v_cndmask_b32_e32 v3, v6, v5, vcc
	v_cndmask_b32_e32 v2, v2, v4, vcc
	s_cbranch_execnz .LBB219_303
.LBB219_302:                            ;   in Loop: Header=BB219_12 Depth=1
	v_cvt_f32_u32_e32 v2, s87
	s_sub_i32 s4, 0, s87
	v_rcp_iflag_f32_e32 v2, v2
	v_mul_f32_e32 v2, 0x4f7ffffe, v2
	v_cvt_u32_f32_e32 v2, v2
	v_mul_lo_u32 v3, s4, v2
	v_mul_hi_u32 v3, v2, v3
	v_add_u32_e32 v2, v2, v3
	v_readlane_b32 s4, v48, 35
	v_mul_hi_u32 v2, s4, v2
	v_mul_lo_u32 v2, v2, s87
	v_sub_u32_e32 v2, s4, v2
	v_subrev_u32_e32 v3, s87, v2
	v_cmp_le_u32_e32 vcc, s87, v2
	v_cndmask_b32_e32 v2, v2, v3, vcc
	v_subrev_u32_e32 v3, s87, v2
	v_cmp_le_u32_e32 vcc, s87, v2
	v_cndmask_b32_e32 v14, v2, v3, vcc
	v_pk_mov_b32 v[2:3], v[14:15], v[14:15] op_sel:[0,1]
.LBB219_303:                            ;   in Loop: Header=BB219_12 Depth=1
	v_readlane_b32 s4, v48, 35
	v_mov_b32_e32 v4, s93
	v_sub_co_u32_e32 v2, vcc, s4, v2
	v_subb_co_u32_e32 v3, vcc, v4, v3, vcc
	v_cmp_gt_u64_e32 vcc, v[2:3], v[0:1]
	s_mov_b64 s[6:7], 0
                                        ; implicit-def: $vgpr39
	s_and_saveexec_b64 s[4:5], vcc
	s_cbranch_execz .LBB219_312
; %bb.304:                              ;   in Loop: Header=BB219_12 Depth=1
	s_mov_b64 s[10:11], 0
	v_pk_mov_b32 v[4:5], v[0:1], v[0:1] op_sel:[0,1]
                                        ; implicit-def: $sgpr12_sgpr13
	s_branch .LBB219_306
.LBB219_305:                            ;   in Loop: Header=BB219_306 Depth=2
	s_or_b64 exec, exec, s[6:7]
	s_waitcnt lgkmcnt(0)
	s_barrier
	s_waitcnt vmcnt(0)
	ds_read_b32 v6, v15 offset:3072
	v_add_co_u32_e64 v4, s[6:7], s87, v4
	s_waitcnt lgkmcnt(0)
	s_barrier
	v_and_b32_e32 v7, 0x7fff, v6
	v_cmp_ne_u16_e32 vcc, 0, v7
	v_mov_b32_e32 v7, s88
	v_addc_co_u32_e64 v5, s[6:7], v5, v7, s[6:7]
	v_cmp_ge_u64_e64 s[6:7], v[4:5], v[2:3]
	s_or_b64 s[6:7], s[6:7], vcc
	s_and_b64 s[6:7], exec, s[6:7]
	s_or_b64 s[10:11], s[6:7], s[10:11]
	s_andn2_b64 s[6:7], s[12:13], exec
	s_and_b64 s[12:13], vcc, exec
	s_or_b64 s[12:13], s[6:7], s[12:13]
	s_andn2_b64 exec, exec, s[10:11]
	s_cbranch_execz .LBB219_311
.LBB219_306:                            ;   Parent Loop BB219_12 Depth=1
                                        ; =>  This Inner Loop Header: Depth=2
	v_cmp_gt_u64_e32 vcc, s[60:61], v[4:5]
	v_mov_b32_e32 v6, 0
	s_and_saveexec_b64 s[14:15], vcc
	s_cbranch_execz .LBB219_308
; %bb.307:                              ;   in Loop: Header=BB219_306 Depth=2
	v_mul_lo_u32 v8, v5, s58
	v_mul_lo_u32 v9, v4, s59
	v_mad_u64_u32 v[6:7], s[6:7], v4, s58, 0
	v_add3_u32 v7, v7, v9, v8
	v_lshlrev_b64 v[6:7], 1, v[6:7]
	v_mov_b32_e32 v8, s86
	v_add_co_u32_e64 v6, s[6:7], s33, v6
	v_addc_co_u32_e64 v7, s[6:7], v8, v7, s[6:7]
	global_load_ushort v6, v[6:7], off
.LBB219_308:                            ;   in Loop: Header=BB219_306 Depth=2
	s_or_b64 exec, exec, s[14:15]
	s_and_saveexec_b64 s[6:7], vcc
	s_cbranch_execz .LBB219_305
; %bb.309:                              ;   in Loop: Header=BB219_306 Depth=2
	s_waitcnt vmcnt(0)
	v_cmp_lt_i16_e32 vcc, -1, v6
	v_cndmask_b32_e32 v7, v32, v33, vcc
	v_lshlrev_b32_e32 v8, 16, v6
	v_xor_b32_sdwa v7, v7, v6 dst_sel:DWORD dst_unused:UNUSED_PAD src0_sel:DWORD src1_sel:WORD_0
	v_cmp_o_f32_e32 vcc, v8, v8
	v_cndmask_b32_e32 v7, v32, v7, vcc
	v_and_b32_e32 v7, v7, v37
	v_cmp_eq_u32_e32 vcc, v7, v38
	s_and_b64 exec, exec, vcc
	s_cbranch_execz .LBB219_305
; %bb.310:                              ;   in Loop: Header=BB219_306 Depth=2
	s_movk_i32 s14, 0x3f80
	v_perm_b32 v6, v6, s14, v36
	ds_write_b32 v15, v6 offset:3072
	s_branch .LBB219_305
.LBB219_311:                            ;   in Loop: Header=BB219_12 Depth=1
	s_or_b64 exec, exec, s[10:11]
	v_lshrrev_b32_e32 v39, 16, v6
	s_and_b64 s[6:7], s[12:13], exec
.LBB219_312:                            ;   in Loop: Header=BB219_12 Depth=1
	s_or_b64 exec, exec, s[4:5]
	s_mov_b64 s[38:39], 0
	s_mov_b64 s[14:15], -1
	s_mov_b64 s[20:21], 0
.LBB219_313:                            ;   in Loop: Header=BB219_12 Depth=1
	s_orn2_b64 s[4:5], s[6:7], exec
.LBB219_314:                            ;   in Loop: Header=BB219_12 Depth=1
	s_or_b64 exec, exec, s[8:9]
                                        ; implicit-def: $vgpr7
                                        ; implicit-def: $vgpr2_vgpr3
                                        ; implicit-def: $vgpr8
                                        ; implicit-def: $vgpr9
                                        ; implicit-def: $vgpr6
	s_and_saveexec_b64 s[34:35], s[4:5]
	s_cbranch_execz .LBB219_477
; %bb.315:                              ;   in Loop: Header=BB219_12 Depth=1
	v_mov_b32_e32 v2, 1
	s_xor_b64 s[4:5], s[2:3], -1
	s_mov_b64 s[6:7], 0
	v_mov_b32_e32 v3, 0
	v_mov_b32_e32 v7, 1
	s_and_saveexec_b64 s[2:3], s[4:5]
	s_cbranch_execz .LBB219_325
; %bb.316:                              ;   in Loop: Header=BB219_12 Depth=1
	v_cmp_ge_u64_e32 vcc, s[24:25], v[18:19]
                                        ; implicit-def: $sgpr8
                                        ; implicit-def: $sgpr4_sgpr5
	s_and_saveexec_b64 s[6:7], vcc
	s_xor_b64 s[6:7], exec, s[6:7]
	s_cbranch_execz .LBB219_322
; %bb.317:                              ;   in Loop: Header=BB219_12 Depth=1
	ds_read_b64 v[2:3], v15 offset:5120
	s_waitcnt lgkmcnt(0)
	v_cmp_ne_u64_e32 vcc, 0, v[2:3]
	s_cbranch_vccnz .LBB219_321
; %bb.318:                              ;   in Loop: Header=BB219_12 Depth=1
	s_mov_b64 s[4:5], exec
	v_readlane_b32 s8, v48, 12
	v_readlane_b32 s9, v48, 13
	s_and_b64 s[8:9], s[4:5], s[8:9]
	s_mov_b64 exec, s[8:9]
	s_cbranch_execz .LBB219_320
; %bb.319:                              ;   in Loop: Header=BB219_12 Depth=1
	v_pk_mov_b32 v[2:3], s[24:25], s[24:25] op_sel:[0,1]
	ds_write_b64 v15, v[2:3] offset:5128
.LBB219_320:                            ;   in Loop: Header=BB219_12 Depth=1
	s_or_b64 exec, exec, s[4:5]
	s_waitcnt lgkmcnt(0)
	s_barrier
.LBB219_321:                            ;   in Loop: Header=BB219_12 Depth=1
	v_or_b32_e32 v38, s84, v38
	v_or_b32_e32 v37, s84, v37
	s_mov_b64 s[4:5], 0
	s_mov_b32 s8, 5
.LBB219_322:                            ;   in Loop: Header=BB219_12 Depth=1
	s_or_saveexec_b64 s[6:7], s[6:7]
	v_mov_b32_e32 v7, s8
	s_xor_b64 exec, exec, s[6:7]
; %bb.323:                              ;   in Loop: Header=BB219_12 Depth=1
	v_mov_b32_e32 v2, s25
	v_subrev_co_u32_e32 v18, vcc, s24, v18
	v_subb_co_u32_e32 v19, vcc, v19, v2, vcc
	v_mov_b32_e32 v7, 0
	s_or_b64 s[4:5], s[4:5], exec
; %bb.324:                              ;   in Loop: Header=BB219_12 Depth=1
	s_or_b64 exec, exec, s[6:7]
	s_and_b64 s[6:7], s[4:5], exec
	v_pk_mov_b32 v[2:3], v[18:19], v[18:19] op_sel:[0,1]
.LBB219_325:                            ;   in Loop: Header=BB219_12 Depth=1
	s_or_b64 exec, exec, s[2:3]
	s_mov_b64 s[12:13], -1
                                        ; implicit-def: $sgpr2_sgpr3
                                        ; implicit-def: $sgpr4_sgpr5
                                        ; implicit-def: $sgpr8_sgpr9
	s_and_saveexec_b64 s[10:11], s[6:7]
	s_xor_b64 s[24:25], exec, s[10:11]
	s_cbranch_execz .LBB219_474
; %bb.326:                              ;   in Loop: Header=BB219_12 Depth=1
	s_cmp_eq_u64 s[22:23], 1
	s_cselect_b64 s[2:3], -1, 0
	v_cmp_eq_u64_e32 vcc, 1, v[2:3]
	s_and_b64 s[2:3], s[2:3], vcc
	s_mov_b64 s[4:5], -1
                                        ; implicit-def: $sgpr36_sgpr37
                                        ; implicit-def: $sgpr40_sgpr41
                                        ; implicit-def: $sgpr42_sgpr43
	s_and_saveexec_b64 s[8:9], s[2:3]
	s_cbranch_execz .LBB219_360
; %bb.327:                              ;   in Loop: Header=BB219_12 Depth=1
	ds_read_b64 v[4:5], v15 offset:5120
	s_waitcnt lgkmcnt(0)
	s_barrier
	v_readfirstlane_b32 s4, v4
	v_readfirstlane_b32 s5, v5
	s_mov_b64 s[6:7], exec
	v_readlane_b32 s10, v48, 30
	v_readlane_b32 s11, v48, 31
	s_and_b64 s[10:11], s[6:7], s[10:11]
	s_mov_b64 exec, s[10:11]
	s_cbranch_execz .LBB219_329
; %bb.328:                              ;   in Loop: Header=BB219_12 Depth=1
	ds_write_b16 v29, v15
.LBB219_329:                            ;   in Loop: Header=BB219_12 Depth=1
	s_or_b64 exec, exec, s[6:7]
	v_and_b32_e32 v4, s48, v38
	v_lshl_or_b32 v38, 2, s49, v4
	v_or_b32_e32 v37, s84, v37
	s_cmp_eq_u64 s[4:5], 0
	s_waitcnt lgkmcnt(0)
	s_barrier
	s_cbranch_scc1 .LBB219_343
; %bb.330:                              ;   in Loop: Header=BB219_12 Depth=1
	v_readlane_b32 s6, v48, 34
	s_add_u32 s12, s6, s4
	v_readlane_b32 s6, v48, 36
	s_addc_u32 s7, s6, s5
	s_mov_b32 s6, s85
	s_cmp_lg_u64 s[6:7], 0
	s_cbranch_scc0 .LBB219_387
; %bb.331:                              ;   in Loop: Header=BB219_12 Depth=1
	v_cvt_f32_u32_e32 v4, s87
	s_sub_u32 s6, 0, s87
	s_subb_u32 s10, 0, 0
	v_mac_f32_e32 v4, 0, v34
	v_rcp_f32_e32 v4, v4
	v_mul_f32_e32 v4, 0x5f7ffffc, v4
	v_mul_f32_e32 v5, 0x2f800000, v4
	v_trunc_f32_e32 v5, v5
	v_mac_f32_e32 v4, 0xcf800000, v5
	v_cvt_u32_f32_e32 v5, v5
	v_cvt_u32_f32_e32 v4, v4
	v_readfirstlane_b32 s11, v5
	v_readfirstlane_b32 s13, v4
	s_mul_i32 s36, s6, s11
	s_mul_hi_u32 s40, s6, s13
	s_mul_i32 s37, s10, s13
	s_add_i32 s36, s40, s36
	s_mul_i32 s41, s6, s13
	s_add_i32 s36, s36, s37
	s_mul_hi_u32 s40, s13, s41
	s_mul_hi_u32 s37, s13, s36
	s_mul_i32 s13, s13, s36
	s_add_u32 s13, s40, s13
	s_addc_u32 s37, 0, s37
	s_mul_hi_u32 s42, s11, s41
	s_mul_i32 s41, s11, s41
	s_add_u32 s13, s13, s41
	s_mul_hi_u32 s40, s11, s36
	s_addc_u32 s13, s37, s42
	s_addc_u32 s37, s40, 0
	s_mul_i32 s36, s11, s36
	s_add_u32 s13, s13, s36
	s_addc_u32 s36, 0, s37
	v_add_co_u32_e32 v4, vcc, s13, v4
	s_cmp_lg_u64 vcc, 0
	s_addc_u32 s11, s11, s36
	v_readfirstlane_b32 s36, v4
	s_mul_i32 s13, s6, s11
	s_mul_hi_u32 s37, s6, s36
	s_add_i32 s13, s37, s13
	s_mul_i32 s10, s10, s36
	s_add_i32 s13, s13, s10
	s_mul_i32 s6, s6, s36
	s_mul_hi_u32 s37, s11, s6
	s_mul_i32 s40, s11, s6
	s_mul_i32 s42, s36, s13
	s_mul_hi_u32 s6, s36, s6
	s_mul_hi_u32 s41, s36, s13
	s_add_u32 s6, s6, s42
	s_addc_u32 s36, 0, s41
	s_add_u32 s6, s6, s40
	s_mul_hi_u32 s10, s11, s13
	s_addc_u32 s6, s36, s37
	s_addc_u32 s10, s10, 0
	s_mul_i32 s13, s11, s13
	s_add_u32 s6, s6, s13
	s_addc_u32 s10, 0, s10
	v_add_co_u32_e32 v4, vcc, s6, v4
	s_cmp_lg_u64 vcc, 0
	s_addc_u32 s6, s11, s10
	v_readfirstlane_b32 s13, v4
	s_mul_i32 s11, s12, s6
	s_mul_hi_u32 s36, s12, s13
	s_mul_hi_u32 s10, s12, s6
	s_add_u32 s11, s36, s11
	s_addc_u32 s10, 0, s10
	s_mul_hi_u32 s37, s7, s13
	s_mul_i32 s13, s7, s13
	s_add_u32 s11, s11, s13
	s_mul_hi_u32 s36, s7, s6
	s_addc_u32 s10, s10, s37
	s_addc_u32 s11, s36, 0
	s_mul_i32 s6, s7, s6
	s_add_u32 s6, s10, s6
	s_addc_u32 s10, 0, s11
	s_mul_hi_u32 s11, s87, s6
	s_mul_i32 s6, s87, s6
	s_mul_i32 s10, s87, s10
	v_mov_b32_e32 v4, s6
	s_add_i32 s11, s11, s10
	v_sub_co_u32_e32 v4, vcc, s12, v4
	s_cmp_lg_u64 vcc, 0
	s_subb_u32 s6, s7, s11
	v_subrev_co_u32_e32 v5, vcc, s87, v4
	s_cmp_lg_u64 vcc, 0
	s_subb_u32 s10, s6, 0
	v_subrev_co_u32_e32 v6, vcc, s87, v5
	s_cmp_lg_u64 vcc, 0
	s_subb_u32 s11, s10, 0
	v_cmp_le_u32_e32 vcc, s87, v5
	s_cmp_eq_u32 s10, 0
	v_cndmask_b32_e64 v7, 0, -1, vcc
	s_cselect_b64 vcc, -1, 0
	v_cndmask_b32_e32 v7, -1, v7, vcc
	v_mov_b32_e32 v8, s10
	v_mov_b32_e32 v9, s11
	v_cmp_ne_u32_e32 vcc, 0, v7
	v_cndmask_b32_e32 v7, v8, v9, vcc
	v_cndmask_b32_e32 v6, v5, v6, vcc
	v_cmp_le_u32_e32 vcc, s87, v4
	s_cmp_eq_u32 s6, 0
	v_cndmask_b32_e64 v5, 0, -1, vcc
	s_cselect_b64 vcc, -1, 0
	v_cndmask_b32_e32 v5, -1, v5, vcc
	v_mov_b32_e32 v8, s6
	v_cmp_ne_u32_e32 vcc, 0, v5
	v_cndmask_b32_e32 v5, v8, v7, vcc
	v_cndmask_b32_e32 v4, v4, v6, vcc
	s_cbranch_execnz .LBB219_333
.LBB219_332:                            ;   in Loop: Header=BB219_12 Depth=1
	v_cvt_f32_u32_e32 v4, s87
	s_sub_i32 s6, 0, s87
	v_rcp_iflag_f32_e32 v4, v4
	v_mul_f32_e32 v4, 0x4f7ffffe, v4
	v_cvt_u32_f32_e32 v4, v4
	v_mul_lo_u32 v5, s6, v4
	v_mul_hi_u32 v5, v4, v5
	v_add_u32_e32 v4, v4, v5
	v_mul_hi_u32 v4, s12, v4
	v_mul_lo_u32 v4, v4, s87
	v_sub_u32_e32 v4, s12, v4
	v_subrev_u32_e32 v5, s87, v4
	v_cmp_le_u32_e32 vcc, s87, v4
	v_cndmask_b32_e32 v4, v4, v5, vcc
	v_subrev_u32_e32 v5, s87, v4
	v_cmp_le_u32_e32 vcc, s87, v4
	v_cndmask_b32_e32 v14, v4, v5, vcc
	v_pk_mov_b32 v[4:5], v[14:15], v[14:15] op_sel:[0,1]
.LBB219_333:                            ;   in Loop: Header=BB219_12 Depth=1
	v_mov_b32_e32 v6, s7
	v_sub_co_u32_e32 v4, vcc, s12, v4
	v_subb_co_u32_e32 v5, vcc, v6, v5, vcc
	v_cmp_gt_u64_e32 vcc, v[4:5], v[0:1]
	s_mov_b64 s[6:7], 0
                                        ; implicit-def: $vgpr39
	s_and_saveexec_b64 s[10:11], vcc
	s_cbranch_execz .LBB219_345
; %bb.334:                              ;   in Loop: Header=BB219_12 Depth=1
	s_mov_b64 s[12:13], 0
	v_mov_b32_e32 v8, v28
	v_pk_mov_b32 v[6:7], v[0:1], v[0:1] op_sel:[0,1]
                                        ; implicit-def: $sgpr36_sgpr37
	s_branch .LBB219_336
.LBB219_335:                            ;   in Loop: Header=BB219_336 Depth=2
	s_or_b64 exec, exec, s[6:7]
	s_waitcnt lgkmcnt(0)
	s_barrier
	ds_read_b32 v9, v15 offset:3072
	v_add_co_u32_e64 v6, s[6:7], s87, v6
	v_add_u32_e32 v8, s95, v8
	s_waitcnt lgkmcnt(0)
	v_and_b32_e32 v14, 0x7fff, v9
	v_cmp_ne_u16_e32 vcc, 0, v14
	v_mov_b32_e32 v14, s88
	v_addc_co_u32_e64 v7, s[6:7], v7, v14, s[6:7]
	v_cmp_ge_u64_e64 s[6:7], v[6:7], v[4:5]
	s_or_b64 s[6:7], s[6:7], vcc
	s_and_b64 s[6:7], exec, s[6:7]
	s_or_b64 s[12:13], s[6:7], s[12:13]
	s_andn2_b64 s[6:7], s[36:37], exec
	s_and_b64 s[36:37], vcc, exec
	s_or_b64 s[36:37], s[6:7], s[36:37]
	s_barrier
	s_andn2_b64 exec, exec, s[12:13]
	s_cbranch_execz .LBB219_344
.LBB219_336:                            ;   Parent Loop BB219_12 Depth=1
                                        ; =>  This Inner Loop Header: Depth=2
	v_cmp_gt_u64_e32 vcc, s[4:5], v[6:7]
	v_mov_b32_e32 v9, 0
	s_and_saveexec_b64 s[6:7], vcc
	s_cbranch_execz .LBB219_338
; %bb.337:                              ;   in Loop: Header=BB219_336 Depth=2
	ds_read_u16 v9, v8
.LBB219_338:                            ;   in Loop: Header=BB219_336 Depth=2
	s_or_b64 exec, exec, s[6:7]
	s_and_saveexec_b64 s[6:7], vcc
	s_cbranch_execz .LBB219_335
; %bb.339:                              ;   in Loop: Header=BB219_336 Depth=2
	s_waitcnt lgkmcnt(0)
	v_cmp_lt_i16_e32 vcc, -1, v9
	v_cndmask_b32_e32 v14, v32, v33, vcc
	v_lshlrev_b32_e32 v18, 16, v9
	v_xor_b32_sdwa v14, v14, v9 dst_sel:DWORD dst_unused:UNUSED_PAD src0_sel:DWORD src1_sel:WORD_0
	v_cmp_o_f32_e32 vcc, v18, v18
	v_cndmask_b32_e32 v14, v32, v14, vcc
	v_and_b32_e32 v14, v14, v37
	v_cmp_eq_u32_e32 vcc, v14, v38
	s_and_b64 exec, exec, vcc
	s_cbranch_execz .LBB219_335
; %bb.340:                              ;   in Loop: Header=BB219_336 Depth=2
	s_movk_i32 s40, 0x3f80
	v_perm_b32 v9, v9, s40, v36
	ds_write_b32 v15, v9 offset:3072
	s_branch .LBB219_335
.LBB219_341:                            ;   in Loop: Header=BB219_12 Depth=1
                                        ; implicit-def: $vgpr2_vgpr3
	s_branch .LBB219_288
.LBB219_342:                            ;   in Loop: Header=BB219_12 Depth=1
                                        ; implicit-def: $vgpr2_vgpr3
	s_branch .LBB219_302
.LBB219_343:                            ;   in Loop: Header=BB219_12 Depth=1
	s_mov_b64 s[36:37], -1
	s_mov_b64 s[6:7], 0
                                        ; implicit-def: $sgpr40_sgpr41
                                        ; implicit-def: $vgpr39
	s_mov_b64 s[42:43], s[36:37]
	s_cbranch_execnz .LBB219_346
	s_branch .LBB219_359
.LBB219_344:                            ;   in Loop: Header=BB219_12 Depth=1
	s_or_b64 exec, exec, s[12:13]
	v_lshrrev_b32_e32 v39, 16, v9
	s_and_b64 s[6:7], s[36:37], exec
.LBB219_345:                            ;   in Loop: Header=BB219_12 Depth=1
	s_or_b64 exec, exec, s[10:11]
	s_mov_b64 s[36:37], 0
	s_mov_b64 s[40:41], -1
	s_mov_b64 s[42:43], s[36:37]
	s_branch .LBB219_359
.LBB219_346:                            ;   in Loop: Header=BB219_12 Depth=1
	s_mov_b32 s92, s85
	s_cmp_lg_u64 s[92:93], 0
	s_cbranch_scc0 .LBB219_388
; %bb.347:                              ;   in Loop: Header=BB219_12 Depth=1
	v_cvt_f32_u32_e32 v4, s87
	s_sub_u32 s4, 0, s87
	s_subb_u32 s5, 0, 0
	v_mac_f32_e32 v4, 0, v34
	v_rcp_f32_e32 v4, v4
	v_mul_f32_e32 v4, 0x5f7ffffc, v4
	v_mul_f32_e32 v5, 0x2f800000, v4
	v_trunc_f32_e32 v5, v5
	v_mac_f32_e32 v4, 0xcf800000, v5
	v_cvt_u32_f32_e32 v5, v5
	v_cvt_u32_f32_e32 v4, v4
	v_readfirstlane_b32 s6, v5
	v_readfirstlane_b32 s7, v4
	s_mul_i32 s10, s4, s6
	s_mul_hi_u32 s12, s4, s7
	s_mul_i32 s11, s5, s7
	s_add_i32 s10, s12, s10
	s_mul_i32 s13, s4, s7
	s_add_i32 s10, s10, s11
	s_mul_hi_u32 s12, s7, s13
	s_mul_hi_u32 s11, s7, s10
	s_mul_i32 s7, s7, s10
	s_add_u32 s7, s12, s7
	s_addc_u32 s11, 0, s11
	s_mul_hi_u32 s36, s6, s13
	s_mul_i32 s13, s6, s13
	s_add_u32 s7, s7, s13
	s_mul_hi_u32 s12, s6, s10
	s_addc_u32 s7, s11, s36
	s_addc_u32 s11, s12, 0
	s_mul_i32 s10, s6, s10
	s_add_u32 s7, s7, s10
	s_addc_u32 s10, 0, s11
	v_add_co_u32_e32 v4, vcc, s7, v4
	s_cmp_lg_u64 vcc, 0
	s_addc_u32 s6, s6, s10
	v_readfirstlane_b32 s10, v4
	s_mul_i32 s7, s4, s6
	s_mul_hi_u32 s11, s4, s10
	s_add_i32 s7, s11, s7
	s_mul_i32 s5, s5, s10
	s_add_i32 s7, s7, s5
	s_mul_i32 s4, s4, s10
	s_mul_hi_u32 s11, s6, s4
	s_mul_i32 s12, s6, s4
	s_mul_i32 s36, s10, s7
	s_mul_hi_u32 s4, s10, s4
	s_mul_hi_u32 s13, s10, s7
	s_add_u32 s4, s4, s36
	s_addc_u32 s10, 0, s13
	s_add_u32 s4, s4, s12
	s_mul_hi_u32 s5, s6, s7
	s_addc_u32 s4, s10, s11
	s_addc_u32 s5, s5, 0
	s_mul_i32 s7, s6, s7
	s_add_u32 s4, s4, s7
	s_addc_u32 s5, 0, s5
	v_add_co_u32_e32 v4, vcc, s4, v4
	s_cmp_lg_u64 vcc, 0
	s_addc_u32 s4, s6, s5
	v_readlane_b32 s12, v48, 35
	v_readfirstlane_b32 s7, v4
	s_mul_i32 s6, s12, s4
	s_mul_hi_u32 s10, s12, s7
	s_mul_hi_u32 s5, s12, s4
	s_add_u32 s6, s10, s6
	s_addc_u32 s5, 0, s5
	s_mul_hi_u32 s11, s93, s7
	s_mul_i32 s7, s93, s7
	s_add_u32 s6, s6, s7
	s_mul_hi_u32 s10, s93, s4
	s_addc_u32 s5, s5, s11
	s_addc_u32 s6, s10, 0
	s_mul_i32 s4, s93, s4
	s_add_u32 s4, s5, s4
	s_addc_u32 s5, 0, s6
	s_mul_hi_u32 s6, s87, s4
	s_mul_i32 s4, s87, s4
	s_mul_i32 s5, s87, s5
	v_mov_b32_e32 v4, s4
	s_add_i32 s6, s6, s5
	v_sub_co_u32_e32 v4, vcc, s12, v4
	s_cmp_lg_u64 vcc, 0
	s_subb_u32 s4, s93, s6
	v_subrev_co_u32_e32 v5, vcc, s87, v4
	s_cmp_lg_u64 vcc, 0
	s_subb_u32 s5, s4, 0
	v_subrev_co_u32_e32 v6, vcc, s87, v5
	s_cmp_lg_u64 vcc, 0
	s_subb_u32 s6, s5, 0
	v_cmp_le_u32_e32 vcc, s87, v5
	s_cmp_eq_u32 s5, 0
	v_cndmask_b32_e64 v7, 0, -1, vcc
	s_cselect_b64 vcc, -1, 0
	v_cndmask_b32_e32 v7, -1, v7, vcc
	v_mov_b32_e32 v8, s5
	v_mov_b32_e32 v9, s6
	v_cmp_ne_u32_e32 vcc, 0, v7
	v_cndmask_b32_e32 v7, v8, v9, vcc
	v_cndmask_b32_e32 v6, v5, v6, vcc
	v_cmp_le_u32_e32 vcc, s87, v4
	s_cmp_eq_u32 s4, 0
	v_cndmask_b32_e64 v5, 0, -1, vcc
	s_cselect_b64 vcc, -1, 0
	v_cndmask_b32_e32 v5, -1, v5, vcc
	v_mov_b32_e32 v8, s4
	v_cmp_ne_u32_e32 vcc, 0, v5
	v_cndmask_b32_e32 v5, v8, v7, vcc
	v_cndmask_b32_e32 v4, v4, v6, vcc
	s_cbranch_execnz .LBB219_349
.LBB219_348:                            ;   in Loop: Header=BB219_12 Depth=1
	v_cvt_f32_u32_e32 v4, s87
	s_sub_i32 s4, 0, s87
	v_rcp_iflag_f32_e32 v4, v4
	v_mul_f32_e32 v4, 0x4f7ffffe, v4
	v_cvt_u32_f32_e32 v4, v4
	v_mul_lo_u32 v5, s4, v4
	v_mul_hi_u32 v5, v4, v5
	v_add_u32_e32 v4, v4, v5
	v_readlane_b32 s4, v48, 35
	v_mul_hi_u32 v4, s4, v4
	v_mul_lo_u32 v4, v4, s87
	v_sub_u32_e32 v4, s4, v4
	v_subrev_u32_e32 v5, s87, v4
	v_cmp_le_u32_e32 vcc, s87, v4
	v_cndmask_b32_e32 v4, v4, v5, vcc
	v_subrev_u32_e32 v5, s87, v4
	v_cmp_le_u32_e32 vcc, s87, v4
	v_cndmask_b32_e32 v14, v4, v5, vcc
	v_pk_mov_b32 v[4:5], v[14:15], v[14:15] op_sel:[0,1]
.LBB219_349:                            ;   in Loop: Header=BB219_12 Depth=1
	v_readlane_b32 s4, v48, 35
	v_mov_b32_e32 v6, s93
	v_sub_co_u32_e32 v4, vcc, s4, v4
	v_subb_co_u32_e32 v5, vcc, v6, v5, vcc
	v_cmp_gt_u64_e32 vcc, v[4:5], v[0:1]
	s_mov_b64 s[6:7], 0
                                        ; implicit-def: $vgpr39
	s_and_saveexec_b64 s[4:5], vcc
	s_cbranch_execz .LBB219_358
; %bb.350:                              ;   in Loop: Header=BB219_12 Depth=1
	s_mov_b64 s[10:11], 0
	v_pk_mov_b32 v[6:7], v[0:1], v[0:1] op_sel:[0,1]
                                        ; implicit-def: $sgpr12_sgpr13
	s_branch .LBB219_352
.LBB219_351:                            ;   in Loop: Header=BB219_352 Depth=2
	s_or_b64 exec, exec, s[6:7]
	s_waitcnt lgkmcnt(0)
	s_barrier
	s_waitcnt vmcnt(0)
	ds_read_b32 v8, v15 offset:3072
	v_add_co_u32_e64 v6, s[6:7], s87, v6
	s_waitcnt lgkmcnt(0)
	s_barrier
	v_and_b32_e32 v9, 0x7fff, v8
	v_cmp_ne_u16_e32 vcc, 0, v9
	v_mov_b32_e32 v9, s88
	v_addc_co_u32_e64 v7, s[6:7], v7, v9, s[6:7]
	v_cmp_ge_u64_e64 s[6:7], v[6:7], v[4:5]
	s_or_b64 s[6:7], s[6:7], vcc
	s_and_b64 s[6:7], exec, s[6:7]
	s_or_b64 s[10:11], s[6:7], s[10:11]
	s_andn2_b64 s[6:7], s[12:13], exec
	s_and_b64 s[12:13], vcc, exec
	s_or_b64 s[12:13], s[6:7], s[12:13]
	s_andn2_b64 exec, exec, s[10:11]
	s_cbranch_execz .LBB219_357
.LBB219_352:                            ;   Parent Loop BB219_12 Depth=1
                                        ; =>  This Inner Loop Header: Depth=2
	v_cmp_gt_u64_e32 vcc, s[60:61], v[6:7]
	v_mov_b32_e32 v8, 0
	s_and_saveexec_b64 s[36:37], vcc
	s_cbranch_execz .LBB219_354
; %bb.353:                              ;   in Loop: Header=BB219_352 Depth=2
	v_mul_lo_u32 v14, v7, s58
	v_mul_lo_u32 v18, v6, s59
	v_mad_u64_u32 v[8:9], s[6:7], v6, s58, 0
	v_add3_u32 v9, v9, v18, v14
	v_lshlrev_b64 v[8:9], 1, v[8:9]
	v_mov_b32_e32 v14, s86
	v_add_co_u32_e64 v8, s[6:7], s33, v8
	v_addc_co_u32_e64 v9, s[6:7], v14, v9, s[6:7]
	global_load_ushort v8, v[8:9], off
.LBB219_354:                            ;   in Loop: Header=BB219_352 Depth=2
	s_or_b64 exec, exec, s[36:37]
	s_and_saveexec_b64 s[6:7], vcc
	s_cbranch_execz .LBB219_351
; %bb.355:                              ;   in Loop: Header=BB219_352 Depth=2
	s_waitcnt vmcnt(0)
	v_cmp_lt_i16_e32 vcc, -1, v8
	v_cndmask_b32_e32 v9, v32, v33, vcc
	v_lshlrev_b32_e32 v14, 16, v8
	v_xor_b32_sdwa v9, v9, v8 dst_sel:DWORD dst_unused:UNUSED_PAD src0_sel:DWORD src1_sel:WORD_0
	v_cmp_o_f32_e32 vcc, v14, v14
	v_cndmask_b32_e32 v9, v32, v9, vcc
	v_and_b32_e32 v9, v9, v37
	v_cmp_eq_u32_e32 vcc, v9, v38
	s_and_b64 exec, exec, vcc
	s_cbranch_execz .LBB219_351
; %bb.356:                              ;   in Loop: Header=BB219_352 Depth=2
	s_movk_i32 s36, 0x3f80
	v_perm_b32 v8, v8, s36, v36
	ds_write_b32 v15, v8 offset:3072
	s_branch .LBB219_351
.LBB219_357:                            ;   in Loop: Header=BB219_12 Depth=1
	s_or_b64 exec, exec, s[10:11]
	v_lshrrev_b32_e32 v39, 16, v8
	s_and_b64 s[6:7], s[12:13], exec
.LBB219_358:                            ;   in Loop: Header=BB219_12 Depth=1
	s_or_b64 exec, exec, s[4:5]
	s_mov_b64 s[40:41], 0
	s_mov_b64 s[36:37], -1
	s_mov_b64 s[42:43], 0
.LBB219_359:                            ;   in Loop: Header=BB219_12 Depth=1
	s_orn2_b64 s[4:5], s[6:7], exec
.LBB219_360:                            ;   in Loop: Header=BB219_12 Depth=1
	s_or_b64 exec, exec, s[8:9]
	s_mov_b64 s[6:7], 0
                                        ; implicit-def: $vgpr7
	s_and_saveexec_b64 s[44:45], s[4:5]
	s_cbranch_execz .LBB219_473
; %bb.361:                              ;   in Loop: Header=BB219_12 Depth=1
	v_mov_b32_e32 v4, 1
	s_xor_b64 s[4:5], s[2:3], -1
	v_mov_b32_e32 v5, 0
	v_mov_b32_e32 v7, 1
	s_and_saveexec_b64 s[2:3], s[4:5]
	s_cbranch_execz .LBB219_371
; %bb.362:                              ;   in Loop: Header=BB219_12 Depth=1
	v_cmp_ge_u64_e32 vcc, s[22:23], v[2:3]
                                        ; implicit-def: $sgpr8
                                        ; implicit-def: $sgpr4_sgpr5
	s_and_saveexec_b64 s[6:7], vcc
	s_xor_b64 s[6:7], exec, s[6:7]
	s_cbranch_execz .LBB219_368
; %bb.363:                              ;   in Loop: Header=BB219_12 Depth=1
	ds_read_b64 v[4:5], v15 offset:5120
	s_waitcnt lgkmcnt(0)
	v_cmp_ne_u64_e32 vcc, 0, v[4:5]
	s_cbranch_vccnz .LBB219_367
; %bb.364:                              ;   in Loop: Header=BB219_12 Depth=1
	s_mov_b64 s[4:5], exec
	v_readlane_b32 s8, v48, 12
	v_readlane_b32 s9, v48, 13
	s_and_b64 s[8:9], s[4:5], s[8:9]
	s_mov_b64 exec, s[8:9]
	s_cbranch_execz .LBB219_366
; %bb.365:                              ;   in Loop: Header=BB219_12 Depth=1
	v_pk_mov_b32 v[4:5], s[22:23], s[22:23] op_sel:[0,1]
	ds_write_b64 v15, v[4:5] offset:5128
.LBB219_366:                            ;   in Loop: Header=BB219_12 Depth=1
	s_or_b64 exec, exec, s[4:5]
	s_waitcnt lgkmcnt(0)
	s_barrier
.LBB219_367:                            ;   in Loop: Header=BB219_12 Depth=1
	v_and_b32_e32 v4, s48, v38
	v_lshl_or_b32 v38, 2, s49, v4
	v_or_b32_e32 v37, s84, v37
	s_mov_b64 s[4:5], 0
	s_mov_b32 s8, 5
.LBB219_368:                            ;   in Loop: Header=BB219_12 Depth=1
	s_or_saveexec_b64 s[6:7], s[6:7]
	v_mov_b32_e32 v7, s8
	s_xor_b64 exec, exec, s[6:7]
; %bb.369:                              ;   in Loop: Header=BB219_12 Depth=1
	v_mov_b32_e32 v4, s23
	v_subrev_co_u32_e32 v2, vcc, s22, v2
	v_subb_co_u32_e32 v3, vcc, v3, v4, vcc
	v_mov_b32_e32 v7, 0
	s_or_b64 s[4:5], s[4:5], exec
; %bb.370:                              ;   in Loop: Header=BB219_12 Depth=1
	s_or_b64 exec, exec, s[6:7]
	s_and_b64 s[6:7], s[4:5], exec
	v_pk_mov_b32 v[4:5], v[2:3], v[2:3] op_sel:[0,1]
.LBB219_371:                            ;   in Loop: Header=BB219_12 Depth=1
	s_or_b64 exec, exec, s[2:3]
	s_mov_b64 s[2:3], -1
                                        ; implicit-def: $sgpr4_sgpr5
                                        ; implicit-def: $sgpr8_sgpr9
                                        ; implicit-def: $sgpr10_sgpr11
	s_and_saveexec_b64 s[22:23], s[6:7]
	s_cbranch_execz .LBB219_472
; %bb.372:                              ;   in Loop: Header=BB219_12 Depth=1
	s_cmp_eq_u64 s[18:19], 1
	s_cselect_b64 s[2:3], -1, 0
	v_cmp_eq_u64_e32 vcc, 1, v[4:5]
	s_and_b64 s[8:9], s[2:3], vcc
	s_mov_b64 s[4:5], -1
                                        ; implicit-def: $sgpr2_sgpr3
                                        ; implicit-def: $sgpr46_sgpr47
                                        ; implicit-def: $sgpr56_sgpr57
	s_and_saveexec_b64 s[50:51], s[8:9]
	s_cbranch_execz .LBB219_406
; %bb.373:                              ;   in Loop: Header=BB219_12 Depth=1
	ds_read_b64 v[2:3], v15 offset:5120
	s_waitcnt lgkmcnt(0)
	s_barrier
	v_readfirstlane_b32 s2, v2
	v_readfirstlane_b32 s3, v3
	s_mov_b64 s[4:5], exec
	v_readlane_b32 s6, v48, 30
	v_readlane_b32 s7, v48, 31
	s_and_b64 s[6:7], s[4:5], s[6:7]
	s_mov_b64 exec, s[6:7]
	s_cbranch_execz .LBB219_375
; %bb.374:                              ;   in Loop: Header=BB219_12 Depth=1
	ds_write_b16 v29, v15
.LBB219_375:                            ;   in Loop: Header=BB219_12 Depth=1
	s_or_b64 exec, exec, s[4:5]
	v_and_b32_e32 v2, s48, v38
	v_lshl_or_b32 v38, 1, s49, v2
	v_or_b32_e32 v37, s84, v37
	s_cmp_eq_u64 s[2:3], 0
	s_waitcnt lgkmcnt(0)
	s_barrier
	s_cbranch_scc1 .LBB219_389
; %bb.376:                              ;   in Loop: Header=BB219_12 Depth=1
	v_readlane_b32 s4, v48, 34
	s_add_u32 s10, s4, s2
	v_readlane_b32 s4, v48, 36
	s_addc_u32 s5, s4, s3
	s_mov_b32 s4, s85
	s_cmp_lg_u64 s[4:5], 0
	s_cbranch_scc0 .LBB219_424
; %bb.377:                              ;   in Loop: Header=BB219_12 Depth=1
	v_cvt_f32_u32_e32 v2, s87
	s_sub_u32 s4, 0, s87
	s_subb_u32 s6, 0, 0
	v_mac_f32_e32 v2, 0, v34
	v_rcp_f32_e32 v2, v2
	v_mul_f32_e32 v2, 0x5f7ffffc, v2
	v_mul_f32_e32 v3, 0x2f800000, v2
	v_trunc_f32_e32 v3, v3
	v_mac_f32_e32 v2, 0xcf800000, v3
	v_cvt_u32_f32_e32 v3, v3
	v_cvt_u32_f32_e32 v2, v2
	v_readfirstlane_b32 s7, v3
	v_readfirstlane_b32 s11, v2
	s_mul_i32 s12, s4, s7
	s_mul_hi_u32 s46, s4, s11
	s_mul_i32 s13, s6, s11
	s_add_i32 s12, s46, s12
	s_mul_i32 s47, s4, s11
	s_add_i32 s12, s12, s13
	s_mul_hi_u32 s46, s11, s47
	s_mul_hi_u32 s13, s11, s12
	s_mul_i32 s11, s11, s12
	s_add_u32 s11, s46, s11
	s_addc_u32 s13, 0, s13
	s_mul_hi_u32 s52, s7, s47
	s_mul_i32 s47, s7, s47
	s_add_u32 s11, s11, s47
	s_mul_hi_u32 s46, s7, s12
	s_addc_u32 s11, s13, s52
	s_addc_u32 s13, s46, 0
	s_mul_i32 s12, s7, s12
	s_add_u32 s11, s11, s12
	s_addc_u32 s12, 0, s13
	v_add_co_u32_e32 v2, vcc, s11, v2
	s_cmp_lg_u64 vcc, 0
	s_addc_u32 s7, s7, s12
	v_readfirstlane_b32 s12, v2
	s_mul_i32 s11, s4, s7
	s_mul_hi_u32 s13, s4, s12
	s_add_i32 s11, s13, s11
	s_mul_i32 s6, s6, s12
	s_add_i32 s11, s11, s6
	s_mul_i32 s4, s4, s12
	s_mul_hi_u32 s13, s7, s4
	s_mul_i32 s46, s7, s4
	s_mul_i32 s52, s12, s11
	s_mul_hi_u32 s4, s12, s4
	s_mul_hi_u32 s47, s12, s11
	s_add_u32 s4, s4, s52
	s_addc_u32 s12, 0, s47
	s_add_u32 s4, s4, s46
	s_mul_hi_u32 s6, s7, s11
	s_addc_u32 s4, s12, s13
	s_addc_u32 s6, s6, 0
	s_mul_i32 s11, s7, s11
	s_add_u32 s4, s4, s11
	s_addc_u32 s6, 0, s6
	v_add_co_u32_e32 v2, vcc, s4, v2
	s_cmp_lg_u64 vcc, 0
	s_addc_u32 s4, s7, s6
	v_readfirstlane_b32 s11, v2
	s_mul_i32 s7, s10, s4
	s_mul_hi_u32 s12, s10, s11
	s_mul_hi_u32 s6, s10, s4
	s_add_u32 s7, s12, s7
	s_addc_u32 s6, 0, s6
	s_mul_hi_u32 s13, s5, s11
	s_mul_i32 s11, s5, s11
	s_add_u32 s7, s7, s11
	s_mul_hi_u32 s12, s5, s4
	s_addc_u32 s6, s6, s13
	s_addc_u32 s7, s12, 0
	s_mul_i32 s4, s5, s4
	s_add_u32 s4, s6, s4
	s_addc_u32 s6, 0, s7
	s_mul_hi_u32 s7, s87, s4
	s_mul_i32 s4, s87, s4
	s_mul_i32 s6, s87, s6
	v_mov_b32_e32 v2, s4
	s_add_i32 s7, s7, s6
	v_sub_co_u32_e32 v2, vcc, s10, v2
	s_cmp_lg_u64 vcc, 0
	s_subb_u32 s4, s5, s7
	v_subrev_co_u32_e32 v3, vcc, s87, v2
	s_cmp_lg_u64 vcc, 0
	s_subb_u32 s6, s4, 0
	v_subrev_co_u32_e32 v6, vcc, s87, v3
	s_cmp_lg_u64 vcc, 0
	s_subb_u32 s7, s6, 0
	v_cmp_le_u32_e32 vcc, s87, v3
	s_cmp_eq_u32 s6, 0
	v_cndmask_b32_e64 v7, 0, -1, vcc
	s_cselect_b64 vcc, -1, 0
	v_cndmask_b32_e32 v7, -1, v7, vcc
	v_mov_b32_e32 v8, s6
	v_mov_b32_e32 v9, s7
	v_cmp_ne_u32_e32 vcc, 0, v7
	v_cndmask_b32_e32 v7, v8, v9, vcc
	v_cndmask_b32_e32 v6, v3, v6, vcc
	v_cmp_le_u32_e32 vcc, s87, v2
	s_cmp_eq_u32 s4, 0
	v_cndmask_b32_e64 v3, 0, -1, vcc
	s_cselect_b64 vcc, -1, 0
	v_cndmask_b32_e32 v3, -1, v3, vcc
	v_mov_b32_e32 v8, s4
	v_cmp_ne_u32_e32 vcc, 0, v3
	v_cndmask_b32_e32 v3, v8, v7, vcc
	v_cndmask_b32_e32 v2, v2, v6, vcc
	s_cbranch_execnz .LBB219_379
.LBB219_378:                            ;   in Loop: Header=BB219_12 Depth=1
	v_cvt_f32_u32_e32 v2, s87
	s_sub_i32 s4, 0, s87
	v_rcp_iflag_f32_e32 v2, v2
	v_mul_f32_e32 v2, 0x4f7ffffe, v2
	v_cvt_u32_f32_e32 v2, v2
	v_mul_lo_u32 v3, s4, v2
	v_mul_hi_u32 v3, v2, v3
	v_add_u32_e32 v2, v2, v3
	v_mul_hi_u32 v2, s10, v2
	v_mul_lo_u32 v2, v2, s87
	v_sub_u32_e32 v2, s10, v2
	v_subrev_u32_e32 v3, s87, v2
	v_cmp_le_u32_e32 vcc, s87, v2
	v_cndmask_b32_e32 v2, v2, v3, vcc
	v_subrev_u32_e32 v3, s87, v2
	v_cmp_le_u32_e32 vcc, s87, v2
	v_cndmask_b32_e32 v14, v2, v3, vcc
	v_pk_mov_b32 v[2:3], v[14:15], v[14:15] op_sel:[0,1]
.LBB219_379:                            ;   in Loop: Header=BB219_12 Depth=1
	v_mov_b32_e32 v6, s5
	v_sub_co_u32_e32 v2, vcc, s10, v2
	v_subb_co_u32_e32 v3, vcc, v6, v3, vcc
	v_cmp_gt_u64_e32 vcc, v[2:3], v[0:1]
	s_mov_b64 s[6:7], 0
                                        ; implicit-def: $vgpr39
	s_and_saveexec_b64 s[4:5], vcc
	s_cbranch_execz .LBB219_391
; %bb.380:                              ;   in Loop: Header=BB219_12 Depth=1
	s_mov_b64 s[10:11], 0
	v_mov_b32_e32 v8, v28
	v_pk_mov_b32 v[6:7], v[0:1], v[0:1] op_sel:[0,1]
                                        ; implicit-def: $sgpr12_sgpr13
	s_branch .LBB219_382
.LBB219_381:                            ;   in Loop: Header=BB219_382 Depth=2
	s_or_b64 exec, exec, s[6:7]
	s_waitcnt lgkmcnt(0)
	s_barrier
	ds_read_b32 v9, v15 offset:3072
	v_add_co_u32_e64 v6, s[6:7], s87, v6
	v_add_u32_e32 v8, s95, v8
	s_waitcnt lgkmcnt(0)
	v_and_b32_e32 v14, 0x7fff, v9
	v_cmp_ne_u16_e32 vcc, 0, v14
	v_mov_b32_e32 v14, s88
	v_addc_co_u32_e64 v7, s[6:7], v7, v14, s[6:7]
	v_cmp_ge_u64_e64 s[6:7], v[6:7], v[2:3]
	s_or_b64 s[6:7], s[6:7], vcc
	s_and_b64 s[6:7], exec, s[6:7]
	s_or_b64 s[10:11], s[6:7], s[10:11]
	s_andn2_b64 s[6:7], s[12:13], exec
	s_and_b64 s[12:13], vcc, exec
	s_or_b64 s[12:13], s[6:7], s[12:13]
	s_barrier
	s_andn2_b64 exec, exec, s[10:11]
	s_cbranch_execz .LBB219_390
.LBB219_382:                            ;   Parent Loop BB219_12 Depth=1
                                        ; =>  This Inner Loop Header: Depth=2
	v_cmp_gt_u64_e32 vcc, s[2:3], v[6:7]
	v_mov_b32_e32 v9, 0
	s_and_saveexec_b64 s[6:7], vcc
	s_cbranch_execz .LBB219_384
; %bb.383:                              ;   in Loop: Header=BB219_382 Depth=2
	ds_read_u16 v9, v8
.LBB219_384:                            ;   in Loop: Header=BB219_382 Depth=2
	s_or_b64 exec, exec, s[6:7]
	s_and_saveexec_b64 s[6:7], vcc
	s_cbranch_execz .LBB219_381
; %bb.385:                              ;   in Loop: Header=BB219_382 Depth=2
	s_waitcnt lgkmcnt(0)
	v_cmp_lt_i16_e32 vcc, -1, v9
	v_cndmask_b32_e32 v14, v32, v33, vcc
	v_lshlrev_b32_e32 v18, 16, v9
	v_xor_b32_sdwa v14, v14, v9 dst_sel:DWORD dst_unused:UNUSED_PAD src0_sel:DWORD src1_sel:WORD_0
	v_cmp_o_f32_e32 vcc, v18, v18
	v_cndmask_b32_e32 v14, v32, v14, vcc
	v_and_b32_e32 v14, v14, v37
	v_cmp_eq_u32_e32 vcc, v14, v38
	s_and_b64 exec, exec, vcc
	s_cbranch_execz .LBB219_381
; %bb.386:                              ;   in Loop: Header=BB219_382 Depth=2
	s_movk_i32 s46, 0x3f80
	v_perm_b32 v9, v9, s46, v36
	ds_write_b32 v15, v9 offset:3072
	s_branch .LBB219_381
.LBB219_387:                            ;   in Loop: Header=BB219_12 Depth=1
                                        ; implicit-def: $vgpr4_vgpr5
	s_branch .LBB219_332
.LBB219_388:                            ;   in Loop: Header=BB219_12 Depth=1
                                        ; implicit-def: $vgpr4_vgpr5
	s_branch .LBB219_348
.LBB219_389:                            ;   in Loop: Header=BB219_12 Depth=1
	s_mov_b64 s[2:3], -1
	s_mov_b64 s[6:7], 0
                                        ; implicit-def: $sgpr46_sgpr47
                                        ; implicit-def: $vgpr39
	s_mov_b64 s[56:57], s[2:3]
	s_cbranch_execnz .LBB219_392
	s_branch .LBB219_405
.LBB219_390:                            ;   in Loop: Header=BB219_12 Depth=1
	s_or_b64 exec, exec, s[10:11]
	v_lshrrev_b32_e32 v39, 16, v9
	s_and_b64 s[6:7], s[12:13], exec
.LBB219_391:                            ;   in Loop: Header=BB219_12 Depth=1
	s_or_b64 exec, exec, s[4:5]
	s_mov_b64 s[2:3], 0
	s_mov_b64 s[46:47], -1
	s_mov_b64 s[56:57], s[2:3]
	s_branch .LBB219_405
.LBB219_392:                            ;   in Loop: Header=BB219_12 Depth=1
	s_mov_b32 s92, s85
	s_cmp_lg_u64 s[92:93], 0
	s_cbranch_scc0 .LBB219_425
; %bb.393:                              ;   in Loop: Header=BB219_12 Depth=1
	v_cvt_f32_u32_e32 v2, s87
	s_sub_u32 s2, 0, s87
	s_subb_u32 s3, 0, 0
	v_mac_f32_e32 v2, 0, v34
	v_rcp_f32_e32 v2, v2
	v_mul_f32_e32 v2, 0x5f7ffffc, v2
	v_mul_f32_e32 v3, 0x2f800000, v2
	v_trunc_f32_e32 v3, v3
	v_mac_f32_e32 v2, 0xcf800000, v3
	v_cvt_u32_f32_e32 v3, v3
	v_cvt_u32_f32_e32 v2, v2
	v_readfirstlane_b32 s4, v3
	v_readfirstlane_b32 s5, v2
	s_mul_i32 s6, s2, s4
	s_mul_hi_u32 s10, s2, s5
	s_mul_i32 s7, s3, s5
	s_add_i32 s6, s10, s6
	s_mul_i32 s11, s2, s5
	s_add_i32 s6, s6, s7
	s_mul_hi_u32 s10, s5, s11
	s_mul_hi_u32 s7, s5, s6
	s_mul_i32 s5, s5, s6
	s_add_u32 s5, s10, s5
	s_addc_u32 s7, 0, s7
	s_mul_hi_u32 s12, s4, s11
	s_mul_i32 s11, s4, s11
	s_add_u32 s5, s5, s11
	s_mul_hi_u32 s10, s4, s6
	s_addc_u32 s5, s7, s12
	s_addc_u32 s7, s10, 0
	s_mul_i32 s6, s4, s6
	s_add_u32 s5, s5, s6
	s_addc_u32 s6, 0, s7
	v_add_co_u32_e32 v2, vcc, s5, v2
	s_cmp_lg_u64 vcc, 0
	s_addc_u32 s4, s4, s6
	v_readfirstlane_b32 s6, v2
	s_mul_i32 s5, s2, s4
	s_mul_hi_u32 s7, s2, s6
	s_add_i32 s5, s7, s5
	s_mul_i32 s3, s3, s6
	s_add_i32 s5, s5, s3
	s_mul_i32 s2, s2, s6
	s_mul_hi_u32 s7, s4, s2
	s_mul_i32 s10, s4, s2
	s_mul_i32 s12, s6, s5
	s_mul_hi_u32 s2, s6, s2
	s_mul_hi_u32 s11, s6, s5
	s_add_u32 s2, s2, s12
	s_addc_u32 s6, 0, s11
	s_add_u32 s2, s2, s10
	s_mul_hi_u32 s3, s4, s5
	s_addc_u32 s2, s6, s7
	s_addc_u32 s3, s3, 0
	s_mul_i32 s5, s4, s5
	s_add_u32 s2, s2, s5
	s_addc_u32 s3, 0, s3
	v_add_co_u32_e32 v2, vcc, s2, v2
	s_cmp_lg_u64 vcc, 0
	s_addc_u32 s2, s4, s3
	v_readlane_b32 s10, v48, 35
	v_readfirstlane_b32 s5, v2
	s_mul_i32 s4, s10, s2
	s_mul_hi_u32 s6, s10, s5
	s_mul_hi_u32 s3, s10, s2
	s_add_u32 s4, s6, s4
	s_addc_u32 s3, 0, s3
	s_mul_hi_u32 s7, s93, s5
	s_mul_i32 s5, s93, s5
	s_add_u32 s4, s4, s5
	s_mul_hi_u32 s6, s93, s2
	s_addc_u32 s3, s3, s7
	s_addc_u32 s4, s6, 0
	s_mul_i32 s2, s93, s2
	s_add_u32 s2, s3, s2
	s_addc_u32 s3, 0, s4
	s_mul_hi_u32 s4, s87, s2
	s_mul_i32 s2, s87, s2
	s_mul_i32 s3, s87, s3
	v_mov_b32_e32 v2, s2
	s_add_i32 s4, s4, s3
	v_sub_co_u32_e32 v2, vcc, s10, v2
	s_cmp_lg_u64 vcc, 0
	s_subb_u32 s2, s93, s4
	v_subrev_co_u32_e32 v3, vcc, s87, v2
	s_cmp_lg_u64 vcc, 0
	s_subb_u32 s3, s2, 0
	v_subrev_co_u32_e32 v6, vcc, s87, v3
	s_cmp_lg_u64 vcc, 0
	s_subb_u32 s4, s3, 0
	v_cmp_le_u32_e32 vcc, s87, v3
	s_cmp_eq_u32 s3, 0
	v_cndmask_b32_e64 v7, 0, -1, vcc
	s_cselect_b64 vcc, -1, 0
	v_cndmask_b32_e32 v7, -1, v7, vcc
	v_mov_b32_e32 v8, s3
	v_mov_b32_e32 v9, s4
	v_cmp_ne_u32_e32 vcc, 0, v7
	v_cndmask_b32_e32 v7, v8, v9, vcc
	v_cndmask_b32_e32 v6, v3, v6, vcc
	v_cmp_le_u32_e32 vcc, s87, v2
	s_cmp_eq_u32 s2, 0
	v_cndmask_b32_e64 v3, 0, -1, vcc
	s_cselect_b64 vcc, -1, 0
	v_cndmask_b32_e32 v3, -1, v3, vcc
	v_mov_b32_e32 v8, s2
	v_cmp_ne_u32_e32 vcc, 0, v3
	v_cndmask_b32_e32 v3, v8, v7, vcc
	v_cndmask_b32_e32 v2, v2, v6, vcc
	s_cbranch_execnz .LBB219_395
.LBB219_394:                            ;   in Loop: Header=BB219_12 Depth=1
	v_cvt_f32_u32_e32 v2, s87
	s_sub_i32 s2, 0, s87
	v_rcp_iflag_f32_e32 v2, v2
	v_mul_f32_e32 v2, 0x4f7ffffe, v2
	v_cvt_u32_f32_e32 v2, v2
	v_mul_lo_u32 v3, s2, v2
	v_mul_hi_u32 v3, v2, v3
	v_add_u32_e32 v2, v2, v3
	v_readlane_b32 s2, v48, 35
	v_mul_hi_u32 v2, s2, v2
	v_mul_lo_u32 v2, v2, s87
	v_sub_u32_e32 v2, s2, v2
	v_subrev_u32_e32 v3, s87, v2
	v_cmp_le_u32_e32 vcc, s87, v2
	v_cndmask_b32_e32 v2, v2, v3, vcc
	v_subrev_u32_e32 v3, s87, v2
	v_cmp_le_u32_e32 vcc, s87, v2
	v_cndmask_b32_e32 v14, v2, v3, vcc
	v_pk_mov_b32 v[2:3], v[14:15], v[14:15] op_sel:[0,1]
.LBB219_395:                            ;   in Loop: Header=BB219_12 Depth=1
	v_readlane_b32 s2, v48, 35
	v_mov_b32_e32 v6, s93
	v_sub_co_u32_e32 v2, vcc, s2, v2
	v_subb_co_u32_e32 v3, vcc, v6, v3, vcc
	v_cmp_gt_u64_e32 vcc, v[2:3], v[0:1]
	s_mov_b64 s[6:7], 0
                                        ; implicit-def: $vgpr39
	s_and_saveexec_b64 s[2:3], vcc
	s_cbranch_execz .LBB219_404
; %bb.396:                              ;   in Loop: Header=BB219_12 Depth=1
	s_mov_b64 s[4:5], 0
	v_pk_mov_b32 v[6:7], v[0:1], v[0:1] op_sel:[0,1]
                                        ; implicit-def: $sgpr10_sgpr11
	s_branch .LBB219_398
.LBB219_397:                            ;   in Loop: Header=BB219_398 Depth=2
	s_or_b64 exec, exec, s[6:7]
	s_waitcnt lgkmcnt(0)
	s_barrier
	s_waitcnt vmcnt(0)
	ds_read_b32 v8, v15 offset:3072
	v_add_co_u32_e64 v6, s[6:7], s87, v6
	s_waitcnt lgkmcnt(0)
	s_barrier
	v_and_b32_e32 v9, 0x7fff, v8
	v_cmp_ne_u16_e32 vcc, 0, v9
	v_mov_b32_e32 v9, s88
	v_addc_co_u32_e64 v7, s[6:7], v7, v9, s[6:7]
	v_cmp_ge_u64_e64 s[6:7], v[6:7], v[2:3]
	s_or_b64 s[6:7], s[6:7], vcc
	s_and_b64 s[6:7], exec, s[6:7]
	s_or_b64 s[4:5], s[6:7], s[4:5]
	s_andn2_b64 s[6:7], s[10:11], exec
	s_and_b64 s[10:11], vcc, exec
	s_or_b64 s[10:11], s[6:7], s[10:11]
	s_andn2_b64 exec, exec, s[4:5]
	s_cbranch_execz .LBB219_403
.LBB219_398:                            ;   Parent Loop BB219_12 Depth=1
                                        ; =>  This Inner Loop Header: Depth=2
	v_cmp_gt_u64_e32 vcc, s[60:61], v[6:7]
	v_mov_b32_e32 v8, 0
	s_and_saveexec_b64 s[12:13], vcc
	s_cbranch_execz .LBB219_400
; %bb.399:                              ;   in Loop: Header=BB219_398 Depth=2
	v_mul_lo_u32 v14, v7, s58
	v_mul_lo_u32 v18, v6, s59
	v_mad_u64_u32 v[8:9], s[6:7], v6, s58, 0
	v_add3_u32 v9, v9, v18, v14
	v_lshlrev_b64 v[8:9], 1, v[8:9]
	v_mov_b32_e32 v14, s86
	v_add_co_u32_e64 v8, s[6:7], s33, v8
	v_addc_co_u32_e64 v9, s[6:7], v14, v9, s[6:7]
	global_load_ushort v8, v[8:9], off
.LBB219_400:                            ;   in Loop: Header=BB219_398 Depth=2
	s_or_b64 exec, exec, s[12:13]
	s_and_saveexec_b64 s[6:7], vcc
	s_cbranch_execz .LBB219_397
; %bb.401:                              ;   in Loop: Header=BB219_398 Depth=2
	s_waitcnt vmcnt(0)
	v_cmp_lt_i16_e32 vcc, -1, v8
	v_cndmask_b32_e32 v9, v32, v33, vcc
	v_lshlrev_b32_e32 v14, 16, v8
	v_xor_b32_sdwa v9, v9, v8 dst_sel:DWORD dst_unused:UNUSED_PAD src0_sel:DWORD src1_sel:WORD_0
	v_cmp_o_f32_e32 vcc, v14, v14
	v_cndmask_b32_e32 v9, v32, v9, vcc
	v_and_b32_e32 v9, v9, v37
	v_cmp_eq_u32_e32 vcc, v9, v38
	s_and_b64 exec, exec, vcc
	s_cbranch_execz .LBB219_397
; %bb.402:                              ;   in Loop: Header=BB219_398 Depth=2
	s_movk_i32 s12, 0x3f80
	v_perm_b32 v8, v8, s12, v36
	ds_write_b32 v15, v8 offset:3072
	s_branch .LBB219_397
.LBB219_403:                            ;   in Loop: Header=BB219_12 Depth=1
	s_or_b64 exec, exec, s[4:5]
	v_lshrrev_b32_e32 v39, 16, v8
	s_and_b64 s[6:7], s[10:11], exec
.LBB219_404:                            ;   in Loop: Header=BB219_12 Depth=1
	s_or_b64 exec, exec, s[2:3]
	s_mov_b64 s[46:47], 0
	s_mov_b64 s[2:3], -1
	s_mov_b64 s[56:57], 0
.LBB219_405:                            ;   in Loop: Header=BB219_12 Depth=1
	s_orn2_b64 s[4:5], s[6:7], exec
.LBB219_406:                            ;   in Loop: Header=BB219_12 Depth=1
	s_or_b64 exec, exec, s[50:51]
	s_mov_b64 s[6:7], 0
                                        ; implicit-def: $vgpr7
	s_and_saveexec_b64 s[50:51], s[4:5]
	s_cbranch_execz .LBB219_471
; %bb.407:                              ;   in Loop: Header=BB219_12 Depth=1
	v_mov_b32_e32 v2, 1
	s_xor_b64 s[6:7], s[8:9], -1
	s_mov_b64 s[12:13], 0
	v_mov_b32_e32 v3, 0
	v_mov_b32_e32 v7, 1
	s_and_saveexec_b64 s[4:5], s[6:7]
	s_cbranch_execz .LBB219_417
; %bb.408:                              ;   in Loop: Header=BB219_12 Depth=1
	v_cmp_ge_u64_e32 vcc, s[18:19], v[4:5]
                                        ; implicit-def: $sgpr10
                                        ; implicit-def: $sgpr6_sgpr7
	s_and_saveexec_b64 s[8:9], vcc
	s_xor_b64 s[8:9], exec, s[8:9]
	s_cbranch_execz .LBB219_414
; %bb.409:                              ;   in Loop: Header=BB219_12 Depth=1
	ds_read_b64 v[2:3], v15 offset:5120
	s_waitcnt lgkmcnt(0)
	v_cmp_ne_u64_e32 vcc, 0, v[2:3]
	s_cbranch_vccnz .LBB219_413
; %bb.410:                              ;   in Loop: Header=BB219_12 Depth=1
	s_mov_b64 s[6:7], exec
	v_readlane_b32 s10, v48, 12
	v_readlane_b32 s11, v48, 13
	s_and_b64 s[10:11], s[6:7], s[10:11]
	s_mov_b64 exec, s[10:11]
	s_cbranch_execz .LBB219_412
; %bb.411:                              ;   in Loop: Header=BB219_12 Depth=1
	v_pk_mov_b32 v[2:3], s[18:19], s[18:19] op_sel:[0,1]
	ds_write_b64 v15, v[2:3] offset:5128
.LBB219_412:                            ;   in Loop: Header=BB219_12 Depth=1
	s_or_b64 exec, exec, s[6:7]
	s_waitcnt lgkmcnt(0)
	s_barrier
.LBB219_413:                            ;   in Loop: Header=BB219_12 Depth=1
	v_and_b32_e32 v2, s48, v38
	v_lshl_or_b32 v38, 1, s49, v2
	v_or_b32_e32 v37, s84, v37
	s_mov_b64 s[6:7], 0
	s_mov_b32 s10, 5
.LBB219_414:                            ;   in Loop: Header=BB219_12 Depth=1
	s_or_saveexec_b64 s[8:9], s[8:9]
	v_mov_b32_e32 v7, s10
	s_xor_b64 exec, exec, s[8:9]
; %bb.415:                              ;   in Loop: Header=BB219_12 Depth=1
	v_mov_b32_e32 v2, s19
	v_subrev_co_u32_e32 v4, vcc, s18, v4
	v_subb_co_u32_e32 v5, vcc, v5, v2, vcc
	v_mov_b32_e32 v7, 0
	s_or_b64 s[6:7], s[6:7], exec
; %bb.416:                              ;   in Loop: Header=BB219_12 Depth=1
	s_or_b64 exec, exec, s[8:9]
	s_and_b64 s[12:13], s[6:7], exec
	v_pk_mov_b32 v[2:3], v[4:5], v[4:5] op_sel:[0,1]
.LBB219_417:                            ;   in Loop: Header=BB219_12 Depth=1
	s_or_b64 exec, exec, s[4:5]
	s_mov_b64 s[8:9], -1
                                        ; implicit-def: $sgpr4_sgpr5
                                        ; implicit-def: $sgpr6_sgpr7
                                        ; implicit-def: $sgpr10_sgpr11
	s_and_saveexec_b64 s[18:19], s[12:13]
	s_cbranch_execz .LBB219_470
; %bb.418:                              ;   in Loop: Header=BB219_12 Depth=1
	s_cmp_eq_u64 s[16:17], 1
	s_cselect_b64 s[4:5], -1, 0
	v_cmp_eq_u64_e32 vcc, 1, v[2:3]
	s_and_b64 s[8:9], s[4:5], vcc
	s_mov_b64 s[54:55], -1
                                        ; implicit-def: $sgpr4_sgpr5
                                        ; implicit-def: $sgpr6_sgpr7
                                        ; implicit-def: $sgpr10_sgpr11
	s_and_saveexec_b64 s[52:53], s[8:9]
	s_cbranch_execz .LBB219_457
; %bb.419:                              ;   in Loop: Header=BB219_12 Depth=1
	ds_read_b64 v[4:5], v15 offset:5120
	s_waitcnt lgkmcnt(0)
	s_barrier
	v_readfirstlane_b32 s4, v4
	v_readfirstlane_b32 s5, v5
	s_mov_b64 s[6:7], exec
	v_readlane_b32 s10, v48, 30
	v_readlane_b32 s11, v48, 31
	s_and_b64 s[10:11], s[6:7], s[10:11]
	s_mov_b64 exec, s[10:11]
	s_cbranch_execz .LBB219_421
; %bb.420:                              ;   in Loop: Header=BB219_12 Depth=1
	ds_write_b16 v29, v15
.LBB219_421:                            ;   in Loop: Header=BB219_12 Depth=1
	s_or_b64 exec, exec, s[6:7]
	v_and_b32_e32 v38, s48, v38
	v_or_b32_e32 v37, s84, v37
	s_cmp_eq_u64 s[4:5], 0
	s_waitcnt lgkmcnt(0)
	s_barrier
	s_cbranch_scc1 .LBB219_426
; %bb.422:                              ;   in Loop: Header=BB219_12 Depth=1
	v_readlane_b32 s6, v48, 34
	s_add_u32 s12, s6, s4
	v_readlane_b32 s6, v48, 36
	s_addc_u32 s7, s6, s5
	s_mov_b32 s6, s85
	s_cmp_lg_u64 s[6:7], 0
	s_cbranch_scc0 .LBB219_427
; %bb.423:                              ;   in Loop: Header=BB219_12 Depth=1
	v_cvt_f32_u32_e32 v4, s87
	s_sub_u32 s6, 0, s87
	s_subb_u32 s10, 0, 0
	v_mac_f32_e32 v4, 0, v34
	v_rcp_f32_e32 v4, v4
	v_mul_f32_e32 v4, 0x5f7ffffc, v4
	v_mul_f32_e32 v5, 0x2f800000, v4
	v_trunc_f32_e32 v5, v5
	v_mac_f32_e32 v4, 0xcf800000, v5
	v_cvt_u32_f32_e32 v5, v5
	v_cvt_u32_f32_e32 v4, v4
	v_readfirstlane_b32 s11, v5
	v_readfirstlane_b32 s13, v4
	s_mul_i32 s49, s6, s11
	s_mul_hi_u32 s55, s6, s13
	s_mul_i32 s54, s10, s13
	s_add_i32 s49, s55, s49
	s_mul_i32 s90, s6, s13
	s_add_i32 s49, s49, s54
	s_mul_hi_u32 s55, s13, s90
	s_mul_hi_u32 s54, s13, s49
	s_mul_i32 s13, s13, s49
	s_add_u32 s13, s55, s13
	s_addc_u32 s54, 0, s54
	s_mul_hi_u32 s91, s11, s90
	s_mul_i32 s90, s11, s90
	s_add_u32 s13, s13, s90
	s_mul_hi_u32 s55, s11, s49
	s_addc_u32 s13, s54, s91
	s_addc_u32 s54, s55, 0
	s_mul_i32 s49, s11, s49
	s_add_u32 s13, s13, s49
	s_addc_u32 s49, 0, s54
	v_add_co_u32_e32 v4, vcc, s13, v4
	s_cmp_lg_u64 vcc, 0
	s_addc_u32 s11, s11, s49
	v_readfirstlane_b32 s49, v4
	s_mul_i32 s13, s6, s11
	s_mul_hi_u32 s54, s6, s49
	s_add_i32 s13, s54, s13
	s_mul_i32 s10, s10, s49
	s_add_i32 s13, s13, s10
	s_mul_i32 s6, s6, s49
	s_mul_hi_u32 s54, s11, s6
	s_mul_i32 s55, s11, s6
	s_mul_i32 s91, s49, s13
	s_mul_hi_u32 s6, s49, s6
	s_mul_hi_u32 s90, s49, s13
	s_add_u32 s6, s6, s91
	s_addc_u32 s49, 0, s90
	s_add_u32 s6, s6, s55
	s_mul_hi_u32 s10, s11, s13
	s_addc_u32 s6, s49, s54
	s_addc_u32 s10, s10, 0
	s_mul_i32 s13, s11, s13
	s_add_u32 s6, s6, s13
	s_addc_u32 s10, 0, s10
	v_add_co_u32_e32 v4, vcc, s6, v4
	s_cmp_lg_u64 vcc, 0
	s_addc_u32 s6, s11, s10
	v_readfirstlane_b32 s13, v4
	s_mul_i32 s11, s12, s6
	s_mul_hi_u32 s49, s12, s13
	s_mul_hi_u32 s10, s12, s6
	s_add_u32 s11, s49, s11
	s_addc_u32 s10, 0, s10
	s_mul_hi_u32 s54, s7, s13
	s_mul_i32 s13, s7, s13
	s_add_u32 s11, s11, s13
	s_mul_hi_u32 s49, s7, s6
	s_addc_u32 s10, s10, s54
	s_addc_u32 s11, s49, 0
	s_mul_i32 s6, s7, s6
	s_add_u32 s6, s10, s6
	s_addc_u32 s10, 0, s11
	s_mul_hi_u32 s11, s87, s6
	s_mul_i32 s6, s87, s6
	s_mul_i32 s10, s87, s10
	v_mov_b32_e32 v4, s6
	s_add_i32 s11, s11, s10
	v_sub_co_u32_e32 v4, vcc, s12, v4
	s_cmp_lg_u64 vcc, 0
	s_subb_u32 s6, s7, s11
	v_subrev_co_u32_e32 v5, vcc, s87, v4
	s_cmp_lg_u64 vcc, 0
	s_subb_u32 s10, s6, 0
	v_subrev_co_u32_e32 v6, vcc, s87, v5
	s_cmp_lg_u64 vcc, 0
	s_subb_u32 s11, s10, 0
	v_cmp_le_u32_e32 vcc, s87, v5
	s_cmp_eq_u32 s10, 0
	v_cndmask_b32_e64 v7, 0, -1, vcc
	s_cselect_b64 vcc, -1, 0
	v_cndmask_b32_e32 v7, -1, v7, vcc
	v_mov_b32_e32 v8, s10
	v_mov_b32_e32 v9, s11
	v_cmp_ne_u32_e32 vcc, 0, v7
	v_cndmask_b32_e32 v7, v8, v9, vcc
	v_cndmask_b32_e32 v6, v5, v6, vcc
	v_cmp_le_u32_e32 vcc, s87, v4
	s_cmp_eq_u32 s6, 0
	v_cndmask_b32_e64 v5, 0, -1, vcc
	s_cselect_b64 vcc, -1, 0
	v_cndmask_b32_e32 v5, -1, v5, vcc
	v_mov_b32_e32 v8, s6
	v_cmp_ne_u32_e32 vcc, 0, v5
	v_cndmask_b32_e32 v5, v8, v7, vcc
	v_cndmask_b32_e32 v4, v4, v6, vcc
	s_mov_b64 s[10:11], 0
	s_branch .LBB219_428
.LBB219_424:                            ;   in Loop: Header=BB219_12 Depth=1
                                        ; implicit-def: $vgpr2_vgpr3
	s_branch .LBB219_378
.LBB219_425:                            ;   in Loop: Header=BB219_12 Depth=1
                                        ; implicit-def: $vgpr2_vgpr3
	s_branch .LBB219_394
.LBB219_426:                            ;   in Loop: Header=BB219_12 Depth=1
	s_mov_b64 s[4:5], -1
	s_mov_b64 s[12:13], 0
                                        ; implicit-def: $sgpr6_sgpr7
                                        ; implicit-def: $vgpr39
	s_branch .LBB219_440
.LBB219_427:                            ;   in Loop: Header=BB219_12 Depth=1
	s_mov_b64 s[10:11], -1
                                        ; implicit-def: $vgpr4_vgpr5
.LBB219_428:                            ;   in Loop: Header=BB219_12 Depth=1
	s_andn2_b64 vcc, exec, s[10:11]
	s_cbranch_vccnz .LBB219_430
; %bb.429:                              ;   in Loop: Header=BB219_12 Depth=1
	v_cvt_f32_u32_e32 v4, s87
	s_sub_i32 s6, 0, s87
	v_rcp_iflag_f32_e32 v4, v4
	v_mul_f32_e32 v4, 0x4f7ffffe, v4
	v_cvt_u32_f32_e32 v4, v4
	v_mul_lo_u32 v5, s6, v4
	v_mul_hi_u32 v5, v4, v5
	v_add_u32_e32 v4, v4, v5
	v_mul_hi_u32 v4, s12, v4
	v_mul_lo_u32 v4, v4, s87
	v_sub_u32_e32 v4, s12, v4
	v_subrev_u32_e32 v5, s87, v4
	v_cmp_le_u32_e32 vcc, s87, v4
	v_cndmask_b32_e32 v4, v4, v5, vcc
	v_subrev_u32_e32 v5, s87, v4
	v_cmp_le_u32_e32 vcc, s87, v4
	v_cndmask_b32_e32 v14, v4, v5, vcc
	v_pk_mov_b32 v[4:5], v[14:15], v[14:15] op_sel:[0,1]
.LBB219_430:                            ;   in Loop: Header=BB219_12 Depth=1
	v_mov_b32_e32 v6, s7
	v_sub_co_u32_e32 v4, vcc, s12, v4
	v_subb_co_u32_e32 v5, vcc, v6, v5, vcc
	v_cmp_gt_u64_e32 vcc, v[4:5], v[0:1]
	s_mov_b64 s[12:13], 0
                                        ; implicit-def: $vgpr39
	s_and_saveexec_b64 s[10:11], vcc
	s_cbranch_execz .LBB219_439
; %bb.431:                              ;   in Loop: Header=BB219_12 Depth=1
	v_mov_b32_e32 v8, v28
	v_pk_mov_b32 v[6:7], v[0:1], v[0:1] op_sel:[0,1]
                                        ; implicit-def: $sgpr54_sgpr55
	s_branch .LBB219_433
.LBB219_432:                            ;   in Loop: Header=BB219_433 Depth=2
	s_or_b64 exec, exec, s[6:7]
	s_waitcnt lgkmcnt(0)
	s_barrier
	ds_read_b32 v9, v15 offset:3072
	v_add_co_u32_e64 v6, s[6:7], s87, v6
	v_add_u32_e32 v8, s95, v8
	s_waitcnt lgkmcnt(0)
	v_and_b32_e32 v14, 0x7fff, v9
	v_cmp_ne_u16_e32 vcc, 0, v14
	v_mov_b32_e32 v14, s88
	v_addc_co_u32_e64 v7, s[6:7], v7, v14, s[6:7]
	v_cmp_ge_u64_e64 s[6:7], v[6:7], v[4:5]
	s_or_b64 s[6:7], s[6:7], vcc
	s_and_b64 s[6:7], exec, s[6:7]
	s_or_b64 s[12:13], s[6:7], s[12:13]
	s_andn2_b64 s[6:7], s[54:55], exec
	s_and_b64 s[54:55], vcc, exec
	s_or_b64 s[54:55], s[6:7], s[54:55]
	s_barrier
	s_andn2_b64 exec, exec, s[12:13]
	s_cbranch_execz .LBB219_438
.LBB219_433:                            ;   Parent Loop BB219_12 Depth=1
                                        ; =>  This Inner Loop Header: Depth=2
	v_cmp_gt_u64_e32 vcc, s[4:5], v[6:7]
	v_mov_b32_e32 v9, 0
	s_and_saveexec_b64 s[6:7], vcc
	s_cbranch_execz .LBB219_435
; %bb.434:                              ;   in Loop: Header=BB219_433 Depth=2
	ds_read_u16 v9, v8
.LBB219_435:                            ;   in Loop: Header=BB219_433 Depth=2
	s_or_b64 exec, exec, s[6:7]
	s_and_saveexec_b64 s[6:7], vcc
	s_cbranch_execz .LBB219_432
; %bb.436:                              ;   in Loop: Header=BB219_433 Depth=2
	s_waitcnt lgkmcnt(0)
	v_cmp_lt_i16_e32 vcc, -1, v9
	v_cndmask_b32_e32 v14, v32, v33, vcc
	v_lshlrev_b32_e32 v18, 16, v9
	v_xor_b32_sdwa v14, v14, v9 dst_sel:DWORD dst_unused:UNUSED_PAD src0_sel:DWORD src1_sel:WORD_0
	v_cmp_o_f32_e32 vcc, v18, v18
	v_cndmask_b32_e32 v14, v32, v14, vcc
	v_and_b32_e32 v14, v14, v37
	v_cmp_eq_u32_e32 vcc, v14, v38
	s_and_b64 exec, exec, vcc
	s_cbranch_execz .LBB219_432
; %bb.437:                              ;   in Loop: Header=BB219_433 Depth=2
	s_movk_i32 s49, 0x3f80
	v_perm_b32 v9, v9, s49, v36
	ds_write_b32 v15, v9 offset:3072
	s_branch .LBB219_432
.LBB219_438:                            ;   in Loop: Header=BB219_12 Depth=1
	s_or_b64 exec, exec, s[12:13]
	v_lshrrev_b32_e32 v39, 16, v9
	s_and_b64 s[12:13], s[54:55], exec
.LBB219_439:                            ;   in Loop: Header=BB219_12 Depth=1
	s_or_b64 exec, exec, s[10:11]
	s_mov_b64 s[4:5], 0
	s_mov_b64 s[6:7], -1
.LBB219_440:                            ;   in Loop: Header=BB219_12 Depth=1
	s_and_b64 vcc, exec, s[4:5]
	s_mov_b64 s[10:11], s[4:5]
	s_cbranch_vccz .LBB219_456
; %bb.441:                              ;   in Loop: Header=BB219_12 Depth=1
	s_mov_b32 s92, s85
	s_cmp_lg_u64 s[92:93], 0
	s_cbranch_scc0 .LBB219_443
; %bb.442:                              ;   in Loop: Header=BB219_12 Depth=1
	v_cvt_f32_u32_e32 v4, s87
	s_sub_u32 s4, 0, s87
	s_subb_u32 s5, 0, 0
	v_mac_f32_e32 v4, 0, v34
	v_rcp_f32_e32 v4, v4
	v_mul_f32_e32 v4, 0x5f7ffffc, v4
	v_mul_f32_e32 v5, 0x2f800000, v4
	v_trunc_f32_e32 v5, v5
	v_mac_f32_e32 v4, 0xcf800000, v5
	v_cvt_u32_f32_e32 v5, v5
	v_cvt_u32_f32_e32 v4, v4
	v_readfirstlane_b32 s6, v5
	v_readfirstlane_b32 s7, v4
	s_mul_i32 s10, s4, s6
	s_mul_hi_u32 s12, s4, s7
	s_mul_i32 s11, s5, s7
	s_add_i32 s10, s12, s10
	s_mul_i32 s13, s4, s7
	s_add_i32 s10, s10, s11
	s_mul_hi_u32 s12, s7, s13
	s_mul_hi_u32 s11, s7, s10
	s_mul_i32 s7, s7, s10
	s_add_u32 s7, s12, s7
	s_addc_u32 s11, 0, s11
	s_mul_hi_u32 s49, s6, s13
	s_mul_i32 s13, s6, s13
	s_add_u32 s7, s7, s13
	s_mul_hi_u32 s12, s6, s10
	s_addc_u32 s7, s11, s49
	s_addc_u32 s11, s12, 0
	s_mul_i32 s10, s6, s10
	s_add_u32 s7, s7, s10
	s_addc_u32 s10, 0, s11
	v_add_co_u32_e32 v4, vcc, s7, v4
	s_cmp_lg_u64 vcc, 0
	s_addc_u32 s6, s6, s10
	v_readfirstlane_b32 s10, v4
	s_mul_i32 s7, s4, s6
	s_mul_hi_u32 s11, s4, s10
	s_add_i32 s7, s11, s7
	s_mul_i32 s5, s5, s10
	s_add_i32 s7, s7, s5
	s_mul_i32 s4, s4, s10
	s_mul_hi_u32 s11, s6, s4
	s_mul_i32 s12, s6, s4
	s_mul_i32 s49, s10, s7
	s_mul_hi_u32 s4, s10, s4
	s_mul_hi_u32 s13, s10, s7
	s_add_u32 s4, s4, s49
	s_addc_u32 s10, 0, s13
	s_add_u32 s4, s4, s12
	s_mul_hi_u32 s5, s6, s7
	s_addc_u32 s4, s10, s11
	s_addc_u32 s5, s5, 0
	s_mul_i32 s7, s6, s7
	s_add_u32 s4, s4, s7
	s_addc_u32 s5, 0, s5
	v_add_co_u32_e32 v4, vcc, s4, v4
	s_cmp_lg_u64 vcc, 0
	s_addc_u32 s4, s6, s5
	v_readlane_b32 s12, v48, 35
	v_readfirstlane_b32 s7, v4
	s_mul_i32 s6, s12, s4
	s_mul_hi_u32 s10, s12, s7
	s_mul_hi_u32 s5, s12, s4
	s_add_u32 s6, s10, s6
	s_addc_u32 s5, 0, s5
	s_mul_hi_u32 s11, s93, s7
	s_mul_i32 s7, s93, s7
	s_add_u32 s6, s6, s7
	s_mul_hi_u32 s10, s93, s4
	s_addc_u32 s5, s5, s11
	s_addc_u32 s6, s10, 0
	s_mul_i32 s4, s93, s4
	s_add_u32 s4, s5, s4
	s_addc_u32 s5, 0, s6
	s_mul_hi_u32 s6, s87, s4
	s_mul_i32 s4, s87, s4
	s_mul_i32 s5, s87, s5
	v_mov_b32_e32 v4, s4
	s_add_i32 s6, s6, s5
	v_sub_co_u32_e32 v4, vcc, s12, v4
	s_cmp_lg_u64 vcc, 0
	s_subb_u32 s4, s93, s6
	v_subrev_co_u32_e32 v5, vcc, s87, v4
	s_cmp_lg_u64 vcc, 0
	s_subb_u32 s5, s4, 0
	v_subrev_co_u32_e32 v6, vcc, s87, v5
	s_cmp_lg_u64 vcc, 0
	s_subb_u32 s6, s5, 0
	v_cmp_le_u32_e32 vcc, s87, v5
	s_cmp_eq_u32 s5, 0
	v_cndmask_b32_e64 v7, 0, -1, vcc
	s_cselect_b64 vcc, -1, 0
	v_cndmask_b32_e32 v7, -1, v7, vcc
	v_mov_b32_e32 v8, s5
	v_mov_b32_e32 v9, s6
	v_cmp_ne_u32_e32 vcc, 0, v7
	v_cndmask_b32_e32 v7, v8, v9, vcc
	v_cndmask_b32_e32 v6, v5, v6, vcc
	v_cmp_le_u32_e32 vcc, s87, v4
	s_cmp_eq_u32 s4, 0
	v_cndmask_b32_e64 v5, 0, -1, vcc
	s_cselect_b64 vcc, -1, 0
	v_cndmask_b32_e32 v5, -1, v5, vcc
	v_mov_b32_e32 v8, s4
	v_cmp_ne_u32_e32 vcc, 0, v5
	v_cndmask_b32_e32 v5, v8, v7, vcc
	v_cndmask_b32_e32 v4, v4, v6, vcc
	s_mov_b64 s[4:5], 0
	s_branch .LBB219_444
.LBB219_443:                            ;   in Loop: Header=BB219_12 Depth=1
	s_mov_b64 s[4:5], -1
                                        ; implicit-def: $vgpr4_vgpr5
.LBB219_444:                            ;   in Loop: Header=BB219_12 Depth=1
	s_andn2_b64 vcc, exec, s[4:5]
	s_cbranch_vccnz .LBB219_446
; %bb.445:                              ;   in Loop: Header=BB219_12 Depth=1
	v_cvt_f32_u32_e32 v4, s87
	s_sub_i32 s4, 0, s87
	v_rcp_iflag_f32_e32 v4, v4
	v_mul_f32_e32 v4, 0x4f7ffffe, v4
	v_cvt_u32_f32_e32 v4, v4
	v_mul_lo_u32 v5, s4, v4
	v_mul_hi_u32 v5, v4, v5
	v_add_u32_e32 v4, v4, v5
	v_readlane_b32 s4, v48, 35
	v_mul_hi_u32 v4, s4, v4
	v_mul_lo_u32 v4, v4, s87
	v_sub_u32_e32 v4, s4, v4
	v_subrev_u32_e32 v5, s87, v4
	v_cmp_le_u32_e32 vcc, s87, v4
	v_cndmask_b32_e32 v4, v4, v5, vcc
	v_subrev_u32_e32 v5, s87, v4
	v_cmp_le_u32_e32 vcc, s87, v4
	v_cndmask_b32_e32 v14, v4, v5, vcc
	v_pk_mov_b32 v[4:5], v[14:15], v[14:15] op_sel:[0,1]
.LBB219_446:                            ;   in Loop: Header=BB219_12 Depth=1
	v_readlane_b32 s4, v48, 35
	v_mov_b32_e32 v6, s93
	v_sub_co_u32_e32 v4, vcc, s4, v4
	v_subb_co_u32_e32 v5, vcc, v6, v5, vcc
	v_cmp_gt_u64_e32 vcc, v[4:5], v[0:1]
	s_mov_b64 s[12:13], 0
                                        ; implicit-def: $vgpr39
	s_and_saveexec_b64 s[4:5], vcc
	s_cbranch_execz .LBB219_455
; %bb.447:                              ;   in Loop: Header=BB219_12 Depth=1
	s_mov_b64 s[10:11], 0
	v_pk_mov_b32 v[6:7], v[0:1], v[0:1] op_sel:[0,1]
                                        ; implicit-def: $sgpr12_sgpr13
	s_branch .LBB219_449
.LBB219_448:                            ;   in Loop: Header=BB219_449 Depth=2
	s_or_b64 exec, exec, s[6:7]
	s_waitcnt lgkmcnt(0)
	s_barrier
	s_waitcnt vmcnt(0)
	ds_read_b32 v8, v15 offset:3072
	v_add_co_u32_e64 v6, s[6:7], s87, v6
	s_waitcnt lgkmcnt(0)
	s_barrier
	v_and_b32_e32 v9, 0x7fff, v8
	v_cmp_ne_u16_e32 vcc, 0, v9
	v_mov_b32_e32 v9, s88
	v_addc_co_u32_e64 v7, s[6:7], v7, v9, s[6:7]
	v_cmp_ge_u64_e64 s[6:7], v[6:7], v[4:5]
	s_or_b64 s[6:7], s[6:7], vcc
	s_and_b64 s[6:7], exec, s[6:7]
	s_or_b64 s[10:11], s[6:7], s[10:11]
	s_andn2_b64 s[6:7], s[12:13], exec
	s_and_b64 s[12:13], vcc, exec
	s_or_b64 s[12:13], s[6:7], s[12:13]
	s_andn2_b64 exec, exec, s[10:11]
	s_cbranch_execz .LBB219_454
.LBB219_449:                            ;   Parent Loop BB219_12 Depth=1
                                        ; =>  This Inner Loop Header: Depth=2
	v_cmp_gt_u64_e32 vcc, s[60:61], v[6:7]
	v_mov_b32_e32 v8, 0
	s_and_saveexec_b64 s[54:55], vcc
	s_cbranch_execz .LBB219_451
; %bb.450:                              ;   in Loop: Header=BB219_449 Depth=2
	v_mul_lo_u32 v14, v7, s58
	v_mul_lo_u32 v18, v6, s59
	v_mad_u64_u32 v[8:9], s[6:7], v6, s58, 0
	v_add3_u32 v9, v9, v18, v14
	v_lshlrev_b64 v[8:9], 1, v[8:9]
	v_mov_b32_e32 v14, s86
	v_add_co_u32_e64 v8, s[6:7], s33, v8
	v_addc_co_u32_e64 v9, s[6:7], v14, v9, s[6:7]
	global_load_ushort v8, v[8:9], off
.LBB219_451:                            ;   in Loop: Header=BB219_449 Depth=2
	s_or_b64 exec, exec, s[54:55]
	s_and_saveexec_b64 s[6:7], vcc
	s_cbranch_execz .LBB219_448
; %bb.452:                              ;   in Loop: Header=BB219_449 Depth=2
	s_waitcnt vmcnt(0)
	v_cmp_lt_i16_e32 vcc, -1, v8
	v_cndmask_b32_e32 v9, v32, v33, vcc
	v_lshlrev_b32_e32 v14, 16, v8
	v_xor_b32_sdwa v9, v9, v8 dst_sel:DWORD dst_unused:UNUSED_PAD src0_sel:DWORD src1_sel:WORD_0
	v_cmp_o_f32_e32 vcc, v14, v14
	v_cndmask_b32_e32 v9, v32, v9, vcc
	v_and_b32_e32 v9, v9, v37
	v_cmp_eq_u32_e32 vcc, v9, v38
	s_and_b64 exec, exec, vcc
	s_cbranch_execz .LBB219_448
; %bb.453:                              ;   in Loop: Header=BB219_449 Depth=2
	s_movk_i32 s49, 0x3f80
	v_perm_b32 v8, v8, s49, v36
	ds_write_b32 v15, v8 offset:3072
	s_branch .LBB219_448
.LBB219_454:                            ;   in Loop: Header=BB219_12 Depth=1
	s_or_b64 exec, exec, s[10:11]
	v_lshrrev_b32_e32 v39, 16, v8
	s_and_b64 s[12:13], s[12:13], exec
.LBB219_455:                            ;   in Loop: Header=BB219_12 Depth=1
	s_or_b64 exec, exec, s[4:5]
	s_mov_b64 s[6:7], 0
	s_mov_b64 s[4:5], -1
	s_mov_b64 s[10:11], 0
.LBB219_456:                            ;   in Loop: Header=BB219_12 Depth=1
	s_orn2_b64 s[54:55], s[12:13], exec
.LBB219_457:                            ;   in Loop: Header=BB219_12 Depth=1
	s_or_b64 exec, exec, s[52:53]
	s_mov_b64 s[52:53], 0
                                        ; implicit-def: $vgpr7
                                        ; implicit-def: $vgpr4_vgpr5
	s_and_saveexec_b64 s[12:13], s[54:55]
	s_cbranch_execz .LBB219_469
; %bb.458:                              ;   in Loop: Header=BB219_12 Depth=1
	v_mov_b32_e32 v4, 1
	s_xor_b64 s[52:53], s[8:9], -1
	v_mov_b32_e32 v7, 1
	v_mov_b32_e32 v5, 0
	s_and_saveexec_b64 s[8:9], s[52:53]
	s_cbranch_execz .LBB219_468
; %bb.459:                              ;   in Loop: Header=BB219_12 Depth=1
	v_cmp_ge_u64_e32 vcc, s[16:17], v[2:3]
                                        ; implicit-def: $sgpr49
	s_and_saveexec_b64 s[52:53], vcc
	s_xor_b64 s[52:53], exec, s[52:53]
	s_cbranch_execz .LBB219_465
; %bb.460:                              ;   in Loop: Header=BB219_12 Depth=1
	ds_read_b64 v[4:5], v15 offset:5120
	s_waitcnt lgkmcnt(0)
	v_cmp_ne_u64_e32 vcc, 0, v[4:5]
	s_cbranch_vccnz .LBB219_464
; %bb.461:                              ;   in Loop: Header=BB219_12 Depth=1
	s_mov_b64 s[54:55], exec
	v_readlane_b32 s90, v48, 12
	v_readlane_b32 s91, v48, 13
	s_and_b64 s[90:91], s[54:55], s[90:91]
	s_mov_b64 exec, s[90:91]
	s_cbranch_execz .LBB219_463
; %bb.462:                              ;   in Loop: Header=BB219_12 Depth=1
	v_pk_mov_b32 v[4:5], s[16:17], s[16:17] op_sel:[0,1]
	ds_write_b64 v15, v[4:5] offset:5128
.LBB219_463:                            ;   in Loop: Header=BB219_12 Depth=1
	s_or_b64 exec, exec, s[54:55]
	s_waitcnt lgkmcnt(0)
	s_barrier
.LBB219_464:                            ;   in Loop: Header=BB219_12 Depth=1
	v_and_b32_e32 v38, s48, v38
	v_or_b32_e32 v37, s84, v37
	s_mov_b32 s49, 5
.LBB219_465:                            ;   in Loop: Header=BB219_12 Depth=1
	s_or_saveexec_b64 s[52:53], s[52:53]
	v_mov_b32_e32 v7, s49
	s_xor_b64 exec, exec, s[52:53]
; %bb.466:                              ;   in Loop: Header=BB219_12 Depth=1
	v_mov_b32_e32 v4, s17
	v_subrev_co_u32_e32 v2, vcc, s16, v2
	v_subb_co_u32_e32 v3, vcc, v3, v4, vcc
	v_mov_b32_e32 v7, 5
; %bb.467:                              ;   in Loop: Header=BB219_12 Depth=1
	s_or_b64 exec, exec, s[52:53]
	v_pk_mov_b32 v[4:5], v[2:3], v[2:3] op_sel:[0,1]
.LBB219_468:                            ;   in Loop: Header=BB219_12 Depth=1
	s_or_b64 exec, exec, s[8:9]
	s_mov_b64 s[52:53], exec
.LBB219_469:                            ;   in Loop: Header=BB219_12 Depth=1
	s_or_b64 exec, exec, s[12:13]
	s_orn2_b64 s[8:9], s[52:53], exec
	v_pk_mov_b32 v[2:3], v[4:5], v[4:5] op_sel:[0,1]
.LBB219_470:                            ;   in Loop: Header=BB219_12 Depth=1
	s_or_b64 exec, exec, s[18:19]
	s_andn2_b64 s[2:3], s[2:3], exec
	s_and_b64 s[4:5], s[4:5], exec
	s_or_b64 s[2:3], s[2:3], s[4:5]
	s_andn2_b64 s[4:5], s[46:47], exec
	s_and_b64 s[6:7], s[6:7], exec
	s_or_b64 s[46:47], s[4:5], s[6:7]
	;; [unrolled: 3-line block ×3, first 2 shown]
	s_and_b64 s[6:7], s[8:9], exec
	v_pk_mov_b32 v[4:5], v[2:3], v[2:3] op_sel:[0,1]
.LBB219_471:                            ;   in Loop: Header=BB219_12 Depth=1
	s_or_b64 exec, exec, s[50:51]
	s_and_b64 s[10:11], s[2:3], exec
	s_and_b64 s[8:9], s[46:47], exec
	;; [unrolled: 1-line block ×3, first 2 shown]
	s_orn2_b64 s[2:3], s[6:7], exec
.LBB219_472:                            ;   in Loop: Header=BB219_12 Depth=1
	s_or_b64 exec, exec, s[22:23]
	s_andn2_b64 s[6:7], s[36:37], exec
	s_and_b64 s[10:11], s[10:11], exec
	s_or_b64 s[36:37], s[6:7], s[10:11]
	s_andn2_b64 s[6:7], s[40:41], exec
	s_and_b64 s[8:9], s[8:9], exec
	s_or_b64 s[40:41], s[6:7], s[8:9]
	;; [unrolled: 3-line block ×3, first 2 shown]
	s_and_b64 s[6:7], s[2:3], exec
	v_pk_mov_b32 v[2:3], v[4:5], v[4:5] op_sel:[0,1]
.LBB219_473:                            ;   in Loop: Header=BB219_12 Depth=1
	s_or_b64 exec, exec, s[44:45]
	s_and_b64 s[8:9], s[36:37], exec
	s_and_b64 s[4:5], s[40:41], exec
	;; [unrolled: 1-line block ×3, first 2 shown]
	s_orn2_b64 s[12:13], s[6:7], exec
.LBB219_474:                            ;   in Loop: Header=BB219_12 Depth=1
	s_or_b64 exec, exec, s[24:25]
	s_mov_b64 s[6:7], s[28:29]
	s_mov_b64 s[10:11], s[26:27]
	s_and_saveexec_b64 s[16:17], s[12:13]
; %bb.475:                              ;   in Loop: Header=BB219_12 Depth=1
	v_cmp_ne_u32_e64 s[6:7], 5, v7
	v_cmp_eq_u32_e32 vcc, 5, v7
	s_andn2_b64 s[10:11], s[26:27], exec
	s_and_b64 s[6:7], s[6:7], exec
	s_or_b64 s[10:11], s[10:11], s[6:7]
	s_andn2_b64 s[6:7], s[28:29], exec
	s_and_b64 s[12:13], vcc, exec
	s_andn2_b64 s[8:9], s[8:9], exec
	s_andn2_b64 s[4:5], s[4:5], exec
	;; [unrolled: 1-line block ×3, first 2 shown]
	s_or_b64 s[6:7], s[6:7], s[12:13]
; %bb.476:                              ;   in Loop: Header=BB219_12 Depth=1
	s_or_b64 exec, exec, s[16:17]
	s_andn2_b64 s[12:13], s[14:15], exec
	s_and_b64 s[8:9], s[8:9], exec
	s_or_b64 s[14:15], s[12:13], s[8:9]
	s_andn2_b64 s[8:9], s[38:39], exec
	s_and_b64 s[4:5], s[4:5], exec
	s_or_b64 s[38:39], s[8:9], s[4:5]
	;; [unrolled: 3-line block ×5, first 2 shown]
	v_mov_b32_e32 v8, v38
	v_mov_b32_e32 v9, v37
	;; [unrolled: 1-line block ×3, first 2 shown]
.LBB219_477:                            ;   in Loop: Header=BB219_12 Depth=1
	s_or_b64 exec, exec, s[34:35]
	s_mov_b64 s[36:37], s[20:21]
	s_mov_b64 s[34:35], s[20:21]
	s_and_saveexec_b64 s[2:3], s[28:29]
.LBB219_478:                            ;   in Loop: Header=BB219_12 Depth=1
	v_mov_b32_e32 v7, 0
	s_andn2_b64 s[20:21], s[20:21], exec
	s_andn2_b64 s[14:15], s[14:15], exec
	;; [unrolled: 1-line block ×5, first 2 shown]
	s_or_b64 s[26:27], s[26:27], exec
.LBB219_479:                            ;   in Loop: Header=BB219_12 Depth=1
	s_or_b64 exec, exec, s[2:3]
	s_andn2_b64 s[2:3], s[82:83], exec
	s_and_b64 s[6:7], s[20:21], exec
	s_or_b64 s[82:83], s[2:3], s[6:7]
	s_andn2_b64 s[2:3], s[80:81], exec
	s_and_b64 s[6:7], s[14:15], exec
	s_or_b64 s[80:81], s[2:3], s[6:7]
	;; [unrolled: 3-line block ×4, first 2 shown]
	s_andn2_b64 s[2:3], s[72:73], exec
	s_and_b64 s[6:7], s[34:35], exec
	s_mov_b64 s[4:5], -1
	s_or_b64 s[72:73], s[2:3], s[6:7]
                                        ; implicit-def: $vgpr37
                                        ; implicit-def: $vgpr38
                                        ; implicit-def: $vgpr18_vgpr19
                                        ; implicit-def: $vgpr39
	s_and_saveexec_b64 s[2:3], s[26:27]
	s_xor_b64 s[2:3], exec, s[2:3]
	s_cbranch_execz .LBB219_11
; %bb.480:                              ;   in Loop: Header=BB219_12 Depth=1
	v_cmp_eq_u32_e32 vcc, 0, v7
	s_mov_b64 s[6:7], -1
	s_and_saveexec_b64 s[8:9], vcc
	s_cbranch_execz .LBB219_10
; %bb.481:                              ;   in Loop: Header=BB219_12 Depth=1
	v_readlane_b32 s4, v48, 50
	s_xor_b32 s4, s4, 1
	s_add_i32 s10, s89, -2
	s_cmp_eq_u32 s89, 0
	v_writelane_b32 v48, s4, 50
	s_cselect_b64 s[4:5], -1, 0
	s_xor_b64 s[6:7], exec, -1
	s_orn2_b64 s[4:5], s[4:5], exec
	s_mov_b32 s89, s10
	s_branch .LBB219_10
.LBB219_482:
	s_or_b64 exec, exec, s[64:65]
	s_xor_b64 s[4:5], s[30:31], -1
	s_xor_b64 s[12:13], s[78:79], -1
	;; [unrolled: 1-line block ×5, first 2 shown]
	s_mov_b64 s[6:7], 0
	s_and_saveexec_b64 s[14:15], s[8:9]
	s_xor_b64 s[8:9], exec, s[14:15]
	s_cbranch_execnz .LBB219_487
; %bb.483:
	s_andn2_saveexec_b64 s[0:1], s[8:9]
	s_cbranch_execnz .LBB219_506
.LBB219_484:
	s_or_b64 exec, exec, s[0:1]
	s_and_saveexec_b64 s[0:1], s[6:7]
.LBB219_485:
	; divergent unreachable
.LBB219_486:
	s_endpgm
.LBB219_487:
	s_and_saveexec_b64 s[14:15], s[10:11]
	s_xor_b64 s[10:11], exec, s[14:15]
	s_cbranch_execz .LBB219_504
; %bb.488:
	s_and_saveexec_b64 s[14:15], s[12:13]
	s_xor_b64 s[12:13], exec, s[14:15]
	s_cbranch_execz .LBB219_502
; %bb.489:
	;; [unrolled: 4-line block ×3, first 2 shown]
	s_and_saveexec_b64 s[4:5], s[2:3]
	s_xor_b64 s[2:3], exec, s[4:5]
; %bb.491:
	v_and_b32_e32 v2, 0x8000, v8
	v_mov_b32_e32 v3, 0x8000
	v_mov_b32_e32 v4, 0xffff
	v_cmp_eq_u32_e32 vcc, 0, v2
	v_cndmask_b32_e32 v2, v3, v4, vcc
	v_xor_b32_e32 v6, v2, v8
; %bb.492:
	s_or_b64 exec, exec, s[2:3]
	s_mov_b64 s[2:3], exec
	v_readlane_b32 s4, v48, 12
	v_readlane_b32 s5, v48, 13
	;; [unrolled: 1-line block ×4, first 2 shown]
	s_and_b64 s[4:5], s[2:3], s[4:5]
	v_readlane_b32 s23, v48, 45
	v_readlane_b32 s18, v48, 14
	;; [unrolled: 1-line block ×4, first 2 shown]
	s_mov_b64 exec, s[4:5]
	s_cbranch_execz .LBB219_494
; %bb.493:
	v_mov_b32_e32 v2, 0
	v_mov_b32_e32 v3, v2
	ds_write_b64 v2, v[2:3] offset:5136
.LBB219_494:
	s_or_b64 exec, exec, s[2:3]
	v_mov_b32_e32 v19, 0
	s_waitcnt lgkmcnt(0)
	s_barrier
	s_mov_b64 s[2:3], exec
	v_readlane_b32 s4, v48, 28
	v_readlane_b32 s5, v48, 29
	s_and_b64 s[4:5], s[2:3], s[4:5]
	s_mov_b64 exec, s[4:5]
	s_cbranch_execz .LBB219_496
; %bb.495:
	global_load_ushort v19, v[12:13], off
.LBB219_496:
	s_or_b64 exec, exec, s[2:3]
	s_add_u32 s2, s60, 63
	s_addc_u32 s17, s61, 0
	s_and_b32 s16, s2, 0xffffffc0
	v_readlane_b32 s4, v48, 2
	v_readlane_b32 s2, v48, 0
	;; [unrolled: 1-line block ×4, first 2 shown]
	s_mov_b32 s6, s2
	s_mul_i32 s2, s2, s5
	s_mul_hi_u32 s3, s6, s4
	s_add_i32 s3, s3, s2
	s_mul_i32 s2, s6, s4
	v_readlane_b32 s24, v48, 16
	s_sub_u32 s2, s18, s2
	v_readlane_b32 s26, v48, 18
	v_readlane_b32 s27, v48, 19
	s_subb_u32 s3, 0, s3
	s_mul_i32 s4, s2, s27
	s_mul_hi_u32 s5, s2, s26
	v_readlane_b32 s25, v48, 17
	s_add_i32 s4, s5, s4
	s_mul_i32 s3, s3, s26
	s_add_i32 s3, s4, s3
	s_mul_i32 s4, s6, s25
	s_mul_hi_u32 s5, s6, s24
	s_add_i32 s5, s5, s4
	s_mul_i32 s4, s6, s24
	v_readlane_b32 s20, v48, 6
	v_readlane_b32 s6, v48, 4
	v_readlane_b32 s21, v48, 7
	v_readlane_b32 s7, v48, 5
	s_mov_b32 s24, s6
	s_mul_i32 s6, s6, s21
	s_mul_hi_u32 s7, s24, s20
	s_add_i32 s7, s7, s6
	s_mul_i32 s6, s24, s20
	v_readlane_b32 s28, v48, 46
	s_sub_u32 s6, s18, s6
	v_readlane_b32 s30, v48, 48
	v_readlane_b32 s31, v48, 49
	s_subb_u32 s7, 0, s7
	s_mul_i32 s18, s6, s31
	s_mul_hi_u32 s19, s6, s30
	v_readlane_b32 s29, v48, 47
	s_add_i32 s18, s19, s18
	s_mul_i32 s7, s7, s30
	s_add_i32 s7, s18, s7
	s_mul_i32 s18, s24, s29
	s_mul_hi_u32 s19, s24, s28
	s_add_i32 s19, s19, s18
	s_lshl_b64 s[4:5], s[4:5], 1
	v_readlane_b32 s20, v48, 10
	s_mul_i32 s2, s2, s26
	v_readlane_b32 s21, v48, 11
	s_add_u32 s4, s20, s4
	s_addc_u32 s5, s21, s5
	s_lshl_b64 s[2:3], s[2:3], 1
	s_mul_i32 s18, s24, s28
	s_add_u32 s38, s4, s2
	s_addc_u32 s39, s5, s3
	s_lshl_b64 s[2:3], s[18:19], 3
	v_readlane_b32 s4, v48, 8
	s_load_dwordx2 s[18:19], s[22:23], 0x368
	s_load_dwordx2 s[20:21], s[22:23], 0x510
	v_mov_b32_e32 v17, 0xffff
	v_mov_b32_e32 v18, 0x8000
	v_cmp_lt_i16_e32 vcc, -1, v6
	s_mul_i32 s6, s6, s30
	v_readlane_b32 s5, v48, 9
	s_add_u32 s4, s4, s2
	v_cndmask_b32_e32 v2, v17, v18, vcc
	v_lshlrev_b32_e32 v3, 16, v6
	s_addc_u32 s5, s5, s3
	s_lshl_b64 s[2:3], s[6:7], 3
	v_xor_b32_sdwa v2, v2, v6 dst_sel:DWORD dst_unused:UNUSED_PAD src0_sel:DWORD src1_sel:WORD_0
	v_cmp_o_f32_e32 vcc, v3, v3
	s_add_u32 s40, s4, s2
	v_cndmask_b32_e32 v16, v17, v2, vcc
	s_addc_u32 s41, s5, s3
	v_cmp_gt_u64_e32 vcc, s[16:17], v[0:1]
	s_mov_b64 s[24:25], -1
	s_mov_b64 s[2:3], 0
	s_mov_b64 s[4:5], 0
	s_and_saveexec_b64 s[22:23], vcc
	s_cbranch_execnz .LBB219_507
; %bb.497:
	s_or_b64 exec, exec, s[22:23]
	s_and_saveexec_b64 s[6:7], s[24:25]
	s_cbranch_execnz .LBB219_524
.LBB219_498:
	s_or_b64 exec, exec, s[6:7]
	s_and_saveexec_b64 s[0:1], s[4:5]
	s_xor_b64 s[0:1], exec, s[0:1]
	s_cbranch_execnz .LBB219_549
.LBB219_499:
	s_or_b64 exec, exec, s[0:1]
	s_and_b64 s[6:7], s[2:3], exec
.LBB219_500:
	s_andn2_saveexec_b64 s[0:1], s[14:15]
	s_cbranch_execnz .LBB219_551
.LBB219_501:
	s_or_b64 exec, exec, s[0:1]
	s_and_b64 s[6:7], s[6:7], exec
.LBB219_502:
	s_andn2_saveexec_b64 s[0:1], s[12:13]
	s_cbranch_execnz .LBB219_550
.LBB219_503:
	s_or_b64 exec, exec, s[0:1]
	s_and_b64 s[6:7], s[6:7], exec
.LBB219_504:
	s_andn2_saveexec_b64 s[0:1], s[10:11]
	s_cbranch_execnz .LBB219_545
.LBB219_505:
	s_or_b64 exec, exec, s[0:1]
	s_and_b64 s[6:7], s[6:7], exec
	s_andn2_saveexec_b64 s[0:1], s[8:9]
	s_cbranch_execz .LBB219_484
.LBB219_506:
	s_or_b64 s[6:7], s[6:7], exec
	s_trap 2
	s_or_b64 exec, exec, s[0:1]
	s_and_saveexec_b64 s[0:1], s[6:7]
	s_cbranch_execnz .LBB219_485
	s_branch .LBB219_486
.LBB219_507:
	s_mov_b64 s[24:25], 0
	v_mov_b32_e32 v20, s88
	v_mov_b32_e32 v3, 0
	v_pk_mov_b32 v[8:9], v[0:1], v[0:1] op_sel:[0,1]
                                        ; implicit-def: $sgpr26_sgpr27
                                        ; implicit-def: $vgpr6_vgpr7
	s_branch .LBB219_509
.LBB219_508:                            ;   in Loop: Header=BB219_509 Depth=1
	s_or_b64 exec, exec, s[28:29]
	s_xor_b64 s[4:5], s[34:35], -1
	s_and_b64 s[6:7], exec, s[6:7]
	s_or_b64 s[24:25], s[6:7], s[24:25]
	s_andn2_b64 s[6:7], s[26:27], exec
	s_and_b64 s[4:5], s[4:5], exec
	s_or_b64 s[26:27], s[6:7], s[4:5]
	v_pk_mov_b32 v[8:9], v[4:5], v[4:5] op_sel:[0,1]
	s_waitcnt vmcnt(0)
	v_mov_b32_e32 v19, v21
	s_andn2_b64 exec, exec, s[24:25]
	s_cbranch_execz .LBB219_523
.LBB219_509:                            ; =>This Inner Loop Header: Depth=1
	v_add_co_u32_e64 v4, s[4:5], s87, v8
	v_addc_co_u32_e64 v5, s[4:5], v9, v20, s[4:5]
	v_cmp_gt_u64_e64 s[4:5], s[60:61], v[4:5]
	v_mov_b32_e32 v21, 0
	s_and_saveexec_b64 s[6:7], s[4:5]
	s_cbranch_execz .LBB219_511
; %bb.510:                              ;   in Loop: Header=BB219_509 Depth=1
	v_mul_lo_u32 v2, v5, s58
	v_mul_lo_u32 v21, v4, s59
	v_mad_u64_u32 v[14:15], s[4:5], v4, s58, 0
	v_add3_u32 v15, v15, v21, v2
	v_lshlrev_b64 v[14:15], 1, v[14:15]
	v_mov_b32_e32 v2, s86
	v_add_co_u32_e64 v14, s[4:5], s33, v14
	v_addc_co_u32_e64 v15, s[4:5], v2, v15, s[4:5]
	global_load_ushort v21, v[14:15], off
.LBB219_511:                            ;   in Loop: Header=BB219_509 Depth=1
	s_or_b64 exec, exec, s[6:7]
	v_cmp_gt_u64_e64 s[4:5], s[60:61], v[8:9]
	s_mov_b64 s[28:29], 0
	s_and_saveexec_b64 s[6:7], s[4:5]
	s_cbranch_execz .LBB219_513
; %bb.512:                              ;   in Loop: Header=BB219_509 Depth=1
	s_waitcnt vmcnt(0)
	v_cmp_lt_i16_e64 s[4:5], -1, v19
	v_cndmask_b32_e64 v2, v17, v18, s[4:5]
	v_lshlrev_b32_e32 v14, 16, v19
	v_xor_b32_sdwa v2, v2, v19 dst_sel:DWORD dst_unused:UNUSED_PAD src0_sel:DWORD src1_sel:WORD_0
	v_cmp_o_f32_e64 s[4:5], v14, v14
	v_cndmask_b32_e64 v2, v17, v2, s[4:5]
	v_cmp_gt_u32_e64 s[4:5], v2, v16
	v_cndmask_b32_e64 v14, 0, 1, s[4:5]
	v_cmp_lt_u32_e64 s[4:5], v2, v16
	v_cndmask_b32_e64 v2, 0, 1, s[4:5]
	v_cndmask_b32_e64 v2, v2, v14, s[44:45]
	v_and_b32_e32 v2, 1, v2
	v_cmp_eq_u32_e64 s[4:5], 1, v2
	s_and_b64 s[28:29], s[4:5], exec
.LBB219_513:                            ;   in Loop: Header=BB219_509 Depth=1
	s_or_b64 exec, exec, s[6:7]
	v_cndmask_b32_e64 v2, 0, 1, s[28:29]
	v_cmp_ne_u32_e64 s[4:5], 0, v2
	s_cmp_lg_u64 s[4:5], 0
	s_cselect_b64 s[6:7], -1, 0
	s_and_b64 s[6:7], s[0:1], s[6:7]
	s_and_saveexec_b64 s[30:31], s[6:7]
	s_cbranch_execz .LBB219_517
; %bb.514:                              ;   in Loop: Header=BB219_509 Depth=1
	s_mov_b64 s[36:37], exec
	v_mbcnt_lo_u32_b32 v2, s36, 0
	v_mbcnt_hi_u32_b32 v14, s37, v2
	s_bcnt1_i32_b64 s42, s[4:5]
	v_cmp_eq_u32_e64 s[6:7], 0, v14
                                        ; implicit-def: $vgpr6_vgpr7
	s_and_saveexec_b64 s[34:35], s[6:7]
	s_cbranch_execz .LBB219_516
; %bb.515:                              ;   in Loop: Header=BB219_509 Depth=1
	s_bcnt1_i32_b64 s6, s[36:37]
	s_mul_i32 s6, s42, s6
	v_mov_b32_e32 v2, s6
	s_waitcnt lgkmcnt(0)
	ds_add_rtn_u64 v[6:7], v3, v[2:3] offset:5136
.LBB219_516:                            ;   in Loop: Header=BB219_509 Depth=1
	s_or_b64 exec, exec, s[34:35]
	s_waitcnt lgkmcnt(0)
	v_readfirstlane_b32 s6, v7
	v_readfirstlane_b32 s7, v6
	v_mov_b32_e32 v6, s7
	v_mov_b32_e32 v7, s6
	v_mad_u64_u32 v[6:7], s[6:7], s42, v14, v[6:7]
.LBB219_517:                            ;   in Loop: Header=BB219_509 Depth=1
	s_or_b64 exec, exec, s[30:31]
	s_waitcnt lgkmcnt(0)
	ds_bpermute_b32 v6, v24, v6
	ds_bpermute_b32 v7, v24, v7
	s_mov_b64 s[6:7], -1
	s_mov_b64 s[36:37], -1
                                        ; implicit-def: $sgpr34_sgpr35
	s_and_saveexec_b64 s[30:31], s[28:29]
	s_cbranch_execz .LBB219_521
; %bb.518:                              ;   in Loop: Header=BB219_509 Depth=1
	v_and_b32_e32 v14, s4, v10
	v_and_b32_e32 v2, s5, v11
	v_bcnt_u32_b32 v14, v14, 0
	v_bcnt_u32_b32 v2, v2, v14
	s_waitcnt lgkmcnt(0)
	v_add_co_u32_e64 v14, s[4:5], v6, v2
	v_addc_co_u32_e64 v15, s[4:5], 0, v7, s[4:5]
	v_cmp_gt_u64_e64 s[4:5], s[62:63], v[14:15]
	s_mov_b64 s[28:29], 0
	s_and_saveexec_b64 s[34:35], s[4:5]
	s_cbranch_execz .LBB219_520
; %bb.519:                              ;   in Loop: Header=BB219_509 Depth=1
	v_mul_lo_u32 v2, v15, s18
	v_mul_lo_u32 v25, v14, s19
	v_mad_u64_u32 v[22:23], s[4:5], v14, s18, 0
	v_add3_u32 v23, v23, v25, v2
	v_mul_lo_u32 v2, v15, s20
	v_mul_lo_u32 v25, v14, s21
	v_mad_u64_u32 v[14:15], s[4:5], v14, s20, 0
	v_lshlrev_b64 v[22:23], 1, v[22:23]
	v_add3_u32 v15, v15, v25, v2
	v_mov_b32_e32 v2, s39
	v_add_co_u32_e64 v22, s[4:5], s38, v22
	v_addc_co_u32_e64 v23, s[4:5], v2, v23, s[4:5]
	v_lshlrev_b64 v[14:15], 3, v[14:15]
	v_mov_b32_e32 v2, s41
	v_add_co_u32_e64 v14, s[4:5], s40, v14
	s_mov_b64 s[28:29], exec
	v_addc_co_u32_e64 v15, s[4:5], v2, v15, s[4:5]
	s_waitcnt vmcnt(0)
	global_store_short v[22:23], v19, off
	global_store_dwordx2 v[14:15], v[8:9], off
.LBB219_520:                            ;   in Loop: Header=BB219_509 Depth=1
	s_or_b64 exec, exec, s[34:35]
	s_mov_b64 s[34:35], -1
	s_orn2_b64 s[36:37], s[28:29], exec
.LBB219_521:                            ;   in Loop: Header=BB219_509 Depth=1
	s_or_b64 exec, exec, s[30:31]
	s_and_saveexec_b64 s[28:29], s[36:37]
	s_cbranch_execz .LBB219_508
; %bb.522:                              ;   in Loop: Header=BB219_509 Depth=1
	v_cmp_le_u64_e64 s[4:5], s[16:17], v[4:5]
	s_andn2_b64 s[34:35], s[34:35], exec
	s_orn2_b64 s[6:7], s[4:5], exec
	s_branch .LBB219_508
.LBB219_523:
	s_or_b64 exec, exec, s[24:25]
	s_mov_b64 s[4:5], exec
	s_orn2_b64 s[24:25], s[26:27], exec
	s_or_b64 exec, exec, s[22:23]
	s_and_saveexec_b64 s[6:7], s[24:25]
	s_cbranch_execz .LBB219_498
.LBB219_524:
	v_mov_b32_e32 v15, 0
	s_waitcnt lgkmcnt(0)
	s_barrier
	s_mov_b64 s[2:3], exec
	v_readlane_b32 s22, v48, 28
	v_readlane_b32 s23, v48, 29
	s_and_b64 s[22:23], s[2:3], s[22:23]
	s_mov_b64 exec, s[22:23]
	s_cbranch_execz .LBB219_526
; %bb.525:
	global_load_ushort v15, v[12:13], off
.LBB219_526:
	s_or_b64 exec, exec, s[2:3]
	s_mov_b64 s[2:3], 0
	s_and_saveexec_b64 s[22:23], vcc
	s_cbranch_execz .LBB219_548
; %bb.527:
	s_mov_b64 s[24:25], 0
	v_mov_b32_e32 v12, s88
	v_mov_b32_e32 v3, 0
	;; [unrolled: 1-line block ×4, first 2 shown]
                                        ; implicit-def: $sgpr26_sgpr27
                                        ; implicit-def: $vgpr4_vgpr5
	s_branch .LBB219_530
.LBB219_528:                            ;   in Loop: Header=BB219_530 Depth=1
	s_or_b64 exec, exec, s[30:31]
	s_orn2_b64 s[34:35], s[34:35], exec
	s_orn2_b64 s[30:31], s[28:29], exec
	s_waitcnt vmcnt(0)
	v_mov_b32_e32 v15, v17
	v_pk_mov_b32 v[0:1], v[6:7], v[6:7] op_sel:[0,1]
.LBB219_529:                            ;   in Loop: Header=BB219_530 Depth=1
	s_or_b64 exec, exec, s[2:3]
	s_xor_b64 s[2:3], s[34:35], -1
	s_and_b64 s[28:29], exec, s[30:31]
	s_or_b64 s[24:25], s[28:29], s[24:25]
	s_andn2_b64 s[26:27], s[26:27], exec
	s_and_b64 s[2:3], s[2:3], exec
	s_or_b64 s[26:27], s[26:27], s[2:3]
	s_andn2_b64 exec, exec, s[24:25]
	s_cbranch_execz .LBB219_546
.LBB219_530:                            ; =>This Inner Loop Header: Depth=1
	v_add_co_u32_e32 v6, vcc, s87, v0
	v_addc_co_u32_e32 v7, vcc, v1, v12, vcc
	v_cmp_gt_u64_e32 vcc, s[60:61], v[6:7]
	s_waitcnt vmcnt(0)
	v_mov_b32_e32 v17, 0
	s_and_saveexec_b64 s[2:3], vcc
	s_cbranch_execz .LBB219_532
; %bb.531:                              ;   in Loop: Header=BB219_530 Depth=1
	v_mul_lo_u32 v2, v7, s58
	v_mul_lo_u32 v17, v6, s59
	v_mad_u64_u32 v[8:9], s[28:29], v6, s58, 0
	v_add3_u32 v9, v9, v17, v2
	v_lshlrev_b64 v[8:9], 1, v[8:9]
	v_mov_b32_e32 v2, s86
	v_add_co_u32_e32 v8, vcc, s33, v8
	v_addc_co_u32_e32 v9, vcc, v2, v9, vcc
	global_load_ushort v17, v[8:9], off
.LBB219_532:                            ;   in Loop: Header=BB219_530 Depth=1
	s_or_b64 exec, exec, s[2:3]
	v_cmp_gt_u64_e32 vcc, s[60:61], v[0:1]
	s_mov_b64 s[28:29], 0
	s_and_saveexec_b64 s[2:3], vcc
	s_cbranch_execz .LBB219_534
; %bb.533:                              ;   in Loop: Header=BB219_530 Depth=1
	s_waitcnt vmcnt(0)
	v_cmp_lt_i16_e32 vcc, -1, v15
	v_cndmask_b32_e32 v2, v13, v14, vcc
	v_lshlrev_b32_e32 v8, 16, v15
	v_xor_b32_sdwa v2, v2, v15 dst_sel:DWORD dst_unused:UNUSED_PAD src0_sel:DWORD src1_sel:WORD_0
	v_cmp_o_f32_e32 vcc, v8, v8
	v_cndmask_b32_e32 v2, v13, v2, vcc
	v_cmp_eq_u32_e32 vcc, v2, v16
	s_and_b64 s[28:29], vcc, exec
.LBB219_534:                            ;   in Loop: Header=BB219_530 Depth=1
	s_or_b64 exec, exec, s[2:3]
	v_cndmask_b32_e64 v2, 0, 1, s[28:29]
	v_cmp_ne_u32_e32 vcc, 0, v2
	s_cmp_lg_u64 vcc, 0
	s_cselect_b64 s[2:3], -1, 0
	s_and_b64 s[2:3], s[0:1], s[2:3]
	s_and_saveexec_b64 s[30:31], s[2:3]
	s_cbranch_execz .LBB219_538
; %bb.535:                              ;   in Loop: Header=BB219_530 Depth=1
	s_mov_b64 s[36:37], exec
	v_mbcnt_lo_u32_b32 v2, s36, 0
	v_mbcnt_hi_u32_b32 v8, s37, v2
	s_bcnt1_i32_b64 s42, vcc
	v_cmp_eq_u32_e64 s[2:3], 0, v8
                                        ; implicit-def: $vgpr4_vgpr5
	s_and_saveexec_b64 s[34:35], s[2:3]
	s_cbranch_execz .LBB219_537
; %bb.536:                              ;   in Loop: Header=BB219_530 Depth=1
	s_bcnt1_i32_b64 s2, s[36:37]
	s_mul_i32 s2, s42, s2
	v_mov_b32_e32 v2, s2
	ds_add_rtn_u64 v[4:5], v3, v[2:3] offset:5136
.LBB219_537:                            ;   in Loop: Header=BB219_530 Depth=1
	s_or_b64 exec, exec, s[34:35]
	s_waitcnt lgkmcnt(0)
	v_readfirstlane_b32 s2, v5
	v_readfirstlane_b32 s3, v4
	v_mov_b32_e32 v4, s3
	v_mov_b32_e32 v5, s2
	v_mad_u64_u32 v[4:5], s[2:3], s42, v8, v[4:5]
.LBB219_538:                            ;   in Loop: Header=BB219_530 Depth=1
	s_or_b64 exec, exec, s[30:31]
	ds_bpermute_b32 v4, v24, v4
	ds_bpermute_b32 v5, v24, v5
	s_cmp_eq_u64 vcc, 0
	s_cselect_b64 s[34:35], -1, 0
	s_mov_b64 s[30:31], -1
	s_waitcnt lgkmcnt(0)
	v_cmp_gt_u64_e64 s[2:3], s[62:63], v[4:5]
	s_or_b64 s[36:37], s[34:35], s[2:3]
	s_mov_b64 s[34:35], -1
	s_and_saveexec_b64 s[2:3], s[36:37]
	s_cbranch_execz .LBB219_529
; %bb.539:                              ;   in Loop: Header=BB219_530 Depth=1
	v_and_b32_e32 v8, vcc_lo, v10
	v_and_b32_e32 v2, vcc_hi, v11
	v_bcnt_u32_b32 v8, v8, 0
	v_bcnt_u32_b32 v2, v2, v8
	v_mov_b32_e32 v9, s63
	v_sub_co_u32_e32 v8, vcc, s62, v4
	v_subb_co_u32_e32 v9, vcc, v9, v5, vcc
	v_cmp_gt_u64_e32 vcc, v[8:9], v[2:3]
	s_and_b64 s[42:43], s[28:29], vcc
	s_mov_b64 s[28:29], -1
	s_mov_b64 s[36:37], -1
	s_and_saveexec_b64 s[30:31], s[42:43]
	s_cbranch_execz .LBB219_543
; %bb.540:                              ;   in Loop: Header=BB219_530 Depth=1
	v_add_co_u32_e32 v8, vcc, v4, v2
	v_addc_co_u32_e32 v9, vcc, 0, v5, vcc
	v_cmp_gt_u64_e32 vcc, s[62:63], v[8:9]
	s_mov_b64 s[36:37], 0
	s_and_saveexec_b64 s[34:35], vcc
	s_cbranch_execz .LBB219_542
; %bb.541:                              ;   in Loop: Header=BB219_530 Depth=1
	v_mul_lo_u32 v2, v9, s18
	v_mul_lo_u32 v20, v8, s19
	s_waitcnt vmcnt(0)
	v_mad_u64_u32 v[18:19], s[42:43], v8, s18, 0
	v_add3_u32 v19, v19, v20, v2
	v_mul_lo_u32 v2, v9, s20
	v_mul_lo_u32 v20, v8, s21
	v_mad_u64_u32 v[8:9], s[42:43], v8, s20, 0
	v_lshlrev_b64 v[18:19], 1, v[18:19]
	v_add3_u32 v9, v9, v20, v2
	v_mov_b32_e32 v2, s39
	v_add_co_u32_e32 v18, vcc, s38, v18
	v_addc_co_u32_e32 v19, vcc, v2, v19, vcc
	v_lshlrev_b64 v[8:9], 3, v[8:9]
	v_mov_b32_e32 v2, s41
	v_add_co_u32_e32 v8, vcc, s40, v8
	s_mov_b64 s[36:37], exec
	v_addc_co_u32_e32 v9, vcc, v2, v9, vcc
	global_store_short v[18:19], v15, off
	global_store_dwordx2 v[8:9], v[0:1], off
.LBB219_542:                            ;   in Loop: Header=BB219_530 Depth=1
	s_or_b64 exec, exec, s[34:35]
	s_xor_b64 s[34:35], exec, -1
	s_orn2_b64 s[36:37], s[36:37], exec
.LBB219_543:                            ;   in Loop: Header=BB219_530 Depth=1
	s_or_b64 exec, exec, s[30:31]
	s_and_saveexec_b64 s[30:31], s[36:37]
	s_cbranch_execz .LBB219_528
; %bb.544:                              ;   in Loop: Header=BB219_530 Depth=1
	v_cmp_le_u64_e32 vcc, s[16:17], v[6:7]
	s_or_b64 s[34:35], s[34:35], exec
	s_orn2_b64 s[28:29], vcc, exec
	s_branch .LBB219_528
.LBB219_545:
	s_or_b64 s[6:7], s[6:7], exec
	s_trap 2
	s_branch .LBB219_505
.LBB219_546:
	s_or_b64 exec, exec, s[24:25]
	s_mov_b64 s[0:1], 0
	s_and_saveexec_b64 s[2:3], s[26:27]
	s_xor_b64 s[2:3], exec, s[2:3]
	s_cbranch_execnz .LBB219_552
.LBB219_547:
	s_or_b64 exec, exec, s[2:3]
	s_and_b64 s[2:3], s[0:1], exec
.LBB219_548:
	s_or_b64 exec, exec, s[22:23]
	s_and_b64 s[2:3], s[2:3], exec
	s_andn2_b64 s[4:5], s[4:5], exec
	s_or_b64 exec, exec, s[6:7]
	s_and_saveexec_b64 s[0:1], s[4:5]
	s_xor_b64 s[0:1], exec, s[0:1]
	s_cbranch_execz .LBB219_499
.LBB219_549:
	s_trap 2
	s_or_b64 s[2:3], s[2:3], exec
	s_branch .LBB219_499
.LBB219_550:
	s_or_b64 s[6:7], s[6:7], exec
	s_trap 2
	s_branch .LBB219_503
.LBB219_551:
	s_trap 2
	s_or_b64 s[6:7], s[6:7], exec
	s_branch .LBB219_501
.LBB219_552:
	s_mov_b64 s[0:1], exec
	s_trap 2
	s_branch .LBB219_547
	.section	.rodata,"a",@progbits
	.p2align	6, 0x0
	.amdhsa_kernel _ZN2at6native6sbtopk10gatherTopKIN3c108BFloat16EmLi2ELb0EEEvNS_4cuda6detail10TensorInfoIKT_T0_EESA_SA_bSA_SA_NS7_IS8_SA_EESA_NS7_IlSA_EESA_PS8_
		.amdhsa_group_segment_fixed_size 5152
		.amdhsa_private_segment_fixed_size 0
		.amdhsa_kernarg_size 1568
		.amdhsa_user_sgpr_count 6
		.amdhsa_user_sgpr_private_segment_buffer 1
		.amdhsa_user_sgpr_dispatch_ptr 0
		.amdhsa_user_sgpr_queue_ptr 0
		.amdhsa_user_sgpr_kernarg_segment_ptr 1
		.amdhsa_user_sgpr_dispatch_id 0
		.amdhsa_user_sgpr_flat_scratch_init 0
		.amdhsa_user_sgpr_kernarg_preload_length 0
		.amdhsa_user_sgpr_kernarg_preload_offset 0
		.amdhsa_user_sgpr_private_segment_size 0
		.amdhsa_uses_dynamic_stack 0
		.amdhsa_system_sgpr_private_segment_wavefront_offset 0
		.amdhsa_system_sgpr_workgroup_id_x 1
		.amdhsa_system_sgpr_workgroup_id_y 1
		.amdhsa_system_sgpr_workgroup_id_z 1
		.amdhsa_system_sgpr_workgroup_info 0
		.amdhsa_system_vgpr_workitem_id 0
		.amdhsa_next_free_vgpr 49
		.amdhsa_next_free_sgpr 96
		.amdhsa_accum_offset 52
		.amdhsa_reserve_vcc 1
		.amdhsa_reserve_flat_scratch 0
		.amdhsa_float_round_mode_32 0
		.amdhsa_float_round_mode_16_64 0
		.amdhsa_float_denorm_mode_32 3
		.amdhsa_float_denorm_mode_16_64 3
		.amdhsa_dx10_clamp 1
		.amdhsa_ieee_mode 1
		.amdhsa_fp16_overflow 0
		.amdhsa_tg_split 0
		.amdhsa_exception_fp_ieee_invalid_op 0
		.amdhsa_exception_fp_denorm_src 0
		.amdhsa_exception_fp_ieee_div_zero 0
		.amdhsa_exception_fp_ieee_overflow 0
		.amdhsa_exception_fp_ieee_underflow 0
		.amdhsa_exception_fp_ieee_inexact 0
		.amdhsa_exception_int_div_zero 0
	.end_amdhsa_kernel
	.section	.text._ZN2at6native6sbtopk10gatherTopKIN3c108BFloat16EmLi2ELb0EEEvNS_4cuda6detail10TensorInfoIKT_T0_EESA_SA_bSA_SA_NS7_IS8_SA_EESA_NS7_IlSA_EESA_PS8_,"axG",@progbits,_ZN2at6native6sbtopk10gatherTopKIN3c108BFloat16EmLi2ELb0EEEvNS_4cuda6detail10TensorInfoIKT_T0_EESA_SA_bSA_SA_NS7_IS8_SA_EESA_NS7_IlSA_EESA_PS8_,comdat
.Lfunc_end219:
	.size	_ZN2at6native6sbtopk10gatherTopKIN3c108BFloat16EmLi2ELb0EEEvNS_4cuda6detail10TensorInfoIKT_T0_EESA_SA_bSA_SA_NS7_IS8_SA_EESA_NS7_IlSA_EESA_PS8_, .Lfunc_end219-_ZN2at6native6sbtopk10gatherTopKIN3c108BFloat16EmLi2ELb0EEEvNS_4cuda6detail10TensorInfoIKT_T0_EESA_SA_bSA_SA_NS7_IS8_SA_EESA_NS7_IlSA_EESA_PS8_
                                        ; -- End function
	.section	.AMDGPU.csdata,"",@progbits
; Kernel info:
; codeLenInByte = 28108
; NumSgprs: 100
; NumVgprs: 49
; NumAgprs: 0
; TotalNumVgprs: 49
; ScratchSize: 0
; MemoryBound: 0
; FloatMode: 240
; IeeeMode: 1
; LDSByteSize: 5152 bytes/workgroup (compile time only)
; SGPRBlocks: 12
; VGPRBlocks: 6
; NumSGPRsForWavesPerEU: 100
; NumVGPRsForWavesPerEU: 49
; AccumOffset: 52
; Occupancy: 8
; WaveLimiterHint : 1
; COMPUTE_PGM_RSRC2:SCRATCH_EN: 0
; COMPUTE_PGM_RSRC2:USER_SGPR: 6
; COMPUTE_PGM_RSRC2:TRAP_HANDLER: 0
; COMPUTE_PGM_RSRC2:TGID_X_EN: 1
; COMPUTE_PGM_RSRC2:TGID_Y_EN: 1
; COMPUTE_PGM_RSRC2:TGID_Z_EN: 1
; COMPUTE_PGM_RSRC2:TIDIG_COMP_CNT: 0
; COMPUTE_PGM_RSRC3_GFX90A:ACCUM_OFFSET: 12
; COMPUTE_PGM_RSRC3_GFX90A:TG_SPLIT: 0
	.section	.text._ZN2at6native6mbtopk23computeBlockDigitCountsIN3c108BFloat16EmjLi3EEEvNS_4cuda6detail10TensorInfoIKT_T0_EEjPjjSA_iijT1_PSD_Ps,"axG",@progbits,_ZN2at6native6mbtopk23computeBlockDigitCountsIN3c108BFloat16EmjLi3EEEvNS_4cuda6detail10TensorInfoIKT_T0_EEjPjjSA_iijT1_PSD_Ps,comdat
	.protected	_ZN2at6native6mbtopk23computeBlockDigitCountsIN3c108BFloat16EmjLi3EEEvNS_4cuda6detail10TensorInfoIKT_T0_EEjPjjSA_iijT1_PSD_Ps ; -- Begin function _ZN2at6native6mbtopk23computeBlockDigitCountsIN3c108BFloat16EmjLi3EEEvNS_4cuda6detail10TensorInfoIKT_T0_EEjPjjSA_iijT1_PSD_Ps
	.globl	_ZN2at6native6mbtopk23computeBlockDigitCountsIN3c108BFloat16EmjLi3EEEvNS_4cuda6detail10TensorInfoIKT_T0_EEjPjjSA_iijT1_PSD_Ps
	.p2align	8
	.type	_ZN2at6native6mbtopk23computeBlockDigitCountsIN3c108BFloat16EmjLi3EEEvNS_4cuda6detail10TensorInfoIKT_T0_EEjPjjSA_iijT1_PSD_Ps,@function
_ZN2at6native6mbtopk23computeBlockDigitCountsIN3c108BFloat16EmjLi3EEEvNS_4cuda6detail10TensorInfoIKT_T0_EEjPjjSA_iijT1_PSD_Ps: ; @_ZN2at6native6mbtopk23computeBlockDigitCountsIN3c108BFloat16EmjLi3EEEvNS_4cuda6detail10TensorInfoIKT_T0_EEjPjjSA_iijT1_PSD_Ps
; %bb.0:
	s_load_dwordx4 s[12:15], s[4:5], 0x1c0
	s_load_dword s2, s[4:5], 0x1b0
	s_load_dwordx2 s[0:1], s[4:5], 0x1e0
	s_mov_b32 s21, 0
	s_waitcnt lgkmcnt(0)
	v_cvt_f32_u32_e32 v1, s14
	s_sub_i32 s3, 0, s14
	s_mul_i32 s1, s1, s8
	s_add_i32 s1, s1, s7
	v_rcp_iflag_f32_e32 v1, v1
	s_mul_i32 s24, s1, s0
	s_add_i32 s24, s24, s6
	v_mul_f32_e32 v1, 0x4f7ffffe, v1
	v_cvt_u32_f32_e32 v1, v1
	v_readfirstlane_b32 s0, v1
	s_mul_i32 s3, s3, s0
	s_mul_hi_u32 s1, s0, s3
	s_add_i32 s0, s0, s1
	s_mul_hi_u32 s0, s24, s0
	s_mul_i32 s1, s0, s14
	s_sub_i32 s1, s24, s1
	s_add_i32 s3, s0, 1
	s_sub_i32 s6, s1, s14
	s_cmp_ge_u32 s1, s14
	s_cselect_b32 s0, s3, s0
	s_cselect_b32 s1, s6, s1
	s_add_i32 s3, s0, 1
	s_cmp_ge_u32 s1, s14
	s_cselect_b32 s20, s3, s0
	s_cmp_ge_u32 s20, s2
	s_cbranch_scc1 .LBB220_27
; %bb.1:
	s_load_dwordx4 s[0:3], s[4:5], 0x1d0
	s_load_dwordx4 s[8:11], s[4:5], 0x10
	s_lshl_b64 s[6:7], s[20:21], 2
	s_waitcnt lgkmcnt(0)
	s_add_u32 s22, s0, s6
	v_pk_mov_b32 v[2:3], s[10:11], s[10:11] op_sel:[0,1]
	v_cmp_lt_u64_e32 vcc, s[20:21], v[2:3]
	s_addc_u32 s23, s1, s7
	s_mov_b64 s[6:7], 0
	s_mov_b64 s[0:1], 0
	s_cbranch_vccnz .LBB220_3
; %bb.2:
	v_cvt_f32_u32_e32 v1, s10
	s_sub_i32 s0, 0, s10
	s_mov_b32 s1, 0
	v_rcp_iflag_f32_e32 v1, v1
	v_mul_f32_e32 v1, 0x4f7ffffe, v1
	v_cvt_u32_f32_e32 v1, v1
	v_readfirstlane_b32 s7, v1
	s_mul_i32 s0, s0, s7
	s_mul_hi_u32 s0, s7, s0
	s_add_i32 s7, s7, s0
	s_mul_hi_u32 s0, s20, s7
	s_mul_i32 s16, s0, s10
	s_sub_i32 s16, s20, s16
	s_add_i32 s7, s0, 1
	s_sub_i32 s17, s16, s10
	s_cmp_ge_u32 s16, s10
	s_cselect_b32 s0, s7, s0
	s_cselect_b32 s16, s17, s16
	s_add_i32 s7, s0, 1
	s_cmp_ge_u32 s16, s10
	s_cselect_b32 s0, s7, s0
.LBB220_3:
	v_pk_mov_b32 v[2:3], s[8:9], s[8:9] op_sel:[0,1]
	v_cmp_lt_u64_e32 vcc, s[0:1], v[2:3]
	s_cbranch_vccnz .LBB220_5
; %bb.4:
	v_cvt_f32_u32_e32 v1, s8
	s_sub_i32 s6, 0, s8
	v_rcp_iflag_f32_e32 v1, v1
	v_mul_f32_e32 v1, 0x4f7ffffe, v1
	v_cvt_u32_f32_e32 v1, v1
	v_readfirstlane_b32 s7, v1
	s_mul_i32 s6, s6, s7
	s_mul_hi_u32 s6, s7, s6
	s_add_i32 s7, s7, s6
	s_mul_hi_u32 s6, s0, s7
	s_mul_i32 s16, s6, s8
	s_sub_i32 s16, s0, s16
	s_add_i32 s7, s6, 1
	s_sub_i32 s17, s16, s8
	s_cmp_ge_u32 s16, s8
	s_cselect_b32 s6, s7, s6
	s_cselect_b32 s16, s17, s16
	s_add_i32 s7, s6, 1
	s_cmp_ge_u32 s16, s8
	s_cselect_b32 s6, s7, s6
.LBB220_5:
	s_movk_i32 s7, 0x100
	v_cmp_gt_u32_e32 vcc, s7, v0
	v_lshlrev_b32_e32 v1, 2, v0
	s_and_saveexec_b64 s[16:17], vcc
	s_cbranch_execz .LBB220_7
; %bb.6:
	v_mov_b32_e32 v2, 0
	ds_write_b32 v1, v2
.LBB220_7:
	s_or_b64 exec, exec, s[16:17]
	s_load_dword s21, s[4:5], 0x1a0
	s_mul_i32 s7, s20, s14
	s_sub_i32 s7, s24, s7
	s_add_i32 s16, s7, 1
	s_mul_i32 s7, s13, s7
	s_lshl_b32 s25, s7, 8
	s_waitcnt lgkmcnt(0)
	s_sub_i32 s7, s21, s25
	s_add_u32 s7, s7, 0xff
	s_addc_u32 s17, 0, 0
	v_mov_b32_e32 v2, s7
	v_alignbit_b32 v2, s17, v2, 8
	s_cmp_lt_u32 s16, s14
	v_readfirstlane_b32 s7, v2
	s_cselect_b32 s14, s13, s7
	s_cmp_lt_i32 s14, 1
	s_mov_b32 s7, 0
	s_barrier
	s_cbranch_scc1 .LBB220_23
; %bb.8:
	s_load_dwordx4 s[16:19], s[4:5], 0xd0
	s_load_dwordx2 s[26:27], s[4:5], 0x0
	s_load_dword s13, s[22:23], 0x0
	s_mul_i32 s11, s0, s11
	s_mul_hi_u32 s22, s0, s10
	s_add_i32 s11, s22, s11
	s_load_dwordx2 s[22:23], s[4:5], 0xe0
	s_mul_i32 s10, s0, s10
	s_sub_u32 s10, s20, s10
	s_subb_u32 s11, 0, s11
	s_mul_i32 s9, s6, s9
	s_waitcnt lgkmcnt(0)
	s_mul_i32 s20, s10, s23
	s_mul_hi_u32 s23, s10, s22
	s_add_i32 s20, s23, s20
	s_mul_i32 s11, s11, s22
	s_add_i32 s11, s20, s11
	s_mul_hi_u32 s20, s6, s8
	s_add_i32 s20, s20, s9
	s_mul_i32 s8, s6, s8
	s_sub_u32 s0, s0, s8
	s_subb_u32 s1, s1, s20
	s_mul_i32 s8, s0, s19
	s_mul_hi_u32 s9, s0, s18
	s_add_i32 s8, s9, s8
	s_mul_i32 s1, s1, s18
	s_add_i32 s1, s8, s1
	s_mul_i32 s8, s6, s17
	s_mul_hi_u32 s9, s6, s16
	s_add_i32 s9, s9, s8
	s_mul_i32 s8, s6, s16
	s_lshl_b64 s[8:9], s[8:9], 1
	s_mul_i32 s0, s0, s18
	s_add_u32 s6, s26, s8
	s_addc_u32 s8, s27, s9
	s_lshl_b64 s[0:1], s[0:1], 1
	s_load_dwordx2 s[4:5], s[4:5], 0x1b8
	s_mul_i32 s10, s10, s22
	s_add_u32 s6, s6, s0
	s_addc_u32 s8, s8, s1
	s_lshl_b64 s[0:1], s[10:11], 1
	s_add_u32 s9, s6, s0
	s_addc_u32 s10, s8, s1
	s_and_b32 s8, s12, 0xff
	s_cmp_eq_u32 s14, 1
	v_add_u32_e32 v2, s25, v0
	s_cbranch_scc1 .LBB220_18
; %bb.9:
	s_and_b32 s11, s14, 0x7ffffffe
	s_mov_b32 s12, 0
	v_mov_b32_e32 v3, 1
	v_mov_b32_e32 v4, 0xffff
	v_mov_b32_e32 v5, 0x8000
	v_mov_b32_e32 v6, v2
	s_branch .LBB220_11
.LBB220_10:                             ;   in Loop: Header=BB220_11 Depth=1
	s_or_b64 exec, exec, s[6:7]
	s_add_i32 s12, s12, 2
	s_cmp_eq_u32 s11, s12
	v_add_u32_e32 v6, 0x200, v6
	s_cbranch_scc1 .LBB220_17
.LBB220_11:                             ; =>This Inner Loop Header: Depth=1
	v_cmp_gt_u32_e64 s[0:1], s21, v6
	s_and_saveexec_b64 s[6:7], s[0:1]
	s_cbranch_execz .LBB220_14
; %bb.12:                               ;   in Loop: Header=BB220_11 Depth=1
	s_waitcnt lgkmcnt(0)
	v_mad_u64_u32 v[8:9], s[0:1], v6, s4, 0
	v_mov_b32_e32 v10, v9
	v_mad_u64_u32 v[10:11], s[0:1], v6, s5, v[10:11]
	v_mov_b32_e32 v9, v10
	v_lshlrev_b64 v[8:9], 1, v[8:9]
	v_mov_b32_e32 v7, s10
	v_add_co_u32_e64 v8, s[0:1], s9, v8
	v_addc_co_u32_e64 v9, s[0:1], v7, v9, s[0:1]
	global_load_ushort v7, v[8:9], off
	s_waitcnt vmcnt(0)
	v_cmp_lt_i16_e64 s[0:1], -1, v7
	v_cndmask_b32_e64 v8, v4, v5, s[0:1]
	v_lshlrev_b32_e32 v9, 16, v7
	v_xor_b32_sdwa v7, v8, v7 dst_sel:DWORD dst_unused:UNUSED_PAD src0_sel:DWORD src1_sel:WORD_0
	v_cmp_o_f32_e64 s[0:1], v9, v9
	v_cndmask_b32_e64 v7, v4, v7, s[0:1]
	v_xor_b32_e32 v8, s13, v7
	v_and_b32_e32 v8, s15, v8
	v_cmp_eq_u32_e64 s[0:1], 0, v8
	s_and_b64 exec, exec, s[0:1]
	s_cbranch_execz .LBB220_14
; %bb.13:                               ;   in Loop: Header=BB220_11 Depth=1
	v_bfe_u32 v7, v7, s8, 8
	v_lshlrev_b32_e32 v7, 2, v7
	ds_add_u32 v7, v3
.LBB220_14:                             ;   in Loop: Header=BB220_11 Depth=1
	s_or_b64 exec, exec, s[6:7]
	v_add_u32_e32 v7, 0x100, v6
	v_cmp_gt_u32_e64 s[0:1], s21, v7
	s_and_saveexec_b64 s[6:7], s[0:1]
	s_cbranch_execz .LBB220_10
; %bb.15:                               ;   in Loop: Header=BB220_11 Depth=1
	s_waitcnt lgkmcnt(0)
	v_mad_u64_u32 v[8:9], s[0:1], v7, s4, 0
	v_mov_b32_e32 v10, v9
	v_mad_u64_u32 v[10:11], s[0:1], v7, s5, v[10:11]
	v_mov_b32_e32 v9, v10
	v_lshlrev_b64 v[8:9], 1, v[8:9]
	v_mov_b32_e32 v7, s10
	v_add_co_u32_e64 v8, s[0:1], s9, v8
	v_addc_co_u32_e64 v9, s[0:1], v7, v9, s[0:1]
	global_load_ushort v7, v[8:9], off
	s_waitcnt vmcnt(0)
	v_cmp_lt_i16_e64 s[0:1], -1, v7
	v_cndmask_b32_e64 v8, v4, v5, s[0:1]
	v_lshlrev_b32_e32 v9, 16, v7
	v_xor_b32_sdwa v7, v8, v7 dst_sel:DWORD dst_unused:UNUSED_PAD src0_sel:DWORD src1_sel:WORD_0
	v_cmp_o_f32_e64 s[0:1], v9, v9
	v_cndmask_b32_e64 v7, v4, v7, s[0:1]
	v_xor_b32_e32 v8, s13, v7
	v_and_b32_e32 v8, s15, v8
	v_cmp_eq_u32_e64 s[0:1], 0, v8
	s_and_b64 exec, exec, s[0:1]
	s_cbranch_execz .LBB220_10
; %bb.16:                               ;   in Loop: Header=BB220_11 Depth=1
	v_bfe_u32 v7, v7, s8, 8
	v_lshlrev_b32_e32 v7, 2, v7
	ds_add_u32 v7, v3
	s_branch .LBB220_10
.LBB220_17:
	s_lshl_b32 s7, s11, 8
.LBB220_18:
	s_bitcmp0_b32 s14, 0
	s_cbranch_scc1 .LBB220_23
; %bb.19:
	v_add_u32_e32 v2, s7, v2
	v_cmp_gt_u32_e64 s[0:1], s21, v2
	s_and_saveexec_b64 s[6:7], s[0:1]
	s_cbranch_execz .LBB220_22
; %bb.20:
	s_waitcnt lgkmcnt(0)
	v_mad_u64_u32 v[4:5], s[0:1], v2, s4, 0
	v_mov_b32_e32 v6, v5
	v_mad_u64_u32 v[2:3], s[0:1], v2, s5, v[6:7]
	v_mov_b32_e32 v5, v2
	v_lshlrev_b64 v[2:3], 1, v[4:5]
	v_mov_b32_e32 v4, s10
	v_add_co_u32_e64 v2, s[0:1], s9, v2
	v_addc_co_u32_e64 v3, s[0:1], v4, v3, s[0:1]
	global_load_ushort v2, v[2:3], off
	v_mov_b32_e32 v3, 0xffff
	v_mov_b32_e32 v4, 0x8000
	s_waitcnt vmcnt(0)
	v_cmp_lt_i16_e64 s[0:1], -1, v2
	v_cndmask_b32_e64 v4, v3, v4, s[0:1]
	v_lshlrev_b32_e32 v5, 16, v2
	v_xor_b32_sdwa v2, v4, v2 dst_sel:DWORD dst_unused:UNUSED_PAD src0_sel:DWORD src1_sel:WORD_0
	v_cmp_o_f32_e64 s[0:1], v5, v5
	v_cndmask_b32_e64 v2, v3, v2, s[0:1]
	v_xor_b32_e32 v3, s13, v2
	v_and_b32_e32 v3, s15, v3
	v_cmp_eq_u32_e64 s[0:1], 0, v3
	s_and_b64 exec, exec, s[0:1]
	s_cbranch_execz .LBB220_22
; %bb.21:
	v_bfe_u32 v2, v2, s8, 8
	v_lshlrev_b32_e32 v2, 2, v2
	v_mov_b32_e32 v3, 1
	ds_add_u32 v2, v3
.LBB220_22:
	s_or_b64 exec, exec, s[6:7]
.LBB220_23:
	v_mov_b32_e32 v2, 0
	s_waitcnt lgkmcnt(0)
	s_barrier
	s_and_saveexec_b64 s[0:1], vcc
	s_cbranch_execz .LBB220_25
; %bb.24:
	ds_read_b32 v2, v1
.LBB220_25:
	s_or_b64 exec, exec, s[0:1]
	s_and_saveexec_b64 s[0:1], vcc
	s_cbranch_execz .LBB220_27
; %bb.26:
	v_lshl_or_b32 v0, s24, 8, v0
	v_mov_b32_e32 v1, 0
	v_lshlrev_b64 v[0:1], 1, v[0:1]
	v_mov_b32_e32 v3, s3
	v_add_co_u32_e32 v0, vcc, s2, v0
	v_addc_co_u32_e32 v1, vcc, v3, v1, vcc
	s_waitcnt lgkmcnt(0)
	global_store_short v[0:1], v2, off
.LBB220_27:
	s_endpgm
	.section	.rodata,"a",@progbits
	.p2align	6, 0x0
	.amdhsa_kernel _ZN2at6native6mbtopk23computeBlockDigitCountsIN3c108BFloat16EmjLi3EEEvNS_4cuda6detail10TensorInfoIKT_T0_EEjPjjSA_iijT1_PSD_Ps
		.amdhsa_group_segment_fixed_size 1024
		.amdhsa_private_segment_fixed_size 0
		.amdhsa_kernarg_size 736
		.amdhsa_user_sgpr_count 6
		.amdhsa_user_sgpr_private_segment_buffer 1
		.amdhsa_user_sgpr_dispatch_ptr 0
		.amdhsa_user_sgpr_queue_ptr 0
		.amdhsa_user_sgpr_kernarg_segment_ptr 1
		.amdhsa_user_sgpr_dispatch_id 0
		.amdhsa_user_sgpr_flat_scratch_init 0
		.amdhsa_user_sgpr_kernarg_preload_length 0
		.amdhsa_user_sgpr_kernarg_preload_offset 0
		.amdhsa_user_sgpr_private_segment_size 0
		.amdhsa_uses_dynamic_stack 0
		.amdhsa_system_sgpr_private_segment_wavefront_offset 0
		.amdhsa_system_sgpr_workgroup_id_x 1
		.amdhsa_system_sgpr_workgroup_id_y 1
		.amdhsa_system_sgpr_workgroup_id_z 1
		.amdhsa_system_sgpr_workgroup_info 0
		.amdhsa_system_vgpr_workitem_id 0
		.amdhsa_next_free_vgpr 12
		.amdhsa_next_free_sgpr 28
		.amdhsa_accum_offset 12
		.amdhsa_reserve_vcc 1
		.amdhsa_reserve_flat_scratch 0
		.amdhsa_float_round_mode_32 0
		.amdhsa_float_round_mode_16_64 0
		.amdhsa_float_denorm_mode_32 3
		.amdhsa_float_denorm_mode_16_64 3
		.amdhsa_dx10_clamp 1
		.amdhsa_ieee_mode 1
		.amdhsa_fp16_overflow 0
		.amdhsa_tg_split 0
		.amdhsa_exception_fp_ieee_invalid_op 0
		.amdhsa_exception_fp_denorm_src 0
		.amdhsa_exception_fp_ieee_div_zero 0
		.amdhsa_exception_fp_ieee_overflow 0
		.amdhsa_exception_fp_ieee_underflow 0
		.amdhsa_exception_fp_ieee_inexact 0
		.amdhsa_exception_int_div_zero 0
	.end_amdhsa_kernel
	.section	.text._ZN2at6native6mbtopk23computeBlockDigitCountsIN3c108BFloat16EmjLi3EEEvNS_4cuda6detail10TensorInfoIKT_T0_EEjPjjSA_iijT1_PSD_Ps,"axG",@progbits,_ZN2at6native6mbtopk23computeBlockDigitCountsIN3c108BFloat16EmjLi3EEEvNS_4cuda6detail10TensorInfoIKT_T0_EEjPjjSA_iijT1_PSD_Ps,comdat
.Lfunc_end220:
	.size	_ZN2at6native6mbtopk23computeBlockDigitCountsIN3c108BFloat16EmjLi3EEEvNS_4cuda6detail10TensorInfoIKT_T0_EEjPjjSA_iijT1_PSD_Ps, .Lfunc_end220-_ZN2at6native6mbtopk23computeBlockDigitCountsIN3c108BFloat16EmjLi3EEEvNS_4cuda6detail10TensorInfoIKT_T0_EEjPjjSA_iijT1_PSD_Ps
                                        ; -- End function
	.section	.AMDGPU.csdata,"",@progbits
; Kernel info:
; codeLenInByte = 1444
; NumSgprs: 32
; NumVgprs: 12
; NumAgprs: 0
; TotalNumVgprs: 12
; ScratchSize: 0
; MemoryBound: 0
; FloatMode: 240
; IeeeMode: 1
; LDSByteSize: 1024 bytes/workgroup (compile time only)
; SGPRBlocks: 3
; VGPRBlocks: 1
; NumSGPRsForWavesPerEU: 32
; NumVGPRsForWavesPerEU: 12
; AccumOffset: 12
; Occupancy: 8
; WaveLimiterHint : 1
; COMPUTE_PGM_RSRC2:SCRATCH_EN: 0
; COMPUTE_PGM_RSRC2:USER_SGPR: 6
; COMPUTE_PGM_RSRC2:TRAP_HANDLER: 0
; COMPUTE_PGM_RSRC2:TGID_X_EN: 1
; COMPUTE_PGM_RSRC2:TGID_Y_EN: 1
; COMPUTE_PGM_RSRC2:TGID_Z_EN: 1
; COMPUTE_PGM_RSRC2:TIDIG_COMP_CNT: 0
; COMPUTE_PGM_RSRC3_GFX90A:ACCUM_OFFSET: 2
; COMPUTE_PGM_RSRC3_GFX90A:TG_SPLIT: 0
	.section	.text._ZN2at6native6mbtopk10gatherTopKIN3c108BFloat16EmLi3EEEvNS_4cuda6detail10TensorInfoIKT_T0_EESA_SA_bjSA_NS7_IS8_SA_EESA_NS7_IlSA_EESA_jjPS8_PjSF_j,"axG",@progbits,_ZN2at6native6mbtopk10gatherTopKIN3c108BFloat16EmLi3EEEvNS_4cuda6detail10TensorInfoIKT_T0_EESA_SA_bjSA_NS7_IS8_SA_EESA_NS7_IlSA_EESA_jjPS8_PjSF_j,comdat
	.protected	_ZN2at6native6mbtopk10gatherTopKIN3c108BFloat16EmLi3EEEvNS_4cuda6detail10TensorInfoIKT_T0_EESA_SA_bjSA_NS7_IS8_SA_EESA_NS7_IlSA_EESA_jjPS8_PjSF_j ; -- Begin function _ZN2at6native6mbtopk10gatherTopKIN3c108BFloat16EmLi3EEEvNS_4cuda6detail10TensorInfoIKT_T0_EESA_SA_bjSA_NS7_IS8_SA_EESA_NS7_IlSA_EESA_jjPS8_PjSF_j
	.globl	_ZN2at6native6mbtopk10gatherTopKIN3c108BFloat16EmLi3EEEvNS_4cuda6detail10TensorInfoIKT_T0_EESA_SA_bjSA_NS7_IS8_SA_EESA_NS7_IlSA_EESA_jjPS8_PjSF_j
	.p2align	8
	.type	_ZN2at6native6mbtopk10gatherTopKIN3c108BFloat16EmLi3EEEvNS_4cuda6detail10TensorInfoIKT_T0_EESA_SA_bjSA_NS7_IS8_SA_EESA_NS7_IlSA_EESA_jjPS8_PjSF_j,@function
_ZN2at6native6mbtopk10gatherTopKIN3c108BFloat16EmLi3EEEvNS_4cuda6detail10TensorInfoIKT_T0_EESA_SA_bjSA_NS7_IS8_SA_EESA_NS7_IlSA_EESA_jjPS8_PjSF_j: ; @_ZN2at6native6mbtopk10gatherTopKIN3c108BFloat16EmLi3EEEvNS_4cuda6detail10TensorInfoIKT_T0_EESA_SA_bjSA_NS7_IS8_SA_EESA_NS7_IlSA_EESA_jjPS8_PjSF_j
; %bb.0:
	s_load_dwordx2 s[0:1], s[4:5], 0x538
	s_load_dword s2, s[4:5], 0x530
	s_waitcnt lgkmcnt(0)
	s_mul_i32 s1, s1, s8
	s_add_i32 s1, s1, s7
	s_mul_i32 s0, s1, s0
	s_add_i32 s0, s0, s6
	s_cmp_ge_u32 s0, s2
	s_cbranch_scc1 .LBB221_54
; %bb.1:
	s_load_dwordx2 s[34:35], s[4:5], 0x510
	s_load_dwordx4 s[8:11], s[4:5], 0x1a0
	s_load_dwordx4 s[12:15], s[4:5], 0x10
	s_mov_b32 s7, 0
	s_waitcnt lgkmcnt(0)
	v_cvt_f32_u32_e32 v1, s35
	s_sub_i32 s2, 0, s35
	s_lshl_b32 s1, s34, 8
	v_rcp_iflag_f32_e32 v1, v1
	v_mul_f32_e32 v1, 0x4f7ffffe, v1
	v_cvt_u32_f32_e32 v1, v1
	v_readfirstlane_b32 s3, v1
	s_mul_i32 s2, s2, s3
	s_mul_hi_u32 s2, s3, s2
	s_add_i32 s3, s3, s2
	s_mul_hi_u32 s2, s0, s3
	s_mul_i32 s3, s2, s35
	s_sub_i32 s3, s0, s3
	s_add_i32 s6, s2, 1
	s_sub_i32 s16, s3, s35
	s_cmp_ge_u32 s3, s35
	s_cselect_b32 s2, s6, s2
	s_cselect_b32 s3, s16, s3
	s_add_i32 s6, s2, 1
	s_cmp_ge_u32 s3, s35
	s_cselect_b32 s6, s6, s2
	s_mul_i32 s52, s6, s35
	s_sub_i32 s76, s0, s52
	s_add_i32 s0, s76, 1
	s_cmp_lt_u32 s0, s35
	s_mul_i32 s33, s76, s1
	s_cbranch_scc1 .LBB221_3
; %bb.2:
	s_sub_u32 s0, s8, s33
	s_subb_u32 s1, s9, 0
	s_add_u32 s0, s0, 0xff
	s_addc_u32 s1, s1, 0
	s_ashr_i32 s2, s1, 31
	s_lshr_b32 s2, s2, 24
	s_add_u32 s0, s0, s2
	s_addc_u32 s1, s1, 0
	v_mov_b32_e32 v1, s0
	v_alignbit_b32 v1, s1, v1, 8
	v_readfirstlane_b32 s34, v1
.LBB221_3:
	v_pk_mov_b32 v[2:3], s[14:15], s[14:15] op_sel:[0,1]
	v_cmp_lt_u64_e32 vcc, s[6:7], v[2:3]
	s_mov_b64 s[50:51], 0
	s_mov_b64 s[48:49], 0
	s_cbranch_vccnz .LBB221_5
; %bb.4:
	v_cvt_f32_u32_e32 v1, s14
	s_sub_i32 s0, 0, s14
	s_mov_b32 s49, 0
	v_rcp_iflag_f32_e32 v1, v1
	v_mul_f32_e32 v1, 0x4f7ffffe, v1
	v_cvt_u32_f32_e32 v1, v1
	v_readfirstlane_b32 s1, v1
	s_mul_i32 s0, s0, s1
	s_mul_hi_u32 s0, s1, s0
	s_add_i32 s1, s1, s0
	s_mul_hi_u32 s0, s6, s1
	s_mul_i32 s2, s0, s14
	s_sub_i32 s2, s6, s2
	s_add_i32 s1, s0, 1
	s_sub_i32 s3, s2, s14
	s_cmp_ge_u32 s2, s14
	s_cselect_b32 s0, s1, s0
	s_cselect_b32 s2, s3, s2
	s_add_i32 s1, s0, 1
	s_cmp_ge_u32 s2, s14
	s_cselect_b32 s48, s1, s0
.LBB221_5:
	s_load_dwordx4 s[16:19], s[4:5], 0x1d0
	v_pk_mov_b32 v[2:3], s[12:13], s[12:13] op_sel:[0,1]
	v_cmp_lt_u64_e32 vcc, s[48:49], v[2:3]
	s_cbranch_vccnz .LBB221_7
; %bb.6:
	v_cvt_f32_u32_e32 v1, s12
	s_sub_i32 s0, 0, s12
	v_rcp_iflag_f32_e32 v1, v1
	v_mul_f32_e32 v1, 0x4f7ffffe, v1
	v_cvt_u32_f32_e32 v1, v1
	v_readfirstlane_b32 s1, v1
	s_mul_i32 s0, s0, s1
	s_mul_hi_u32 s0, s1, s0
	s_add_i32 s1, s1, s0
	s_mul_hi_u32 s0, s48, s1
	s_mul_i32 s2, s0, s12
	s_sub_i32 s2, s48, s2
	s_add_i32 s1, s0, 1
	s_sub_i32 s3, s2, s12
	s_cmp_ge_u32 s2, s12
	s_cselect_b32 s0, s1, s0
	s_cselect_b32 s2, s3, s2
	s_add_i32 s1, s0, 1
	s_cmp_ge_u32 s2, s12
	s_cselect_b32 s50, s1, s0
.LBB221_7:
	s_waitcnt lgkmcnt(0)
	v_pk_mov_b32 v[2:3], s[18:19], s[18:19] op_sel:[0,1]
	v_cmp_lt_u64_e32 vcc, s[6:7], v[2:3]
	s_mov_b64 s[56:57], 0
	s_mov_b64 s[54:55], 0
	s_cbranch_vccnz .LBB221_9
; %bb.8:
	v_cvt_f32_u32_e32 v1, s18
	s_sub_i32 s0, 0, s18
	s_mov_b32 s55, 0
	v_rcp_iflag_f32_e32 v1, v1
	v_mul_f32_e32 v1, 0x4f7ffffe, v1
	v_cvt_u32_f32_e32 v1, v1
	v_readfirstlane_b32 s1, v1
	s_mul_i32 s0, s0, s1
	s_mul_hi_u32 s0, s1, s0
	s_add_i32 s1, s1, s0
	s_mul_hi_u32 s0, s6, s1
	s_mul_i32 s2, s0, s18
	s_sub_i32 s2, s6, s2
	s_add_i32 s1, s0, 1
	s_sub_i32 s3, s2, s18
	s_cmp_ge_u32 s2, s18
	s_cselect_b32 s0, s1, s0
	s_cselect_b32 s2, s3, s2
	s_add_i32 s1, s0, 1
	s_cmp_ge_u32 s2, s18
	s_cselect_b32 s54, s1, s0
.LBB221_9:
	s_load_dwordx4 s[28:31], s[4:5], 0x378
	v_pk_mov_b32 v[2:3], s[16:17], s[16:17] op_sel:[0,1]
	v_cmp_lt_u64_e32 vcc, s[54:55], v[2:3]
	s_cbranch_vccnz .LBB221_11
; %bb.10:
	v_cvt_f32_u32_e32 v1, s16
	s_sub_i32 s0, 0, s16
	v_rcp_iflag_f32_e32 v1, v1
	v_mul_f32_e32 v1, 0x4f7ffffe, v1
	v_cvt_u32_f32_e32 v1, v1
	v_readfirstlane_b32 s1, v1
	s_mul_i32 s0, s0, s1
	s_mul_hi_u32 s0, s1, s0
	s_add_i32 s1, s1, s0
	s_mul_hi_u32 s0, s54, s1
	s_mul_i32 s2, s0, s16
	s_sub_i32 s2, s54, s2
	s_add_i32 s1, s0, 1
	s_sub_i32 s3, s2, s16
	s_cmp_ge_u32 s2, s16
	s_cselect_b32 s0, s1, s0
	s_cselect_b32 s2, s3, s2
	s_add_i32 s1, s0, 1
	s_cmp_ge_u32 s2, s16
	s_cselect_b32 s56, s1, s0
.LBB221_11:
	s_waitcnt lgkmcnt(0)
	v_pk_mov_b32 v[2:3], s[30:31], s[30:31] op_sel:[0,1]
	v_cmp_lt_u64_e32 vcc, s[6:7], v[2:3]
	s_mov_b64 s[58:59], 0
	s_mov_b64 s[60:61], 0
	s_cbranch_vccnz .LBB221_13
; %bb.12:
	v_cvt_f32_u32_e32 v1, s30
	s_sub_i32 s0, 0, s30
	s_mov_b32 s61, 0
	v_rcp_iflag_f32_e32 v1, v1
	v_mul_f32_e32 v1, 0x4f7ffffe, v1
	v_cvt_u32_f32_e32 v1, v1
	v_readfirstlane_b32 s1, v1
	s_mul_i32 s0, s0, s1
	s_mul_hi_u32 s0, s1, s0
	s_add_i32 s1, s1, s0
	s_mul_hi_u32 s0, s6, s1
	s_mul_i32 s2, s0, s30
	s_sub_i32 s2, s6, s2
	s_add_i32 s1, s0, 1
	s_sub_i32 s3, s2, s30
	s_cmp_ge_u32 s2, s30
	s_cselect_b32 s0, s1, s0
	s_cselect_b32 s2, s3, s2
	s_add_i32 s1, s0, 1
	s_cmp_ge_u32 s2, s30
	s_cselect_b32 s60, s1, s0
.LBB221_13:
	s_load_dwordx2 s[62:63], s[4:5], 0xe0
	s_load_dwordx4 s[40:43], s[4:5], 0xd0
	s_load_dwordx2 s[66:67], s[4:5], 0x2a0
	s_load_dwordx4 s[44:47], s[4:5], 0x290
	;; [unrolled: 2-line block ×3, first 2 shown]
	v_pk_mov_b32 v[2:3], s[28:29], s[28:29] op_sel:[0,1]
	v_cmp_lt_u64_e32 vcc, s[60:61], v[2:3]
	s_cbranch_vccnz .LBB221_15
; %bb.14:
	v_cvt_f32_u32_e32 v1, s28
	s_sub_i32 s0, 0, s28
	v_rcp_iflag_f32_e32 v1, v1
	v_mul_f32_e32 v1, 0x4f7ffffe, v1
	v_cvt_u32_f32_e32 v1, v1
	v_readfirstlane_b32 s1, v1
	s_mul_i32 s0, s0, s1
	s_mul_hi_u32 s0, s1, s0
	s_add_i32 s1, s1, s0
	s_mul_hi_u32 s0, s60, s1
	s_mul_i32 s2, s0, s28
	s_sub_i32 s2, s60, s2
	s_add_i32 s1, s0, 1
	s_sub_i32 s3, s2, s28
	s_cmp_ge_u32 s2, s28
	s_cselect_b32 s0, s1, s0
	s_cselect_b32 s2, s3, s2
	s_add_i32 s1, s0, 1
	s_cmp_ge_u32 s2, s28
	s_cselect_b32 s58, s1, s0
.LBB221_15:
	s_load_dwordx4 s[20:23], s[4:5], 0x518
	s_load_dwordx2 s[64:65], s[4:5], 0x0
	s_lshl_b64 s[0:1], s[6:7], 1
	v_mov_b32_e32 v1, 0
	s_mov_b32 s53, 0
	s_waitcnt lgkmcnt(0)
	s_add_u32 s0, s20, s0
	s_addc_u32 s1, s21, s1
	global_load_ushort v1, v1, s[0:1]
	v_cmp_ne_u32_e64 s[0:1], 0, v0
	v_cmp_eq_u32_e64 s[2:3], 0, v0
	s_waitcnt vmcnt(0)
	v_readfirstlane_b32 s7, v1
	s_and_saveexec_b64 s[20:21], s[2:3]
	s_cbranch_execz .LBB221_31
; %bb.16:
	s_load_dwordx2 s[70:71], s[4:5], 0x528
	s_lshl_b64 s[72:73], s[52:53], 2
	s_add_u32 s24, s22, s72
	s_addc_u32 s25, s23, s73
	s_mov_b32 s51, 0
	s_waitcnt lgkmcnt(0)
	s_add_u32 s26, s70, s72
	s_addc_u32 s27, s71, s73
	s_mov_b32 s52, 0
	s_cmp_lt_u32 s35, 4
	s_cbranch_scc1 .LBB221_28
; %bb.17:
	s_mov_b32 s57, 0
.LBB221_18:                             ; =>This Inner Loop Header: Depth=1
	s_add_u32 s24, s22, s72
	s_addc_u32 s25, s23, s73
	s_load_dwordx4 s[24:27], s[24:25], 0x0
	s_add_u32 s74, s70, s72
	s_addc_u32 s75, s71, s73
	s_cmp_ge_u32 s57, s76
	s_cbranch_scc0 .LBB221_25
; %bb.19:                               ;   in Loop: Header=BB221_18 Depth=1
	s_add_i32 s59, s57, 1
	s_cmp_ge_u32 s59, s76
	s_cbranch_scc0 .LBB221_26
.LBB221_20:                             ;   in Loop: Header=BB221_18 Depth=1
	s_add_i32 s59, s59, 1
	s_cmp_ge_u32 s59, s76
	s_cbranch_scc0 .LBB221_27
.LBB221_21:                             ;   in Loop: Header=BB221_18 Depth=1
	s_add_i32 s59, s59, 1
	s_cmp_ge_u32 s59, s76
	s_cbranch_scc1 .LBB221_23
.LBB221_22:                             ;   in Loop: Header=BB221_18 Depth=1
	s_load_dword s74, s[74:75], 0xc
	s_waitcnt lgkmcnt(0)
	s_add_i32 s53, s53, s27
	s_add_i32 s51, s74, s51
.LBB221_23:                             ;   in Loop: Header=BB221_18 Depth=1
	s_waitcnt lgkmcnt(0)
	s_add_i32 s24, s24, s52
	s_add_i32 s24, s24, s25
	;; [unrolled: 1-line block ×4, first 2 shown]
	s_add_u32 s22, s22, 16
	s_addc_u32 s23, s23, 0
	s_add_u32 s70, s70, 16
	s_addc_u32 s71, s71, 0
	s_add_i32 s74, s59, 4
	s_add_u32 s26, s70, s72
	s_addc_u32 s27, s71, s73
	s_add_u32 s24, s22, s72
	s_addc_u32 s25, s23, s73
	s_add_i32 s59, s59, 1
	s_cmp_ge_u32 s74, s35
	s_cbranch_scc1 .LBB221_29
; %bb.24:                               ;   in Loop: Header=BB221_18 Depth=1
	s_mov_b32 s57, s59
	s_branch .LBB221_18
.LBB221_25:                             ;   in Loop: Header=BB221_18 Depth=1
	s_load_dword s59, s[74:75], 0x0
	s_waitcnt lgkmcnt(0)
	s_add_i32 s53, s24, s53
	s_add_i32 s51, s59, s51
	;; [unrolled: 1-line block ×3, first 2 shown]
	s_cmp_ge_u32 s59, s76
	s_cbranch_scc1 .LBB221_20
.LBB221_26:                             ;   in Loop: Header=BB221_18 Depth=1
	s_load_dword s77, s[74:75], 0x4
	s_waitcnt lgkmcnt(0)
	s_add_i32 s53, s53, s25
	s_add_i32 s51, s77, s51
	;; [unrolled: 1-line block ×3, first 2 shown]
	s_cmp_ge_u32 s59, s76
	s_cbranch_scc1 .LBB221_21
.LBB221_27:                             ;   in Loop: Header=BB221_18 Depth=1
	s_load_dword s77, s[74:75], 0x8
	s_waitcnt lgkmcnt(0)
	s_add_i32 s53, s53, s26
	s_add_i32 s51, s77, s51
	;; [unrolled: 1-line block ×3, first 2 shown]
	s_cmp_ge_u32 s59, s76
	s_cbranch_scc0 .LBB221_22
	s_branch .LBB221_23
.LBB221_28:
	s_mov_b32 s22, 0
	s_cmp_ge_u32 s22, s35
	s_cbranch_scc0 .LBB221_52
	s_branch .LBB221_30
.LBB221_29:
	s_add_i32 s22, s57, 4
	s_cmp_ge_u32 s22, s35
	s_cbranch_scc0 .LBB221_52
.LBB221_30:
	v_mov_b32_e32 v2, s51
	v_mov_b32_e32 v3, s52
	;; [unrolled: 1-line block ×4, first 2 shown]
	ds_write_b96 v1, v[2:4] offset:1056
.LBB221_31:
	s_or_b64 exec, exec, s[20:21]
	s_load_dwordx4 s[20:23], s[4:5], 0x1b8
	s_load_dwordx4 s[24:27], s[4:5], 0x360
	s_cmp_eq_u32 s34, 0
	s_waitcnt lgkmcnt(0)
	s_barrier
	s_cbranch_scc1 .LBB221_54
; %bb.32:
	s_mul_i32 s31, s60, s31
	s_mul_hi_u32 s35, s60, s30
	s_add_i32 s35, s35, s31
	s_mul_i32 s30, s60, s30
	s_sub_u32 s30, s6, s30
	s_subb_u32 s31, 0, s35
	s_mul_i32 s35, s30, s69
	s_mul_hi_u32 s51, s30, s68
	s_add_i32 s35, s51, s35
	s_mul_i32 s31, s31, s68
	s_add_i32 s31, s35, s31
	s_mul_i32 s17, s56, s17
	s_mul_hi_u32 s35, s56, s16
	s_add_i32 s35, s35, s17
	s_mul_i32 s16, s56, s16
	s_sub_u32 s16, s54, s16
	s_subb_u32 s17, s55, s35
	s_mul_i32 s35, s16, s47
	s_mul_hi_u32 s47, s16, s46
	s_add_i32 s35, s47, s35
	s_mul_i32 s17, s17, s46
	s_add_i32 s47, s35, s17
	s_mul_i32 s46, s16, s46
	s_mul_i32 s16, s56, s45
	s_mul_hi_u32 s17, s56, s44
	s_add_i32 s45, s17, s16
	s_mul_i32 s16, s54, s19
	s_mul_hi_u32 s17, s54, s18
	s_add_i32 s17, s17, s16
	s_mul_i32 s16, s54, s18
	s_sub_u32 s16, s6, s16
	s_subb_u32 s17, 0, s17
	s_mul_i32 s18, s16, s67
	s_mul_hi_u32 s19, s16, s66
	s_add_i32 s18, s19, s18
	s_mul_i32 s17, s17, s66
	s_add_i32 s19, s18, s17
	s_mul_i32 s18, s16, s66
	s_mul_i32 s13, s50, s13
	s_mul_hi_u32 s16, s50, s12
	s_add_i32 s16, s16, s13
	s_mul_i32 s12, s50, s12
	s_sub_u32 s12, s48, s12
	s_subb_u32 s13, s49, s16
	s_mul_i32 s16, s12, s43
	s_mul_hi_u32 s17, s12, s42
	s_add_i32 s16, s17, s16
	s_mul_i32 s13, s13, s42
	s_add_i32 s13, s16, s13
	s_mul_i32 s16, s50, s41
	s_mul_hi_u32 s17, s50, s40
	s_mul_i32 s15, s48, s15
	s_mul_hi_u32 s35, s48, s14
	s_add_i32 s17, s17, s16
	s_add_i32 s35, s35, s15
	s_mul_i32 s14, s48, s14
	s_sub_u32 s6, s6, s14
	s_subb_u32 s14, 0, s35
	s_mul_i32 s15, s6, s63
	s_mul_hi_u32 s35, s6, s62
	s_add_i32 s15, s35, s15
	s_mul_i32 s14, s14, s62
	s_add_i32 s15, s15, s14
	s_mul_i32 s14, s6, s62
	s_mul_i32 s6, s58, s29
	s_mul_hi_u32 s29, s58, s28
	s_add_i32 s29, s29, s6
	s_mul_i32 s6, s58, s28
	s_sub_u32 s6, s60, s6
	s_subb_u32 s28, s61, s29
	s_mul_i32 s29, s6, s39
	s_mul_hi_u32 s35, s6, s38
	s_add_i32 s29, s35, s29
	s_mul_i32 s28, s28, s38
	s_mul_i32 s16, s50, s40
	s_add_i32 s29, s29, s28
	s_mul_i32 s28, s6, s38
	s_mul_i32 s6, s58, s37
	s_mul_hi_u32 s35, s58, s36
	s_add_i32 s37, s35, s6
	s_lshl_b64 s[16:17], s[16:17], 1
	s_mul_i32 s12, s12, s42
	s_add_u32 s6, s64, s16
	s_addc_u32 s16, s65, s17
	s_lshl_b64 s[12:13], s[12:13], 1
	s_add_u32 s6, s6, s12
	s_addc_u32 s17, s16, s13
	s_lshl_b64 s[12:13], s[14:15], 1
	s_mul_i32 s44, s56, s44
	s_add_u32 s16, s6, s12
	s_addc_u32 s17, s17, s13
	s_lshl_b64 s[12:13], s[44:45], 1
	s_add_u32 s6, s22, s12
	s_addc_u32 s14, s23, s13
	s_lshl_b64 s[12:13], s[46:47], 1
	;; [unrolled: 3-line block ×3, first 2 shown]
	s_mul_i32 s36, s58, s36
	s_add_u32 s18, s6, s12
	s_addc_u32 s19, s14, s13
	s_lshl_b64 s[12:13], s[36:37], 3
	s_add_u32 s6, s26, s12
	s_addc_u32 s14, s27, s13
	s_lshl_b64 s[12:13], s[28:29], 3
	s_mul_i32 s30, s30, s68
	s_add_u32 s6, s6, s12
	s_addc_u32 s14, s14, s13
	s_lshl_b64 s[12:13], s[30:31], 3
	s_add_u32 s22, s6, s12
	v_mov_b32_e32 v1, 0
	s_addc_u32 s23, s14, s13
	s_and_b32 s12, 0xffff, s7
	s_sext_i32_i16 s6, s7
	ds_read_b96 v[2:4], v1 offset:1056
	s_cmp_gt_i32 s6, -1
	s_mov_b32 s6, 0x8000
	s_cselect_b32 s13, s6, 0xffff
	s_lshl_b32 s6, s7, 16
	v_cmp_o_f32_e64 s[6:7], s6, s6
	s_xor_b32 s12, s13, s12
	s_and_b64 s[6:7], s[6:7], exec
	s_load_dword s6, s[4:5], 0x1b0
	s_waitcnt lgkmcnt(0)
	v_add_u32_e32 v2, v2, v3
	v_lshrrev_b32_e32 v3, 5, v0
	v_add_lshl_u32 v5, v3, v0, 2
	v_lshlrev_b32_e32 v3, 2, v0
	v_lshrrev_b32_e32 v6, 3, v0
	s_cselect_b32 s26, s12, 0xffff
	s_load_dwordx2 s[12:13], s[4:5], 0x508
	v_add_lshl_u32 v8, v6, v3, 2
	v_add_u32_e32 v3, -1, v0
	v_lshrrev_b32_e32 v6, 5, v3
	v_add_lshl_u32 v9, v6, v3, 2
	v_mbcnt_lo_u32_b32 v3, -1, 0
	s_bitcmp1_b32 s6, 0
	v_mbcnt_hi_u32_b32 v12, -1, v3
	s_cselect_b64 s[4:5], -1, 0
	v_cmp_gt_u32_e64 s[6:7], 64, v0
	v_add_u32_e32 v0, s33, v0
	v_mov_b32_e32 v10, 0xffff
	v_mov_b32_e32 v11, 0x8000
	v_and_b32_e32 v13, 15, v12
	v_bfe_i32 v14, v12, 4, 1
	v_add_u32_e32 v15, -1, v12
	v_and_b32_e32 v16, 64, v12
                                        ; implicit-def: $vgpr17
	s_branch .LBB221_35
.LBB221_33:                             ;   in Loop: Header=BB221_35 Depth=1
	s_or_b64 exec, exec, s[14:15]
	v_add_u32_e32 v2, v3, v2
.LBB221_34:                             ;   in Loop: Header=BB221_35 Depth=1
	s_add_i32 s34, s34, -1
	v_add_u32_e32 v4, v18, v4
	s_cmp_lg_u32 s34, 0
	v_add_u32_e32 v0, 0x100, v0
	s_cbranch_scc0 .LBB221_54
.LBB221_35:                             ; =>This Inner Loop Header: Depth=1
	v_cmp_gt_u64_e32 vcc, s[8:9], v[0:1]
	v_mov_b32_e32 v3, v1
	v_mov_b32_e32 v6, v1
	s_and_saveexec_b64 s[14:15], vcc
	s_cbranch_execz .LBB221_37
; %bb.36:                               ;   in Loop: Header=BB221_35 Depth=1
	v_mad_u64_u32 v[6:7], s[28:29], v0, s20, 0
	v_mov_b32_e32 v18, v7
	v_mad_u64_u32 v[18:19], s[28:29], v0, s21, v[18:19]
	v_mov_b32_e32 v7, v18
	v_lshlrev_b64 v[6:7], 1, v[6:7]
	v_mov_b32_e32 v3, s17
	v_add_co_u32_e32 v6, vcc, s16, v6
	v_addc_co_u32_e32 v7, vcc, v3, v7, vcc
	global_load_ushort v17, v[6:7], off
	s_waitcnt vmcnt(0)
	v_cmp_lt_i16_e32 vcc, -1, v17
	v_cndmask_b32_e32 v3, v10, v11, vcc
	v_lshlrev_b32_e32 v6, 16, v17
	v_xor_b32_sdwa v3, v3, v17 dst_sel:DWORD dst_unused:UNUSED_PAD src0_sel:DWORD src1_sel:WORD_0
	v_cmp_o_f32_e32 vcc, v6, v6
	v_cndmask_b32_e32 v6, v10, v3, vcc
	v_cmp_lt_u32_e32 vcc, s26, v6
	v_cndmask_b32_e64 v3, 0, 1, vcc
	v_cmp_gt_u32_e32 vcc, s26, v6
	v_cndmask_b32_e64 v7, 0, 1, vcc
	v_cndmask_b32_e64 v3, v7, v3, s[4:5]
	v_cmp_eq_u32_e32 vcc, s26, v6
	v_and_b32_e32 v3, 1, v3
	v_cndmask_b32_e64 v6, 0, 1, vcc
.LBB221_37:                             ;   in Loop: Header=BB221_35 Depth=1
	s_or_b64 exec, exec, s[14:15]
	ds_write_b32 v5, v3
	s_waitcnt lgkmcnt(0)
	s_barrier
	s_and_saveexec_b64 s[14:15], s[6:7]
	s_cbranch_execz .LBB221_39
; %bb.38:                               ;   in Loop: Header=BB221_35 Depth=1
	ds_read2_b32 v[18:19], v8 offset1:1
	ds_read2_b32 v[20:21], v8 offset0:2 offset1:3
	v_cmp_ne_u32_e32 vcc, 0, v13
	; wave barrier
	s_waitcnt lgkmcnt(1)
	v_add_u32_e32 v7, v19, v18
	s_waitcnt lgkmcnt(0)
	v_add3_u32 v7, v7, v20, v21
	s_nop 1
	v_mov_b32_dpp v19, v7 row_shr:1 row_mask:0xf bank_mask:0xf
	v_cndmask_b32_e32 v19, 0, v19, vcc
	v_add_u32_e32 v7, v19, v7
	v_cmp_lt_u32_e32 vcc, 1, v13
	s_nop 0
	v_mov_b32_dpp v19, v7 row_shr:2 row_mask:0xf bank_mask:0xf
	v_cndmask_b32_e32 v19, 0, v19, vcc
	v_add_u32_e32 v7, v7, v19
	v_cmp_lt_u32_e32 vcc, 3, v13
	;; [unrolled: 5-line block ×4, first 2 shown]
	s_nop 0
	v_mov_b32_dpp v19, v7 row_bcast:15 row_mask:0xf bank_mask:0xf
	v_and_b32_e32 v19, v14, v19
	v_add_u32_e32 v7, v7, v19
	s_nop 1
	v_mov_b32_dpp v19, v7 row_bcast:31 row_mask:0xf bank_mask:0xf
	v_cndmask_b32_e32 v19, 0, v19, vcc
	v_cmp_lt_i32_e32 vcc, v15, v16
	v_add_u32_e32 v7, v7, v19
	v_cndmask_b32_e32 v19, v15, v12, vcc
	v_lshlrev_b32_e32 v19, 2, v19
	ds_bpermute_b32 v7, v19, v7
	s_waitcnt lgkmcnt(0)
	v_add_u32_e32 v7, v7, v18
	v_cndmask_b32_e64 v7, v7, v3, s[2:3]
	ds_write_b32 v8, v7
	; wave barrier
	ds_read2_b32 v[18:19], v8 offset0:1 offset1:2
	ds_read_b32 v20, v8 offset:12
	s_waitcnt lgkmcnt(1)
	v_add_u32_e32 v7, v18, v7
	v_add_u32_e32 v18, v19, v7
	ds_write2_b32 v8, v7, v18 offset0:1 offset1:2
	s_waitcnt lgkmcnt(1)
	v_add_u32_e32 v7, v20, v18
	ds_write_b32 v8, v7 offset:12
.LBB221_39:                             ;   in Loop: Header=BB221_35 Depth=1
	s_or_b64 exec, exec, s[14:15]
	v_mov_b32_e32 v7, 0
	s_waitcnt lgkmcnt(0)
	s_barrier
	s_and_saveexec_b64 s[14:15], s[0:1]
	s_cbranch_execz .LBB221_41
; %bb.40:                               ;   in Loop: Header=BB221_35 Depth=1
	ds_read_b32 v7, v9
.LBB221_41:                             ;   in Loop: Header=BB221_35 Depth=1
	s_or_b64 exec, exec, s[14:15]
	ds_read_b32 v18, v1 offset:1048
	v_cmp_ne_u32_e32 vcc, 0, v3
	s_waitcnt lgkmcnt(0)
	s_barrier
	s_and_saveexec_b64 s[14:15], vcc
	s_cbranch_execz .LBB221_43
; %bb.42:                               ;   in Loop: Header=BB221_35 Depth=1
	v_add_u32_e32 v3, v7, v4
	v_mad_u64_u32 v[20:21], s[28:29], v3, s24, 0
	v_mov_b32_e32 v22, v21
	v_mad_u64_u32 v[22:23], s[28:29], v3, s25, v[22:23]
	v_mov_b32_e32 v21, v22
	v_lshlrev_b64 v[20:21], 1, v[20:21]
	v_mov_b32_e32 v7, s19
	v_add_co_u32_e32 v20, vcc, s18, v20
	v_addc_co_u32_e32 v21, vcc, v7, v21, vcc
	global_store_short v[20:21], v17, off
	v_mad_u64_u32 v[20:21], s[28:29], v3, s12, 0
	v_mov_b32_e32 v22, v21
	v_mad_u64_u32 v[22:23], s[28:29], v3, s13, v[22:23]
	v_mov_b32_e32 v21, v22
	v_lshlrev_b64 v[20:21], 3, v[20:21]
	v_mov_b32_e32 v3, s23
	v_add_co_u32_e32 v20, vcc, s22, v20
	v_addc_co_u32_e32 v21, vcc, v3, v21, vcc
	global_store_dwordx2 v[20:21], v[0:1], off
.LBB221_43:                             ;   in Loop: Header=BB221_35 Depth=1
	s_or_b64 exec, exec, s[14:15]
	v_mov_b32_e32 v3, v1
	v_cmp_le_u64_e32 vcc, s[10:11], v[2:3]
	s_cbranch_vccnz .LBB221_34
; %bb.44:                               ;   in Loop: Header=BB221_35 Depth=1
	ds_write_b32 v5, v6
	s_waitcnt lgkmcnt(0)
	s_barrier
	s_and_saveexec_b64 s[14:15], s[6:7]
	s_cbranch_execz .LBB221_46
; %bb.45:                               ;   in Loop: Header=BB221_35 Depth=1
	ds_read2_b32 v[20:21], v8 offset1:1
	ds_read2_b32 v[22:23], v8 offset0:2 offset1:3
	v_cmp_ne_u32_e32 vcc, 0, v13
	; wave barrier
	s_waitcnt lgkmcnt(1)
	v_add_u32_e32 v3, v21, v20
	s_waitcnt lgkmcnt(0)
	v_add3_u32 v3, v3, v22, v23
	s_nop 1
	v_mov_b32_dpp v7, v3 row_shr:1 row_mask:0xf bank_mask:0xf
	v_cndmask_b32_e32 v7, 0, v7, vcc
	v_add_u32_e32 v3, v7, v3
	v_cmp_lt_u32_e32 vcc, 1, v13
	s_nop 0
	v_mov_b32_dpp v7, v3 row_shr:2 row_mask:0xf bank_mask:0xf
	v_cndmask_b32_e32 v7, 0, v7, vcc
	v_add_u32_e32 v3, v3, v7
	v_cmp_lt_u32_e32 vcc, 3, v13
	;; [unrolled: 5-line block ×4, first 2 shown]
	s_nop 0
	v_mov_b32_dpp v7, v3 row_bcast:15 row_mask:0xf bank_mask:0xf
	v_and_b32_e32 v7, v14, v7
	v_add_u32_e32 v3, v3, v7
	s_nop 1
	v_mov_b32_dpp v7, v3 row_bcast:31 row_mask:0xf bank_mask:0xf
	v_cndmask_b32_e32 v7, 0, v7, vcc
	v_cmp_lt_i32_e32 vcc, v15, v16
	v_add_u32_e32 v3, v3, v7
	v_cndmask_b32_e32 v7, v15, v12, vcc
	v_lshlrev_b32_e32 v7, 2, v7
	ds_bpermute_b32 v3, v7, v3
	s_waitcnt lgkmcnt(0)
	v_add_u32_e32 v3, v3, v20
	v_cndmask_b32_e64 v3, v3, v6, s[2:3]
	ds_write_b32 v8, v3
	; wave barrier
	ds_read2_b32 v[20:21], v8 offset0:1 offset1:2
	ds_read_b32 v7, v8 offset:12
	s_waitcnt lgkmcnt(1)
	v_add_u32_e32 v3, v20, v3
	v_add_u32_e32 v19, v21, v3
	ds_write2_b32 v8, v3, v19 offset0:1 offset1:2
	s_waitcnt lgkmcnt(1)
	v_add_u32_e32 v3, v7, v19
	ds_write_b32 v8, v3 offset:12
.LBB221_46:                             ;   in Loop: Header=BB221_35 Depth=1
	s_or_b64 exec, exec, s[14:15]
	v_mov_b32_e32 v7, 0
	s_waitcnt lgkmcnt(0)
	s_barrier
	s_and_saveexec_b64 s[14:15], s[0:1]
	s_cbranch_execz .LBB221_48
; %bb.47:                               ;   in Loop: Header=BB221_35 Depth=1
	ds_read_b32 v7, v9
.LBB221_48:                             ;   in Loop: Header=BB221_35 Depth=1
	s_or_b64 exec, exec, s[14:15]
	ds_read_b32 v3, v1 offset:1048
	v_cmp_ne_u32_e32 vcc, 0, v6
	s_waitcnt lgkmcnt(0)
	s_barrier
	s_and_saveexec_b64 s[14:15], vcc
	s_cbranch_execz .LBB221_33
; %bb.49:                               ;   in Loop: Header=BB221_35 Depth=1
	v_add_u32_e32 v6, v7, v2
	v_mov_b32_e32 v7, v1
	v_cmp_gt_u64_e32 vcc, s[10:11], v[6:7]
	s_and_b64 exec, exec, vcc
	s_cbranch_execz .LBB221_33
; %bb.50:                               ;   in Loop: Header=BB221_35 Depth=1
	v_mad_u64_u32 v[20:21], s[28:29], v6, s24, 0
	v_mov_b32_e32 v22, v21
	v_mad_u64_u32 v[22:23], s[28:29], v6, s25, v[22:23]
	v_mov_b32_e32 v21, v22
	v_lshlrev_b64 v[20:21], 1, v[20:21]
	v_mov_b32_e32 v7, s19
	v_add_co_u32_e32 v20, vcc, s18, v20
	v_addc_co_u32_e32 v21, vcc, v7, v21, vcc
	global_store_short v[20:21], v17, off
	v_mad_u64_u32 v[20:21], s[28:29], v6, s12, 0
	v_mov_b32_e32 v22, v21
	v_mad_u64_u32 v[6:7], s[28:29], v6, s13, v[22:23]
	v_mov_b32_e32 v21, v6
	v_lshlrev_b64 v[6:7], 3, v[20:21]
	v_mov_b32_e32 v19, s23
	v_add_co_u32_e32 v6, vcc, s22, v6
	v_addc_co_u32_e32 v7, vcc, v19, v7, vcc
	global_store_dwordx2 v[6:7], v[0:1], off
	s_branch .LBB221_33
.LBB221_51:                             ;   in Loop: Header=BB221_52 Depth=1
	s_add_u32 s24, s24, 4
	s_addc_u32 s25, s25, 0
	s_waitcnt lgkmcnt(0)
	s_add_i32 s52, s23, s52
	s_add_u32 s26, s26, 4
	s_addc_u32 s27, s27, 0
	s_add_i32 s22, s22, 1
	s_cmp_lt_u32 s22, s35
	s_cbranch_scc0 .LBB221_30
.LBB221_52:                             ; =>This Inner Loop Header: Depth=1
	s_load_dword s23, s[24:25], 0x0
	s_cmp_ge_u32 s22, s76
	s_cbranch_scc1 .LBB221_51
; %bb.53:                               ;   in Loop: Header=BB221_52 Depth=1
	s_load_dword s57, s[26:27], 0x0
	s_waitcnt lgkmcnt(0)
	s_add_i32 s53, s23, s53
	s_add_i32 s51, s57, s51
	s_branch .LBB221_51
.LBB221_54:
	s_endpgm
	.section	.rodata,"a",@progbits
	.p2align	6, 0x0
	.amdhsa_kernel _ZN2at6native6mbtopk10gatherTopKIN3c108BFloat16EmLi3EEEvNS_4cuda6detail10TensorInfoIKT_T0_EESA_SA_bjSA_NS7_IS8_SA_EESA_NS7_IlSA_EESA_jjPS8_PjSF_j
		.amdhsa_group_segment_fixed_size 1068
		.amdhsa_private_segment_fixed_size 0
		.amdhsa_kernarg_size 1592
		.amdhsa_user_sgpr_count 6
		.amdhsa_user_sgpr_private_segment_buffer 1
		.amdhsa_user_sgpr_dispatch_ptr 0
		.amdhsa_user_sgpr_queue_ptr 0
		.amdhsa_user_sgpr_kernarg_segment_ptr 1
		.amdhsa_user_sgpr_dispatch_id 0
		.amdhsa_user_sgpr_flat_scratch_init 0
		.amdhsa_user_sgpr_kernarg_preload_length 0
		.amdhsa_user_sgpr_kernarg_preload_offset 0
		.amdhsa_user_sgpr_private_segment_size 0
		.amdhsa_uses_dynamic_stack 0
		.amdhsa_system_sgpr_private_segment_wavefront_offset 0
		.amdhsa_system_sgpr_workgroup_id_x 1
		.amdhsa_system_sgpr_workgroup_id_y 1
		.amdhsa_system_sgpr_workgroup_id_z 1
		.amdhsa_system_sgpr_workgroup_info 0
		.amdhsa_system_vgpr_workitem_id 0
		.amdhsa_next_free_vgpr 24
		.amdhsa_next_free_sgpr 78
		.amdhsa_accum_offset 24
		.amdhsa_reserve_vcc 1
		.amdhsa_reserve_flat_scratch 0
		.amdhsa_float_round_mode_32 0
		.amdhsa_float_round_mode_16_64 0
		.amdhsa_float_denorm_mode_32 3
		.amdhsa_float_denorm_mode_16_64 3
		.amdhsa_dx10_clamp 1
		.amdhsa_ieee_mode 1
		.amdhsa_fp16_overflow 0
		.amdhsa_tg_split 0
		.amdhsa_exception_fp_ieee_invalid_op 0
		.amdhsa_exception_fp_denorm_src 0
		.amdhsa_exception_fp_ieee_div_zero 0
		.amdhsa_exception_fp_ieee_overflow 0
		.amdhsa_exception_fp_ieee_underflow 0
		.amdhsa_exception_fp_ieee_inexact 0
		.amdhsa_exception_int_div_zero 0
	.end_amdhsa_kernel
	.section	.text._ZN2at6native6mbtopk10gatherTopKIN3c108BFloat16EmLi3EEEvNS_4cuda6detail10TensorInfoIKT_T0_EESA_SA_bjSA_NS7_IS8_SA_EESA_NS7_IlSA_EESA_jjPS8_PjSF_j,"axG",@progbits,_ZN2at6native6mbtopk10gatherTopKIN3c108BFloat16EmLi3EEEvNS_4cuda6detail10TensorInfoIKT_T0_EESA_SA_bjSA_NS7_IS8_SA_EESA_NS7_IlSA_EESA_jjPS8_PjSF_j,comdat
.Lfunc_end221:
	.size	_ZN2at6native6mbtopk10gatherTopKIN3c108BFloat16EmLi3EEEvNS_4cuda6detail10TensorInfoIKT_T0_EESA_SA_bjSA_NS7_IS8_SA_EESA_NS7_IlSA_EESA_jjPS8_PjSF_j, .Lfunc_end221-_ZN2at6native6mbtopk10gatherTopKIN3c108BFloat16EmLi3EEEvNS_4cuda6detail10TensorInfoIKT_T0_EESA_SA_bjSA_NS7_IS8_SA_EESA_NS7_IlSA_EESA_jjPS8_PjSF_j
                                        ; -- End function
	.section	.AMDGPU.csdata,"",@progbits
; Kernel info:
; codeLenInByte = 3332
; NumSgprs: 82
; NumVgprs: 24
; NumAgprs: 0
; TotalNumVgprs: 24
; ScratchSize: 0
; MemoryBound: 0
; FloatMode: 240
; IeeeMode: 1
; LDSByteSize: 1068 bytes/workgroup (compile time only)
; SGPRBlocks: 10
; VGPRBlocks: 2
; NumSGPRsForWavesPerEU: 82
; NumVGPRsForWavesPerEU: 24
; AccumOffset: 24
; Occupancy: 8
; WaveLimiterHint : 1
; COMPUTE_PGM_RSRC2:SCRATCH_EN: 0
; COMPUTE_PGM_RSRC2:USER_SGPR: 6
; COMPUTE_PGM_RSRC2:TRAP_HANDLER: 0
; COMPUTE_PGM_RSRC2:TGID_X_EN: 1
; COMPUTE_PGM_RSRC2:TGID_Y_EN: 1
; COMPUTE_PGM_RSRC2:TGID_Z_EN: 1
; COMPUTE_PGM_RSRC2:TIDIG_COMP_CNT: 0
; COMPUTE_PGM_RSRC3_GFX90A:ACCUM_OFFSET: 5
; COMPUTE_PGM_RSRC3_GFX90A:TG_SPLIT: 0
	.section	.text._ZN2at6native6sbtopk10gatherTopKIN3c108BFloat16EmLi3ELb0EEEvNS_4cuda6detail10TensorInfoIKT_T0_EESA_SA_bSA_SA_NS7_IS8_SA_EESA_NS7_IlSA_EESA_PS8_,"axG",@progbits,_ZN2at6native6sbtopk10gatherTopKIN3c108BFloat16EmLi3ELb0EEEvNS_4cuda6detail10TensorInfoIKT_T0_EESA_SA_bSA_SA_NS7_IS8_SA_EESA_NS7_IlSA_EESA_PS8_,comdat
	.protected	_ZN2at6native6sbtopk10gatherTopKIN3c108BFloat16EmLi3ELb0EEEvNS_4cuda6detail10TensorInfoIKT_T0_EESA_SA_bSA_SA_NS7_IS8_SA_EESA_NS7_IlSA_EESA_PS8_ ; -- Begin function _ZN2at6native6sbtopk10gatherTopKIN3c108BFloat16EmLi3ELb0EEEvNS_4cuda6detail10TensorInfoIKT_T0_EESA_SA_bSA_SA_NS7_IS8_SA_EESA_NS7_IlSA_EESA_PS8_
	.globl	_ZN2at6native6sbtopk10gatherTopKIN3c108BFloat16EmLi3ELb0EEEvNS_4cuda6detail10TensorInfoIKT_T0_EESA_SA_bSA_SA_NS7_IS8_SA_EESA_NS7_IlSA_EESA_PS8_
	.p2align	8
	.type	_ZN2at6native6sbtopk10gatherTopKIN3c108BFloat16EmLi3ELb0EEEvNS_4cuda6detail10TensorInfoIKT_T0_EESA_SA_bSA_SA_NS7_IS8_SA_EESA_NS7_IlSA_EESA_PS8_,@function
_ZN2at6native6sbtopk10gatherTopKIN3c108BFloat16EmLi3ELb0EEEvNS_4cuda6detail10TensorInfoIKT_T0_EESA_SA_bSA_SA_NS7_IS8_SA_EESA_NS7_IlSA_EESA_PS8_: ; @_ZN2at6native6sbtopk10gatherTopKIN3c108BFloat16EmLi3ELb0EEEvNS_4cuda6detail10TensorInfoIKT_T0_EESA_SA_bSA_SA_NS7_IS8_SA_EESA_NS7_IlSA_EESA_PS8_
; %bb.0:
	s_load_dwordx4 s[56:59], s[4:5], 0x1b8
	s_load_dwordx2 s[18:19], s[4:5], 0x520
	s_mov_b64 s[26:27], s[4:5]
	s_add_u32 s16, s26, 0x520
	s_addc_u32 s17, s27, 0
	s_waitcnt lgkmcnt(0)
	v_mov_b32_e32 v2, s56
	s_mul_i32 s0, s19, s8
	s_add_i32 s0, s0, s7
	s_mul_i32 s0, s0, s18
	v_mov_b32_e32 v3, s57
	s_add_i32 s28, s0, s6
	s_mov_b32 s29, 0
	v_cmp_ge_u64_e32 vcc, s[28:29], v[2:3]
	s_cbranch_vccnz .LBB222_492
; %bb.1:
	s_load_dwordx4 s[0:3], s[26:27], 0x10
	s_mov_b64 s[8:9], 0
	s_mov_b64 s[4:5], 0
	s_waitcnt lgkmcnt(0)
	v_pk_mov_b32 v[2:3], s[2:3], s[2:3] op_sel:[0,1]
	v_cmp_lt_u64_e32 vcc, s[28:29], v[2:3]
	s_cbranch_vccnz .LBB222_3
; %bb.2:
	v_cvt_f32_u32_e32 v1, s2
	s_sub_i32 s4, 0, s2
	s_mov_b32 s5, 0
	v_rcp_iflag_f32_e32 v1, v1
	v_mul_f32_e32 v1, 0x4f7ffffe, v1
	v_cvt_u32_f32_e32 v1, v1
	v_readfirstlane_b32 s7, v1
	s_mul_i32 s4, s4, s7
	s_mul_hi_u32 s4, s7, s4
	s_add_i32 s7, s7, s4
	s_mul_hi_u32 s4, s28, s7
	s_mul_i32 s9, s4, s2
	s_sub_i32 s9, s28, s9
	s_add_i32 s7, s4, 1
	s_sub_i32 s10, s9, s2
	s_cmp_ge_u32 s9, s2
	s_cselect_b32 s4, s7, s4
	s_cselect_b32 s9, s10, s9
	s_add_i32 s7, s4, 1
	s_cmp_ge_u32 s9, s2
	s_cselect_b32 s4, s7, s4
.LBB222_3:
	s_load_dwordx4 s[12:15], s[26:27], 0x1d8
	v_pk_mov_b32 v[2:3], s[0:1], s[0:1] op_sel:[0,1]
	v_cmp_lt_u64_e32 vcc, s[4:5], v[2:3]
	s_cbranch_vccnz .LBB222_5
; %bb.4:
	v_cvt_f32_u32_e32 v1, s0
	s_sub_i32 s7, 0, s0
	v_rcp_iflag_f32_e32 v1, v1
	v_mul_f32_e32 v1, 0x4f7ffffe, v1
	v_cvt_u32_f32_e32 v1, v1
	v_readfirstlane_b32 s8, v1
	s_mul_i32 s7, s7, s8
	s_mul_hi_u32 s7, s8, s7
	s_add_i32 s8, s8, s7
	s_mul_hi_u32 s7, s4, s8
	s_mul_i32 s9, s7, s0
	s_sub_i32 s9, s4, s9
	s_add_i32 s8, s7, 1
	s_sub_i32 s10, s9, s0
	s_cmp_ge_u32 s9, s0
	s_cselect_b32 s7, s8, s7
	s_cselect_b32 s9, s10, s9
	s_add_i32 s8, s7, 1
	s_cmp_ge_u32 s9, s0
	s_cselect_b32 s8, s8, s7
.LBB222_5:
	s_waitcnt lgkmcnt(0)
	v_pk_mov_b32 v[2:3], s[14:15], s[14:15] op_sel:[0,1]
	v_cmp_lt_u64_e32 vcc, s[28:29], v[2:3]
	s_mov_b64 s[10:11], 0
                                        ; implicit-def: $vgpr49 : SGPR spill to VGPR lane
	v_writelane_b32 v49, s10, 0
	s_mov_b64 s[20:21], 0
	v_writelane_b32 v49, s11, 1
	s_cbranch_vccnz .LBB222_7
; %bb.6:
	v_cvt_f32_u32_e32 v1, s14
	s_sub_i32 s7, 0, s14
	s_mov_b32 s21, 0
	v_rcp_iflag_f32_e32 v1, v1
	v_mul_f32_e32 v1, 0x4f7ffffe, v1
	v_cvt_u32_f32_e32 v1, v1
	v_readfirstlane_b32 s9, v1
	s_mul_i32 s7, s7, s9
	s_mul_hi_u32 s7, s9, s7
	s_add_i32 s9, s9, s7
	s_mul_hi_u32 s7, s28, s9
	s_mul_i32 s10, s7, s14
	s_sub_i32 s10, s28, s10
	s_add_i32 s9, s7, 1
	s_sub_i32 s11, s10, s14
	s_cmp_ge_u32 s10, s14
	s_cselect_b32 s7, s9, s7
	s_cselect_b32 s10, s11, s10
	s_add_i32 s9, s7, 1
	s_cmp_ge_u32 s10, s14
	s_cselect_b32 s20, s9, s7
.LBB222_7:
	s_load_dwordx4 s[36:39], s[26:27], 0x380
	v_pk_mov_b32 v[2:3], s[12:13], s[12:13] op_sel:[0,1]
	v_cmp_lt_u64_e32 vcc, s[20:21], v[2:3]
	s_cbranch_vccnz .LBB222_9
; %bb.8:
	v_cvt_f32_u32_e32 v1, s12
	s_sub_i32 s7, 0, s12
	v_rcp_iflag_f32_e32 v1, v1
	v_mul_f32_e32 v1, 0x4f7ffffe, v1
	v_cvt_u32_f32_e32 v1, v1
	v_readfirstlane_b32 s9, v1
	s_mul_i32 s7, s7, s9
	s_mul_hi_u32 s7, s9, s7
	s_add_i32 s9, s9, s7
	s_mul_hi_u32 s7, s20, s9
	s_mul_i32 s10, s7, s12
	s_sub_i32 s10, s20, s10
	s_add_i32 s9, s7, 1
	s_sub_i32 s11, s10, s12
	s_cmp_ge_u32 s10, s12
	s_cselect_b32 s7, s9, s7
	s_cselect_b32 s10, s11, s10
	s_add_i32 s9, s7, 1
	s_cmp_ge_u32 s10, s12
	s_cselect_b32 s10, s9, s7
	v_writelane_b32 v49, s10, 0
	v_writelane_b32 v49, s11, 1
.LBB222_9:
	v_writelane_b32 v49, s20, 2
	v_writelane_b32 v49, s21, 3
	;; [unrolled: 1-line block ×6, first 2 shown]
	s_load_dwordx2 s[10:11], s[26:27], 0xe0
	s_load_dwordx4 s[12:15], s[26:27], 0xd0
	s_waitcnt lgkmcnt(0)
	v_pk_mov_b32 v[2:3], s[38:39], s[38:39] op_sel:[0,1]
	s_mov_b64 s[20:21], 0
	v_cmp_lt_u64_e32 vcc, s[28:29], v[2:3]
	v_writelane_b32 v49, s20, 8
	v_writelane_b32 v49, s21, 9
	s_mov_b64 s[20:21], 0
	s_cbranch_vccnz .LBB222_11
; %bb.10:
	v_cvt_f32_u32_e32 v1, s38
	s_sub_i32 s7, 0, s38
	s_mov_b32 s21, 0
	v_rcp_iflag_f32_e32 v1, v1
	v_mul_f32_e32 v1, 0x4f7ffffe, v1
	v_cvt_u32_f32_e32 v1, v1
	v_readfirstlane_b32 s9, v1
	s_mul_i32 s7, s7, s9
	s_mul_hi_u32 s7, s9, s7
	s_add_i32 s9, s9, s7
	s_mul_hi_u32 s7, s28, s9
	s_mul_i32 s19, s7, s38
	s_sub_i32 s19, s28, s19
	s_add_i32 s9, s7, 1
	s_sub_i32 s20, s19, s38
	s_cmp_ge_u32 s19, s38
	s_cselect_b32 s7, s9, s7
	s_cselect_b32 s19, s20, s19
	s_add_i32 s9, s7, 1
	s_cmp_ge_u32 s19, s38
	s_cselect_b32 s20, s9, s7
.LBB222_11:
	s_load_dwordx2 s[22:23], s[26:27], 0x450
	s_load_dwordx4 s[40:43], s[26:27], 0x440
	v_pk_mov_b32 v[2:3], s[36:37], s[36:37] op_sel:[0,1]
	s_waitcnt lgkmcnt(0)
	v_writelane_b32 v49, s22, 10
	v_writelane_b32 v49, s23, 11
	s_load_dwordx2 s[22:23], s[26:27], 0x2a8
	v_writelane_b32 v49, s40, 12
	v_writelane_b32 v49, s41, 13
	;; [unrolled: 1-line block ×4, first 2 shown]
	s_load_dwordx4 s[40:43], s[26:27], 0x298
	s_waitcnt lgkmcnt(0)
	v_writelane_b32 v49, s22, 16
	v_writelane_b32 v49, s23, 17
	s_mov_b64 s[22:23], s[20:21]
	s_load_dwordx2 s[20:21], s[26:27], 0x0
	v_writelane_b32 v49, s40, 18
	v_writelane_b32 v49, s41, 19
	;; [unrolled: 1-line block ×5, first 2 shown]
	v_cmp_lt_u64_e32 vcc, s[22:23], v[2:3]
	v_writelane_b32 v49, s23, 23
	s_cbranch_vccnz .LBB222_13
; %bb.12:
	v_cvt_f32_u32_e32 v1, s36
	s_sub_i32 s7, 0, s36
	v_readlane_b32 s22, v49, 22
	v_readlane_b32 s23, v49, 23
	v_rcp_iflag_f32_e32 v1, v1
	v_mul_f32_e32 v1, 0x4f7ffffe, v1
	v_cvt_u32_f32_e32 v1, v1
	v_readfirstlane_b32 s9, v1
	s_mul_i32 s7, s7, s9
	s_mul_hi_u32 s7, s9, s7
	s_add_i32 s9, s9, s7
	s_mul_hi_u32 s7, s22, s9
	s_mul_i32 s19, s7, s36
	s_sub_i32 s19, s22, s19
	s_add_i32 s9, s7, 1
	s_sub_i32 s22, s19, s36
	s_cmp_ge_u32 s19, s36
	s_cselect_b32 s7, s9, s7
	s_cselect_b32 s19, s22, s19
	s_add_i32 s9, s7, 1
	s_cmp_ge_u32 s19, s36
	s_cselect_b32 s22, s9, s7
	v_writelane_b32 v49, s22, 8
	v_writelane_b32 v49, s23, 9
.LBB222_13:
	s_load_dwordx2 s[22:23], s[26:27], 0x370
	v_writelane_b32 v49, s36, 24
	v_writelane_b32 v49, s37, 25
	;; [unrolled: 1-line block ×4, first 2 shown]
	s_waitcnt lgkmcnt(0)
	v_writelane_b32 v49, s22, 28
	v_writelane_b32 v49, s23, 29
	s_load_dwordx2 s[22:23], s[26:27], 0x1c8
	s_load_dwordx4 s[60:63], s[26:27], 0x1a0
	s_mov_b32 s91, 0
	v_cmp_eq_u32_e64 s[24:25], 0, v0
	s_waitcnt lgkmcnt(0)
	v_writelane_b32 v49, s22, 30
	v_writelane_b32 v49, s23, 31
	s_mov_b64 s[22:23], exec
	v_writelane_b32 v49, s24, 32
	v_writelane_b32 v49, s25, 33
	s_and_b64 s[24:25], s[22:23], s[24:25]
	s_mov_b64 exec, s[24:25]
	s_cbranch_execz .LBB222_15
; %bb.14:
	v_mov_b32_e32 v2, 0
	v_mov_b32_e32 v4, s60
	;; [unrolled: 1-line block ×4, first 2 shown]
	ds_write_b32 v2, v2 offset:5144
	ds_write_b128 v2, v[2:5] offset:5120
.LBB222_15:
	s_or_b64 exec, exec, s[22:23]
	s_mul_i32 s1, s8, s1
	s_mul_hi_u32 s7, s8, s0
	s_add_i32 s7, s7, s1
	s_mul_i32 s0, s8, s0
	s_sub_u32 s0, s4, s0
	s_subb_u32 s1, s5, s7
	s_mul_i32 s5, s0, s15
	s_mul_hi_u32 s7, s0, s14
	s_add_i32 s5, s7, s5
	s_mul_i32 s1, s1, s14
	s_add_i32 s1, s5, s1
	s_mul_i32 s5, s8, s13
	s_mul_hi_u32 s7, s8, s12
	s_add_i32 s9, s7, s5
	s_mul_i32 s3, s4, s3
	s_mul_hi_u32 s5, s4, s2
	s_add_i32 s5, s5, s3
	s_mul_i32 s2, s4, s2
	s_mov_b32 s4, s28
	v_writelane_b32 v49, s4, 34
	s_sub_u32 s2, s28, s2
	v_writelane_b32 v49, s5, 35
	s_subb_u32 s3, 0, s5
	s_mul_i32 s4, s2, s11
	s_mul_hi_u32 s5, s2, s10
	s_mul_i32 s8, s8, s12
	s_add_i32 s4, s5, s4
	s_mul_i32 s3, s3, s10
	s_add_i32 s3, s4, s3
	s_lshl_b64 s[4:5], s[8:9], 1
	s_mul_i32 s0, s0, s14
	s_add_u32 s4, s20, s4
	s_addc_u32 s5, s21, s5
	s_lshl_b64 s[0:1], s[0:1], 1
	v_writelane_b32 v49, s26, 36
	s_load_dword s7, s[26:27], 0x1b0
	s_mul_i32 s2, s2, s10
	s_add_u32 s4, s4, s0
	s_addc_u32 s5, s5, s1
	s_lshl_b64 s[0:1], s[2:3], 1
	s_add_u32 s33, s4, s0
	s_addc_u32 s88, s5, s1
	s_waitcnt lgkmcnt(0)
	s_bitcmp1_b32 s7, 0
	v_writelane_b32 v49, s27, 37
	s_cselect_b64 s[0:1], -1, 0
	v_writelane_b32 v49, s0, 38
	v_mbcnt_lo_u32_b32 v1, -1, 0
	v_writelane_b32 v49, s1, 39
	s_xor_b64 s[0:1], s[0:1], -1
	v_mbcnt_hi_u32_b32 v25, -1, v1
	v_writelane_b32 v49, s0, 40
	v_cmp_gt_u32_e32 vcc, 64, v0
	v_cmp_gt_i32_e64 s[10:11], 4, v25
	v_writelane_b32 v49, s1, 41
	s_and_b64 s[2:3], vcc, s[10:11]
	v_mov_b32_e32 v2, 0x600
	v_writelane_b32 v49, s2, 42
	v_mov_b32_e32 v3, 0
	v_writelane_b32 v49, s3, 43
	v_cmp_gt_u64_e64 s[2:3], s[60:61], v[2:3]
	v_writelane_b32 v49, s2, 44
	v_writelane_b32 v49, s3, 45
	v_mad_u64_u32 v[2:3], s[2:3], v0, s58, 0
	v_mov_b32_e32 v15, 0
	v_mov_b32_e32 v4, v3
	v_mov_b32_e32 v1, v15
	v_mad_u64_u32 v[4:5], s[2:3], v0, s59, v[4:5]
	v_cmp_gt_u64_e64 s[2:3], s[60:61], v[0:1]
	v_writelane_b32 v49, s2, 46
	v_writelane_b32 v49, s3, 47
	v_cmp_gt_u32_e64 s[2:3], 2, v0
	v_writelane_b32 v49, s2, 48
	s_barrier
	v_writelane_b32 v49, s3, 49
	s_load_dword s2, s[16:17], 0xc
	v_mov_b32_e32 v3, v4
	v_lshlrev_b64 v[2:3], 1, v[2:3]
	v_add_co_u32_e32 v12, vcc, s33, v2
	s_waitcnt lgkmcnt(0)
	s_and_b32 s89, s2, 0xffff
	s_bfe_u32 s3, s2, 0xa0006
	v_cmp_gt_u16_e64 s[4:5], s2, 63
	v_writelane_b32 v49, s4, 50
	s_add_u32 s2, s89, -1
	v_writelane_b32 v49, s5, 51
	s_addc_u32 s4, 0, -1
	v_writelane_b32 v49, s2, 52
	s_add_u32 s2, s2, s60
	s_addc_u32 s73, s4, s61
	s_cmp_lt_u32 s6, s18
	v_writelane_b32 v49, s2, 53
	s_cselect_b32 s2, 12, 18
	v_writelane_b32 v49, s4, 54
	s_add_u32 s4, s16, s2
	s_addc_u32 s5, s17, 0
	v_writelane_b32 v49, s4, 55
	v_writelane_b32 v49, s5, 56
	s_add_i32 s2, s3, -1
	s_bfe_u32 s5, s89, 0x30006
	s_cmp_gt_u32 s2, 6
	s_cselect_b64 s[6:7], -1, 0
	v_lshrrev_b32_e32 v2, 4, v0
	v_writelane_b32 v49, s6, 57
	s_and_b32 s4, s3, 0x3f8
	v_mov_b32_e32 v26, s88
	v_and_b32_e32 v27, 60, v2
	v_lshlrev_b32_e32 v2, 2, v25
	v_writelane_b32 v49, s7, 58
	s_cmp_lg_u32 s5, 0
	v_addc_co_u32_e32 v13, vcc, v26, v3, vcc
	v_and_b32_e32 v24, 0x100, v2
	v_lshlrev_b64 v[2:3], v25, -1
	v_writelane_b32 v49, s5, 59
	s_cselect_b64 s[2:3], -1, 0
	v_lshlrev_b32_e32 v28, 1, v0
	v_not_b32_e32 v10, v2
	v_writelane_b32 v49, s2, 60
	v_mov_b32_e32 v2, 0xc00
	v_cmp_eq_u32_e64 s[0:1], 0, v25
	v_lshlrev_b32_e32 v16, 2, v0
	v_mov_b32_e32 v17, v15
	v_add_u32_e32 v29, 0xc00, v28
	v_not_b32_e32 v11, v3
	s_mov_b32 s74, s91
	v_writelane_b32 v49, s3, 61
	v_lshlrev_b32_e32 v30, 3, v0
	v_lshl_or_b32 v31, v25, 3, v2
	s_lshl_b32 s5, s89, 1
	s_mov_b32 s75, 14
	s_mov_b64 s[82:83], 0
	v_pk_mov_b32 v[18:19], s[62:63], s[62:63] op_sel:[0,1]
	v_mov_b32_e32 v32, 0xffff
	v_mov_b32_e32 v33, 0x8000
	;; [unrolled: 1-line block ×3, first 2 shown]
	v_mov_b32_e32 v35, -1
	v_mov_b32_e32 v36, 0x5040100
	v_mov_b32_e32 v39, 0
	s_mov_b32 s6, 0
	v_mov_b32_e32 v38, 0
	v_mov_b32_e32 v37, 0
                                        ; implicit-def: $sgpr2_sgpr3
                                        ; implicit-def: $sgpr84_sgpr85
                                        ; implicit-def: $sgpr66_sgpr67
                                        ; implicit-def: $sgpr68_sgpr69
                                        ; implicit-def: $sgpr64_sgpr65
                                        ; implicit-def: $sgpr70_sgpr71
                                        ; implicit-def: $sgpr80_sgpr81
	v_writelane_b32 v49, s6, 62
                                        ; implicit-def: $sgpr86_sgpr87
                                        ; implicit-def: $sgpr76_sgpr77
                                        ; implicit-def: $sgpr78_sgpr79
	s_branch .LBB222_18
.LBB222_16:                             ;   in Loop: Header=BB222_18 Depth=1
	s_or_b64 exec, exec, s[12:13]
	s_andn2_b64 s[12:13], s[78:79], exec
	s_and_b64 s[10:11], s[10:11], exec
	s_or_b64 s[78:79], s[12:13], s[10:11]
	s_andn2_b64 s[76:77], s[76:77], exec
	s_andn2_b64 s[86:87], s[86:87], exec
	;; [unrolled: 1-line block ×4, first 2 shown]
	s_orn2_b64 s[8:9], s[8:9], exec
	v_mov_b32_e32 v37, v9
	v_mov_b32_e32 v38, v8
	v_pk_mov_b32 v[18:19], v[2:3], v[2:3] op_sel:[0,1]
	v_mov_b32_e32 v39, v6
.LBB222_17:                             ;   in Loop: Header=BB222_18 Depth=1
	s_or_b64 exec, exec, s[6:7]
	s_and_b64 s[6:7], exec, s[8:9]
	s_or_b64 s[82:83], s[6:7], s[82:83]
	s_andn2_b64 s[6:7], s[64:65], exec
	s_and_b64 s[8:9], s[78:79], exec
	s_or_b64 s[64:65], s[6:7], s[8:9]
	s_andn2_b64 s[6:7], s[68:69], exec
	s_and_b64 s[8:9], s[76:77], exec
	s_or_b64 s[68:69], s[6:7], s[8:9]
	s_andn2_b64 s[6:7], s[66:67], exec
	s_and_b64 s[8:9], s[86:87], exec
	s_or_b64 s[66:67], s[6:7], s[8:9]
	s_andn2_b64 s[6:7], s[84:85], exec
	s_and_b64 s[8:9], s[80:81], exec
	s_or_b64 s[84:85], s[6:7], s[8:9]
	s_andn2_b64 s[2:3], s[2:3], exec
	s_and_b64 s[6:7], s[70:71], exec
	s_or_b64 s[2:3], s[2:3], s[6:7]
	s_andn2_b64 exec, exec, s[82:83]
	s_cbranch_execz .LBB222_488
.LBB222_18:                             ; =>This Loop Header: Depth=1
                                        ;     Child Loop BB222_23 Depth 2
                                        ;     Child Loop BB222_38 Depth 2
	;; [unrolled: 1-line block ×24, first 2 shown]
	ds_read_b128 v[2:5], v15 offset:5120
	s_waitcnt lgkmcnt(0)
	v_readfirstlane_b32 s31, v3
	v_readfirstlane_b32 s30, v2
	s_cmp_lg_u64 s[30:31], 0
	s_cbranch_scc1 .LBB222_45
; %bb.19:                               ;   in Loop: Header=BB222_18 Depth=1
	v_readlane_b32 s6, v49, 44
	v_readlane_b32 s7, v49, 45
	s_and_b64 vcc, exec, s[6:7]
	s_cbranch_vccz .LBB222_31
; %bb.20:                               ;   in Loop: Header=BB222_18 Depth=1
	s_mov_b64 s[6:7], 0x601
	v_cmp_gt_u64_e32 vcc, s[6:7], v[4:5]
	s_mov_b64 s[30:31], 0
	s_mov_b64 s[6:7], 0
	s_cbranch_vccz .LBB222_32
; %bb.21:                               ;   in Loop: Header=BB222_18 Depth=1
	v_readlane_b32 s6, v49, 55
	v_readlane_b32 s7, v49, 56
	global_load_ushort v5, v[12:13], off
	s_mov_b64 s[8:9], 0
	v_pk_mov_b32 v[2:3], v[0:1], v[0:1] op_sel:[0,1]
	s_nop 1
	global_load_ushort v4, v15, s[6:7]
	s_branch .LBB222_23
.LBB222_22:                             ;   in Loop: Header=BB222_23 Depth=2
	s_or_b64 exec, exec, s[6:7]
	s_waitcnt vmcnt(0)
	v_mov_b32_e32 v5, v6
	s_andn2_b64 exec, exec, s[8:9]
	s_cbranch_execz .LBB222_104
.LBB222_23:                             ;   Parent Loop BB222_18 Depth=1
                                        ; =>  This Inner Loop Header: Depth=2
	s_waitcnt vmcnt(0)
	v_add_co_u32_sdwa v2, vcc, v2, v4 dst_sel:DWORD dst_unused:UNUSED_PAD src0_sel:DWORD src1_sel:WORD_0
	v_addc_co_u32_e32 v3, vcc, 0, v3, vcc
	v_cmp_gt_u64_e64 s[6:7], s[60:61], v[2:3]
	v_cmp_le_u64_e32 vcc, s[60:61], v[2:3]
	s_waitcnt lgkmcnt(0)
	v_mov_b32_e32 v7, 0
	v_mov_b32_e32 v6, 0
	s_and_saveexec_b64 s[10:11], s[6:7]
	s_cbranch_execz .LBB222_25
; %bb.24:                               ;   in Loop: Header=BB222_23 Depth=2
	v_mul_lo_u32 v6, v3, s58
	v_mul_lo_u32 v14, v2, s59
	v_mad_u64_u32 v[8:9], s[6:7], v2, s58, 0
	v_add3_u32 v9, v9, v14, v6
	v_lshlrev_b64 v[8:9], 1, v[8:9]
	v_add_co_u32_e64 v8, s[6:7], s33, v8
	v_addc_co_u32_e64 v9, s[6:7], v26, v9, s[6:7]
	global_load_ushort v6, v[8:9], off
.LBB222_25:                             ;   in Loop: Header=BB222_23 Depth=2
	s_or_b64 exec, exec, s[10:11]
	v_cmp_lt_i16_e64 s[6:7], -1, v5
	v_cndmask_b32_e64 v8, v32, v33, s[6:7]
	v_lshlrev_b32_e32 v9, 16, v5
	v_xor_b32_sdwa v8, v8, v5 dst_sel:DWORD dst_unused:UNUSED_PAD src0_sel:DWORD src1_sel:WORD_0
	v_cmp_o_f32_e64 s[6:7], v9, v9
	v_cndmask_b32_e64 v8, v32, v8, s[6:7]
	v_and_b32_e32 v8, v8, v37
	v_cmp_eq_u32_e64 s[14:15], v8, v38
	s_cmp_lg_u64 s[14:15], 0
	s_cselect_b64 s[6:7], -1, 0
	s_and_b64 s[6:7], s[0:1], s[6:7]
	s_and_saveexec_b64 s[10:11], s[6:7]
	s_cbranch_execz .LBB222_29
; %bb.26:                               ;   in Loop: Header=BB222_23 Depth=2
	s_mov_b64 s[16:17], exec
	v_mbcnt_lo_u32_b32 v7, s16, 0
	v_mbcnt_hi_u32_b32 v7, s17, v7
	s_bcnt1_i32_b64 s18, s[14:15]
	v_cmp_eq_u32_e64 s[6:7], 0, v7
                                        ; implicit-def: $vgpr8
	s_and_saveexec_b64 s[12:13], s[6:7]
	s_cbranch_execz .LBB222_28
; %bb.27:                               ;   in Loop: Header=BB222_23 Depth=2
	s_bcnt1_i32_b64 s6, s[16:17]
	s_mul_i32 s6, s18, s6
	v_mov_b32_e32 v8, s6
	ds_add_rtn_u32 v8, v15, v8 offset:5144
.LBB222_28:                             ;   in Loop: Header=BB222_23 Depth=2
	s_or_b64 exec, exec, s[12:13]
	s_waitcnt lgkmcnt(0)
	v_readfirstlane_b32 s6, v8
	v_mov_b32_e32 v8, s6
	v_mad_u32_u24 v7, s18, v7, v8
.LBB222_29:                             ;   in Loop: Header=BB222_23 Depth=2
	s_or_b64 exec, exec, s[10:11]
	ds_bpermute_b32 v7, v24, v7
	s_and_b64 s[6:7], exec, vcc
	s_or_b64 s[8:9], s[6:7], s[8:9]
	s_and_saveexec_b64 s[6:7], s[14:15]
	s_cbranch_execz .LBB222_22
; %bb.30:                               ;   in Loop: Header=BB222_23 Depth=2
	v_and_b32_e32 v9, s14, v10
	v_and_b32_e32 v8, s15, v11
	v_bcnt_u32_b32 v9, v9, 0
	v_bcnt_u32_b32 v8, v8, v9
	v_lshlrev_b32_e32 v8, 1, v8
	s_waitcnt lgkmcnt(0)
	v_lshl_add_u32 v7, v7, 1, v8
	ds_write_b16 v7, v5
	s_branch .LBB222_22
.LBB222_31:                             ;   in Loop: Header=BB222_18 Depth=1
	s_mov_b64 s[30:31], -1
	s_mov_b64 s[6:7], 0
.LBB222_32:                             ;   in Loop: Header=BB222_18 Depth=1
	s_and_b64 vcc, exec, s[30:31]
	s_cbranch_vccz .LBB222_43
.LBB222_33:                             ;   in Loop: Header=BB222_18 Depth=1
	v_mov_b32_e32 v4, 0
	s_mov_b64 s[6:7], exec
	v_readlane_b32 s8, v49, 46
	v_readlane_b32 s9, v49, 47
	s_and_b64 s[8:9], s[6:7], s[8:9]
	s_mov_b64 exec, s[8:9]
	s_cbranch_execz .LBB222_35
; %bb.34:                               ;   in Loop: Header=BB222_18 Depth=1
	global_load_ushort v4, v[12:13], off
.LBB222_35:                             ;   in Loop: Header=BB222_18 Depth=1
	s_or_b64 exec, exec, s[6:7]
	s_mov_b64 s[8:9], exec
	v_readlane_b32 s6, v49, 46
	v_readlane_b32 s7, v49, 47
	s_and_b64 s[6:7], s[8:9], s[6:7]
	s_mov_b64 exec, s[6:7]
	s_cbranch_execz .LBB222_40
; %bb.36:                               ;   in Loop: Header=BB222_18 Depth=1
	v_readlane_b32 s6, v49, 55
	v_readlane_b32 s7, v49, 56
	s_mov_b64 s[10:11], 0
	v_mov_b32_e32 v5, v28
	s_nop 2
	global_load_ushort v2, v15, s[6:7]
	s_waitcnt vmcnt(0)
	v_and_b32_e32 v6, 0xffff, v2
	v_lshlrev_b32_e32 v7, 1, v6
	v_pk_mov_b32 v[2:3], v[0:1], v[0:1] op_sel:[0,1]
	s_branch .LBB222_38
.LBB222_37:                             ;   in Loop: Header=BB222_38 Depth=2
	s_or_b64 exec, exec, s[12:13]
	s_and_b64 s[6:7], exec, vcc
	s_or_b64 s[10:11], s[6:7], s[10:11]
	ds_write_b16 v5, v4
	v_add_u32_e32 v5, v5, v7
	s_waitcnt vmcnt(0)
	v_mov_b32_e32 v4, v8
	s_andn2_b64 exec, exec, s[10:11]
	s_cbranch_execz .LBB222_40
.LBB222_38:                             ;   Parent Loop BB222_18 Depth=1
                                        ; =>  This Inner Loop Header: Depth=2
	v_add_co_u32_e32 v2, vcc, v2, v6
	v_addc_co_u32_e32 v3, vcc, 0, v3, vcc
	v_cmp_gt_u64_e64 s[6:7], s[60:61], v[2:3]
	v_cmp_le_u64_e32 vcc, s[60:61], v[2:3]
	v_mov_b32_e32 v8, 0
	s_and_saveexec_b64 s[12:13], s[6:7]
	s_cbranch_execz .LBB222_37
; %bb.39:                               ;   in Loop: Header=BB222_38 Depth=2
	v_mul_lo_u32 v14, v3, s58
	v_mul_lo_u32 v20, v2, s59
	v_mad_u64_u32 v[8:9], s[6:7], v2, s58, 0
	v_add3_u32 v9, v9, v20, v14
	v_lshlrev_b64 v[8:9], 1, v[8:9]
	v_mov_b32_e32 v14, s88
	v_add_co_u32_e64 v8, s[6:7], s33, v8
	v_addc_co_u32_e64 v9, s[6:7], v14, v9, s[6:7]
	global_load_ushort v8, v[8:9], off
	s_branch .LBB222_37
.LBB222_40:                             ;   in Loop: Header=BB222_18 Depth=1
	s_or_b64 exec, exec, s[8:9]
	s_waitcnt lgkmcnt(0)
	s_barrier
	s_mov_b64 s[6:7], exec
	v_readlane_b32 s8, v49, 32
	v_readlane_b32 s9, v49, 33
	s_and_b64 s[8:9], s[6:7], s[8:9]
	s_mov_b64 exec, s[8:9]
	s_cbranch_execz .LBB222_42
; %bb.41:                               ;   in Loop: Header=BB222_18 Depth=1
	v_pk_mov_b32 v[2:3], s[60:61], s[60:61] op_sel:[0,1]
	ds_write_b64 v15, v[2:3] offset:5120
.LBB222_42:                             ;   in Loop: Header=BB222_18 Depth=1
	s_or_b64 exec, exec, s[6:7]
	s_mov_b64 s[6:7], -1
	s_waitcnt lgkmcnt(0)
	s_barrier
                                        ; implicit-def: $sgpr30_sgpr31
.LBB222_43:                             ;   in Loop: Header=BB222_18 Depth=1
	s_and_b64 vcc, exec, s[6:7]
	s_cbranch_vccz .LBB222_45
; %bb.44:                               ;   in Loop: Header=BB222_18 Depth=1
	ds_read_b64 v[2:3], v15 offset:5120
	s_waitcnt lgkmcnt(0)
	v_readfirstlane_b32 s30, v2
.LBB222_45:                             ;   in Loop: Header=BB222_18 Depth=1
	s_cmp_lt_i32 s30, 1
	s_cbranch_scc0 .LBB222_60
; %bb.46:                               ;   in Loop: Header=BB222_18 Depth=1
	v_readlane_b32 s6, v49, 55
	v_readlane_b32 s7, v49, 56
	s_nop 4
	global_load_ushort v40, v15, s[6:7]
	s_mov_b32 s6, s91
	s_waitcnt vmcnt(0)
	v_readfirstlane_b32 s7, v40
	s_and_b32 s7, 0xffff, s7
	s_lshl_b32 s31, s7, 2
	s_mov_b32 s7, s61
	s_cmp_lg_u64 s[6:7], 0
	s_cbranch_scc0 .LBB222_80
; %bb.47:                               ;   in Loop: Header=BB222_18 Depth=1
	v_cvt_f32_u32_e32 v2, s31
	s_sub_u32 s6, 0, s31
	s_subb_u32 s7, 0, 0
	v_mac_f32_e32 v2, 0, v34
	v_rcp_f32_e32 v2, v2
	v_mul_f32_e32 v2, 0x5f7ffffc, v2
	v_mul_f32_e32 v3, 0x2f800000, v2
	v_trunc_f32_e32 v3, v3
	v_mac_f32_e32 v2, 0xcf800000, v3
	v_cvt_u32_f32_e32 v3, v3
	v_cvt_u32_f32_e32 v2, v2
	v_readfirstlane_b32 s8, v3
	v_readfirstlane_b32 s9, v2
	s_mul_i32 s10, s6, s8
	s_mul_hi_u32 s12, s6, s9
	s_mul_i32 s11, s7, s9
	s_add_i32 s10, s12, s10
	s_mul_i32 s13, s6, s9
	s_add_i32 s10, s10, s11
	s_mul_hi_u32 s12, s9, s13
	s_mul_hi_u32 s11, s9, s10
	s_mul_i32 s9, s9, s10
	s_add_u32 s9, s12, s9
	s_addc_u32 s11, 0, s11
	s_mul_hi_u32 s14, s8, s13
	s_mul_i32 s13, s8, s13
	s_add_u32 s9, s9, s13
	s_mul_hi_u32 s12, s8, s10
	s_addc_u32 s9, s11, s14
	s_addc_u32 s11, s12, 0
	s_mul_i32 s10, s8, s10
	s_add_u32 s9, s9, s10
	s_addc_u32 s10, 0, s11
	v_add_co_u32_e32 v2, vcc, s9, v2
	s_cmp_lg_u64 vcc, 0
	s_addc_u32 s8, s8, s10
	v_readfirstlane_b32 s10, v2
	s_mul_i32 s9, s6, s8
	s_mul_hi_u32 s11, s6, s10
	s_add_i32 s9, s11, s9
	s_mul_i32 s7, s7, s10
	s_add_i32 s9, s9, s7
	s_mul_i32 s6, s6, s10
	s_mul_hi_u32 s11, s8, s6
	s_mul_i32 s12, s8, s6
	s_mul_i32 s14, s10, s9
	s_mul_hi_u32 s6, s10, s6
	s_mul_hi_u32 s13, s10, s9
	s_add_u32 s6, s6, s14
	s_addc_u32 s10, 0, s13
	s_add_u32 s6, s6, s12
	s_mul_hi_u32 s7, s8, s9
	s_addc_u32 s6, s10, s11
	s_addc_u32 s7, s7, 0
	s_mul_i32 s9, s8, s9
	s_add_u32 s6, s6, s9
	s_addc_u32 s7, 0, s7
	v_add_co_u32_e32 v2, vcc, s6, v2
	s_cmp_lg_u64 vcc, 0
	s_addc_u32 s6, s8, s7
	v_readfirstlane_b32 s9, v2
	s_mul_i32 s8, s60, s6
	s_mul_hi_u32 s10, s60, s9
	s_mul_hi_u32 s7, s60, s6
	s_add_u32 s8, s10, s8
	s_addc_u32 s7, 0, s7
	s_mul_hi_u32 s11, s61, s9
	s_mul_i32 s9, s61, s9
	s_add_u32 s8, s8, s9
	s_mul_hi_u32 s10, s61, s6
	s_addc_u32 s7, s7, s11
	s_addc_u32 s8, s10, 0
	s_mul_i32 s6, s61, s6
	s_add_u32 s6, s7, s6
	s_addc_u32 s7, 0, s8
	s_mul_hi_u32 s8, s31, s6
	s_mul_i32 s6, s31, s6
	s_mul_i32 s7, s31, s7
	v_mov_b32_e32 v2, s6
	s_add_i32 s8, s8, s7
	v_sub_co_u32_e32 v2, vcc, s60, v2
	s_cmp_lg_u64 vcc, 0
	s_subb_u32 s6, s61, s8
	v_subrev_co_u32_e32 v3, vcc, s31, v2
	s_cmp_lg_u64 vcc, 0
	s_subb_u32 s7, s6, 0
	v_subrev_co_u32_e32 v4, vcc, s31, v3
	s_cmp_lg_u64 vcc, 0
	s_subb_u32 s8, s7, 0
	v_cmp_le_u32_e32 vcc, s31, v3
	s_cmp_eq_u32 s7, 0
	v_cndmask_b32_e64 v5, 0, -1, vcc
	s_cselect_b64 vcc, -1, 0
	v_cndmask_b32_e32 v5, -1, v5, vcc
	v_mov_b32_e32 v6, s7
	v_mov_b32_e32 v7, s8
	v_cmp_ne_u32_e32 vcc, 0, v5
	v_cndmask_b32_e32 v5, v6, v7, vcc
	v_cndmask_b32_e32 v4, v3, v4, vcc
	v_cmp_le_u32_e32 vcc, s31, v2
	s_cmp_eq_u32 s6, 0
	v_cndmask_b32_e64 v3, 0, -1, vcc
	s_cselect_b64 vcc, -1, 0
	v_cndmask_b32_e32 v3, -1, v3, vcc
	v_mov_b32_e32 v6, s6
	v_cmp_ne_u32_e32 vcc, 0, v3
	v_cndmask_b32_e32 v3, v6, v5, vcc
	v_cndmask_b32_e32 v2, v2, v4, vcc
	s_cbranch_execnz .LBB222_49
.LBB222_48:                             ;   in Loop: Header=BB222_18 Depth=1
	v_cvt_f32_u32_e32 v2, s31
	s_sub_i32 s6, 0, s31
	v_rcp_iflag_f32_e32 v2, v2
	v_mul_f32_e32 v2, 0x4f7ffffe, v2
	v_cvt_u32_f32_e32 v2, v2
	v_mul_lo_u32 v3, s6, v2
	v_mul_hi_u32 v3, v2, v3
	v_add_u32_e32 v2, v2, v3
	v_mul_hi_u32 v2, s60, v2
	v_mul_lo_u32 v2, v2, s31
	v_sub_u32_e32 v2, s60, v2
	v_subrev_u32_e32 v3, s31, v2
	v_cmp_le_u32_e32 vcc, s31, v2
	v_cndmask_b32_e32 v2, v2, v3, vcc
	v_subrev_u32_e32 v3, s31, v2
	v_cmp_le_u32_e32 vcc, s31, v2
	v_cndmask_b32_e32 v14, v2, v3, vcc
	v_pk_mov_b32 v[2:3], v[14:15], v[14:15] op_sel:[0,1]
.LBB222_49:                             ;   in Loop: Header=BB222_18 Depth=1
	v_mov_b32_e32 v4, s61
	v_sub_co_u32_e32 v20, vcc, s60, v2
	v_subb_co_u32_e32 v21, vcc, v4, v3, vcc
	v_pk_mov_b32 v[2:3], 0, 0
	v_cmp_gt_u64_e32 vcc, v[20:21], v[16:17]
	s_mov_b64 s[54:55], 0
	v_pk_mov_b32 v[4:5], v[2:3], v[2:3] op_sel:[0,1]
	v_pk_mov_b32 v[6:7], v[2:3], v[2:3] op_sel:[0,1]
	;; [unrolled: 1-line block ×3, first 2 shown]
	s_and_saveexec_b64 s[8:9], vcc
	s_cbranch_execz .LBB222_53
; %bb.50:                               ;   in Loop: Header=BB222_18 Depth=1
	s_and_b32 s72, s75, 0xfe
	s_mov_b64 s[10:11], 0
	s_mov_b64 s[56:57], 0
	;; [unrolled: 1-line block ×4, first 2 shown]
	v_pk_mov_b32 v[22:23], v[16:17], v[16:17] op_sel:[0,1]
.LBB222_51:                             ;   Parent Loop BB222_18 Depth=1
                                        ; =>  This Inner Loop Header: Depth=2
	v_mul_lo_u32 v4, v23, s58
	v_mul_lo_u32 v5, v22, s59
	v_mad_u64_u32 v[2:3], s[6:7], v22, s58, 0
	v_add3_u32 v3, v3, v5, v4
	v_lshlrev_b64 v[2:3], 1, v[2:3]
	v_mov_b32_e32 v6, s88
	v_add_co_u32_e64 v2, s[6:7], s33, v2
	s_lshl_b64 s[14:15], s[58:59], 1
	v_addc_co_u32_e64 v3, s[6:7], v6, v3, s[6:7]
	v_mov_b32_e32 v4, s15
	global_load_ushort v5, v[2:3], off
	v_add_co_u32_e64 v2, s[6:7], s14, v2
	v_addc_co_u32_e64 v3, s[6:7], v3, v4, s[6:7]
	global_load_ushort v6, v[2:3], off
	v_add_co_u32_e64 v2, s[6:7], s14, v2
	v_addc_co_u32_e64 v3, s[6:7], v3, v4, s[6:7]
	;; [unrolled: 3-line block ×3, first 2 shown]
	global_load_ushort v2, v[2:3], off
	v_add_co_u32_e32 v22, vcc, s31, v22
	v_addc_co_u32_e32 v23, vcc, 0, v23, vcc
	v_cmp_ge_u64_e32 vcc, v[22:23], v[20:21]
	s_waitcnt vmcnt(3)
	v_cmp_lt_i16_e64 s[6:7], -1, v5
	v_lshlrev_b32_e32 v3, 16, v5
	v_cndmask_b32_e64 v4, v32, v33, s[6:7]
	v_xor_b32_sdwa v4, v4, v5 dst_sel:DWORD dst_unused:UNUSED_PAD src0_sel:DWORD src1_sel:WORD_0
	s_waitcnt vmcnt(2)
	v_cmp_lt_i16_e64 s[6:7], -1, v6
	v_cndmask_b32_e64 v5, v32, v33, s[6:7]
	v_cmp_o_f32_e64 s[6:7], v3, v3
	v_lshlrev_b32_e32 v8, 16, v6
	v_cndmask_b32_e64 v4, v32, v4, s[6:7]
	s_waitcnt vmcnt(1)
	v_cmp_lt_i16_e64 s[6:7], -1, v7
	v_xor_b32_sdwa v5, v5, v6 dst_sel:DWORD dst_unused:UNUSED_PAD src0_sel:DWORD src1_sel:WORD_0
	v_cndmask_b32_e64 v6, v32, v33, s[6:7]
	v_cmp_o_f32_e64 s[6:7], v8, v8
	v_lshlrev_b32_e32 v3, 16, v7
	v_cndmask_b32_e64 v5, v32, v5, s[6:7]
	s_waitcnt vmcnt(0)
	v_cmp_lt_i16_e64 s[6:7], -1, v2
	v_lshlrev_b32_e32 v8, 16, v2
	v_xor_b32_sdwa v6, v6, v7 dst_sel:DWORD dst_unused:UNUSED_PAD src0_sel:DWORD src1_sel:WORD_0
	v_cndmask_b32_e64 v7, v32, v33, s[6:7]
	v_and_b32_e32 v9, v4, v37
	v_bfe_u32 v4, v4, s72, 2
	v_cmp_o_f32_e64 s[6:7], v3, v3
	v_cndmask_b32_e64 v3, v32, v6, s[6:7]
	v_xor_b32_sdwa v2, v7, v2 dst_sel:DWORD dst_unused:UNUSED_PAD src0_sel:DWORD src1_sel:WORD_0
	v_cmp_eq_u32_e64 s[14:15], v9, v38
	v_and_b32_e32 v6, v5, v37
	v_bfe_u32 v5, v5, s72, 2
	v_cmp_eq_u32_e64 s[6:7], 0, v4
	v_cmp_o_f32_e64 s[16:17], v8, v8
	v_cndmask_b32_e64 v2, v32, v2, s[16:17]
	v_cmp_eq_u32_e64 s[16:17], v6, v38
	v_cmp_eq_u32_e64 s[26:27], 0, v5
	s_and_b64 s[6:7], s[14:15], s[6:7]
	v_cmp_eq_u32_e64 s[34:35], 1, v4
	v_cmp_eq_u32_e64 s[36:37], 2, v4
	;; [unrolled: 1-line block ×3, first 2 shown]
	v_and_b32_e32 v4, v3, v37
	v_bfe_u32 v3, v3, s72, 2
	v_cmp_eq_u32_e64 s[38:39], 1, v5
	v_cmp_eq_u32_e64 s[40:41], 2, v5
	;; [unrolled: 1-line block ×3, first 2 shown]
	v_cndmask_b32_e64 v5, 0, 1, s[6:7]
	s_and_b64 s[26:27], s[16:17], s[26:27]
	v_cmp_eq_u32_e64 s[22:23], v4, v38
	v_and_b32_e32 v4, v2, v37
	v_bfe_u32 v2, v2, s72, 2
	v_cmp_eq_u32_e64 s[6:7], 0, v3
	v_cmp_eq_u32_e64 s[42:43], 1, v3
	;; [unrolled: 1-line block ×4, first 2 shown]
	v_cmp_ne_u32_e64 s[46:47], 0, v5
	v_cndmask_b32_e64 v3, 0, 1, s[26:27]
	v_cmp_eq_u32_e64 s[26:27], v4, v38
	v_cmp_eq_u32_e64 s[48:49], 0, v2
	s_bcnt1_i32_b64 s90, s[46:47]
	v_cmp_ne_u32_e64 s[46:47], 0, v3
	s_and_b64 s[6:7], s[22:23], s[6:7]
	v_cmp_eq_u32_e64 s[50:51], 1, v2
	v_cmp_eq_u32_e64 s[52:53], 2, v2
	;; [unrolled: 1-line block ×3, first 2 shown]
	v_cndmask_b32_e64 v2, 0, 1, s[6:7]
	s_bcnt1_i32_b64 s92, s[46:47]
	s_and_b64 s[46:47], s[26:27], s[48:49]
	v_cmp_ne_u32_e64 s[6:7], 0, v2
	v_cndmask_b32_e64 v2, 0, 1, s[46:47]
	s_bcnt1_i32_b64 s46, s[6:7]
	v_cmp_ne_u32_e64 s[6:7], 0, v2
	s_bcnt1_i32_b64 s6, s[6:7]
	s_add_u32 s7, s90, s12
	s_addc_u32 s12, 0, s13
	s_add_u32 s7, s7, s92
	s_addc_u32 s12, s12, 0
	s_add_u32 s7, s7, s46
	s_addc_u32 s13, s12, 0
	s_add_u32 s12, s7, s6
	s_addc_u32 s13, s13, 0
	s_and_b64 s[6:7], s[14:15], s[34:35]
	v_cndmask_b32_e64 v4, 0, 1, s[6:7]
	s_and_b64 s[6:7], s[16:17], s[38:39]
	v_cndmask_b32_e64 v5, 0, 1, s[6:7]
	s_and_b64 s[6:7], s[22:23], s[42:43]
	v_cndmask_b32_e64 v6, 0, 1, s[6:7]
	s_and_b64 s[6:7], s[26:27], s[50:51]
	v_cndmask_b32_e64 v7, 0, 1, s[6:7]
	v_cmp_ne_u32_e64 s[6:7], 0, v4
	v_cmp_ne_u32_e64 s[34:35], 0, v5
	v_cmp_ne_u32_e64 s[38:39], 0, v6
	v_cmp_ne_u32_e64 s[42:43], 0, v7
	s_bcnt1_i32_b64 s6, s[6:7]
	s_bcnt1_i32_b64 s7, s[34:35]
	s_bcnt1_i32_b64 s34, s[38:39]
	s_bcnt1_i32_b64 s35, s[42:43]
	s_add_u32 s6, s6, s94
	s_addc_u32 s38, 0, s95
	s_add_u32 s6, s6, s7
	s_addc_u32 s7, s38, 0
	s_add_u32 s6, s6, s34
	s_addc_u32 s7, s7, 0
	s_add_u32 s94, s6, s35
	s_addc_u32 s95, s7, 0
	s_and_b64 s[6:7], s[14:15], s[36:37]
	v_cndmask_b32_e64 v6, 0, 1, s[6:7]
	s_and_b64 s[6:7], s[16:17], s[40:41]
	v_cndmask_b32_e64 v7, 0, 1, s[6:7]
	s_and_b64 s[6:7], s[22:23], s[44:45]
	v_cndmask_b32_e64 v8, 0, 1, s[6:7]
	s_and_b64 s[6:7], s[26:27], s[52:53]
	v_cndmask_b32_e64 v9, 0, 1, s[6:7]
	v_cmp_ne_u32_e64 s[6:7], 0, v6
	v_cmp_ne_u32_e64 s[34:35], 0, v7
	v_cmp_ne_u32_e64 s[36:37], 0, v8
	v_cmp_ne_u32_e64 s[38:39], 0, v9
	s_bcnt1_i32_b64 s6, s[6:7]
	s_bcnt1_i32_b64 s7, s[34:35]
	s_bcnt1_i32_b64 s34, s[36:37]
	;; [unrolled: 24-line block ×3, first 2 shown]
	s_bcnt1_i32_b64 s15, s[18:19]
	s_add_u32 s6, s6, s10
	s_addc_u32 s10, 0, s11
	s_add_u32 s6, s6, s7
	s_addc_u32 s7, s10, 0
	;; [unrolled: 2-line block ×4, first 2 shown]
	v_pk_mov_b32 v[2:3], s[12:13], s[12:13] op_sel:[0,1]
	v_pk_mov_b32 v[4:5], s[94:95], s[94:95] op_sel:[0,1]
	;; [unrolled: 1-line block ×3, first 2 shown]
	s_or_b64 s[54:55], vcc, s[54:55]
	v_pk_mov_b32 v[8:9], s[10:11], s[10:11] op_sel:[0,1]
	s_andn2_b64 exec, exec, s[54:55]
	s_cbranch_execnz .LBB222_51
; %bb.52:                               ;   in Loop: Header=BB222_18 Depth=1
	s_or_b64 exec, exec, s[54:55]
.LBB222_53:                             ;   in Loop: Header=BB222_18 Depth=1
	s_or_b64 exec, exec, s[8:9]
	v_add_co_u32_e32 v20, vcc, v20, v0
	v_addc_co_u32_e32 v21, vcc, 0, v21, vcc
	v_cmp_gt_u64_e32 vcc, s[60:61], v[20:21]
	v_mov_b32_e32 v14, 0
	s_and_saveexec_b64 s[8:9], vcc
	s_cbranch_execz .LBB222_55
; %bb.54:                               ;   in Loop: Header=BB222_18 Depth=1
	v_mul_lo_u32 v14, v21, s58
	v_mul_lo_u32 v41, v20, s59
	v_mad_u64_u32 v[22:23], s[6:7], v20, s58, 0
	v_add3_u32 v23, v23, v41, v14
	v_lshlrev_b64 v[22:23], 1, v[22:23]
	v_mov_b32_e32 v14, s88
	v_add_co_u32_e64 v22, s[6:7], s33, v22
	v_addc_co_u32_e64 v23, s[6:7], v14, v23, s[6:7]
	global_load_ushort v14, v[22:23], off
.LBB222_55:                             ;   in Loop: Header=BB222_18 Depth=1
	s_or_b64 exec, exec, s[8:9]
	s_and_saveexec_b64 s[8:9], vcc
	s_cbranch_execz .LBB222_62
; %bb.56:                               ;   in Loop: Header=BB222_18 Depth=1
	s_and_b32 s14, s75, 0xfe
	s_mov_b64 s[10:11], 0
	s_branch .LBB222_58
.LBB222_57:                             ;   in Loop: Header=BB222_58 Depth=2
	s_or_b64 exec, exec, s[12:13]
	s_and_b64 s[6:7], exec, vcc
	s_waitcnt vmcnt(0)
	v_cmp_lt_i16_e32 vcc, -1, v14
	v_cndmask_b32_e32 v23, v32, v33, vcc
	v_lshlrev_b32_e32 v41, 16, v14
	v_xor_b32_sdwa v14, v23, v14 dst_sel:DWORD dst_unused:UNUSED_PAD src0_sel:DWORD src1_sel:WORD_0
	v_cmp_o_f32_e32 vcc, v41, v41
	v_cndmask_b32_e32 v14, v32, v14, vcc
	v_and_b32_e32 v23, v14, v37
	v_bfe_u32 v14, v14, s14, 2
	s_or_b64 s[10:11], s[6:7], s[10:11]
	v_cmp_eq_u32_e32 vcc, v23, v38
	v_cmp_eq_u32_e64 s[6:7], 0, v14
	s_and_b64 s[6:7], vcc, s[6:7]
	v_cndmask_b32_e64 v23, 0, 1, s[6:7]
	v_cmp_ne_u32_e64 s[6:7], 0, v23
	s_bcnt1_i32_b64 s6, s[6:7]
	v_add_co_u32_e64 v2, s[6:7], s6, v2
	v_addc_co_u32_e64 v3, s[6:7], 0, v3, s[6:7]
	v_cmp_eq_u32_e64 s[6:7], 1, v14
	s_and_b64 s[6:7], vcc, s[6:7]
	v_cndmask_b32_e64 v23, 0, 1, s[6:7]
	v_cmp_ne_u32_e64 s[6:7], 0, v23
	s_bcnt1_i32_b64 s6, s[6:7]
	v_add_co_u32_e64 v4, s[6:7], s6, v4
	v_addc_co_u32_e64 v5, s[6:7], 0, v5, s[6:7]
	;; [unrolled: 7-line block ×3, first 2 shown]
	v_cmp_eq_u32_e64 s[6:7], 3, v14
	s_and_b64 s[6:7], vcc, s[6:7]
	v_cndmask_b32_e64 v14, 0, 1, s[6:7]
	v_cmp_ne_u32_e32 vcc, 0, v14
	s_bcnt1_i32_b64 s6, vcc
	v_add_co_u32_e32 v8, vcc, s6, v8
	v_addc_co_u32_e32 v9, vcc, 0, v9, vcc
	v_mov_b32_e32 v14, v22
	s_andn2_b64 exec, exec, s[10:11]
	s_cbranch_execz .LBB222_61
.LBB222_58:                             ;   Parent Loop BB222_18 Depth=1
                                        ; =>  This Inner Loop Header: Depth=2
	v_add_co_u32_sdwa v20, vcc, v20, v40 dst_sel:DWORD dst_unused:UNUSED_PAD src0_sel:DWORD src1_sel:WORD_0
	v_addc_co_u32_e32 v21, vcc, 0, v21, vcc
	v_cmp_gt_u64_e64 s[6:7], s[60:61], v[20:21]
	v_cmp_le_u64_e32 vcc, s[60:61], v[20:21]
	v_mov_b32_e32 v22, 0
	s_and_saveexec_b64 s[12:13], s[6:7]
	s_cbranch_execz .LBB222_57
; %bb.59:                               ;   in Loop: Header=BB222_58 Depth=2
	v_mul_lo_u32 v41, v21, s58
	v_mul_lo_u32 v42, v20, s59
	v_mad_u64_u32 v[22:23], s[6:7], v20, s58, 0
	v_add3_u32 v23, v23, v42, v41
	v_lshlrev_b64 v[22:23], 1, v[22:23]
	v_mov_b32_e32 v41, s88
	v_add_co_u32_e64 v22, s[6:7], s33, v22
	v_addc_co_u32_e64 v23, s[6:7], v41, v23, s[6:7]
	global_load_ushort v22, v[22:23], off
	s_branch .LBB222_57
.LBB222_60:                             ;   in Loop: Header=BB222_18 Depth=1
                                        ; implicit-def: $vgpr8_vgpr9
                                        ; implicit-def: $vgpr4_vgpr5
	s_cbranch_execnz .LBB222_63
	s_branch .LBB222_72
.LBB222_61:                             ;   in Loop: Header=BB222_18 Depth=1
	s_or_b64 exec, exec, s[10:11]
.LBB222_62:                             ;   in Loop: Header=BB222_18 Depth=1
	s_or_b64 exec, exec, s[8:9]
	s_branch .LBB222_72
.LBB222_63:                             ;   in Loop: Header=BB222_18 Depth=1
	v_readlane_b32 s6, v49, 55
	v_readlane_b32 s7, v49, 56
	s_mov_b64 s[8:9], 0
	s_nop 3
	global_load_ushort v8, v15, s[6:7]
	s_waitcnt vmcnt(0)
	v_readfirstlane_b32 s6, v8
	s_and_b32 s6, 0xffff, s6
	s_lshl_b32 s31, s6, 2
	v_cvt_f32_u32_e32 v2, s31
	s_sub_i32 s6, 0, s31
	v_and_b32_e32 v22, 0xffff, v8
	v_rcp_iflag_f32_e32 v6, v2
	v_pk_mov_b32 v[2:3], 0, 0
	v_pk_mov_b32 v[4:5], v[2:3], v[2:3] op_sel:[0,1]
	v_mul_f32_e32 v6, 0x4f7ffffe, v6
	v_cvt_u32_f32_e32 v9, v6
	v_pk_mov_b32 v[6:7], v[2:3], v[2:3] op_sel:[0,1]
	v_readfirstlane_b32 s7, v9
	s_mul_i32 s6, s6, s7
	s_mul_hi_u32 s6, s7, s6
	s_add_i32 s7, s7, s6
	s_mul_hi_u32 s6, s30, s7
	s_mul_i32 s6, s6, s31
	s_sub_i32 s6, s30, s6
	s_sub_i32 s7, s6, s31
	s_cmp_ge_u32 s6, s31
	s_cselect_b32 s6, s7, s6
	s_sub_i32 s7, s6, s31
	s_cmp_ge_u32 s6, s31
	s_cselect_b32 s6, s7, s6
	s_sub_i32 s90, s30, s6
	v_cmp_gt_u32_e32 vcc, s90, v16
	v_pk_mov_b32 v[8:9], v[2:3], v[2:3] op_sel:[0,1]
	s_and_saveexec_b64 s[10:11], vcc
	s_cbranch_execz .LBB222_67
; %bb.64:                               ;   in Loop: Header=BB222_18 Depth=1
	s_and_b32 s72, s75, 0xfe
	v_lshlrev_b32_e32 v14, 3, v22
	v_mov_b32_e32 v23, v30
	s_mov_b64 s[12:13], 0
	s_mov_b64 s[56:57], 0
	;; [unrolled: 1-line block ×4, first 2 shown]
	v_pk_mov_b32 v[20:21], v[16:17], v[16:17] op_sel:[0,1]
.LBB222_65:                             ;   Parent Loop BB222_18 Depth=1
                                        ; =>  This Inner Loop Header: Depth=2
	ds_read_b64 v[2:3], v23
	v_add_co_u32_e32 v20, vcc, s31, v20
	v_addc_co_u32_e32 v21, vcc, 0, v21, vcc
	s_waitcnt lgkmcnt(0)
	v_cmp_lt_i16_e64 s[6:7], -1, v2
	v_cndmask_b32_e64 v8, v32, v33, s[6:7]
	v_cmp_gt_i16_sdwa s[6:7], v2, v35 src0_sel:WORD_1 src1_sel:DWORD
	v_lshlrev_b32_e32 v4, 16, v2
	v_cndmask_b32_e64 v9, v32, v33, s[6:7]
	v_cmp_lt_i16_e64 s[6:7], -1, v3
	v_and_b32_e32 v5, 0xffff0000, v2
	v_cndmask_b32_e64 v40, v32, v33, s[6:7]
	v_cmp_gt_i16_sdwa s[6:7], v3, v35 src0_sel:WORD_1 src1_sel:DWORD
	v_xor_b32_sdwa v9, v9, v2 dst_sel:DWORD dst_unused:UNUSED_PAD src0_sel:DWORD src1_sel:WORD_1
	v_xor_b32_sdwa v2, v8, v2 dst_sel:DWORD dst_unused:UNUSED_PAD src0_sel:DWORD src1_sel:WORD_0
	v_cmp_o_f32_e64 s[18:19], v4, v4
	v_lshlrev_b32_e32 v6, 16, v3
	v_cndmask_b32_e64 v41, v32, v33, s[6:7]
	v_cmp_o_f32_e64 s[6:7], v5, v5
	v_cndmask_b32_e64 v2, v32, v2, s[18:19]
	v_and_b32_e32 v7, 0xffff0000, v3
	v_xor_b32_sdwa v5, v40, v3 dst_sel:DWORD dst_unused:UNUSED_PAD src0_sel:DWORD src1_sel:WORD_0
	v_cmp_o_f32_e64 s[14:15], v6, v6
	v_cndmask_b32_e64 v4, v32, v9, s[6:7]
	v_and_b32_e32 v6, v2, v37
	v_bfe_u32 v2, v2, s72, 2
	v_xor_b32_sdwa v3, v41, v3 dst_sel:DWORD dst_unused:UNUSED_PAD src0_sel:DWORD src1_sel:WORD_1
	v_cmp_o_f32_e64 s[16:17], v7, v7
	v_cndmask_b32_e64 v5, v32, v5, s[14:15]
	v_and_b32_e32 v7, v4, v37
	v_bfe_u32 v4, v4, s72, 2
	v_cmp_eq_u32_e64 s[20:21], v6, v38
	v_cmp_eq_u32_e64 s[6:7], 0, v2
	v_cndmask_b32_e64 v3, v32, v3, s[16:17]
	v_and_b32_e32 v8, v5, v37
	v_bfe_u32 v5, v5, s72, 2
	v_cmp_eq_u32_e64 s[18:19], v7, v38
	v_cmp_eq_u32_e64 s[34:35], 0, v4
	s_and_b64 s[6:7], s[20:21], s[6:7]
	v_and_b32_e32 v9, v3, v37
	v_bfe_u32 v3, v3, s72, 2
	v_cmp_eq_u32_e64 s[16:17], v8, v38
	v_cmp_eq_u32_e64 s[36:37], 0, v5
	;; [unrolled: 1-line block ×5, first 2 shown]
	v_cndmask_b32_e64 v2, 0, 1, s[6:7]
	s_and_b64 s[6:7], s[18:19], s[34:35]
	v_cmp_eq_u32_e64 s[14:15], v9, v38
	v_cmp_eq_u32_e64 s[38:39], 0, v3
	;; [unrolled: 1-line block ×5, first 2 shown]
	v_cndmask_b32_e64 v3, 0, 1, s[6:7]
	s_and_b64 s[6:7], s[16:17], s[36:37]
	v_cmp_eq_u32_e64 s[42:43], 1, v4
	v_cmp_eq_u32_e64 s[50:51], 2, v4
	;; [unrolled: 1-line block ×3, first 2 shown]
	v_cndmask_b32_e64 v4, 0, 1, s[6:7]
	s_and_b64 s[6:7], s[14:15], s[38:39]
	v_cmp_eq_u32_e64 s[44:45], 1, v5
	v_cmp_eq_u32_e64 s[52:53], 2, v5
	;; [unrolled: 1-line block ×3, first 2 shown]
	v_cndmask_b32_e64 v5, 0, 1, s[6:7]
	v_cmp_ne_u32_e64 s[6:7], 0, v2
	v_cmp_ne_u32_e64 s[34:35], 0, v3
	v_cmp_ne_u32_e64 s[36:37], 0, v4
	v_cmp_ne_u32_e64 s[38:39], 0, v5
	s_bcnt1_i32_b64 s6, s[6:7]
	s_bcnt1_i32_b64 s7, s[34:35]
	s_bcnt1_i32_b64 s34, s[36:37]
	s_bcnt1_i32_b64 s35, s[38:39]
	s_add_u32 s6, s6, s92
	s_addc_u32 s36, 0, s93
	s_add_u32 s6, s6, s7
	s_addc_u32 s7, s36, 0
	s_add_u32 s6, s6, s34
	s_addc_u32 s7, s7, 0
	s_add_u32 s92, s6, s35
	s_addc_u32 s93, s7, 0
	s_and_b64 s[6:7], s[20:21], s[40:41]
	v_cndmask_b32_e64 v4, 0, 1, s[6:7]
	s_and_b64 s[6:7], s[18:19], s[42:43]
	v_cndmask_b32_e64 v5, 0, 1, s[6:7]
	s_and_b64 s[6:7], s[16:17], s[44:45]
	v_cndmask_b32_e64 v6, 0, 1, s[6:7]
	s_and_b64 s[6:7], s[14:15], s[46:47]
	v_cndmask_b32_e64 v7, 0, 1, s[6:7]
	v_cmp_ne_u32_e64 s[6:7], 0, v4
	v_cmp_ne_u32_e64 s[34:35], 0, v5
	v_cmp_ne_u32_e64 s[36:37], 0, v6
	v_cmp_ne_u32_e64 s[38:39], 0, v7
	s_bcnt1_i32_b64 s6, s[6:7]
	s_bcnt1_i32_b64 s7, s[34:35]
	s_bcnt1_i32_b64 s34, s[36:37]
	s_bcnt1_i32_b64 s35, s[38:39]
	s_add_u32 s6, s6, s94
	s_addc_u32 s36, 0, s95
	s_add_u32 s6, s6, s7
	s_addc_u32 s7, s36, 0
	s_add_u32 s6, s6, s34
	s_addc_u32 s7, s7, 0
	s_add_u32 s94, s6, s35
	s_addc_u32 s95, s7, 0
	s_and_b64 s[6:7], s[20:21], s[48:49]
	v_cndmask_b32_e64 v6, 0, 1, s[6:7]
	s_and_b64 s[6:7], s[18:19], s[50:51]
	v_cndmask_b32_e64 v7, 0, 1, s[6:7]
	s_and_b64 s[6:7], s[16:17], s[52:53]
	v_cndmask_b32_e64 v8, 0, 1, s[6:7]
	s_and_b64 s[6:7], s[14:15], s[54:55]
	;; [unrolled: 24-line block ×3, first 2 shown]
	v_cndmask_b32_e64 v41, 0, 1, s[6:7]
	v_cmp_ne_u32_e64 s[6:7], 0, v8
	v_cmp_ne_u32_e64 s[14:15], 0, v9
	;; [unrolled: 1-line block ×4, first 2 shown]
	s_bcnt1_i32_b64 s6, s[6:7]
	s_bcnt1_i32_b64 s7, s[14:15]
	;; [unrolled: 1-line block ×4, first 2 shown]
	s_add_u32 s6, s6, s12
	s_addc_u32 s12, 0, s13
	s_add_u32 s6, s6, s7
	s_addc_u32 s7, s12, 0
	;; [unrolled: 2-line block ×3, first 2 shown]
	s_add_u32 s12, s6, s15
	v_cmp_le_u64_e32 vcc, s[90:91], v[20:21]
	s_addc_u32 s13, s7, 0
	v_add_u32_e32 v23, v23, v14
	v_pk_mov_b32 v[2:3], s[92:93], s[92:93] op_sel:[0,1]
	v_pk_mov_b32 v[4:5], s[94:95], s[94:95] op_sel:[0,1]
	;; [unrolled: 1-line block ×3, first 2 shown]
	s_or_b64 s[8:9], vcc, s[8:9]
	v_pk_mov_b32 v[8:9], s[12:13], s[12:13] op_sel:[0,1]
	s_andn2_b64 exec, exec, s[8:9]
	s_cbranch_execnz .LBB222_65
; %bb.66:                               ;   in Loop: Header=BB222_18 Depth=1
	s_or_b64 exec, exec, s[8:9]
.LBB222_67:                             ;   in Loop: Header=BB222_18 Depth=1
	s_or_b64 exec, exec, s[10:11]
	v_add_u32_e32 v14, s90, v0
	v_cmp_gt_u32_e32 vcc, s30, v14
	s_and_saveexec_b64 s[8:9], vcc
	s_cbranch_execz .LBB222_71
; %bb.68:                               ;   in Loop: Header=BB222_18 Depth=1
	s_and_b32 s90, s30, 0x7fffffff
	s_and_b32 s12, s75, 0xfe
	v_lshlrev_b32_e32 v23, 1, v14
	v_lshlrev_b32_e32 v40, 1, v22
	s_mov_b64 s[10:11], 0
	v_pk_mov_b32 v[20:21], v[14:15], v[14:15] op_sel:[0,1]
.LBB222_69:                             ;   Parent Loop BB222_18 Depth=1
                                        ; =>  This Inner Loop Header: Depth=2
	ds_read_u16 v14, v23
	v_add_co_u32_e32 v20, vcc, v20, v22
	v_addc_co_u32_e32 v21, vcc, 0, v21, vcc
	s_waitcnt lgkmcnt(0)
	v_cmp_lt_i16_e64 s[6:7], -1, v14
	v_lshlrev_b32_e32 v41, 16, v14
	v_cndmask_b32_e64 v42, v32, v33, s[6:7]
	v_xor_b32_sdwa v14, v42, v14 dst_sel:DWORD dst_unused:UNUSED_PAD src0_sel:DWORD src1_sel:WORD_0
	v_cmp_o_f32_e64 s[6:7], v41, v41
	v_cndmask_b32_e64 v14, v32, v14, s[6:7]
	v_and_b32_e32 v41, v14, v37
	v_bfe_u32 v14, v14, s12, 2
	v_cmp_eq_u32_e64 s[6:7], v41, v38
	v_cmp_eq_u32_e64 s[14:15], 0, v14
	;; [unrolled: 1-line block ×3, first 2 shown]
	s_and_b64 s[14:15], s[6:7], s[14:15]
	v_cmp_eq_u32_e64 s[18:19], 2, v14
	v_cmp_eq_u32_e64 s[20:21], 3, v14
	v_cndmask_b32_e64 v14, 0, 1, s[14:15]
	s_and_b64 s[14:15], s[6:7], s[16:17]
	v_cndmask_b32_e64 v41, 0, 1, s[14:15]
	s_and_b64 s[14:15], s[6:7], s[18:19]
	s_and_b64 s[6:7], s[6:7], s[20:21]
	v_cndmask_b32_e64 v42, 0, 1, s[14:15]
	v_cndmask_b32_e64 v43, 0, 1, s[6:7]
	v_cmp_ne_u32_e64 s[6:7], 0, v14
	v_cmp_ne_u32_e64 s[14:15], 0, v41
	;; [unrolled: 1-line block ×4, first 2 shown]
	v_cmp_le_u64_e32 vcc, s[90:91], v[20:21]
	s_bcnt1_i32_b64 s6, s[6:7]
	s_bcnt1_i32_b64 s7, s[14:15]
	s_bcnt1_i32_b64 s13, s[16:17]
	s_bcnt1_i32_b64 s14, s[18:19]
	s_or_b64 s[10:11], vcc, s[10:11]
	v_add_co_u32_e32 v2, vcc, s6, v2
	v_addc_co_u32_e32 v3, vcc, 0, v3, vcc
	v_add_co_u32_e32 v4, vcc, s7, v4
	v_addc_co_u32_e32 v5, vcc, 0, v5, vcc
	;; [unrolled: 2-line block ×3, first 2 shown]
	v_add_co_u32_e32 v8, vcc, s14, v8
	v_add_u32_e32 v23, v23, v40
	v_addc_co_u32_e32 v9, vcc, 0, v9, vcc
	s_andn2_b64 exec, exec, s[10:11]
	s_cbranch_execnz .LBB222_69
; %bb.70:                               ;   in Loop: Header=BB222_18 Depth=1
	s_or_b64 exec, exec, s[10:11]
.LBB222_71:                             ;   in Loop: Header=BB222_18 Depth=1
	s_or_b64 exec, exec, s[8:9]
.LBB222_72:                             ;   in Loop: Header=BB222_18 Depth=1
	v_readlane_b32 s6, v49, 62
	s_lshl_b32 s8, s6, 6
	s_and_saveexec_b64 s[6:7], s[0:1]
	s_cbranch_execz .LBB222_74
; %bb.73:                               ;   in Loop: Header=BB222_18 Depth=1
	s_waitcnt vmcnt(0)
	v_or_b32_e32 v14, s8, v27
	v_lshlrev_b32_e32 v14, 3, v14
	ds_write_b128 v14, v[2:5] offset:3072
	ds_write_b128 v14, v[6:9] offset:3088
.LBB222_74:                             ;   in Loop: Header=BB222_18 Depth=1
	s_or_b64 exec, exec, s[6:7]
	s_waitcnt lgkmcnt(0)
	s_barrier
	s_mov_b64 s[6:7], exec
	v_readlane_b32 s10, v49, 42
	v_readlane_b32 s11, v49, 43
	s_and_b64 s[10:11], s[6:7], s[10:11]
	s_mov_b64 exec, s[10:11]
	s_cbranch_execz .LBB222_86
; %bb.75:                               ;   in Loop: Header=BB222_18 Depth=1
	v_readlane_b32 s10, v49, 50
	v_readlane_b32 s11, v49, 51
	s_andn2_b64 vcc, exec, s[10:11]
	v_pk_mov_b32 v[2:3], 0, 0
	s_cbranch_vccnz .LBB222_85
; %bb.76:                               ;   in Loop: Header=BB222_18 Depth=1
	v_readlane_b32 s10, v49, 57
	v_readlane_b32 s11, v49, 58
	s_andn2_b64 vcc, exec, s[10:11]
	s_cbranch_vccnz .LBB222_81
; %bb.77:                               ;   in Loop: Header=BB222_18 Depth=1
	v_readlane_b32 s9, v49, 62
	s_waitcnt vmcnt(0)
	v_lshl_add_u32 v4, s9, 9, v31
	s_mov_b32 s9, 0
	v_pk_mov_b32 v[2:3], 0, 0
.LBB222_78:                             ;   Parent Loop BB222_18 Depth=1
                                        ; =>  This Inner Loop Header: Depth=2
	ds_read2_b64 v[6:9], v4 offset1:4
	ds_read2_b64 v[20:23], v4 offset0:8 offset1:12
	ds_read2_b64 v[40:43], v4 offset0:16 offset1:20
	;; [unrolled: 1-line block ×3, first 2 shown]
	s_add_i32 s9, s9, 8
	s_waitcnt lgkmcnt(3)
	v_add_co_u32_e32 v2, vcc, v6, v2
	v_addc_co_u32_e32 v3, vcc, v7, v3, vcc
	v_add_co_u32_e32 v2, vcc, v8, v2
	v_addc_co_u32_e32 v3, vcc, v9, v3, vcc
	s_waitcnt lgkmcnt(2)
	v_add_co_u32_e32 v2, vcc, v20, v2
	v_addc_co_u32_e32 v3, vcc, v21, v3, vcc
	v_add_co_u32_e32 v2, vcc, v22, v2
	v_addc_co_u32_e32 v3, vcc, v23, v3, vcc
	;; [unrolled: 5-line block ×3, first 2 shown]
	s_waitcnt lgkmcnt(0)
	v_add_co_u32_e32 v2, vcc, v44, v2
	v_addc_co_u32_e32 v3, vcc, v45, v3, vcc
	v_add_co_u32_e32 v2, vcc, v46, v2
	v_add_u32_e32 v4, 0x100, v4
	s_cmp_eq_u32 s4, s9
	v_addc_co_u32_e32 v3, vcc, v47, v3, vcc
	s_cbranch_scc0 .LBB222_78
; %bb.79:                               ;   in Loop: Header=BB222_18 Depth=1
	s_mov_b32 s9, s4
	s_branch .LBB222_82
.LBB222_80:                             ;   in Loop: Header=BB222_18 Depth=1
                                        ; implicit-def: $vgpr2_vgpr3
	s_branch .LBB222_48
.LBB222_81:                             ;   in Loop: Header=BB222_18 Depth=1
	s_mov_b32 s9, 0
	v_pk_mov_b32 v[2:3], 0, 0
.LBB222_82:                             ;   in Loop: Header=BB222_18 Depth=1
	v_readlane_b32 s10, v49, 60
	v_readlane_b32 s11, v49, 61
	s_andn2_b64 vcc, exec, s[10:11]
	s_cbranch_vccnz .LBB222_85
; %bb.83:                               ;   in Loop: Header=BB222_18 Depth=1
	v_readlane_b32 s10, v49, 62
	s_lshl_b32 s10, s10, 9
	s_lshl_b32 s9, s9, 5
	s_add_i32 s10, s10, s9
	s_waitcnt vmcnt(0)
	v_add_u32_e32 v4, s10, v31
	v_readlane_b32 s9, v49, 59
.LBB222_84:                             ;   Parent Loop BB222_18 Depth=1
                                        ; =>  This Inner Loop Header: Depth=2
	ds_read_b64 v[6:7], v4
	s_add_i32 s9, s9, -1
	v_add_u32_e32 v4, 32, v4
	s_cmp_lg_u32 s9, 0
	s_waitcnt lgkmcnt(0)
	v_add_co_u32_e32 v2, vcc, v6, v2
	v_addc_co_u32_e32 v3, vcc, v7, v3, vcc
	s_cbranch_scc1 .LBB222_84
.LBB222_85:                             ;   in Loop: Header=BB222_18 Depth=1
	s_waitcnt vmcnt(0)
	v_add_lshl_u32 v4, s8, v25, 3
	ds_write_b64 v4, v[2:3] offset:3072
.LBB222_86:                             ;   in Loop: Header=BB222_18 Depth=1
	s_or_b64 exec, exec, s[6:7]
	s_lshl_b32 s6, s8, 3
	v_mov_b32_e32 v6, s6
	s_waitcnt lgkmcnt(0)
	s_barrier
	s_waitcnt vmcnt(0)
	ds_read_b128 v[2:5], v6 offset:3072
	ds_read_b128 v[6:9], v6 offset:3088
	s_and_b32 s49, s75, 0xfe
	v_readlane_b32 s6, v49, 40
	s_lshl_b32 s90, 3, s49
	v_readlane_b32 s7, v49, 41
	s_waitcnt lgkmcnt(1)
	v_readfirstlane_b32 s17, v3
	v_readfirstlane_b32 s16, v2
	;; [unrolled: 1-line block ×4, first 2 shown]
	s_waitcnt lgkmcnt(0)
	v_readfirstlane_b32 s23, v7
	v_readfirstlane_b32 s22, v6
	;; [unrolled: 1-line block ×4, first 2 shown]
	s_not_b32 s48, s90
	s_andn2_b64 vcc, exec, s[6:7]
	v_cmp_eq_u64_e64 s[14:15], 1, v[18:19]
	s_cbranch_vccnz .LBB222_102
; %bb.87:                               ;   in Loop: Header=BB222_18 Depth=1
	s_cmp_eq_u64 s[16:17], 1
	s_cselect_b64 s[6:7], -1, 0
	s_and_b64 s[8:9], s[6:7], s[14:15]
	s_mov_b64 s[6:7], -1
	v_mov_b32_e32 v8, v38
	v_mov_b32_e32 v9, v37
	;; [unrolled: 1-line block ×3, first 2 shown]
                                        ; implicit-def: $sgpr20_sgpr21
                                        ; implicit-def: $sgpr36_sgpr37
                                        ; implicit-def: $sgpr34_sgpr35
	s_and_saveexec_b64 s[26:27], s[8:9]
	s_cbranch_execz .LBB222_124
; %bb.88:                               ;   in Loop: Header=BB222_18 Depth=1
	ds_read_b64 v[2:3], v15 offset:5120
	s_waitcnt lgkmcnt(0)
	s_barrier
	v_readfirstlane_b32 s10, v2
	v_readfirstlane_b32 s11, v3
	s_mov_b64 s[6:7], exec
	v_readlane_b32 s12, v49, 48
	v_readlane_b32 s13, v49, 49
	s_and_b64 s[12:13], s[6:7], s[12:13]
	s_mov_b64 exec, s[12:13]
	s_cbranch_execz .LBB222_90
; %bb.89:                               ;   in Loop: Header=BB222_18 Depth=1
	ds_write_b16 v29, v15
.LBB222_90:                             ;   in Loop: Header=BB222_18 Depth=1
	s_or_b64 exec, exec, s[6:7]
	v_and_b32_e32 v8, s48, v38
	v_or_b32_e32 v9, s90, v37
	s_cmp_eq_u64 s[10:11], 0
	s_waitcnt lgkmcnt(0)
	s_barrier
	s_cbranch_scc1 .LBB222_107
; %bb.91:                               ;   in Loop: Header=BB222_18 Depth=1
	v_readlane_b32 s6, v49, 52
	s_add_u32 s20, s6, s10
	v_readlane_b32 s6, v49, 54
	s_addc_u32 s7, s6, s11
	s_mov_b32 s6, s91
	s_cmp_lg_u64 s[6:7], 0
	s_cbranch_scc0 .LBB222_151
; %bb.92:                               ;   in Loop: Header=BB222_18 Depth=1
	v_cvt_f32_u32_e32 v2, s89
	s_sub_u32 s6, 0, s89
	s_subb_u32 s12, 0, 0
	v_mac_f32_e32 v2, 0, v34
	v_rcp_f32_e32 v2, v2
	v_mul_f32_e32 v2, 0x5f7ffffc, v2
	v_mul_f32_e32 v3, 0x2f800000, v2
	v_trunc_f32_e32 v3, v3
	v_mac_f32_e32 v2, 0xcf800000, v3
	v_cvt_u32_f32_e32 v3, v3
	v_cvt_u32_f32_e32 v2, v2
	v_readfirstlane_b32 s13, v3
	v_readfirstlane_b32 s21, v2
	s_mul_i32 s28, s6, s13
	s_mul_hi_u32 s30, s6, s21
	s_mul_i32 s29, s12, s21
	s_add_i32 s28, s30, s28
	s_mul_i32 s31, s6, s21
	s_add_i32 s28, s28, s29
	s_mul_hi_u32 s30, s21, s31
	s_mul_hi_u32 s29, s21, s28
	s_mul_i32 s21, s21, s28
	s_add_u32 s21, s30, s21
	s_addc_u32 s29, 0, s29
	s_mul_hi_u32 s34, s13, s31
	s_mul_i32 s31, s13, s31
	s_add_u32 s21, s21, s31
	s_mul_hi_u32 s30, s13, s28
	s_addc_u32 s21, s29, s34
	s_addc_u32 s29, s30, 0
	s_mul_i32 s28, s13, s28
	s_add_u32 s21, s21, s28
	s_addc_u32 s28, 0, s29
	v_add_co_u32_e32 v2, vcc, s21, v2
	s_cmp_lg_u64 vcc, 0
	s_addc_u32 s13, s13, s28
	v_readfirstlane_b32 s28, v2
	s_mul_i32 s21, s6, s13
	s_mul_hi_u32 s29, s6, s28
	s_add_i32 s21, s29, s21
	s_mul_i32 s12, s12, s28
	s_add_i32 s21, s21, s12
	s_mul_i32 s6, s6, s28
	s_mul_hi_u32 s29, s13, s6
	s_mul_i32 s30, s13, s6
	s_mul_i32 s34, s28, s21
	s_mul_hi_u32 s6, s28, s6
	s_mul_hi_u32 s31, s28, s21
	s_add_u32 s6, s6, s34
	s_addc_u32 s28, 0, s31
	s_add_u32 s6, s6, s30
	s_mul_hi_u32 s12, s13, s21
	s_addc_u32 s6, s28, s29
	s_addc_u32 s12, s12, 0
	s_mul_i32 s21, s13, s21
	s_add_u32 s6, s6, s21
	s_addc_u32 s12, 0, s12
	v_add_co_u32_e32 v2, vcc, s6, v2
	s_cmp_lg_u64 vcc, 0
	s_addc_u32 s6, s13, s12
	v_readfirstlane_b32 s21, v2
	s_mul_i32 s13, s20, s6
	s_mul_hi_u32 s28, s20, s21
	s_mul_hi_u32 s12, s20, s6
	s_add_u32 s13, s28, s13
	s_addc_u32 s12, 0, s12
	s_mul_hi_u32 s29, s7, s21
	s_mul_i32 s21, s7, s21
	s_add_u32 s13, s13, s21
	s_mul_hi_u32 s28, s7, s6
	s_addc_u32 s12, s12, s29
	s_addc_u32 s13, s28, 0
	s_mul_i32 s6, s7, s6
	s_add_u32 s6, s12, s6
	s_addc_u32 s12, 0, s13
	s_mul_hi_u32 s13, s89, s6
	s_mul_i32 s6, s89, s6
	s_mul_i32 s12, s89, s12
	v_mov_b32_e32 v2, s6
	s_add_i32 s13, s13, s12
	v_sub_co_u32_e32 v2, vcc, s20, v2
	s_cmp_lg_u64 vcc, 0
	s_subb_u32 s6, s7, s13
	v_subrev_co_u32_e32 v3, vcc, s89, v2
	s_cmp_lg_u64 vcc, 0
	s_subb_u32 s12, s6, 0
	v_subrev_co_u32_e32 v4, vcc, s89, v3
	s_cmp_lg_u64 vcc, 0
	s_subb_u32 s13, s12, 0
	v_cmp_le_u32_e32 vcc, s89, v3
	s_cmp_eq_u32 s12, 0
	v_cndmask_b32_e64 v5, 0, -1, vcc
	s_cselect_b64 vcc, -1, 0
	v_cndmask_b32_e32 v5, -1, v5, vcc
	v_mov_b32_e32 v6, s12
	v_mov_b32_e32 v7, s13
	v_cmp_ne_u32_e32 vcc, 0, v5
	v_cndmask_b32_e32 v5, v6, v7, vcc
	v_cndmask_b32_e32 v4, v3, v4, vcc
	v_cmp_le_u32_e32 vcc, s89, v2
	s_cmp_eq_u32 s6, 0
	v_cndmask_b32_e64 v3, 0, -1, vcc
	s_cselect_b64 vcc, -1, 0
	v_cndmask_b32_e32 v3, -1, v3, vcc
	v_mov_b32_e32 v6, s6
	v_cmp_ne_u32_e32 vcc, 0, v3
	v_cndmask_b32_e32 v3, v6, v5, vcc
	v_cndmask_b32_e32 v2, v2, v4, vcc
	s_cbranch_execnz .LBB222_94
.LBB222_93:                             ;   in Loop: Header=BB222_18 Depth=1
	v_cvt_f32_u32_e32 v2, s89
	s_sub_i32 s6, 0, s89
	v_rcp_iflag_f32_e32 v2, v2
	v_mul_f32_e32 v2, 0x4f7ffffe, v2
	v_cvt_u32_f32_e32 v2, v2
	v_mul_lo_u32 v3, s6, v2
	v_mul_hi_u32 v3, v2, v3
	v_add_u32_e32 v2, v2, v3
	v_mul_hi_u32 v2, s20, v2
	v_mul_lo_u32 v2, v2, s89
	v_sub_u32_e32 v2, s20, v2
	v_subrev_u32_e32 v3, s89, v2
	v_cmp_le_u32_e32 vcc, s89, v2
	v_cndmask_b32_e32 v2, v2, v3, vcc
	v_subrev_u32_e32 v3, s89, v2
	v_cmp_le_u32_e32 vcc, s89, v2
	v_cndmask_b32_e32 v14, v2, v3, vcc
	v_pk_mov_b32 v[2:3], v[14:15], v[14:15] op_sel:[0,1]
.LBB222_94:                             ;   in Loop: Header=BB222_18 Depth=1
	v_mov_b32_e32 v4, s7
	v_sub_co_u32_e32 v2, vcc, s20, v2
	v_subb_co_u32_e32 v3, vcc, v4, v3, vcc
	v_cmp_gt_u64_e32 vcc, v[2:3], v[0:1]
	s_mov_b64 s[6:7], 0
                                        ; implicit-def: $vgpr6
	s_and_saveexec_b64 s[12:13], vcc
	s_cbranch_execz .LBB222_109
; %bb.95:                               ;   in Loop: Header=BB222_18 Depth=1
	s_mov_b64 s[20:21], 0
	v_mov_b32_e32 v6, v28
	v_pk_mov_b32 v[4:5], v[0:1], v[0:1] op_sel:[0,1]
                                        ; implicit-def: $sgpr28_sgpr29
	s_branch .LBB222_97
.LBB222_96:                             ;   in Loop: Header=BB222_97 Depth=2
	s_or_b64 exec, exec, s[6:7]
	s_waitcnt lgkmcnt(0)
	s_barrier
	ds_read_b32 v7, v15 offset:3072
	v_add_co_u32_e64 v4, s[6:7], s89, v4
	v_add_u32_e32 v6, s5, v6
	s_waitcnt lgkmcnt(0)
	v_and_b32_e32 v14, 0x7fff, v7
	v_cmp_ne_u16_e32 vcc, 0, v14
	v_mov_b32_e32 v14, s74
	v_addc_co_u32_e64 v5, s[6:7], v5, v14, s[6:7]
	v_cmp_ge_u64_e64 s[6:7], v[4:5], v[2:3]
	s_or_b64 s[6:7], s[6:7], vcc
	s_and_b64 s[6:7], exec, s[6:7]
	s_or_b64 s[20:21], s[6:7], s[20:21]
	s_andn2_b64 s[6:7], s[28:29], exec
	s_and_b64 s[28:29], vcc, exec
	s_or_b64 s[28:29], s[6:7], s[28:29]
	s_barrier
	s_andn2_b64 exec, exec, s[20:21]
	s_cbranch_execz .LBB222_108
.LBB222_97:                             ;   Parent Loop BB222_18 Depth=1
                                        ; =>  This Inner Loop Header: Depth=2
	v_cmp_gt_u64_e32 vcc, s[10:11], v[4:5]
	v_mov_b32_e32 v7, 0
	s_and_saveexec_b64 s[6:7], vcc
	s_cbranch_execz .LBB222_99
; %bb.98:                               ;   in Loop: Header=BB222_97 Depth=2
	ds_read_u16 v7, v6
.LBB222_99:                             ;   in Loop: Header=BB222_97 Depth=2
	s_or_b64 exec, exec, s[6:7]
	s_and_saveexec_b64 s[6:7], vcc
	s_cbranch_execz .LBB222_96
; %bb.100:                              ;   in Loop: Header=BB222_97 Depth=2
	s_waitcnt lgkmcnt(0)
	v_cmp_lt_i16_e32 vcc, -1, v7
	v_cndmask_b32_e32 v14, v32, v33, vcc
	v_lshlrev_b32_e32 v20, 16, v7
	v_xor_b32_sdwa v14, v14, v7 dst_sel:DWORD dst_unused:UNUSED_PAD src0_sel:DWORD src1_sel:WORD_0
	v_cmp_o_f32_e32 vcc, v20, v20
	v_cndmask_b32_e32 v14, v32, v14, vcc
	v_and_b32_e32 v14, v14, v9
	v_cmp_eq_u32_e32 vcc, v14, v8
	s_and_b64 exec, exec, vcc
	s_cbranch_execz .LBB222_96
; %bb.101:                              ;   in Loop: Header=BB222_97 Depth=2
	s_movk_i32 s30, 0x3f80
	v_perm_b32 v7, v7, s30, v36
	ds_write_b32 v15, v7 offset:3072
	s_branch .LBB222_96
.LBB222_102:                            ;   in Loop: Header=BB222_18 Depth=1
	s_mov_b64 s[28:29], 0
	s_mov_b64 s[26:27], 0
                                        ; implicit-def: $sgpr34_sgpr35
                                        ; implicit-def: $sgpr36_sgpr37
                                        ; implicit-def: $sgpr20_sgpr21
                                        ; implicit-def: $vgpr7
                                        ; implicit-def: $vgpr2_vgpr3
                                        ; implicit-def: $vgpr8
                                        ; implicit-def: $vgpr9
                                        ; implicit-def: $vgpr6
	s_cbranch_execnz .LBB222_288
.LBB222_103:                            ;   in Loop: Header=BB222_18 Depth=1
	s_mov_b64 s[14:15], s[20:21]
	s_mov_b64 s[38:39], s[20:21]
	s_and_saveexec_b64 s[6:7], s[28:29]
	s_cbranch_execnz .LBB222_484
	s_branch .LBB222_485
.LBB222_104:                            ;   in Loop: Header=BB222_18 Depth=1
	s_or_b64 exec, exec, s[8:9]
	s_waitcnt lgkmcnt(0)
	s_barrier
	s_mov_b64 s[6:7], exec
	v_readlane_b32 s8, v49, 32
	v_readlane_b32 s9, v49, 33
	s_and_b64 s[8:9], s[6:7], s[8:9]
	s_mov_b64 exec, s[8:9]
	s_cbranch_execz .LBB222_106
; %bb.105:                              ;   in Loop: Header=BB222_18 Depth=1
	ds_read_b32 v2, v15 offset:5144
	s_waitcnt lgkmcnt(0)
	v_ashrrev_i32_e32 v3, 31, v2
	ds_write_b64 v15, v[2:3] offset:5120
.LBB222_106:                            ;   in Loop: Header=BB222_18 Depth=1
	s_or_b64 exec, exec, s[6:7]
	s_waitcnt lgkmcnt(0)
	s_barrier
	s_mov_b64 s[6:7], -1
	s_and_b64 vcc, exec, s[30:31]
	s_cbranch_vccnz .LBB222_33
	s_branch .LBB222_43
.LBB222_107:                            ;   in Loop: Header=BB222_18 Depth=1
	s_mov_b64 s[20:21], -1
	s_mov_b64 s[6:7], 0
                                        ; implicit-def: $sgpr34_sgpr35
                                        ; implicit-def: $vgpr6
	s_mov_b64 s[36:37], s[20:21]
	s_cbranch_execnz .LBB222_110
	s_branch .LBB222_123
.LBB222_108:                            ;   in Loop: Header=BB222_18 Depth=1
	s_or_b64 exec, exec, s[20:21]
	v_lshrrev_b32_e32 v6, 16, v7
	s_and_b64 s[6:7], s[28:29], exec
.LBB222_109:                            ;   in Loop: Header=BB222_18 Depth=1
	s_or_b64 exec, exec, s[12:13]
	s_mov_b64 s[34:35], -1
	s_mov_b64 s[20:21], 0
	s_mov_b64 s[36:37], s[20:21]
	s_branch .LBB222_123
.LBB222_110:                            ;   in Loop: Header=BB222_18 Depth=1
	s_mov_b32 s72, s91
	s_cmp_lg_u64 s[72:73], 0
	s_cbranch_scc0 .LBB222_152
; %bb.111:                              ;   in Loop: Header=BB222_18 Depth=1
	v_cvt_f32_u32_e32 v2, s89
	s_sub_u32 s6, 0, s89
	s_subb_u32 s7, 0, 0
	v_mac_f32_e32 v2, 0, v34
	v_rcp_f32_e32 v2, v2
	v_mul_f32_e32 v2, 0x5f7ffffc, v2
	v_mul_f32_e32 v3, 0x2f800000, v2
	v_trunc_f32_e32 v3, v3
	v_mac_f32_e32 v2, 0xcf800000, v3
	v_cvt_u32_f32_e32 v3, v3
	v_cvt_u32_f32_e32 v2, v2
	v_readfirstlane_b32 s10, v3
	v_readfirstlane_b32 s11, v2
	s_mul_i32 s12, s6, s10
	s_mul_hi_u32 s20, s6, s11
	s_mul_i32 s13, s7, s11
	s_add_i32 s12, s20, s12
	s_mul_i32 s21, s6, s11
	s_add_i32 s12, s12, s13
	s_mul_hi_u32 s20, s11, s21
	s_mul_hi_u32 s13, s11, s12
	s_mul_i32 s11, s11, s12
	s_add_u32 s11, s20, s11
	s_addc_u32 s13, 0, s13
	s_mul_hi_u32 s28, s10, s21
	s_mul_i32 s21, s10, s21
	s_add_u32 s11, s11, s21
	s_mul_hi_u32 s20, s10, s12
	s_addc_u32 s11, s13, s28
	s_addc_u32 s13, s20, 0
	s_mul_i32 s12, s10, s12
	s_add_u32 s11, s11, s12
	s_addc_u32 s12, 0, s13
	v_add_co_u32_e32 v2, vcc, s11, v2
	s_cmp_lg_u64 vcc, 0
	s_addc_u32 s10, s10, s12
	v_readfirstlane_b32 s12, v2
	s_mul_i32 s11, s6, s10
	s_mul_hi_u32 s13, s6, s12
	s_add_i32 s11, s13, s11
	s_mul_i32 s7, s7, s12
	s_add_i32 s11, s11, s7
	s_mul_i32 s6, s6, s12
	s_mul_hi_u32 s13, s10, s6
	s_mul_i32 s20, s10, s6
	s_mul_i32 s28, s12, s11
	s_mul_hi_u32 s6, s12, s6
	s_mul_hi_u32 s21, s12, s11
	s_add_u32 s6, s6, s28
	s_addc_u32 s12, 0, s21
	s_add_u32 s6, s6, s20
	s_mul_hi_u32 s7, s10, s11
	s_addc_u32 s6, s12, s13
	s_addc_u32 s7, s7, 0
	s_mul_i32 s11, s10, s11
	s_add_u32 s6, s6, s11
	s_addc_u32 s7, 0, s7
	v_add_co_u32_e32 v2, vcc, s6, v2
	s_cmp_lg_u64 vcc, 0
	s_addc_u32 s6, s10, s7
	v_readlane_b32 s20, v49, 53
	v_readfirstlane_b32 s11, v2
	s_mul_i32 s10, s20, s6
	s_mul_hi_u32 s12, s20, s11
	s_mul_hi_u32 s7, s20, s6
	s_add_u32 s10, s12, s10
	s_addc_u32 s7, 0, s7
	s_mul_hi_u32 s13, s73, s11
	s_mul_i32 s11, s73, s11
	s_add_u32 s10, s10, s11
	s_mul_hi_u32 s12, s73, s6
	s_addc_u32 s7, s7, s13
	s_addc_u32 s10, s12, 0
	s_mul_i32 s6, s73, s6
	s_add_u32 s6, s7, s6
	s_addc_u32 s7, 0, s10
	s_mul_hi_u32 s10, s89, s6
	s_mul_i32 s6, s89, s6
	s_mul_i32 s7, s89, s7
	v_mov_b32_e32 v2, s6
	s_add_i32 s10, s10, s7
	v_sub_co_u32_e32 v2, vcc, s20, v2
	s_cmp_lg_u64 vcc, 0
	s_subb_u32 s6, s73, s10
	v_subrev_co_u32_e32 v3, vcc, s89, v2
	s_cmp_lg_u64 vcc, 0
	s_subb_u32 s7, s6, 0
	v_subrev_co_u32_e32 v4, vcc, s89, v3
	s_cmp_lg_u64 vcc, 0
	s_subb_u32 s10, s7, 0
	v_cmp_le_u32_e32 vcc, s89, v3
	s_cmp_eq_u32 s7, 0
	v_cndmask_b32_e64 v5, 0, -1, vcc
	s_cselect_b64 vcc, -1, 0
	v_cndmask_b32_e32 v5, -1, v5, vcc
	v_mov_b32_e32 v6, s7
	v_mov_b32_e32 v7, s10
	v_cmp_ne_u32_e32 vcc, 0, v5
	v_cndmask_b32_e32 v5, v6, v7, vcc
	v_cndmask_b32_e32 v4, v3, v4, vcc
	v_cmp_le_u32_e32 vcc, s89, v2
	s_cmp_eq_u32 s6, 0
	v_cndmask_b32_e64 v3, 0, -1, vcc
	s_cselect_b64 vcc, -1, 0
	v_cndmask_b32_e32 v3, -1, v3, vcc
	v_mov_b32_e32 v6, s6
	v_cmp_ne_u32_e32 vcc, 0, v3
	v_cndmask_b32_e32 v3, v6, v5, vcc
	v_cndmask_b32_e32 v2, v2, v4, vcc
	s_cbranch_execnz .LBB222_113
.LBB222_112:                            ;   in Loop: Header=BB222_18 Depth=1
	v_cvt_f32_u32_e32 v2, s89
	s_sub_i32 s6, 0, s89
	v_rcp_iflag_f32_e32 v2, v2
	v_mul_f32_e32 v2, 0x4f7ffffe, v2
	v_cvt_u32_f32_e32 v2, v2
	v_mul_lo_u32 v3, s6, v2
	v_mul_hi_u32 v3, v2, v3
	v_add_u32_e32 v2, v2, v3
	v_readlane_b32 s6, v49, 53
	v_mul_hi_u32 v2, s6, v2
	v_mul_lo_u32 v2, v2, s89
	v_sub_u32_e32 v2, s6, v2
	v_subrev_u32_e32 v3, s89, v2
	v_cmp_le_u32_e32 vcc, s89, v2
	v_cndmask_b32_e32 v2, v2, v3, vcc
	v_subrev_u32_e32 v3, s89, v2
	v_cmp_le_u32_e32 vcc, s89, v2
	v_cndmask_b32_e32 v14, v2, v3, vcc
	v_pk_mov_b32 v[2:3], v[14:15], v[14:15] op_sel:[0,1]
.LBB222_113:                            ;   in Loop: Header=BB222_18 Depth=1
	v_readlane_b32 s6, v49, 53
	v_mov_b32_e32 v4, s73
	v_sub_co_u32_e32 v2, vcc, s6, v2
	v_subb_co_u32_e32 v3, vcc, v4, v3, vcc
	v_cmp_gt_u64_e32 vcc, v[2:3], v[0:1]
	s_mov_b64 s[6:7], 0
                                        ; implicit-def: $vgpr6
	s_and_saveexec_b64 s[10:11], vcc
	s_cbranch_execz .LBB222_122
; %bb.114:                              ;   in Loop: Header=BB222_18 Depth=1
	s_mov_b64 s[12:13], 0
	v_pk_mov_b32 v[4:5], v[0:1], v[0:1] op_sel:[0,1]
                                        ; implicit-def: $sgpr20_sgpr21
	s_branch .LBB222_116
.LBB222_115:                            ;   in Loop: Header=BB222_116 Depth=2
	s_or_b64 exec, exec, s[6:7]
	s_waitcnt lgkmcnt(0)
	s_barrier
	s_waitcnt vmcnt(0)
	ds_read_b32 v6, v15 offset:3072
	v_add_co_u32_e64 v4, s[6:7], s89, v4
	s_waitcnt lgkmcnt(0)
	s_barrier
	v_and_b32_e32 v7, 0x7fff, v6
	v_cmp_ne_u16_e32 vcc, 0, v7
	v_mov_b32_e32 v7, s74
	v_addc_co_u32_e64 v5, s[6:7], v5, v7, s[6:7]
	v_cmp_ge_u64_e64 s[6:7], v[4:5], v[2:3]
	s_or_b64 s[6:7], s[6:7], vcc
	s_and_b64 s[6:7], exec, s[6:7]
	s_or_b64 s[12:13], s[6:7], s[12:13]
	s_andn2_b64 s[6:7], s[20:21], exec
	s_and_b64 s[20:21], vcc, exec
	s_or_b64 s[20:21], s[6:7], s[20:21]
	s_andn2_b64 exec, exec, s[12:13]
	s_cbranch_execz .LBB222_121
.LBB222_116:                            ;   Parent Loop BB222_18 Depth=1
                                        ; =>  This Inner Loop Header: Depth=2
	v_cmp_gt_u64_e32 vcc, s[60:61], v[4:5]
	v_mov_b32_e32 v6, 0
	s_and_saveexec_b64 s[28:29], vcc
	s_cbranch_execz .LBB222_118
; %bb.117:                              ;   in Loop: Header=BB222_116 Depth=2
	v_mul_lo_u32 v14, v5, s58
	v_mul_lo_u32 v20, v4, s59
	v_mad_u64_u32 v[6:7], s[6:7], v4, s58, 0
	v_add3_u32 v7, v7, v20, v14
	v_lshlrev_b64 v[6:7], 1, v[6:7]
	v_mov_b32_e32 v14, s88
	v_add_co_u32_e64 v6, s[6:7], s33, v6
	v_addc_co_u32_e64 v7, s[6:7], v14, v7, s[6:7]
	global_load_ushort v6, v[6:7], off
.LBB222_118:                            ;   in Loop: Header=BB222_116 Depth=2
	s_or_b64 exec, exec, s[28:29]
	s_and_saveexec_b64 s[6:7], vcc
	s_cbranch_execz .LBB222_115
; %bb.119:                              ;   in Loop: Header=BB222_116 Depth=2
	s_waitcnt vmcnt(0)
	v_cmp_lt_i16_e32 vcc, -1, v6
	v_cndmask_b32_e32 v7, v32, v33, vcc
	v_lshlrev_b32_e32 v14, 16, v6
	v_xor_b32_sdwa v7, v7, v6 dst_sel:DWORD dst_unused:UNUSED_PAD src0_sel:DWORD src1_sel:WORD_0
	v_cmp_o_f32_e32 vcc, v14, v14
	v_cndmask_b32_e32 v7, v32, v7, vcc
	v_and_b32_e32 v7, v7, v9
	v_cmp_eq_u32_e32 vcc, v7, v8
	s_and_b64 exec, exec, vcc
	s_cbranch_execz .LBB222_115
; %bb.120:                              ;   in Loop: Header=BB222_116 Depth=2
	s_movk_i32 s28, 0x3f80
	v_perm_b32 v6, v6, s28, v36
	ds_write_b32 v15, v6 offset:3072
	s_branch .LBB222_115
.LBB222_121:                            ;   in Loop: Header=BB222_18 Depth=1
	s_or_b64 exec, exec, s[12:13]
	v_lshrrev_b32_e32 v6, 16, v6
	s_and_b64 s[6:7], s[20:21], exec
.LBB222_122:                            ;   in Loop: Header=BB222_18 Depth=1
	s_or_b64 exec, exec, s[10:11]
	s_mov_b64 s[36:37], -1
	s_mov_b64 s[20:21], 0
	s_mov_b64 s[34:35], 0
.LBB222_123:                            ;   in Loop: Header=BB222_18 Depth=1
	s_orn2_b64 s[6:7], s[6:7], exec
.LBB222_124:                            ;   in Loop: Header=BB222_18 Depth=1
	s_or_b64 exec, exec, s[26:27]
	s_mov_b64 s[38:39], 0
	s_mov_b64 s[28:29], 0
	;; [unrolled: 1-line block ×3, first 2 shown]
                                        ; implicit-def: $vgpr7
                                        ; implicit-def: $vgpr2_vgpr3
	s_and_saveexec_b64 s[40:41], s[6:7]
	s_cbranch_execz .LBB222_287
; %bb.125:                              ;   in Loop: Header=BB222_18 Depth=1
	v_mov_b32_e32 v2, 1
	s_xor_b64 s[8:9], s[8:9], -1
	v_mov_b32_e32 v3, 0
	v_mov_b32_e32 v7, 1
	s_and_saveexec_b64 s[6:7], s[8:9]
	s_cbranch_execz .LBB222_135
; %bb.126:                              ;   in Loop: Header=BB222_18 Depth=1
	v_cmp_ge_u64_e32 vcc, s[16:17], v[18:19]
                                        ; implicit-def: $sgpr12
                                        ; implicit-def: $sgpr8_sgpr9
	s_and_saveexec_b64 s[10:11], vcc
	s_xor_b64 s[10:11], exec, s[10:11]
	s_cbranch_execz .LBB222_132
; %bb.127:                              ;   in Loop: Header=BB222_18 Depth=1
	ds_read_b64 v[2:3], v15 offset:5120
	s_waitcnt lgkmcnt(0)
	v_cmp_ne_u64_e32 vcc, 0, v[2:3]
	s_cbranch_vccnz .LBB222_131
; %bb.128:                              ;   in Loop: Header=BB222_18 Depth=1
	s_mov_b64 s[8:9], exec
	v_readlane_b32 s12, v49, 32
	v_readlane_b32 s13, v49, 33
	s_and_b64 s[12:13], s[8:9], s[12:13]
	s_mov_b64 exec, s[12:13]
	s_cbranch_execz .LBB222_130
; %bb.129:                              ;   in Loop: Header=BB222_18 Depth=1
	v_pk_mov_b32 v[2:3], s[16:17], s[16:17] op_sel:[0,1]
	ds_write_b64 v15, v[2:3] offset:5128
.LBB222_130:                            ;   in Loop: Header=BB222_18 Depth=1
	s_or_b64 exec, exec, s[8:9]
	s_waitcnt lgkmcnt(0)
	s_barrier
.LBB222_131:                            ;   in Loop: Header=BB222_18 Depth=1
	v_and_b32_e32 v8, s48, v8
	v_or_b32_e32 v9, s90, v9
	s_mov_b64 s[8:9], 0
	s_mov_b32 s12, 8
.LBB222_132:                            ;   in Loop: Header=BB222_18 Depth=1
	s_or_saveexec_b64 s[10:11], s[10:11]
	v_mov_b32_e32 v7, s12
	v_pk_mov_b32 v[2:3], v[18:19], v[18:19] op_sel:[0,1]
	s_xor_b64 exec, exec, s[10:11]
; %bb.133:                              ;   in Loop: Header=BB222_18 Depth=1
	v_mov_b32_e32 v3, s17
	v_subrev_co_u32_e32 v2, vcc, s16, v18
	v_subb_co_u32_e32 v3, vcc, v19, v3, vcc
	v_mov_b32_e32 v7, 0
	s_or_b64 s[8:9], s[8:9], exec
; %bb.134:                              ;   in Loop: Header=BB222_18 Depth=1
	s_or_b64 exec, exec, s[10:11]
	s_and_b64 s[26:27], s[8:9], exec
.LBB222_135:                            ;   in Loop: Header=BB222_18 Depth=1
	s_or_b64 exec, exec, s[6:7]
	s_mov_b64 s[28:29], -1
                                        ; implicit-def: $sgpr8_sgpr9
                                        ; implicit-def: $sgpr10_sgpr11
                                        ; implicit-def: $sgpr12_sgpr13
	s_and_saveexec_b64 s[6:7], s[26:27]
	s_xor_b64 s[26:27], exec, s[6:7]
	s_cbranch_execz .LBB222_284
; %bb.136:                              ;   in Loop: Header=BB222_18 Depth=1
	s_cmp_eq_u64 s[18:19], 1
	s_cselect_b64 s[6:7], -1, 0
	v_cmp_eq_u64_e32 vcc, 1, v[2:3]
	s_and_b64 s[8:9], s[6:7], vcc
	s_mov_b64 s[10:11], -1
                                        ; implicit-def: $sgpr28_sgpr29
                                        ; implicit-def: $sgpr44_sgpr45
                                        ; implicit-def: $sgpr42_sgpr43
	s_and_saveexec_b64 s[30:31], s[8:9]
	s_cbranch_execz .LBB222_170
; %bb.137:                              ;   in Loop: Header=BB222_18 Depth=1
	ds_read_b64 v[4:5], v15 offset:5120
	s_waitcnt lgkmcnt(0)
	s_barrier
	v_readfirstlane_b32 s10, v4
	v_readfirstlane_b32 s11, v5
	s_mov_b64 s[6:7], exec
	v_readlane_b32 s12, v49, 48
	v_readlane_b32 s13, v49, 49
	s_and_b64 s[12:13], s[6:7], s[12:13]
	s_mov_b64 exec, s[12:13]
	s_cbranch_execz .LBB222_139
; %bb.138:                              ;   in Loop: Header=BB222_18 Depth=1
	ds_write_b16 v29, v15
.LBB222_139:                            ;   in Loop: Header=BB222_18 Depth=1
	s_or_b64 exec, exec, s[6:7]
	v_and_b32_e32 v4, s48, v8
	v_lshl_or_b32 v8, 1, s49, v4
	v_or_b32_e32 v9, s90, v9
	s_cmp_eq_u64 s[10:11], 0
	s_waitcnt lgkmcnt(0)
	s_barrier
	s_cbranch_scc1 .LBB222_153
; %bb.140:                              ;   in Loop: Header=BB222_18 Depth=1
	v_readlane_b32 s6, v49, 52
	s_add_u32 s28, s6, s10
	v_readlane_b32 s6, v49, 54
	s_addc_u32 s7, s6, s11
	s_mov_b32 s6, s91
	s_cmp_lg_u64 s[6:7], 0
	s_cbranch_scc0 .LBB222_197
; %bb.141:                              ;   in Loop: Header=BB222_18 Depth=1
	v_cvt_f32_u32_e32 v4, s89
	s_sub_u32 s6, 0, s89
	s_subb_u32 s12, 0, 0
	v_mac_f32_e32 v4, 0, v34
	v_rcp_f32_e32 v4, v4
	v_mul_f32_e32 v4, 0x5f7ffffc, v4
	v_mul_f32_e32 v5, 0x2f800000, v4
	v_trunc_f32_e32 v5, v5
	v_mac_f32_e32 v4, 0xcf800000, v5
	v_cvt_u32_f32_e32 v5, v5
	v_cvt_u32_f32_e32 v4, v4
	v_readfirstlane_b32 s13, v5
	v_readfirstlane_b32 s29, v4
	s_mul_i32 s42, s6, s13
	s_mul_hi_u32 s44, s6, s29
	s_mul_i32 s43, s12, s29
	s_add_i32 s42, s44, s42
	s_mul_i32 s45, s6, s29
	s_add_i32 s42, s42, s43
	s_mul_hi_u32 s44, s29, s45
	s_mul_hi_u32 s43, s29, s42
	s_mul_i32 s29, s29, s42
	s_add_u32 s29, s44, s29
	s_addc_u32 s43, 0, s43
	s_mul_hi_u32 s46, s13, s45
	s_mul_i32 s45, s13, s45
	s_add_u32 s29, s29, s45
	s_mul_hi_u32 s44, s13, s42
	s_addc_u32 s29, s43, s46
	s_addc_u32 s43, s44, 0
	s_mul_i32 s42, s13, s42
	s_add_u32 s29, s29, s42
	s_addc_u32 s42, 0, s43
	v_add_co_u32_e32 v4, vcc, s29, v4
	s_cmp_lg_u64 vcc, 0
	s_addc_u32 s13, s13, s42
	v_readfirstlane_b32 s42, v4
	s_mul_i32 s29, s6, s13
	s_mul_hi_u32 s43, s6, s42
	s_add_i32 s29, s43, s29
	s_mul_i32 s12, s12, s42
	s_add_i32 s29, s29, s12
	s_mul_i32 s6, s6, s42
	s_mul_hi_u32 s43, s13, s6
	s_mul_i32 s44, s13, s6
	s_mul_i32 s46, s42, s29
	s_mul_hi_u32 s6, s42, s6
	s_mul_hi_u32 s45, s42, s29
	s_add_u32 s6, s6, s46
	s_addc_u32 s42, 0, s45
	s_add_u32 s6, s6, s44
	s_mul_hi_u32 s12, s13, s29
	s_addc_u32 s6, s42, s43
	s_addc_u32 s12, s12, 0
	s_mul_i32 s29, s13, s29
	s_add_u32 s6, s6, s29
	s_addc_u32 s12, 0, s12
	v_add_co_u32_e32 v4, vcc, s6, v4
	s_cmp_lg_u64 vcc, 0
	s_addc_u32 s6, s13, s12
	v_readfirstlane_b32 s29, v4
	s_mul_i32 s13, s28, s6
	s_mul_hi_u32 s42, s28, s29
	s_mul_hi_u32 s12, s28, s6
	s_add_u32 s13, s42, s13
	s_addc_u32 s12, 0, s12
	s_mul_hi_u32 s43, s7, s29
	s_mul_i32 s29, s7, s29
	s_add_u32 s13, s13, s29
	s_mul_hi_u32 s42, s7, s6
	s_addc_u32 s12, s12, s43
	s_addc_u32 s13, s42, 0
	s_mul_i32 s6, s7, s6
	s_add_u32 s6, s12, s6
	s_addc_u32 s12, 0, s13
	s_mul_hi_u32 s13, s89, s6
	s_mul_i32 s6, s89, s6
	s_mul_i32 s12, s89, s12
	v_mov_b32_e32 v4, s6
	s_add_i32 s13, s13, s12
	v_sub_co_u32_e32 v4, vcc, s28, v4
	s_cmp_lg_u64 vcc, 0
	s_subb_u32 s6, s7, s13
	v_subrev_co_u32_e32 v5, vcc, s89, v4
	s_cmp_lg_u64 vcc, 0
	s_subb_u32 s12, s6, 0
	v_subrev_co_u32_e32 v6, vcc, s89, v5
	s_cmp_lg_u64 vcc, 0
	s_subb_u32 s13, s12, 0
	v_cmp_le_u32_e32 vcc, s89, v5
	s_cmp_eq_u32 s12, 0
	v_cndmask_b32_e64 v7, 0, -1, vcc
	s_cselect_b64 vcc, -1, 0
	v_cndmask_b32_e32 v7, -1, v7, vcc
	v_mov_b32_e32 v14, s12
	v_mov_b32_e32 v20, s13
	v_cmp_ne_u32_e32 vcc, 0, v7
	v_cndmask_b32_e32 v7, v14, v20, vcc
	v_cndmask_b32_e32 v6, v5, v6, vcc
	v_cmp_le_u32_e32 vcc, s89, v4
	s_cmp_eq_u32 s6, 0
	v_cndmask_b32_e64 v5, 0, -1, vcc
	s_cselect_b64 vcc, -1, 0
	v_cndmask_b32_e32 v5, -1, v5, vcc
	v_mov_b32_e32 v14, s6
	v_cmp_ne_u32_e32 vcc, 0, v5
	v_cndmask_b32_e32 v5, v14, v7, vcc
	v_cndmask_b32_e32 v4, v4, v6, vcc
	s_cbranch_execnz .LBB222_143
.LBB222_142:                            ;   in Loop: Header=BB222_18 Depth=1
	v_cvt_f32_u32_e32 v4, s89
	s_sub_i32 s6, 0, s89
	v_rcp_iflag_f32_e32 v4, v4
	v_mul_f32_e32 v4, 0x4f7ffffe, v4
	v_cvt_u32_f32_e32 v4, v4
	v_mul_lo_u32 v5, s6, v4
	v_mul_hi_u32 v5, v4, v5
	v_add_u32_e32 v4, v4, v5
	v_mul_hi_u32 v4, s28, v4
	v_mul_lo_u32 v4, v4, s89
	v_sub_u32_e32 v4, s28, v4
	v_subrev_u32_e32 v5, s89, v4
	v_cmp_le_u32_e32 vcc, s89, v4
	v_cndmask_b32_e32 v4, v4, v5, vcc
	v_subrev_u32_e32 v5, s89, v4
	v_cmp_le_u32_e32 vcc, s89, v4
	v_cndmask_b32_e32 v14, v4, v5, vcc
	v_pk_mov_b32 v[4:5], v[14:15], v[14:15] op_sel:[0,1]
.LBB222_143:                            ;   in Loop: Header=BB222_18 Depth=1
	v_mov_b32_e32 v6, s7
	v_sub_co_u32_e32 v4, vcc, s28, v4
	v_subb_co_u32_e32 v5, vcc, v6, v5, vcc
	v_cmp_gt_u64_e32 vcc, v[4:5], v[0:1]
	s_mov_b64 s[6:7], 0
                                        ; implicit-def: $vgpr6
	s_and_saveexec_b64 s[12:13], vcc
	s_cbranch_execz .LBB222_155
; %bb.144:                              ;   in Loop: Header=BB222_18 Depth=1
	s_mov_b64 s[28:29], 0
	v_mov_b32_e32 v14, v28
	v_pk_mov_b32 v[6:7], v[0:1], v[0:1] op_sel:[0,1]
                                        ; implicit-def: $sgpr42_sgpr43
	s_branch .LBB222_146
.LBB222_145:                            ;   in Loop: Header=BB222_146 Depth=2
	s_or_b64 exec, exec, s[6:7]
	s_waitcnt lgkmcnt(0)
	s_barrier
	ds_read_b32 v20, v15 offset:3072
	v_add_co_u32_e64 v6, s[6:7], s89, v6
	v_add_u32_e32 v14, s5, v14
	s_waitcnt lgkmcnt(0)
	v_and_b32_e32 v21, 0x7fff, v20
	v_cmp_ne_u16_e32 vcc, 0, v21
	v_mov_b32_e32 v21, s74
	v_addc_co_u32_e64 v7, s[6:7], v7, v21, s[6:7]
	v_cmp_ge_u64_e64 s[6:7], v[6:7], v[4:5]
	s_or_b64 s[6:7], s[6:7], vcc
	s_and_b64 s[6:7], exec, s[6:7]
	s_or_b64 s[28:29], s[6:7], s[28:29]
	s_andn2_b64 s[6:7], s[42:43], exec
	s_and_b64 s[42:43], vcc, exec
	s_or_b64 s[42:43], s[6:7], s[42:43]
	s_barrier
	s_andn2_b64 exec, exec, s[28:29]
	s_cbranch_execz .LBB222_154
.LBB222_146:                            ;   Parent Loop BB222_18 Depth=1
                                        ; =>  This Inner Loop Header: Depth=2
	v_cmp_gt_u64_e32 vcc, s[10:11], v[6:7]
	v_mov_b32_e32 v20, 0
	s_and_saveexec_b64 s[6:7], vcc
	s_cbranch_execz .LBB222_148
; %bb.147:                              ;   in Loop: Header=BB222_146 Depth=2
	ds_read_u16 v20, v14
.LBB222_148:                            ;   in Loop: Header=BB222_146 Depth=2
	s_or_b64 exec, exec, s[6:7]
	s_and_saveexec_b64 s[6:7], vcc
	s_cbranch_execz .LBB222_145
; %bb.149:                              ;   in Loop: Header=BB222_146 Depth=2
	s_waitcnt lgkmcnt(0)
	v_cmp_lt_i16_e32 vcc, -1, v20
	v_cndmask_b32_e32 v21, v32, v33, vcc
	v_lshlrev_b32_e32 v22, 16, v20
	v_xor_b32_sdwa v21, v21, v20 dst_sel:DWORD dst_unused:UNUSED_PAD src0_sel:DWORD src1_sel:WORD_0
	v_cmp_o_f32_e32 vcc, v22, v22
	v_cndmask_b32_e32 v21, v32, v21, vcc
	v_and_b32_e32 v21, v21, v9
	v_cmp_eq_u32_e32 vcc, v21, v8
	s_and_b64 exec, exec, vcc
	s_cbranch_execz .LBB222_145
; %bb.150:                              ;   in Loop: Header=BB222_146 Depth=2
	s_movk_i32 s44, 0x3f80
	v_perm_b32 v20, v20, s44, v36
	ds_write_b32 v15, v20 offset:3072
	s_branch .LBB222_145
.LBB222_151:                            ;   in Loop: Header=BB222_18 Depth=1
                                        ; implicit-def: $vgpr2_vgpr3
	s_branch .LBB222_93
.LBB222_152:                            ;   in Loop: Header=BB222_18 Depth=1
                                        ; implicit-def: $vgpr2_vgpr3
	s_branch .LBB222_112
.LBB222_153:                            ;   in Loop: Header=BB222_18 Depth=1
	s_mov_b64 s[28:29], -1
	s_mov_b64 s[6:7], 0
                                        ; implicit-def: $sgpr42_sgpr43
                                        ; implicit-def: $vgpr6
	s_mov_b64 s[44:45], s[28:29]
	s_cbranch_execnz .LBB222_156
	s_branch .LBB222_169
.LBB222_154:                            ;   in Loop: Header=BB222_18 Depth=1
	s_or_b64 exec, exec, s[28:29]
	v_lshrrev_b32_e32 v6, 16, v20
	s_and_b64 s[6:7], s[42:43], exec
.LBB222_155:                            ;   in Loop: Header=BB222_18 Depth=1
	s_or_b64 exec, exec, s[12:13]
	s_mov_b64 s[42:43], -1
	s_mov_b64 s[28:29], 0
	s_mov_b64 s[44:45], s[28:29]
	s_branch .LBB222_169
.LBB222_156:                            ;   in Loop: Header=BB222_18 Depth=1
	s_mov_b32 s72, s91
	s_cmp_lg_u64 s[72:73], 0
	s_cbranch_scc0 .LBB222_198
; %bb.157:                              ;   in Loop: Header=BB222_18 Depth=1
	v_cvt_f32_u32_e32 v4, s89
	s_sub_u32 s6, 0, s89
	s_subb_u32 s7, 0, 0
	v_mac_f32_e32 v4, 0, v34
	v_rcp_f32_e32 v4, v4
	v_mul_f32_e32 v4, 0x5f7ffffc, v4
	v_mul_f32_e32 v5, 0x2f800000, v4
	v_trunc_f32_e32 v5, v5
	v_mac_f32_e32 v4, 0xcf800000, v5
	v_cvt_u32_f32_e32 v5, v5
	v_cvt_u32_f32_e32 v4, v4
	v_readfirstlane_b32 s10, v5
	v_readfirstlane_b32 s11, v4
	s_mul_i32 s12, s6, s10
	s_mul_hi_u32 s28, s6, s11
	s_mul_i32 s13, s7, s11
	s_add_i32 s12, s28, s12
	s_mul_i32 s29, s6, s11
	s_add_i32 s12, s12, s13
	s_mul_hi_u32 s28, s11, s29
	s_mul_hi_u32 s13, s11, s12
	s_mul_i32 s11, s11, s12
	s_add_u32 s11, s28, s11
	s_addc_u32 s13, 0, s13
	s_mul_hi_u32 s42, s10, s29
	s_mul_i32 s29, s10, s29
	s_add_u32 s11, s11, s29
	s_mul_hi_u32 s28, s10, s12
	s_addc_u32 s11, s13, s42
	s_addc_u32 s13, s28, 0
	s_mul_i32 s12, s10, s12
	s_add_u32 s11, s11, s12
	s_addc_u32 s12, 0, s13
	v_add_co_u32_e32 v4, vcc, s11, v4
	s_cmp_lg_u64 vcc, 0
	s_addc_u32 s10, s10, s12
	v_readfirstlane_b32 s12, v4
	s_mul_i32 s11, s6, s10
	s_mul_hi_u32 s13, s6, s12
	s_add_i32 s11, s13, s11
	s_mul_i32 s7, s7, s12
	s_add_i32 s11, s11, s7
	s_mul_i32 s6, s6, s12
	s_mul_hi_u32 s13, s10, s6
	s_mul_i32 s28, s10, s6
	s_mul_i32 s42, s12, s11
	s_mul_hi_u32 s6, s12, s6
	s_mul_hi_u32 s29, s12, s11
	s_add_u32 s6, s6, s42
	s_addc_u32 s12, 0, s29
	s_add_u32 s6, s6, s28
	s_mul_hi_u32 s7, s10, s11
	s_addc_u32 s6, s12, s13
	s_addc_u32 s7, s7, 0
	s_mul_i32 s11, s10, s11
	s_add_u32 s6, s6, s11
	s_addc_u32 s7, 0, s7
	v_add_co_u32_e32 v4, vcc, s6, v4
	s_cmp_lg_u64 vcc, 0
	s_addc_u32 s6, s10, s7
	v_readlane_b32 s28, v49, 53
	v_readfirstlane_b32 s11, v4
	s_mul_i32 s10, s28, s6
	s_mul_hi_u32 s12, s28, s11
	s_mul_hi_u32 s7, s28, s6
	s_add_u32 s10, s12, s10
	s_addc_u32 s7, 0, s7
	s_mul_hi_u32 s13, s73, s11
	s_mul_i32 s11, s73, s11
	s_add_u32 s10, s10, s11
	s_mul_hi_u32 s12, s73, s6
	s_addc_u32 s7, s7, s13
	s_addc_u32 s10, s12, 0
	s_mul_i32 s6, s73, s6
	s_add_u32 s6, s7, s6
	s_addc_u32 s7, 0, s10
	s_mul_hi_u32 s10, s89, s6
	s_mul_i32 s6, s89, s6
	s_mul_i32 s7, s89, s7
	v_mov_b32_e32 v4, s6
	s_add_i32 s10, s10, s7
	v_sub_co_u32_e32 v4, vcc, s28, v4
	s_cmp_lg_u64 vcc, 0
	s_subb_u32 s6, s73, s10
	v_subrev_co_u32_e32 v5, vcc, s89, v4
	s_cmp_lg_u64 vcc, 0
	s_subb_u32 s7, s6, 0
	v_subrev_co_u32_e32 v6, vcc, s89, v5
	s_cmp_lg_u64 vcc, 0
	s_subb_u32 s10, s7, 0
	v_cmp_le_u32_e32 vcc, s89, v5
	s_cmp_eq_u32 s7, 0
	v_cndmask_b32_e64 v7, 0, -1, vcc
	s_cselect_b64 vcc, -1, 0
	v_cndmask_b32_e32 v7, -1, v7, vcc
	v_mov_b32_e32 v14, s7
	v_mov_b32_e32 v20, s10
	v_cmp_ne_u32_e32 vcc, 0, v7
	v_cndmask_b32_e32 v7, v14, v20, vcc
	v_cndmask_b32_e32 v6, v5, v6, vcc
	v_cmp_le_u32_e32 vcc, s89, v4
	s_cmp_eq_u32 s6, 0
	v_cndmask_b32_e64 v5, 0, -1, vcc
	s_cselect_b64 vcc, -1, 0
	v_cndmask_b32_e32 v5, -1, v5, vcc
	v_mov_b32_e32 v14, s6
	v_cmp_ne_u32_e32 vcc, 0, v5
	v_cndmask_b32_e32 v5, v14, v7, vcc
	v_cndmask_b32_e32 v4, v4, v6, vcc
	s_cbranch_execnz .LBB222_159
.LBB222_158:                            ;   in Loop: Header=BB222_18 Depth=1
	v_cvt_f32_u32_e32 v4, s89
	s_sub_i32 s6, 0, s89
	v_rcp_iflag_f32_e32 v4, v4
	v_mul_f32_e32 v4, 0x4f7ffffe, v4
	v_cvt_u32_f32_e32 v4, v4
	v_mul_lo_u32 v5, s6, v4
	v_mul_hi_u32 v5, v4, v5
	v_add_u32_e32 v4, v4, v5
	v_readlane_b32 s6, v49, 53
	v_mul_hi_u32 v4, s6, v4
	v_mul_lo_u32 v4, v4, s89
	v_sub_u32_e32 v4, s6, v4
	v_subrev_u32_e32 v5, s89, v4
	v_cmp_le_u32_e32 vcc, s89, v4
	v_cndmask_b32_e32 v4, v4, v5, vcc
	v_subrev_u32_e32 v5, s89, v4
	v_cmp_le_u32_e32 vcc, s89, v4
	v_cndmask_b32_e32 v14, v4, v5, vcc
	v_pk_mov_b32 v[4:5], v[14:15], v[14:15] op_sel:[0,1]
.LBB222_159:                            ;   in Loop: Header=BB222_18 Depth=1
	v_readlane_b32 s6, v49, 53
	v_mov_b32_e32 v6, s73
	v_sub_co_u32_e32 v4, vcc, s6, v4
	v_subb_co_u32_e32 v5, vcc, v6, v5, vcc
	v_cmp_gt_u64_e32 vcc, v[4:5], v[0:1]
	s_mov_b64 s[6:7], 0
                                        ; implicit-def: $vgpr6
	s_and_saveexec_b64 s[10:11], vcc
	s_cbranch_execz .LBB222_168
; %bb.160:                              ;   in Loop: Header=BB222_18 Depth=1
	s_mov_b64 s[12:13], 0
	v_pk_mov_b32 v[6:7], v[0:1], v[0:1] op_sel:[0,1]
                                        ; implicit-def: $sgpr28_sgpr29
	s_branch .LBB222_162
.LBB222_161:                            ;   in Loop: Header=BB222_162 Depth=2
	s_or_b64 exec, exec, s[6:7]
	s_waitcnt lgkmcnt(0)
	s_barrier
	s_waitcnt vmcnt(0)
	ds_read_b32 v14, v15 offset:3072
	v_add_co_u32_e64 v6, s[6:7], s89, v6
	s_waitcnt lgkmcnt(0)
	s_barrier
	v_and_b32_e32 v20, 0x7fff, v14
	v_cmp_ne_u16_e32 vcc, 0, v20
	v_mov_b32_e32 v20, s74
	v_addc_co_u32_e64 v7, s[6:7], v7, v20, s[6:7]
	v_cmp_ge_u64_e64 s[6:7], v[6:7], v[4:5]
	s_or_b64 s[6:7], s[6:7], vcc
	s_and_b64 s[6:7], exec, s[6:7]
	s_or_b64 s[12:13], s[6:7], s[12:13]
	s_andn2_b64 s[6:7], s[28:29], exec
	s_and_b64 s[28:29], vcc, exec
	s_or_b64 s[28:29], s[6:7], s[28:29]
	s_andn2_b64 exec, exec, s[12:13]
	s_cbranch_execz .LBB222_167
.LBB222_162:                            ;   Parent Loop BB222_18 Depth=1
                                        ; =>  This Inner Loop Header: Depth=2
	v_cmp_gt_u64_e32 vcc, s[60:61], v[6:7]
	v_mov_b32_e32 v14, 0
	s_and_saveexec_b64 s[42:43], vcc
	s_cbranch_execz .LBB222_164
; %bb.163:                              ;   in Loop: Header=BB222_162 Depth=2
	v_mul_lo_u32 v14, v7, s58
	v_mul_lo_u32 v22, v6, s59
	v_mad_u64_u32 v[20:21], s[6:7], v6, s58, 0
	v_add3_u32 v21, v21, v22, v14
	v_lshlrev_b64 v[20:21], 1, v[20:21]
	v_mov_b32_e32 v14, s88
	v_add_co_u32_e64 v20, s[6:7], s33, v20
	v_addc_co_u32_e64 v21, s[6:7], v14, v21, s[6:7]
	global_load_ushort v14, v[20:21], off
.LBB222_164:                            ;   in Loop: Header=BB222_162 Depth=2
	s_or_b64 exec, exec, s[42:43]
	s_and_saveexec_b64 s[6:7], vcc
	s_cbranch_execz .LBB222_161
; %bb.165:                              ;   in Loop: Header=BB222_162 Depth=2
	s_waitcnt vmcnt(0)
	v_cmp_lt_i16_e32 vcc, -1, v14
	v_cndmask_b32_e32 v20, v32, v33, vcc
	v_lshlrev_b32_e32 v21, 16, v14
	v_xor_b32_sdwa v20, v20, v14 dst_sel:DWORD dst_unused:UNUSED_PAD src0_sel:DWORD src1_sel:WORD_0
	v_cmp_o_f32_e32 vcc, v21, v21
	v_cndmask_b32_e32 v20, v32, v20, vcc
	v_and_b32_e32 v20, v20, v9
	v_cmp_eq_u32_e32 vcc, v20, v8
	s_and_b64 exec, exec, vcc
	s_cbranch_execz .LBB222_161
; %bb.166:                              ;   in Loop: Header=BB222_162 Depth=2
	s_movk_i32 s42, 0x3f80
	v_perm_b32 v14, v14, s42, v36
	ds_write_b32 v15, v14 offset:3072
	s_branch .LBB222_161
.LBB222_167:                            ;   in Loop: Header=BB222_18 Depth=1
	s_or_b64 exec, exec, s[12:13]
	v_lshrrev_b32_e32 v6, 16, v14
	s_and_b64 s[6:7], s[28:29], exec
.LBB222_168:                            ;   in Loop: Header=BB222_18 Depth=1
	s_or_b64 exec, exec, s[10:11]
	s_mov_b64 s[44:45], -1
	s_mov_b64 s[28:29], 0
	s_mov_b64 s[42:43], 0
.LBB222_169:                            ;   in Loop: Header=BB222_18 Depth=1
	s_orn2_b64 s[10:11], s[6:7], exec
.LBB222_170:                            ;   in Loop: Header=BB222_18 Depth=1
	s_or_b64 exec, exec, s[30:31]
	s_mov_b64 s[6:7], 0
                                        ; implicit-def: $vgpr7
	s_and_saveexec_b64 s[46:47], s[10:11]
	s_cbranch_execz .LBB222_283
; %bb.171:                              ;   in Loop: Header=BB222_18 Depth=1
	v_mov_b32_e32 v4, 1
	s_xor_b64 s[8:9], s[8:9], -1
	s_mov_b64 s[30:31], 0
	v_mov_b32_e32 v5, 0
	v_mov_b32_e32 v7, 1
	s_and_saveexec_b64 s[6:7], s[8:9]
	s_cbranch_execz .LBB222_181
; %bb.172:                              ;   in Loop: Header=BB222_18 Depth=1
	v_cmp_ge_u64_e32 vcc, s[18:19], v[2:3]
                                        ; implicit-def: $sgpr12
                                        ; implicit-def: $sgpr8_sgpr9
	s_and_saveexec_b64 s[10:11], vcc
	s_xor_b64 s[10:11], exec, s[10:11]
	s_cbranch_execz .LBB222_178
; %bb.173:                              ;   in Loop: Header=BB222_18 Depth=1
	ds_read_b64 v[4:5], v15 offset:5120
	s_waitcnt lgkmcnt(0)
	v_cmp_ne_u64_e32 vcc, 0, v[4:5]
	s_cbranch_vccnz .LBB222_177
; %bb.174:                              ;   in Loop: Header=BB222_18 Depth=1
	s_mov_b64 s[8:9], exec
	v_readlane_b32 s12, v49, 32
	v_readlane_b32 s13, v49, 33
	s_and_b64 s[12:13], s[8:9], s[12:13]
	s_mov_b64 exec, s[12:13]
	s_cbranch_execz .LBB222_176
; %bb.175:                              ;   in Loop: Header=BB222_18 Depth=1
	v_pk_mov_b32 v[4:5], s[18:19], s[18:19] op_sel:[0,1]
	ds_write_b64 v15, v[4:5] offset:5128
.LBB222_176:                            ;   in Loop: Header=BB222_18 Depth=1
	s_or_b64 exec, exec, s[8:9]
	s_waitcnt lgkmcnt(0)
	s_barrier
.LBB222_177:                            ;   in Loop: Header=BB222_18 Depth=1
	v_and_b32_e32 v4, s48, v8
	v_lshl_or_b32 v8, 1, s49, v4
	v_or_b32_e32 v9, s90, v9
	s_mov_b64 s[8:9], 0
	s_mov_b32 s12, 8
.LBB222_178:                            ;   in Loop: Header=BB222_18 Depth=1
	s_or_saveexec_b64 s[10:11], s[10:11]
	v_mov_b32_e32 v7, s12
	s_xor_b64 exec, exec, s[10:11]
; %bb.179:                              ;   in Loop: Header=BB222_18 Depth=1
	v_mov_b32_e32 v4, s19
	v_subrev_co_u32_e32 v2, vcc, s18, v2
	v_subb_co_u32_e32 v3, vcc, v3, v4, vcc
	v_mov_b32_e32 v7, 0
	s_or_b64 s[8:9], s[8:9], exec
; %bb.180:                              ;   in Loop: Header=BB222_18 Depth=1
	s_or_b64 exec, exec, s[10:11]
	s_and_b64 s[30:31], s[8:9], exec
	v_pk_mov_b32 v[4:5], v[2:3], v[2:3] op_sel:[0,1]
.LBB222_181:                            ;   in Loop: Header=BB222_18 Depth=1
	s_or_b64 exec, exec, s[6:7]
	s_mov_b64 s[6:7], -1
                                        ; implicit-def: $sgpr8_sgpr9
                                        ; implicit-def: $sgpr10_sgpr11
                                        ; implicit-def: $sgpr12_sgpr13
	s_and_saveexec_b64 s[52:53], s[30:31]
	s_cbranch_execz .LBB222_282
; %bb.182:                              ;   in Loop: Header=BB222_18 Depth=1
	s_cmp_eq_u64 s[22:23], 1
	s_cselect_b64 s[6:7], -1, 0
	v_cmp_eq_u64_e32 vcc, 1, v[4:5]
	s_and_b64 s[8:9], s[6:7], vcc
	s_mov_b64 s[10:11], -1
                                        ; implicit-def: $sgpr30_sgpr31
                                        ; implicit-def: $sgpr50_sgpr51
                                        ; implicit-def: $vcc
	s_and_saveexec_b64 s[54:55], s[8:9]
	s_cbranch_execz .LBB222_216
; %bb.183:                              ;   in Loop: Header=BB222_18 Depth=1
	ds_read_b64 v[2:3], v15 offset:5120
	s_waitcnt lgkmcnt(0)
	s_barrier
	v_readfirstlane_b32 s10, v2
	v_readfirstlane_b32 s11, v3
	s_mov_b64 s[6:7], exec
	v_readlane_b32 s12, v49, 48
	v_readlane_b32 s13, v49, 49
	s_and_b64 s[12:13], s[6:7], s[12:13]
	s_mov_b64 exec, s[12:13]
	s_cbranch_execz .LBB222_185
; %bb.184:                              ;   in Loop: Header=BB222_18 Depth=1
	ds_write_b16 v29, v15
.LBB222_185:                            ;   in Loop: Header=BB222_18 Depth=1
	s_or_b64 exec, exec, s[6:7]
	v_and_b32_e32 v2, s48, v8
	v_lshl_or_b32 v8, 2, s49, v2
	v_or_b32_e32 v9, s90, v9
	s_cmp_eq_u64 s[10:11], 0
	s_waitcnt lgkmcnt(0)
	s_barrier
	s_cbranch_scc1 .LBB222_199
; %bb.186:                              ;   in Loop: Header=BB222_18 Depth=1
	v_readlane_b32 s6, v49, 52
	s_add_u32 s30, s6, s10
	v_readlane_b32 s6, v49, 54
	s_addc_u32 s7, s6, s11
	s_mov_b32 s6, s91
	s_cmp_lg_u64 s[6:7], 0
	s_cbranch_scc0 .LBB222_234
; %bb.187:                              ;   in Loop: Header=BB222_18 Depth=1
	v_cvt_f32_u32_e32 v2, s89
	s_sub_u32 s6, 0, s89
	s_subb_u32 s12, 0, 0
	v_mac_f32_e32 v2, 0, v34
	v_rcp_f32_e32 v2, v2
	v_mul_f32_e32 v2, 0x5f7ffffc, v2
	v_mul_f32_e32 v3, 0x2f800000, v2
	v_trunc_f32_e32 v3, v3
	v_mac_f32_e32 v2, 0xcf800000, v3
	v_cvt_u32_f32_e32 v3, v3
	v_cvt_u32_f32_e32 v2, v2
	v_readfirstlane_b32 s13, v3
	v_readfirstlane_b32 s31, v2
	s_mul_i32 s50, s6, s13
	s_mul_hi_u32 s56, s6, s31
	s_mul_i32 s51, s12, s31
	s_add_i32 s50, s56, s50
	s_mul_i32 s57, s6, s31
	s_add_i32 s50, s50, s51
	s_mul_hi_u32 s56, s31, s57
	s_mul_hi_u32 s51, s31, s50
	s_mul_i32 s31, s31, s50
	s_add_u32 s31, s56, s31
	s_addc_u32 s51, 0, s51
	s_mul_hi_u32 s72, s13, s57
	s_mul_i32 s57, s13, s57
	s_add_u32 s31, s31, s57
	s_mul_hi_u32 s56, s13, s50
	s_addc_u32 s31, s51, s72
	s_addc_u32 s51, s56, 0
	s_mul_i32 s50, s13, s50
	s_add_u32 s31, s31, s50
	s_addc_u32 s50, 0, s51
	v_add_co_u32_e32 v2, vcc, s31, v2
	s_cmp_lg_u64 vcc, 0
	s_addc_u32 s13, s13, s50
	v_readfirstlane_b32 s50, v2
	s_mul_i32 s31, s6, s13
	s_mul_hi_u32 s51, s6, s50
	s_add_i32 s31, s51, s31
	s_mul_i32 s12, s12, s50
	s_add_i32 s31, s31, s12
	s_mul_i32 s6, s6, s50
	s_mul_hi_u32 s51, s13, s6
	s_mul_i32 s56, s13, s6
	s_mul_i32 s72, s50, s31
	s_mul_hi_u32 s6, s50, s6
	s_mul_hi_u32 s57, s50, s31
	s_add_u32 s6, s6, s72
	s_addc_u32 s50, 0, s57
	s_add_u32 s6, s6, s56
	s_mul_hi_u32 s12, s13, s31
	s_addc_u32 s6, s50, s51
	s_addc_u32 s12, s12, 0
	s_mul_i32 s31, s13, s31
	s_add_u32 s6, s6, s31
	s_addc_u32 s12, 0, s12
	v_add_co_u32_e32 v2, vcc, s6, v2
	s_cmp_lg_u64 vcc, 0
	s_addc_u32 s6, s13, s12
	v_readfirstlane_b32 s31, v2
	s_mul_i32 s13, s30, s6
	s_mul_hi_u32 s50, s30, s31
	s_mul_hi_u32 s12, s30, s6
	s_add_u32 s13, s50, s13
	s_addc_u32 s12, 0, s12
	s_mul_hi_u32 s51, s7, s31
	s_mul_i32 s31, s7, s31
	s_add_u32 s13, s13, s31
	s_mul_hi_u32 s50, s7, s6
	s_addc_u32 s12, s12, s51
	s_addc_u32 s13, s50, 0
	s_mul_i32 s6, s7, s6
	s_add_u32 s6, s12, s6
	s_addc_u32 s12, 0, s13
	s_mul_hi_u32 s13, s89, s6
	s_mul_i32 s6, s89, s6
	s_mul_i32 s12, s89, s12
	v_mov_b32_e32 v2, s6
	s_add_i32 s13, s13, s12
	v_sub_co_u32_e32 v2, vcc, s30, v2
	s_cmp_lg_u64 vcc, 0
	s_subb_u32 s6, s7, s13
	v_subrev_co_u32_e32 v3, vcc, s89, v2
	s_cmp_lg_u64 vcc, 0
	s_subb_u32 s12, s6, 0
	v_subrev_co_u32_e32 v6, vcc, s89, v3
	s_cmp_lg_u64 vcc, 0
	s_subb_u32 s13, s12, 0
	v_cmp_le_u32_e32 vcc, s89, v3
	s_cmp_eq_u32 s12, 0
	v_cndmask_b32_e64 v7, 0, -1, vcc
	s_cselect_b64 vcc, -1, 0
	v_cndmask_b32_e32 v7, -1, v7, vcc
	v_mov_b32_e32 v14, s12
	v_mov_b32_e32 v20, s13
	v_cmp_ne_u32_e32 vcc, 0, v7
	v_cndmask_b32_e32 v7, v14, v20, vcc
	v_cndmask_b32_e32 v6, v3, v6, vcc
	v_cmp_le_u32_e32 vcc, s89, v2
	s_cmp_eq_u32 s6, 0
	v_cndmask_b32_e64 v3, 0, -1, vcc
	s_cselect_b64 vcc, -1, 0
	v_cndmask_b32_e32 v3, -1, v3, vcc
	v_mov_b32_e32 v14, s6
	v_cmp_ne_u32_e32 vcc, 0, v3
	v_cndmask_b32_e32 v3, v14, v7, vcc
	v_cndmask_b32_e32 v2, v2, v6, vcc
	s_cbranch_execnz .LBB222_189
.LBB222_188:                            ;   in Loop: Header=BB222_18 Depth=1
	v_cvt_f32_u32_e32 v2, s89
	s_sub_i32 s6, 0, s89
	v_rcp_iflag_f32_e32 v2, v2
	v_mul_f32_e32 v2, 0x4f7ffffe, v2
	v_cvt_u32_f32_e32 v2, v2
	v_mul_lo_u32 v3, s6, v2
	v_mul_hi_u32 v3, v2, v3
	v_add_u32_e32 v2, v2, v3
	v_mul_hi_u32 v2, s30, v2
	v_mul_lo_u32 v2, v2, s89
	v_sub_u32_e32 v2, s30, v2
	v_subrev_u32_e32 v3, s89, v2
	v_cmp_le_u32_e32 vcc, s89, v2
	v_cndmask_b32_e32 v2, v2, v3, vcc
	v_subrev_u32_e32 v3, s89, v2
	v_cmp_le_u32_e32 vcc, s89, v2
	v_cndmask_b32_e32 v14, v2, v3, vcc
	v_pk_mov_b32 v[2:3], v[14:15], v[14:15] op_sel:[0,1]
.LBB222_189:                            ;   in Loop: Header=BB222_18 Depth=1
	v_mov_b32_e32 v6, s7
	v_sub_co_u32_e32 v2, vcc, s30, v2
	v_subb_co_u32_e32 v3, vcc, v6, v3, vcc
	v_cmp_gt_u64_e32 vcc, v[2:3], v[0:1]
	s_mov_b64 s[6:7], 0
                                        ; implicit-def: $vgpr6
	s_and_saveexec_b64 s[12:13], vcc
	s_cbranch_execz .LBB222_201
; %bb.190:                              ;   in Loop: Header=BB222_18 Depth=1
	s_mov_b64 s[30:31], 0
	v_mov_b32_e32 v14, v28
	v_pk_mov_b32 v[6:7], v[0:1], v[0:1] op_sel:[0,1]
                                        ; implicit-def: $sgpr50_sgpr51
	s_branch .LBB222_192
.LBB222_191:                            ;   in Loop: Header=BB222_192 Depth=2
	s_or_b64 exec, exec, s[6:7]
	s_waitcnt lgkmcnt(0)
	s_barrier
	ds_read_b32 v20, v15 offset:3072
	v_add_co_u32_e64 v6, s[6:7], s89, v6
	v_add_u32_e32 v14, s5, v14
	s_waitcnt lgkmcnt(0)
	v_and_b32_e32 v21, 0x7fff, v20
	v_cmp_ne_u16_e32 vcc, 0, v21
	v_mov_b32_e32 v21, s74
	v_addc_co_u32_e64 v7, s[6:7], v7, v21, s[6:7]
	v_cmp_ge_u64_e64 s[6:7], v[6:7], v[2:3]
	s_or_b64 s[6:7], s[6:7], vcc
	s_and_b64 s[6:7], exec, s[6:7]
	s_or_b64 s[30:31], s[6:7], s[30:31]
	s_andn2_b64 s[6:7], s[50:51], exec
	s_and_b64 s[50:51], vcc, exec
	s_or_b64 s[50:51], s[6:7], s[50:51]
	s_barrier
	s_andn2_b64 exec, exec, s[30:31]
	s_cbranch_execz .LBB222_200
.LBB222_192:                            ;   Parent Loop BB222_18 Depth=1
                                        ; =>  This Inner Loop Header: Depth=2
	v_cmp_gt_u64_e32 vcc, s[10:11], v[6:7]
	v_mov_b32_e32 v20, 0
	s_and_saveexec_b64 s[6:7], vcc
	s_cbranch_execz .LBB222_194
; %bb.193:                              ;   in Loop: Header=BB222_192 Depth=2
	ds_read_u16 v20, v14
.LBB222_194:                            ;   in Loop: Header=BB222_192 Depth=2
	s_or_b64 exec, exec, s[6:7]
	s_and_saveexec_b64 s[6:7], vcc
	s_cbranch_execz .LBB222_191
; %bb.195:                              ;   in Loop: Header=BB222_192 Depth=2
	s_waitcnt lgkmcnt(0)
	v_cmp_lt_i16_e32 vcc, -1, v20
	v_cndmask_b32_e32 v21, v32, v33, vcc
	v_lshlrev_b32_e32 v22, 16, v20
	v_xor_b32_sdwa v21, v21, v20 dst_sel:DWORD dst_unused:UNUSED_PAD src0_sel:DWORD src1_sel:WORD_0
	v_cmp_o_f32_e32 vcc, v22, v22
	v_cndmask_b32_e32 v21, v32, v21, vcc
	v_and_b32_e32 v21, v21, v9
	v_cmp_eq_u32_e32 vcc, v21, v8
	s_and_b64 exec, exec, vcc
	s_cbranch_execz .LBB222_191
; %bb.196:                              ;   in Loop: Header=BB222_192 Depth=2
	s_movk_i32 s56, 0x3f80
	v_perm_b32 v20, v20, s56, v36
	ds_write_b32 v15, v20 offset:3072
	s_branch .LBB222_191
.LBB222_197:                            ;   in Loop: Header=BB222_18 Depth=1
                                        ; implicit-def: $vgpr4_vgpr5
	s_branch .LBB222_142
.LBB222_198:                            ;   in Loop: Header=BB222_18 Depth=1
                                        ; implicit-def: $vgpr4_vgpr5
	s_branch .LBB222_158
.LBB222_199:                            ;   in Loop: Header=BB222_18 Depth=1
	s_mov_b64 s[30:31], -1
	s_mov_b64 s[6:7], 0
                                        ; implicit-def: $sgpr12_sgpr13
                                        ; implicit-def: $vgpr6
	s_mov_b64 s[50:51], s[30:31]
	s_cbranch_execnz .LBB222_202
	s_branch .LBB222_215
.LBB222_200:                            ;   in Loop: Header=BB222_18 Depth=1
	s_or_b64 exec, exec, s[30:31]
	v_lshrrev_b32_e32 v6, 16, v20
	s_and_b64 s[6:7], s[50:51], exec
.LBB222_201:                            ;   in Loop: Header=BB222_18 Depth=1
	s_or_b64 exec, exec, s[12:13]
	s_mov_b64 s[12:13], -1
	s_mov_b64 s[30:31], 0
	s_mov_b64 s[50:51], s[30:31]
	s_branch .LBB222_215
.LBB222_202:                            ;   in Loop: Header=BB222_18 Depth=1
	s_mov_b32 s72, s91
	s_cmp_lg_u64 s[72:73], 0
	s_cbranch_scc0 .LBB222_235
; %bb.203:                              ;   in Loop: Header=BB222_18 Depth=1
	v_cvt_f32_u32_e32 v2, s89
	s_sub_u32 s6, 0, s89
	s_subb_u32 s7, 0, 0
	v_mac_f32_e32 v2, 0, v34
	v_rcp_f32_e32 v2, v2
	v_mul_f32_e32 v2, 0x5f7ffffc, v2
	v_mul_f32_e32 v3, 0x2f800000, v2
	v_trunc_f32_e32 v3, v3
	v_mac_f32_e32 v2, 0xcf800000, v3
	v_cvt_u32_f32_e32 v3, v3
	v_cvt_u32_f32_e32 v2, v2
	v_readfirstlane_b32 s10, v3
	v_readfirstlane_b32 s11, v2
	s_mul_i32 s12, s6, s10
	s_mul_hi_u32 s30, s6, s11
	s_mul_i32 s13, s7, s11
	s_add_i32 s12, s30, s12
	s_mul_i32 s31, s6, s11
	s_add_i32 s12, s12, s13
	s_mul_hi_u32 s30, s11, s31
	s_mul_hi_u32 s13, s11, s12
	s_mul_i32 s11, s11, s12
	s_add_u32 s11, s30, s11
	s_addc_u32 s13, 0, s13
	s_mul_hi_u32 s50, s10, s31
	s_mul_i32 s31, s10, s31
	s_add_u32 s11, s11, s31
	s_mul_hi_u32 s30, s10, s12
	s_addc_u32 s11, s13, s50
	s_addc_u32 s13, s30, 0
	s_mul_i32 s12, s10, s12
	s_add_u32 s11, s11, s12
	s_addc_u32 s12, 0, s13
	v_add_co_u32_e32 v2, vcc, s11, v2
	s_cmp_lg_u64 vcc, 0
	s_addc_u32 s10, s10, s12
	v_readfirstlane_b32 s12, v2
	s_mul_i32 s11, s6, s10
	s_mul_hi_u32 s13, s6, s12
	s_add_i32 s11, s13, s11
	s_mul_i32 s7, s7, s12
	s_add_i32 s11, s11, s7
	s_mul_i32 s6, s6, s12
	s_mul_hi_u32 s13, s10, s6
	s_mul_i32 s30, s10, s6
	s_mul_i32 s50, s12, s11
	s_mul_hi_u32 s6, s12, s6
	s_mul_hi_u32 s31, s12, s11
	s_add_u32 s6, s6, s50
	s_addc_u32 s12, 0, s31
	s_add_u32 s6, s6, s30
	s_mul_hi_u32 s7, s10, s11
	s_addc_u32 s6, s12, s13
	s_addc_u32 s7, s7, 0
	s_mul_i32 s11, s10, s11
	s_add_u32 s6, s6, s11
	s_addc_u32 s7, 0, s7
	v_add_co_u32_e32 v2, vcc, s6, v2
	s_cmp_lg_u64 vcc, 0
	s_addc_u32 s6, s10, s7
	v_readlane_b32 s30, v49, 53
	v_readfirstlane_b32 s11, v2
	s_mul_i32 s10, s30, s6
	s_mul_hi_u32 s12, s30, s11
	s_mul_hi_u32 s7, s30, s6
	s_add_u32 s10, s12, s10
	s_addc_u32 s7, 0, s7
	s_mul_hi_u32 s13, s73, s11
	s_mul_i32 s11, s73, s11
	s_add_u32 s10, s10, s11
	s_mul_hi_u32 s12, s73, s6
	s_addc_u32 s7, s7, s13
	s_addc_u32 s10, s12, 0
	s_mul_i32 s6, s73, s6
	s_add_u32 s6, s7, s6
	s_addc_u32 s7, 0, s10
	s_mul_hi_u32 s10, s89, s6
	s_mul_i32 s6, s89, s6
	s_mul_i32 s7, s89, s7
	v_mov_b32_e32 v2, s6
	s_add_i32 s10, s10, s7
	v_sub_co_u32_e32 v2, vcc, s30, v2
	s_cmp_lg_u64 vcc, 0
	s_subb_u32 s6, s73, s10
	v_subrev_co_u32_e32 v3, vcc, s89, v2
	s_cmp_lg_u64 vcc, 0
	s_subb_u32 s7, s6, 0
	v_subrev_co_u32_e32 v6, vcc, s89, v3
	s_cmp_lg_u64 vcc, 0
	s_subb_u32 s10, s7, 0
	v_cmp_le_u32_e32 vcc, s89, v3
	s_cmp_eq_u32 s7, 0
	v_cndmask_b32_e64 v7, 0, -1, vcc
	s_cselect_b64 vcc, -1, 0
	v_cndmask_b32_e32 v7, -1, v7, vcc
	v_mov_b32_e32 v14, s7
	v_mov_b32_e32 v20, s10
	v_cmp_ne_u32_e32 vcc, 0, v7
	v_cndmask_b32_e32 v7, v14, v20, vcc
	v_cndmask_b32_e32 v6, v3, v6, vcc
	v_cmp_le_u32_e32 vcc, s89, v2
	s_cmp_eq_u32 s6, 0
	v_cndmask_b32_e64 v3, 0, -1, vcc
	s_cselect_b64 vcc, -1, 0
	v_cndmask_b32_e32 v3, -1, v3, vcc
	v_mov_b32_e32 v14, s6
	v_cmp_ne_u32_e32 vcc, 0, v3
	v_cndmask_b32_e32 v3, v14, v7, vcc
	v_cndmask_b32_e32 v2, v2, v6, vcc
	s_cbranch_execnz .LBB222_205
.LBB222_204:                            ;   in Loop: Header=BB222_18 Depth=1
	v_cvt_f32_u32_e32 v2, s89
	s_sub_i32 s6, 0, s89
	v_rcp_iflag_f32_e32 v2, v2
	v_mul_f32_e32 v2, 0x4f7ffffe, v2
	v_cvt_u32_f32_e32 v2, v2
	v_mul_lo_u32 v3, s6, v2
	v_mul_hi_u32 v3, v2, v3
	v_add_u32_e32 v2, v2, v3
	v_readlane_b32 s6, v49, 53
	v_mul_hi_u32 v2, s6, v2
	v_mul_lo_u32 v2, v2, s89
	v_sub_u32_e32 v2, s6, v2
	v_subrev_u32_e32 v3, s89, v2
	v_cmp_le_u32_e32 vcc, s89, v2
	v_cndmask_b32_e32 v2, v2, v3, vcc
	v_subrev_u32_e32 v3, s89, v2
	v_cmp_le_u32_e32 vcc, s89, v2
	v_cndmask_b32_e32 v14, v2, v3, vcc
	v_pk_mov_b32 v[2:3], v[14:15], v[14:15] op_sel:[0,1]
.LBB222_205:                            ;   in Loop: Header=BB222_18 Depth=1
	v_readlane_b32 s6, v49, 53
	v_mov_b32_e32 v6, s73
	v_sub_co_u32_e32 v2, vcc, s6, v2
	v_subb_co_u32_e32 v3, vcc, v6, v3, vcc
	v_cmp_gt_u64_e32 vcc, v[2:3], v[0:1]
	s_mov_b64 s[6:7], 0
                                        ; implicit-def: $vgpr6
	s_and_saveexec_b64 s[10:11], vcc
	s_cbranch_execz .LBB222_214
; %bb.206:                              ;   in Loop: Header=BB222_18 Depth=1
	s_mov_b64 s[12:13], 0
	v_pk_mov_b32 v[6:7], v[0:1], v[0:1] op_sel:[0,1]
                                        ; implicit-def: $sgpr30_sgpr31
	s_branch .LBB222_208
.LBB222_207:                            ;   in Loop: Header=BB222_208 Depth=2
	s_or_b64 exec, exec, s[6:7]
	s_waitcnt lgkmcnt(0)
	s_barrier
	s_waitcnt vmcnt(0)
	ds_read_b32 v14, v15 offset:3072
	v_add_co_u32_e64 v6, s[6:7], s89, v6
	s_waitcnt lgkmcnt(0)
	s_barrier
	v_and_b32_e32 v20, 0x7fff, v14
	v_cmp_ne_u16_e32 vcc, 0, v20
	v_mov_b32_e32 v20, s74
	v_addc_co_u32_e64 v7, s[6:7], v7, v20, s[6:7]
	v_cmp_ge_u64_e64 s[6:7], v[6:7], v[2:3]
	s_or_b64 s[6:7], s[6:7], vcc
	s_and_b64 s[6:7], exec, s[6:7]
	s_or_b64 s[12:13], s[6:7], s[12:13]
	s_andn2_b64 s[6:7], s[30:31], exec
	s_and_b64 s[30:31], vcc, exec
	s_or_b64 s[30:31], s[6:7], s[30:31]
	s_andn2_b64 exec, exec, s[12:13]
	s_cbranch_execz .LBB222_213
.LBB222_208:                            ;   Parent Loop BB222_18 Depth=1
                                        ; =>  This Inner Loop Header: Depth=2
	v_cmp_gt_u64_e32 vcc, s[60:61], v[6:7]
	v_mov_b32_e32 v14, 0
	s_and_saveexec_b64 s[50:51], vcc
	s_cbranch_execz .LBB222_210
; %bb.209:                              ;   in Loop: Header=BB222_208 Depth=2
	v_mul_lo_u32 v14, v7, s58
	v_mul_lo_u32 v22, v6, s59
	v_mad_u64_u32 v[20:21], s[6:7], v6, s58, 0
	v_add3_u32 v21, v21, v22, v14
	v_lshlrev_b64 v[20:21], 1, v[20:21]
	v_mov_b32_e32 v14, s88
	v_add_co_u32_e64 v20, s[6:7], s33, v20
	v_addc_co_u32_e64 v21, s[6:7], v14, v21, s[6:7]
	global_load_ushort v14, v[20:21], off
.LBB222_210:                            ;   in Loop: Header=BB222_208 Depth=2
	s_or_b64 exec, exec, s[50:51]
	s_and_saveexec_b64 s[6:7], vcc
	s_cbranch_execz .LBB222_207
; %bb.211:                              ;   in Loop: Header=BB222_208 Depth=2
	s_waitcnt vmcnt(0)
	v_cmp_lt_i16_e32 vcc, -1, v14
	v_cndmask_b32_e32 v20, v32, v33, vcc
	v_lshlrev_b32_e32 v21, 16, v14
	v_xor_b32_sdwa v20, v20, v14 dst_sel:DWORD dst_unused:UNUSED_PAD src0_sel:DWORD src1_sel:WORD_0
	v_cmp_o_f32_e32 vcc, v21, v21
	v_cndmask_b32_e32 v20, v32, v20, vcc
	v_and_b32_e32 v20, v20, v9
	v_cmp_eq_u32_e32 vcc, v20, v8
	s_and_b64 exec, exec, vcc
	s_cbranch_execz .LBB222_207
; %bb.212:                              ;   in Loop: Header=BB222_208 Depth=2
	s_movk_i32 s50, 0x3f80
	v_perm_b32 v14, v14, s50, v36
	ds_write_b32 v15, v14 offset:3072
	s_branch .LBB222_207
.LBB222_213:                            ;   in Loop: Header=BB222_18 Depth=1
	s_or_b64 exec, exec, s[12:13]
	v_lshrrev_b32_e32 v6, 16, v14
	s_and_b64 s[6:7], s[30:31], exec
.LBB222_214:                            ;   in Loop: Header=BB222_18 Depth=1
	s_or_b64 exec, exec, s[10:11]
	s_mov_b64 s[50:51], -1
	s_mov_b64 s[30:31], 0
	s_mov_b64 s[12:13], 0
.LBB222_215:                            ;   in Loop: Header=BB222_18 Depth=1
	s_orn2_b64 s[10:11], s[6:7], exec
	s_mov_b64 vcc, s[12:13]
.LBB222_216:                            ;   in Loop: Header=BB222_18 Depth=1
	s_or_b64 exec, exec, s[54:55]
	s_mov_b64 s[6:7], 0
                                        ; implicit-def: $vgpr7
	s_and_saveexec_b64 s[54:55], s[10:11]
	s_cbranch_execz .LBB222_281
; %bb.217:                              ;   in Loop: Header=BB222_18 Depth=1
	v_mov_b32_e32 v2, 1
	s_xor_b64 s[8:9], s[8:9], -1
	s_mov_b64 s[92:93], 0
	v_mov_b32_e32 v3, 0
	v_mov_b32_e32 v7, 1
	s_and_saveexec_b64 s[6:7], s[8:9]
	s_cbranch_execz .LBB222_227
; %bb.218:                              ;   in Loop: Header=BB222_18 Depth=1
	s_mov_b64 s[94:95], vcc
	v_cmp_ge_u64_e32 vcc, s[22:23], v[4:5]
                                        ; implicit-def: $sgpr12
                                        ; implicit-def: $sgpr8_sgpr9
	s_and_saveexec_b64 s[10:11], vcc
	s_xor_b64 s[10:11], exec, s[10:11]
	s_cbranch_execz .LBB222_224
; %bb.219:                              ;   in Loop: Header=BB222_18 Depth=1
	ds_read_b64 v[2:3], v15 offset:5120
	s_waitcnt lgkmcnt(0)
	v_cmp_ne_u64_e32 vcc, 0, v[2:3]
	s_cbranch_vccnz .LBB222_223
; %bb.220:                              ;   in Loop: Header=BB222_18 Depth=1
	s_mov_b64 s[8:9], exec
	v_readlane_b32 s12, v49, 32
	v_readlane_b32 s13, v49, 33
	s_and_b64 s[12:13], s[8:9], s[12:13]
	s_mov_b64 exec, s[12:13]
	s_cbranch_execz .LBB222_222
; %bb.221:                              ;   in Loop: Header=BB222_18 Depth=1
	v_pk_mov_b32 v[2:3], s[22:23], s[22:23] op_sel:[0,1]
	ds_write_b64 v15, v[2:3] offset:5128
.LBB222_222:                            ;   in Loop: Header=BB222_18 Depth=1
	s_or_b64 exec, exec, s[8:9]
	s_waitcnt lgkmcnt(0)
	s_barrier
.LBB222_223:                            ;   in Loop: Header=BB222_18 Depth=1
	v_and_b32_e32 v2, s48, v8
	v_lshl_or_b32 v8, 2, s49, v2
	v_or_b32_e32 v9, s90, v9
	s_mov_b64 s[8:9], 0
	s_mov_b32 s12, 8
.LBB222_224:                            ;   in Loop: Header=BB222_18 Depth=1
	s_or_saveexec_b64 s[10:11], s[10:11]
	v_mov_b32_e32 v7, s12
	s_xor_b64 exec, exec, s[10:11]
; %bb.225:                              ;   in Loop: Header=BB222_18 Depth=1
	v_mov_b32_e32 v2, s23
	v_subrev_co_u32_e32 v4, vcc, s22, v4
	v_subb_co_u32_e32 v5, vcc, v5, v2, vcc
	v_mov_b32_e32 v7, 0
	s_or_b64 s[8:9], s[8:9], exec
; %bb.226:                              ;   in Loop: Header=BB222_18 Depth=1
	s_or_b64 exec, exec, s[10:11]
	s_and_b64 s[92:93], s[8:9], exec
	v_pk_mov_b32 v[2:3], v[4:5], v[4:5] op_sel:[0,1]
	s_mov_b64 vcc, s[94:95]
.LBB222_227:                            ;   in Loop: Header=BB222_18 Depth=1
	s_or_b64 exec, exec, s[6:7]
	s_mov_b64 s[56:57], -1
                                        ; implicit-def: $sgpr6_sgpr7
                                        ; implicit-def: $sgpr12_sgpr13
                                        ; implicit-def: $sgpr10_sgpr11
	s_and_saveexec_b64 s[8:9], s[92:93]
	s_cbranch_execz .LBB222_280
; %bb.228:                              ;   in Loop: Header=BB222_18 Depth=1
                                        ; implicit-def: $vgpr48 : SGPR spill to VGPR lane
	v_writelane_b32 v49, vcc_lo, 63
	s_cmp_eq_u64 s[24:25], 1
	v_writelane_b32 v48, vcc_hi, 0
	s_cselect_b64 s[6:7], -1, 0
	v_cmp_eq_u64_e32 vcc, 1, v[2:3]
	s_mov_b64 s[92:93], -1
	s_and_b64 s[56:57], s[6:7], vcc
                                        ; implicit-def: $sgpr6_sgpr7
                                        ; implicit-def: $sgpr12_sgpr13
                                        ; implicit-def: $sgpr10_sgpr11
	s_mov_b64 s[94:95], exec
	v_writelane_b32 v48, s56, 1
	v_writelane_b32 v48, s57, 2
	s_and_b64 s[56:57], s[94:95], s[56:57]
	s_mov_b64 exec, s[56:57]
	s_cbranch_execz .LBB222_267
; %bb.229:                              ;   in Loop: Header=BB222_18 Depth=1
	ds_read_b64 v[4:5], v15 offset:5120
	s_waitcnt lgkmcnt(0)
	s_barrier
	v_readfirstlane_b32 s10, v4
	v_readfirstlane_b32 s11, v5
	s_mov_b64 s[6:7], exec
	v_readlane_b32 s12, v49, 48
	v_readlane_b32 s13, v49, 49
	s_and_b64 s[12:13], s[6:7], s[12:13]
	s_mov_b64 exec, s[12:13]
	s_cbranch_execz .LBB222_231
; %bb.230:                              ;   in Loop: Header=BB222_18 Depth=1
	ds_write_b16 v29, v15
.LBB222_231:                            ;   in Loop: Header=BB222_18 Depth=1
	s_or_b64 exec, exec, s[6:7]
	v_or_b32_e32 v8, s90, v8
	v_or_b32_e32 v9, s90, v9
	s_cmp_eq_u64 s[10:11], 0
	v_writelane_b32 v48, s94, 3
	s_waitcnt lgkmcnt(0)
	s_barrier
	v_writelane_b32 v48, s95, 4
	s_cbranch_scc1 .LBB222_236
; %bb.232:                              ;   in Loop: Header=BB222_18 Depth=1
	v_readlane_b32 s6, v49, 52
	s_add_u32 s56, s6, s10
	v_readlane_b32 s6, v49, 54
	s_addc_u32 s7, s6, s11
	s_mov_b32 s6, s91
	s_cmp_lg_u64 s[6:7], 0
	s_cbranch_scc0 .LBB222_237
; %bb.233:                              ;   in Loop: Header=BB222_18 Depth=1
	v_cvt_f32_u32_e32 v4, s89
	s_sub_u32 s6, 0, s89
	s_subb_u32 s12, 0, 0
	v_mac_f32_e32 v4, 0, v34
	v_rcp_f32_e32 v4, v4
	v_mul_f32_e32 v4, 0x5f7ffffc, v4
	v_mul_f32_e32 v5, 0x2f800000, v4
	v_trunc_f32_e32 v5, v5
	v_mac_f32_e32 v4, 0xcf800000, v5
	v_cvt_u32_f32_e32 v5, v5
	v_cvt_u32_f32_e32 v4, v4
	v_readfirstlane_b32 s13, v5
	v_readfirstlane_b32 s57, v4
	s_mul_i32 s72, s6, s13
	s_mul_hi_u32 s93, s6, s57
	s_mul_i32 s92, s12, s57
	s_add_i32 s72, s93, s72
	s_mul_i32 s94, s6, s57
	s_add_i32 s72, s72, s92
	s_mul_hi_u32 s93, s57, s94
	s_mul_hi_u32 s92, s57, s72
	s_mul_i32 s57, s57, s72
	s_add_u32 s57, s93, s57
	s_addc_u32 s92, 0, s92
	s_mul_hi_u32 s95, s13, s94
	s_mul_i32 s94, s13, s94
	s_add_u32 s57, s57, s94
	s_mul_hi_u32 s93, s13, s72
	s_addc_u32 s57, s92, s95
	s_addc_u32 s92, s93, 0
	s_mul_i32 s72, s13, s72
	s_add_u32 s57, s57, s72
	s_addc_u32 s72, 0, s92
	v_add_co_u32_e32 v4, vcc, s57, v4
	s_cmp_lg_u64 vcc, 0
	s_addc_u32 s13, s13, s72
	v_readfirstlane_b32 s72, v4
	s_mul_i32 s57, s6, s13
	s_mul_hi_u32 s92, s6, s72
	s_add_i32 s57, s92, s57
	s_mul_i32 s12, s12, s72
	s_add_i32 s57, s57, s12
	s_mul_i32 s6, s6, s72
	s_mul_hi_u32 s92, s13, s6
	s_mul_i32 s93, s13, s6
	s_mul_i32 s95, s72, s57
	s_mul_hi_u32 s6, s72, s6
	s_mul_hi_u32 s94, s72, s57
	s_add_u32 s6, s6, s95
	s_addc_u32 s72, 0, s94
	s_add_u32 s6, s6, s93
	s_mul_hi_u32 s12, s13, s57
	s_addc_u32 s6, s72, s92
	s_addc_u32 s12, s12, 0
	s_mul_i32 s57, s13, s57
	s_add_u32 s6, s6, s57
	s_addc_u32 s12, 0, s12
	v_add_co_u32_e32 v4, vcc, s6, v4
	s_cmp_lg_u64 vcc, 0
	s_addc_u32 s6, s13, s12
	v_readfirstlane_b32 s57, v4
	s_mul_i32 s13, s56, s6
	s_mul_hi_u32 s72, s56, s57
	s_mul_hi_u32 s12, s56, s6
	s_add_u32 s13, s72, s13
	s_addc_u32 s12, 0, s12
	s_mul_hi_u32 s92, s7, s57
	s_mul_i32 s57, s7, s57
	s_add_u32 s13, s13, s57
	s_mul_hi_u32 s72, s7, s6
	s_addc_u32 s12, s12, s92
	s_addc_u32 s13, s72, 0
	s_mul_i32 s6, s7, s6
	s_add_u32 s6, s12, s6
	s_addc_u32 s12, 0, s13
	s_mul_hi_u32 s13, s89, s6
	s_mul_i32 s6, s89, s6
	s_mul_i32 s12, s89, s12
	v_mov_b32_e32 v4, s6
	s_add_i32 s13, s13, s12
	v_sub_co_u32_e32 v4, vcc, s56, v4
	s_cmp_lg_u64 vcc, 0
	s_subb_u32 s6, s7, s13
	v_subrev_co_u32_e32 v5, vcc, s89, v4
	s_cmp_lg_u64 vcc, 0
	s_subb_u32 s12, s6, 0
	v_subrev_co_u32_e32 v6, vcc, s89, v5
	s_cmp_lg_u64 vcc, 0
	s_subb_u32 s13, s12, 0
	v_cmp_le_u32_e32 vcc, s89, v5
	s_cmp_eq_u32 s12, 0
	v_cndmask_b32_e64 v7, 0, -1, vcc
	s_cselect_b64 vcc, -1, 0
	v_cndmask_b32_e32 v7, -1, v7, vcc
	v_mov_b32_e32 v14, s12
	v_mov_b32_e32 v20, s13
	v_cmp_ne_u32_e32 vcc, 0, v7
	v_cndmask_b32_e32 v7, v14, v20, vcc
	v_cndmask_b32_e32 v6, v5, v6, vcc
	v_cmp_le_u32_e32 vcc, s89, v4
	s_cmp_eq_u32 s6, 0
	v_cndmask_b32_e64 v5, 0, -1, vcc
	s_cselect_b64 vcc, -1, 0
	v_cndmask_b32_e32 v5, -1, v5, vcc
	v_mov_b32_e32 v14, s6
	v_cmp_ne_u32_e32 vcc, 0, v5
	v_cndmask_b32_e32 v5, v14, v7, vcc
	v_cndmask_b32_e32 v4, v4, v6, vcc
	s_mov_b64 s[12:13], 0
	s_branch .LBB222_238
.LBB222_234:                            ;   in Loop: Header=BB222_18 Depth=1
                                        ; implicit-def: $vgpr2_vgpr3
	s_branch .LBB222_188
.LBB222_235:                            ;   in Loop: Header=BB222_18 Depth=1
                                        ; implicit-def: $vgpr2_vgpr3
	s_branch .LBB222_204
.LBB222_236:                            ;   in Loop: Header=BB222_18 Depth=1
	s_mov_b64 s[6:7], -1
	s_mov_b64 s[56:57], 0
                                        ; implicit-def: $sgpr10_sgpr11
                                        ; implicit-def: $vgpr6
	s_branch .LBB222_250
.LBB222_237:                            ;   in Loop: Header=BB222_18 Depth=1
	s_mov_b64 s[12:13], -1
                                        ; implicit-def: $vgpr4_vgpr5
.LBB222_238:                            ;   in Loop: Header=BB222_18 Depth=1
	s_andn2_b64 vcc, exec, s[12:13]
	s_cbranch_vccnz .LBB222_240
; %bb.239:                              ;   in Loop: Header=BB222_18 Depth=1
	v_cvt_f32_u32_e32 v4, s89
	s_sub_i32 s6, 0, s89
	v_rcp_iflag_f32_e32 v4, v4
	v_mul_f32_e32 v4, 0x4f7ffffe, v4
	v_cvt_u32_f32_e32 v4, v4
	v_mul_lo_u32 v5, s6, v4
	v_mul_hi_u32 v5, v4, v5
	v_add_u32_e32 v4, v4, v5
	v_mul_hi_u32 v4, s56, v4
	v_mul_lo_u32 v4, v4, s89
	v_sub_u32_e32 v4, s56, v4
	v_subrev_u32_e32 v5, s89, v4
	v_cmp_le_u32_e32 vcc, s89, v4
	v_cndmask_b32_e32 v4, v4, v5, vcc
	v_subrev_u32_e32 v5, s89, v4
	v_cmp_le_u32_e32 vcc, s89, v4
	v_cndmask_b32_e32 v14, v4, v5, vcc
	v_pk_mov_b32 v[4:5], v[14:15], v[14:15] op_sel:[0,1]
.LBB222_240:                            ;   in Loop: Header=BB222_18 Depth=1
	v_mov_b32_e32 v6, s7
	v_sub_co_u32_e32 v4, vcc, s56, v4
	v_subb_co_u32_e32 v5, vcc, v6, v5, vcc
	v_cmp_gt_u64_e32 vcc, v[4:5], v[0:1]
	s_mov_b64 s[56:57], 0
                                        ; implicit-def: $vgpr6
	s_and_saveexec_b64 s[12:13], vcc
	s_cbranch_execz .LBB222_249
; %bb.241:                              ;   in Loop: Header=BB222_18 Depth=1
	v_mov_b32_e32 v14, v28
	v_pk_mov_b32 v[6:7], v[0:1], v[0:1] op_sel:[0,1]
                                        ; implicit-def: $sgpr92_sgpr93
	s_branch .LBB222_243
.LBB222_242:                            ;   in Loop: Header=BB222_243 Depth=2
	s_or_b64 exec, exec, s[6:7]
	s_waitcnt lgkmcnt(0)
	s_barrier
	ds_read_b32 v20, v15 offset:3072
	v_add_co_u32_e64 v6, s[6:7], s89, v6
	v_add_u32_e32 v14, s5, v14
	s_waitcnt lgkmcnt(0)
	v_and_b32_e32 v21, 0x7fff, v20
	v_cmp_ne_u16_e32 vcc, 0, v21
	v_mov_b32_e32 v21, s74
	v_addc_co_u32_e64 v7, s[6:7], v7, v21, s[6:7]
	v_cmp_ge_u64_e64 s[6:7], v[6:7], v[4:5]
	s_or_b64 s[6:7], s[6:7], vcc
	s_and_b64 s[6:7], exec, s[6:7]
	s_or_b64 s[56:57], s[6:7], s[56:57]
	s_andn2_b64 s[6:7], s[92:93], exec
	s_and_b64 s[92:93], vcc, exec
	s_or_b64 s[92:93], s[6:7], s[92:93]
	s_barrier
	s_andn2_b64 exec, exec, s[56:57]
	s_cbranch_execz .LBB222_248
.LBB222_243:                            ;   Parent Loop BB222_18 Depth=1
                                        ; =>  This Inner Loop Header: Depth=2
	v_cmp_gt_u64_e32 vcc, s[10:11], v[6:7]
	v_mov_b32_e32 v20, 0
	s_and_saveexec_b64 s[6:7], vcc
	s_cbranch_execz .LBB222_245
; %bb.244:                              ;   in Loop: Header=BB222_243 Depth=2
	ds_read_u16 v20, v14
.LBB222_245:                            ;   in Loop: Header=BB222_243 Depth=2
	s_or_b64 exec, exec, s[6:7]
	s_and_saveexec_b64 s[6:7], vcc
	s_cbranch_execz .LBB222_242
; %bb.246:                              ;   in Loop: Header=BB222_243 Depth=2
	s_waitcnt lgkmcnt(0)
	v_cmp_lt_i16_e32 vcc, -1, v20
	v_cndmask_b32_e32 v21, v32, v33, vcc
	v_lshlrev_b32_e32 v22, 16, v20
	v_xor_b32_sdwa v21, v21, v20 dst_sel:DWORD dst_unused:UNUSED_PAD src0_sel:DWORD src1_sel:WORD_0
	v_cmp_o_f32_e32 vcc, v22, v22
	v_cndmask_b32_e32 v21, v32, v21, vcc
	v_and_b32_e32 v21, v21, v9
	v_cmp_eq_u32_e32 vcc, v21, v8
	s_and_b64 exec, exec, vcc
	s_cbranch_execz .LBB222_242
; %bb.247:                              ;   in Loop: Header=BB222_243 Depth=2
	s_movk_i32 s72, 0x3f80
	v_perm_b32 v20, v20, s72, v36
	ds_write_b32 v15, v20 offset:3072
	s_branch .LBB222_242
.LBB222_248:                            ;   in Loop: Header=BB222_18 Depth=1
	s_or_b64 exec, exec, s[56:57]
	v_lshrrev_b32_e32 v6, 16, v20
	s_and_b64 s[56:57], s[92:93], exec
.LBB222_249:                            ;   in Loop: Header=BB222_18 Depth=1
	s_or_b64 exec, exec, s[12:13]
	s_mov_b64 s[10:11], -1
	s_mov_b64 s[6:7], 0
.LBB222_250:                            ;   in Loop: Header=BB222_18 Depth=1
	s_and_b64 vcc, exec, s[6:7]
	s_mov_b64 s[12:13], s[6:7]
	s_cbranch_vccz .LBB222_266
; %bb.251:                              ;   in Loop: Header=BB222_18 Depth=1
	s_mov_b32 s72, s91
	s_cmp_lg_u64 s[72:73], 0
	s_cbranch_scc0 .LBB222_253
; %bb.252:                              ;   in Loop: Header=BB222_18 Depth=1
	v_cvt_f32_u32_e32 v4, s89
	s_sub_u32 s6, 0, s89
	s_subb_u32 s7, 0, 0
	v_mac_f32_e32 v4, 0, v34
	v_rcp_f32_e32 v4, v4
	v_mul_f32_e32 v4, 0x5f7ffffc, v4
	v_mul_f32_e32 v5, 0x2f800000, v4
	v_trunc_f32_e32 v5, v5
	v_mac_f32_e32 v4, 0xcf800000, v5
	v_cvt_u32_f32_e32 v5, v5
	v_cvt_u32_f32_e32 v4, v4
	v_readfirstlane_b32 s10, v5
	v_readfirstlane_b32 s11, v4
	s_mul_i32 s12, s6, s10
	s_mul_hi_u32 s56, s6, s11
	s_mul_i32 s13, s7, s11
	s_add_i32 s12, s56, s12
	s_mul_i32 s57, s6, s11
	s_add_i32 s12, s12, s13
	s_mul_hi_u32 s56, s11, s57
	s_mul_hi_u32 s13, s11, s12
	s_mul_i32 s11, s11, s12
	s_add_u32 s11, s56, s11
	s_addc_u32 s13, 0, s13
	s_mul_hi_u32 s72, s10, s57
	s_mul_i32 s57, s10, s57
	s_add_u32 s11, s11, s57
	s_mul_hi_u32 s56, s10, s12
	s_addc_u32 s11, s13, s72
	s_addc_u32 s13, s56, 0
	s_mul_i32 s12, s10, s12
	s_add_u32 s11, s11, s12
	s_addc_u32 s12, 0, s13
	v_add_co_u32_e32 v4, vcc, s11, v4
	s_cmp_lg_u64 vcc, 0
	s_addc_u32 s10, s10, s12
	v_readfirstlane_b32 s12, v4
	s_mul_i32 s11, s6, s10
	s_mul_hi_u32 s13, s6, s12
	s_add_i32 s11, s13, s11
	s_mul_i32 s7, s7, s12
	s_add_i32 s11, s11, s7
	s_mul_i32 s6, s6, s12
	s_mul_hi_u32 s13, s10, s6
	s_mul_i32 s56, s10, s6
	s_mul_i32 s72, s12, s11
	s_mul_hi_u32 s6, s12, s6
	s_mul_hi_u32 s57, s12, s11
	s_add_u32 s6, s6, s72
	s_addc_u32 s12, 0, s57
	s_add_u32 s6, s6, s56
	s_mul_hi_u32 s7, s10, s11
	s_addc_u32 s6, s12, s13
	s_addc_u32 s7, s7, 0
	s_mul_i32 s11, s10, s11
	s_add_u32 s6, s6, s11
	s_addc_u32 s7, 0, s7
	v_add_co_u32_e32 v4, vcc, s6, v4
	s_cmp_lg_u64 vcc, 0
	s_addc_u32 s6, s10, s7
	v_readlane_b32 s56, v49, 53
	v_readfirstlane_b32 s11, v4
	s_mul_i32 s10, s56, s6
	s_mul_hi_u32 s12, s56, s11
	s_mul_hi_u32 s7, s56, s6
	s_add_u32 s10, s12, s10
	s_addc_u32 s7, 0, s7
	s_mul_hi_u32 s13, s73, s11
	s_mul_i32 s11, s73, s11
	s_add_u32 s10, s10, s11
	s_mul_hi_u32 s12, s73, s6
	s_addc_u32 s7, s7, s13
	s_addc_u32 s10, s12, 0
	s_mul_i32 s6, s73, s6
	s_add_u32 s6, s7, s6
	s_addc_u32 s7, 0, s10
	s_mul_hi_u32 s10, s89, s6
	s_mul_i32 s6, s89, s6
	s_mul_i32 s7, s89, s7
	v_mov_b32_e32 v4, s6
	s_add_i32 s10, s10, s7
	v_sub_co_u32_e32 v4, vcc, s56, v4
	s_cmp_lg_u64 vcc, 0
	s_subb_u32 s6, s73, s10
	v_subrev_co_u32_e32 v5, vcc, s89, v4
	s_cmp_lg_u64 vcc, 0
	s_subb_u32 s7, s6, 0
	v_subrev_co_u32_e32 v6, vcc, s89, v5
	s_cmp_lg_u64 vcc, 0
	s_subb_u32 s10, s7, 0
	v_cmp_le_u32_e32 vcc, s89, v5
	s_cmp_eq_u32 s7, 0
	v_cndmask_b32_e64 v7, 0, -1, vcc
	s_cselect_b64 vcc, -1, 0
	v_cndmask_b32_e32 v7, -1, v7, vcc
	v_mov_b32_e32 v14, s7
	v_mov_b32_e32 v20, s10
	v_cmp_ne_u32_e32 vcc, 0, v7
	v_cndmask_b32_e32 v7, v14, v20, vcc
	v_cndmask_b32_e32 v6, v5, v6, vcc
	v_cmp_le_u32_e32 vcc, s89, v4
	s_cmp_eq_u32 s6, 0
	v_cndmask_b32_e64 v5, 0, -1, vcc
	s_cselect_b64 vcc, -1, 0
	v_cndmask_b32_e32 v5, -1, v5, vcc
	v_mov_b32_e32 v14, s6
	v_cmp_ne_u32_e32 vcc, 0, v5
	v_cndmask_b32_e32 v5, v14, v7, vcc
	v_cndmask_b32_e32 v4, v4, v6, vcc
	s_mov_b64 s[6:7], 0
	s_branch .LBB222_254
.LBB222_253:                            ;   in Loop: Header=BB222_18 Depth=1
	s_mov_b64 s[6:7], -1
                                        ; implicit-def: $vgpr4_vgpr5
.LBB222_254:                            ;   in Loop: Header=BB222_18 Depth=1
	s_andn2_b64 vcc, exec, s[6:7]
	s_cbranch_vccnz .LBB222_256
; %bb.255:                              ;   in Loop: Header=BB222_18 Depth=1
	v_cvt_f32_u32_e32 v4, s89
	s_sub_i32 s6, 0, s89
	v_rcp_iflag_f32_e32 v4, v4
	v_mul_f32_e32 v4, 0x4f7ffffe, v4
	v_cvt_u32_f32_e32 v4, v4
	v_mul_lo_u32 v5, s6, v4
	v_mul_hi_u32 v5, v4, v5
	v_add_u32_e32 v4, v4, v5
	v_readlane_b32 s6, v49, 53
	v_mul_hi_u32 v4, s6, v4
	v_mul_lo_u32 v4, v4, s89
	v_sub_u32_e32 v4, s6, v4
	v_subrev_u32_e32 v5, s89, v4
	v_cmp_le_u32_e32 vcc, s89, v4
	v_cndmask_b32_e32 v4, v4, v5, vcc
	v_subrev_u32_e32 v5, s89, v4
	v_cmp_le_u32_e32 vcc, s89, v4
	v_cndmask_b32_e32 v14, v4, v5, vcc
	v_pk_mov_b32 v[4:5], v[14:15], v[14:15] op_sel:[0,1]
.LBB222_256:                            ;   in Loop: Header=BB222_18 Depth=1
	v_readlane_b32 s6, v49, 53
	v_mov_b32_e32 v6, s73
	v_sub_co_u32_e32 v4, vcc, s6, v4
	v_subb_co_u32_e32 v5, vcc, v6, v5, vcc
	v_cmp_gt_u64_e32 vcc, v[4:5], v[0:1]
	s_mov_b64 s[56:57], 0
                                        ; implicit-def: $vgpr6
	s_and_saveexec_b64 s[10:11], vcc
	s_cbranch_execz .LBB222_265
; %bb.257:                              ;   in Loop: Header=BB222_18 Depth=1
	s_mov_b64 s[12:13], 0
	v_pk_mov_b32 v[6:7], v[0:1], v[0:1] op_sel:[0,1]
                                        ; implicit-def: $sgpr56_sgpr57
	s_branch .LBB222_259
.LBB222_258:                            ;   in Loop: Header=BB222_259 Depth=2
	s_or_b64 exec, exec, s[6:7]
	s_waitcnt lgkmcnt(0)
	s_barrier
	s_waitcnt vmcnt(0)
	ds_read_b32 v14, v15 offset:3072
	v_add_co_u32_e64 v6, s[6:7], s89, v6
	s_waitcnt lgkmcnt(0)
	s_barrier
	v_and_b32_e32 v20, 0x7fff, v14
	v_cmp_ne_u16_e32 vcc, 0, v20
	v_mov_b32_e32 v20, s74
	v_addc_co_u32_e64 v7, s[6:7], v7, v20, s[6:7]
	v_cmp_ge_u64_e64 s[6:7], v[6:7], v[4:5]
	s_or_b64 s[6:7], s[6:7], vcc
	s_and_b64 s[6:7], exec, s[6:7]
	s_or_b64 s[12:13], s[6:7], s[12:13]
	s_andn2_b64 s[6:7], s[56:57], exec
	s_and_b64 s[56:57], vcc, exec
	s_or_b64 s[56:57], s[6:7], s[56:57]
	s_andn2_b64 exec, exec, s[12:13]
	s_cbranch_execz .LBB222_264
.LBB222_259:                            ;   Parent Loop BB222_18 Depth=1
                                        ; =>  This Inner Loop Header: Depth=2
	v_cmp_gt_u64_e32 vcc, s[60:61], v[6:7]
	v_mov_b32_e32 v14, 0
	s_and_saveexec_b64 s[92:93], vcc
	s_cbranch_execz .LBB222_261
; %bb.260:                              ;   in Loop: Header=BB222_259 Depth=2
	v_mul_lo_u32 v14, v7, s58
	v_mul_lo_u32 v22, v6, s59
	v_mad_u64_u32 v[20:21], s[6:7], v6, s58, 0
	v_add3_u32 v21, v21, v22, v14
	v_lshlrev_b64 v[20:21], 1, v[20:21]
	v_mov_b32_e32 v14, s88
	v_add_co_u32_e64 v20, s[6:7], s33, v20
	v_addc_co_u32_e64 v21, s[6:7], v14, v21, s[6:7]
	global_load_ushort v14, v[20:21], off
.LBB222_261:                            ;   in Loop: Header=BB222_259 Depth=2
	s_or_b64 exec, exec, s[92:93]
	s_and_saveexec_b64 s[6:7], vcc
	s_cbranch_execz .LBB222_258
; %bb.262:                              ;   in Loop: Header=BB222_259 Depth=2
	s_waitcnt vmcnt(0)
	v_cmp_lt_i16_e32 vcc, -1, v14
	v_cndmask_b32_e32 v20, v32, v33, vcc
	v_lshlrev_b32_e32 v21, 16, v14
	v_xor_b32_sdwa v20, v20, v14 dst_sel:DWORD dst_unused:UNUSED_PAD src0_sel:DWORD src1_sel:WORD_0
	v_cmp_o_f32_e32 vcc, v21, v21
	v_cndmask_b32_e32 v20, v32, v20, vcc
	v_and_b32_e32 v20, v20, v9
	v_cmp_eq_u32_e32 vcc, v20, v8
	s_and_b64 exec, exec, vcc
	s_cbranch_execz .LBB222_258
; %bb.263:                              ;   in Loop: Header=BB222_259 Depth=2
	s_movk_i32 s72, 0x3f80
	v_perm_b32 v14, v14, s72, v36
	ds_write_b32 v15, v14 offset:3072
	s_branch .LBB222_258
.LBB222_264:                            ;   in Loop: Header=BB222_18 Depth=1
	s_or_b64 exec, exec, s[12:13]
	v_lshrrev_b32_e32 v6, 16, v14
	s_and_b64 s[56:57], s[56:57], exec
.LBB222_265:                            ;   in Loop: Header=BB222_18 Depth=1
	s_or_b64 exec, exec, s[10:11]
	s_mov_b64 s[12:13], -1
	s_mov_b64 s[6:7], 0
	s_mov_b64 s[10:11], 0
.LBB222_266:                            ;   in Loop: Header=BB222_18 Depth=1
	v_readlane_b32 s94, v48, 3
	s_orn2_b64 s[92:93], s[56:57], exec
	v_readlane_b32 s95, v48, 4
.LBB222_267:                            ;   in Loop: Header=BB222_18 Depth=1
	s_or_b64 exec, exec, s[94:95]
	s_mov_b64 s[94:95], 0
                                        ; implicit-def: $vgpr7
                                        ; implicit-def: $vgpr4_vgpr5
	s_and_saveexec_b64 s[56:57], s[92:93]
	v_readlane_b32 vcc_lo, v49, 63
	v_readlane_b32 vcc_hi, v48, 0
	s_cbranch_execz .LBB222_279
; %bb.268:                              ;   in Loop: Header=BB222_18 Depth=1
	v_readlane_b32 s92, v48, 1
	v_readlane_b32 s93, v48, 2
	v_mov_b32_e32 v4, 1
	s_xor_b64 s[94:95], s[92:93], -1
	v_mov_b32_e32 v7, 1
	v_mov_b32_e32 v5, 0
	s_and_saveexec_b64 s[92:93], s[94:95]
	s_cbranch_execz .LBB222_278
; %bb.269:                              ;   in Loop: Header=BB222_18 Depth=1
	v_cmp_ge_u64_e32 vcc, s[24:25], v[2:3]
                                        ; implicit-def: $sgpr72
	s_and_saveexec_b64 s[94:95], vcc
	s_xor_b64 s[94:95], exec, s[94:95]
	s_cbranch_execz .LBB222_275
; %bb.270:                              ;   in Loop: Header=BB222_18 Depth=1
	ds_read_b64 v[4:5], v15 offset:5120
	s_waitcnt lgkmcnt(0)
	v_cmp_ne_u64_e32 vcc, 0, v[4:5]
	s_cbranch_vccnz .LBB222_274
; %bb.271:                              ;   in Loop: Header=BB222_18 Depth=1
	v_writelane_b32 v48, s8, 5
	v_writelane_b32 v48, s9, 6
	s_mov_b64 s[8:9], exec
	v_writelane_b32 v48, s8, 7
	v_writelane_b32 v48, s9, 8
	v_readlane_b32 vcc_lo, v49, 32
	v_readlane_b32 s8, v48, 7
	v_readlane_b32 vcc_hi, v49, 33
	v_readlane_b32 s9, v48, 8
	s_and_b64 vcc, s[8:9], vcc
	s_mov_b64 exec, vcc
	s_cbranch_execz .LBB222_273
; %bb.272:                              ;   in Loop: Header=BB222_18 Depth=1
	v_pk_mov_b32 v[4:5], s[24:25], s[24:25] op_sel:[0,1]
	ds_write_b64 v15, v[4:5] offset:5128
.LBB222_273:                            ;   in Loop: Header=BB222_18 Depth=1
	v_readlane_b32 vcc_lo, v48, 7
	v_readlane_b32 vcc_hi, v48, 8
	s_or_b64 exec, exec, vcc
	v_readlane_b32 s8, v48, 5
	v_readlane_b32 s9, v48, 6
	s_waitcnt lgkmcnt(0)
	s_barrier
.LBB222_274:                            ;   in Loop: Header=BB222_18 Depth=1
	v_or_b32_e32 v8, s90, v8
	v_or_b32_e32 v9, s90, v9
	s_mov_b32 s72, 8
.LBB222_275:                            ;   in Loop: Header=BB222_18 Depth=1
	s_or_saveexec_b64 s[94:95], s[94:95]
	v_mov_b32_e32 v7, s72
	s_xor_b64 exec, exec, s[94:95]
; %bb.276:                              ;   in Loop: Header=BB222_18 Depth=1
	v_mov_b32_e32 v4, s25
	v_subrev_co_u32_e32 v2, vcc, s24, v2
	v_subb_co_u32_e32 v3, vcc, v3, v4, vcc
	v_mov_b32_e32 v7, 8
; %bb.277:                              ;   in Loop: Header=BB222_18 Depth=1
	s_or_b64 exec, exec, s[94:95]
	v_readlane_b32 vcc_lo, v49, 63
	v_pk_mov_b32 v[4:5], v[2:3], v[2:3] op_sel:[0,1]
	v_readlane_b32 vcc_hi, v48, 0
.LBB222_278:                            ;   in Loop: Header=BB222_18 Depth=1
	s_or_b64 exec, exec, s[92:93]
	s_mov_b64 s[94:95], exec
.LBB222_279:                            ;   in Loop: Header=BB222_18 Depth=1
	s_or_b64 exec, exec, s[56:57]
	s_orn2_b64 s[56:57], s[94:95], exec
	v_pk_mov_b32 v[2:3], v[4:5], v[4:5] op_sel:[0,1]
.LBB222_280:                            ;   in Loop: Header=BB222_18 Depth=1
	s_or_b64 exec, exec, s[8:9]
	s_andn2_b64 s[8:9], s[30:31], exec
	s_and_b64 s[6:7], s[6:7], exec
	s_or_b64 s[30:31], s[8:9], s[6:7]
	s_andn2_b64 s[6:7], s[50:51], exec
	s_and_b64 s[8:9], s[12:13], exec
	s_or_b64 s[50:51], s[6:7], s[8:9]
	s_andn2_b64 s[6:7], vcc, exec
	s_and_b64 s[8:9], s[10:11], exec
	s_or_b64 vcc, s[6:7], s[8:9]
	s_and_b64 s[6:7], s[56:57], exec
	v_pk_mov_b32 v[4:5], v[2:3], v[2:3] op_sel:[0,1]
.LBB222_281:                            ;   in Loop: Header=BB222_18 Depth=1
	s_or_b64 exec, exec, s[54:55]
	s_and_b64 s[12:13], s[30:31], exec
	s_and_b64 s[10:11], s[50:51], exec
	s_and_b64 s[8:9], vcc, exec
	s_orn2_b64 s[6:7], s[6:7], exec
.LBB222_282:                            ;   in Loop: Header=BB222_18 Depth=1
	s_or_b64 exec, exec, s[52:53]
	s_andn2_b64 s[28:29], s[28:29], exec
	s_and_b64 s[12:13], s[12:13], exec
	s_or_b64 s[28:29], s[28:29], s[12:13]
	s_andn2_b64 s[12:13], s[44:45], exec
	s_and_b64 s[10:11], s[10:11], exec
	s_or_b64 s[44:45], s[12:13], s[10:11]
	;; [unrolled: 3-line block ×3, first 2 shown]
	s_and_b64 s[6:7], s[6:7], exec
	v_pk_mov_b32 v[2:3], v[4:5], v[4:5] op_sel:[0,1]
.LBB222_283:                            ;   in Loop: Header=BB222_18 Depth=1
	s_or_b64 exec, exec, s[46:47]
	s_and_b64 s[12:13], s[28:29], exec
	s_and_b64 s[10:11], s[44:45], exec
	;; [unrolled: 1-line block ×3, first 2 shown]
	s_orn2_b64 s[28:29], s[6:7], exec
.LBB222_284:                            ;   in Loop: Header=BB222_18 Depth=1
	s_or_b64 exec, exec, s[26:27]
	s_mov_b64 s[6:7], 0
	s_mov_b64 s[26:27], 0
	s_and_saveexec_b64 s[30:31], s[28:29]
	s_xor_b64 s[28:29], exec, s[30:31]
; %bb.285:                              ;   in Loop: Header=BB222_18 Depth=1
	v_cmp_eq_u32_e32 vcc, 8, v7
	v_cmp_ne_u32_e64 s[6:7], 8, v7
	s_andn2_b64 s[12:13], s[12:13], exec
	s_andn2_b64 s[10:11], s[10:11], exec
	;; [unrolled: 1-line block ×3, first 2 shown]
	s_and_b64 s[26:27], s[6:7], exec
	s_and_b64 s[6:7], vcc, exec
; %bb.286:                              ;   in Loop: Header=BB222_18 Depth=1
	s_or_b64 exec, exec, s[28:29]
	s_andn2_b64 s[20:21], s[20:21], exec
	s_and_b64 s[12:13], s[12:13], exec
	s_or_b64 s[20:21], s[20:21], s[12:13]
	s_andn2_b64 s[12:13], s[36:37], exec
	s_and_b64 s[10:11], s[10:11], exec
	s_or_b64 s[36:37], s[12:13], s[10:11]
	;; [unrolled: 3-line block ×3, first 2 shown]
	s_and_b64 s[26:27], s[26:27], exec
	s_and_b64 s[28:29], s[6:7], exec
.LBB222_287:                            ;   in Loop: Header=BB222_18 Depth=1
	s_or_b64 exec, exec, s[40:41]
	s_and_b64 vcc, exec, s[38:39]
	s_cbranch_vccz .LBB222_103
.LBB222_288:                            ;   in Loop: Header=BB222_18 Depth=1
	s_cmp_eq_u64 s[24:25], 1
	s_cselect_b64 s[6:7], -1, 0
	s_and_b64 s[8:9], s[6:7], s[14:15]
	s_mov_b64 s[6:7], -1
                                        ; implicit-def: $sgpr14_sgpr15
                                        ; implicit-def: $sgpr38_sgpr39
                                        ; implicit-def: $sgpr20_sgpr21
	s_and_saveexec_b64 s[30:31], s[8:9]
	s_cbranch_execz .LBB222_320
; %bb.289:                              ;   in Loop: Header=BB222_18 Depth=1
	ds_read_b64 v[2:3], v15 offset:5120
	s_waitcnt lgkmcnt(0)
	s_barrier
	v_readfirstlane_b32 s10, v2
	v_readfirstlane_b32 s11, v3
	s_mov_b64 s[6:7], exec
	v_readlane_b32 s12, v49, 48
	v_readlane_b32 s13, v49, 49
	s_and_b64 s[12:13], s[6:7], s[12:13]
	s_mov_b64 exec, s[12:13]
	s_cbranch_execz .LBB222_291
; %bb.290:                              ;   in Loop: Header=BB222_18 Depth=1
	ds_write_b16 v29, v15
.LBB222_291:                            ;   in Loop: Header=BB222_18 Depth=1
	s_or_b64 exec, exec, s[6:7]
	v_or_b32_e32 v38, s90, v38
	v_or_b32_e32 v37, s90, v37
	s_cmp_eq_u64 s[10:11], 0
	s_waitcnt lgkmcnt(0)
	s_barrier
	s_cbranch_scc1 .LBB222_303
; %bb.292:                              ;   in Loop: Header=BB222_18 Depth=1
	v_readlane_b32 s6, v49, 52
	s_add_u32 s14, s6, s10
	v_readlane_b32 s6, v49, 54
	s_addc_u32 s7, s6, s11
	s_mov_b32 s6, s91
	s_cmp_lg_u64 s[6:7], 0
	s_cbranch_scc0 .LBB222_347
; %bb.293:                              ;   in Loop: Header=BB222_18 Depth=1
	v_cvt_f32_u32_e32 v2, s89
	s_sub_u32 s6, 0, s89
	s_subb_u32 s12, 0, 0
	v_mac_f32_e32 v2, 0, v34
	v_rcp_f32_e32 v2, v2
	v_mul_f32_e32 v2, 0x5f7ffffc, v2
	v_mul_f32_e32 v3, 0x2f800000, v2
	v_trunc_f32_e32 v3, v3
	v_mac_f32_e32 v2, 0xcf800000, v3
	v_cvt_u32_f32_e32 v3, v3
	v_cvt_u32_f32_e32 v2, v2
	v_readfirstlane_b32 s13, v3
	v_readfirstlane_b32 s15, v2
	s_mul_i32 s20, s6, s13
	s_mul_hi_u32 s34, s6, s15
	s_mul_i32 s21, s12, s15
	s_add_i32 s20, s34, s20
	s_mul_i32 s35, s6, s15
	s_add_i32 s20, s20, s21
	s_mul_hi_u32 s34, s15, s35
	s_mul_hi_u32 s21, s15, s20
	s_mul_i32 s15, s15, s20
	s_add_u32 s15, s34, s15
	s_addc_u32 s21, 0, s21
	s_mul_hi_u32 s36, s13, s35
	s_mul_i32 s35, s13, s35
	s_add_u32 s15, s15, s35
	s_mul_hi_u32 s34, s13, s20
	s_addc_u32 s15, s21, s36
	s_addc_u32 s21, s34, 0
	s_mul_i32 s20, s13, s20
	s_add_u32 s15, s15, s20
	s_addc_u32 s20, 0, s21
	v_add_co_u32_e32 v2, vcc, s15, v2
	s_cmp_lg_u64 vcc, 0
	s_addc_u32 s13, s13, s20
	v_readfirstlane_b32 s20, v2
	s_mul_i32 s15, s6, s13
	s_mul_hi_u32 s21, s6, s20
	s_add_i32 s15, s21, s15
	s_mul_i32 s12, s12, s20
	s_add_i32 s15, s15, s12
	s_mul_i32 s6, s6, s20
	s_mul_hi_u32 s21, s13, s6
	s_mul_i32 s34, s13, s6
	s_mul_i32 s36, s20, s15
	s_mul_hi_u32 s6, s20, s6
	s_mul_hi_u32 s35, s20, s15
	s_add_u32 s6, s6, s36
	s_addc_u32 s20, 0, s35
	s_add_u32 s6, s6, s34
	s_mul_hi_u32 s12, s13, s15
	s_addc_u32 s6, s20, s21
	s_addc_u32 s12, s12, 0
	s_mul_i32 s15, s13, s15
	s_add_u32 s6, s6, s15
	s_addc_u32 s12, 0, s12
	v_add_co_u32_e32 v2, vcc, s6, v2
	s_cmp_lg_u64 vcc, 0
	s_addc_u32 s6, s13, s12
	v_readfirstlane_b32 s15, v2
	s_mul_i32 s13, s14, s6
	s_mul_hi_u32 s20, s14, s15
	s_mul_hi_u32 s12, s14, s6
	s_add_u32 s13, s20, s13
	s_addc_u32 s12, 0, s12
	s_mul_hi_u32 s21, s7, s15
	s_mul_i32 s15, s7, s15
	s_add_u32 s13, s13, s15
	s_mul_hi_u32 s20, s7, s6
	s_addc_u32 s12, s12, s21
	s_addc_u32 s13, s20, 0
	s_mul_i32 s6, s7, s6
	s_add_u32 s6, s12, s6
	s_addc_u32 s12, 0, s13
	s_mul_hi_u32 s13, s89, s6
	s_mul_i32 s6, s89, s6
	s_mul_i32 s12, s89, s12
	v_mov_b32_e32 v2, s6
	s_add_i32 s13, s13, s12
	v_sub_co_u32_e32 v2, vcc, s14, v2
	s_cmp_lg_u64 vcc, 0
	s_subb_u32 s6, s7, s13
	v_subrev_co_u32_e32 v3, vcc, s89, v2
	s_cmp_lg_u64 vcc, 0
	s_subb_u32 s12, s6, 0
	v_subrev_co_u32_e32 v4, vcc, s89, v3
	s_cmp_lg_u64 vcc, 0
	s_subb_u32 s13, s12, 0
	v_cmp_le_u32_e32 vcc, s89, v3
	s_cmp_eq_u32 s12, 0
	v_cndmask_b32_e64 v5, 0, -1, vcc
	s_cselect_b64 vcc, -1, 0
	v_cndmask_b32_e32 v5, -1, v5, vcc
	v_mov_b32_e32 v6, s12
	v_mov_b32_e32 v7, s13
	v_cmp_ne_u32_e32 vcc, 0, v5
	v_cndmask_b32_e32 v5, v6, v7, vcc
	v_cndmask_b32_e32 v4, v3, v4, vcc
	v_cmp_le_u32_e32 vcc, s89, v2
	s_cmp_eq_u32 s6, 0
	v_cndmask_b32_e64 v3, 0, -1, vcc
	s_cselect_b64 vcc, -1, 0
	v_cndmask_b32_e32 v3, -1, v3, vcc
	v_mov_b32_e32 v6, s6
	v_cmp_ne_u32_e32 vcc, 0, v3
	v_cndmask_b32_e32 v3, v6, v5, vcc
	v_cndmask_b32_e32 v2, v2, v4, vcc
	s_cbranch_execnz .LBB222_295
.LBB222_294:                            ;   in Loop: Header=BB222_18 Depth=1
	v_cvt_f32_u32_e32 v2, s89
	s_sub_i32 s6, 0, s89
	v_rcp_iflag_f32_e32 v2, v2
	v_mul_f32_e32 v2, 0x4f7ffffe, v2
	v_cvt_u32_f32_e32 v2, v2
	v_mul_lo_u32 v3, s6, v2
	v_mul_hi_u32 v3, v2, v3
	v_add_u32_e32 v2, v2, v3
	v_mul_hi_u32 v2, s14, v2
	v_mul_lo_u32 v2, v2, s89
	v_sub_u32_e32 v2, s14, v2
	v_subrev_u32_e32 v3, s89, v2
	v_cmp_le_u32_e32 vcc, s89, v2
	v_cndmask_b32_e32 v2, v2, v3, vcc
	v_subrev_u32_e32 v3, s89, v2
	v_cmp_le_u32_e32 vcc, s89, v2
	v_cndmask_b32_e32 v14, v2, v3, vcc
	v_pk_mov_b32 v[2:3], v[14:15], v[14:15] op_sel:[0,1]
.LBB222_295:                            ;   in Loop: Header=BB222_18 Depth=1
	v_mov_b32_e32 v4, s7
	v_sub_co_u32_e32 v2, vcc, s14, v2
	v_subb_co_u32_e32 v3, vcc, v4, v3, vcc
	v_cmp_gt_u64_e32 vcc, v[2:3], v[0:1]
	s_mov_b64 s[6:7], 0
                                        ; implicit-def: $vgpr39
	s_and_saveexec_b64 s[12:13], vcc
	s_cbranch_execz .LBB222_305
; %bb.296:                              ;   in Loop: Header=BB222_18 Depth=1
	s_mov_b64 s[14:15], 0
	v_mov_b32_e32 v6, v28
	v_pk_mov_b32 v[4:5], v[0:1], v[0:1] op_sel:[0,1]
                                        ; implicit-def: $sgpr20_sgpr21
	s_branch .LBB222_298
.LBB222_297:                            ;   in Loop: Header=BB222_298 Depth=2
	s_or_b64 exec, exec, s[6:7]
	s_waitcnt lgkmcnt(0)
	s_barrier
	ds_read_b32 v7, v15 offset:3072
	v_add_co_u32_e64 v4, s[6:7], s89, v4
	v_add_u32_e32 v6, s5, v6
	s_waitcnt lgkmcnt(0)
	v_and_b32_e32 v8, 0x7fff, v7
	v_cmp_ne_u16_e32 vcc, 0, v8
	v_mov_b32_e32 v8, s74
	v_addc_co_u32_e64 v5, s[6:7], v5, v8, s[6:7]
	v_cmp_ge_u64_e64 s[6:7], v[4:5], v[2:3]
	s_or_b64 s[6:7], s[6:7], vcc
	s_and_b64 s[6:7], exec, s[6:7]
	s_or_b64 s[14:15], s[6:7], s[14:15]
	s_andn2_b64 s[6:7], s[20:21], exec
	s_and_b64 s[20:21], vcc, exec
	s_or_b64 s[20:21], s[6:7], s[20:21]
	s_barrier
	s_andn2_b64 exec, exec, s[14:15]
	s_cbranch_execz .LBB222_304
.LBB222_298:                            ;   Parent Loop BB222_18 Depth=1
                                        ; =>  This Inner Loop Header: Depth=2
	v_cmp_gt_u64_e32 vcc, s[10:11], v[4:5]
	v_mov_b32_e32 v7, 0
	s_and_saveexec_b64 s[6:7], vcc
	s_cbranch_execz .LBB222_300
; %bb.299:                              ;   in Loop: Header=BB222_298 Depth=2
	ds_read_u16 v7, v6
.LBB222_300:                            ;   in Loop: Header=BB222_298 Depth=2
	s_or_b64 exec, exec, s[6:7]
	s_and_saveexec_b64 s[6:7], vcc
	s_cbranch_execz .LBB222_297
; %bb.301:                              ;   in Loop: Header=BB222_298 Depth=2
	s_waitcnt lgkmcnt(0)
	v_cmp_lt_i16_e32 vcc, -1, v7
	v_cndmask_b32_e32 v8, v32, v33, vcc
	v_lshlrev_b32_e32 v9, 16, v7
	v_xor_b32_sdwa v8, v8, v7 dst_sel:DWORD dst_unused:UNUSED_PAD src0_sel:DWORD src1_sel:WORD_0
	v_cmp_o_f32_e32 vcc, v9, v9
	v_cndmask_b32_e32 v8, v32, v8, vcc
	v_and_b32_e32 v8, v8, v37
	v_cmp_eq_u32_e32 vcc, v8, v38
	s_and_b64 exec, exec, vcc
	s_cbranch_execz .LBB222_297
; %bb.302:                              ;   in Loop: Header=BB222_298 Depth=2
	s_movk_i32 s34, 0x3f80
	v_perm_b32 v7, v7, s34, v36
	ds_write_b32 v15, v7 offset:3072
	s_branch .LBB222_297
.LBB222_303:                            ;   in Loop: Header=BB222_18 Depth=1
	s_mov_b64 s[14:15], -1
	s_mov_b64 s[6:7], 0
                                        ; implicit-def: $sgpr38_sgpr39
                                        ; implicit-def: $vgpr39
	s_mov_b64 s[20:21], s[14:15]
	s_cbranch_execnz .LBB222_306
	s_branch .LBB222_319
.LBB222_304:                            ;   in Loop: Header=BB222_18 Depth=1
	s_or_b64 exec, exec, s[14:15]
	v_lshrrev_b32_e32 v39, 16, v7
	s_and_b64 s[6:7], s[20:21], exec
.LBB222_305:                            ;   in Loop: Header=BB222_18 Depth=1
	s_or_b64 exec, exec, s[12:13]
	s_mov_b64 s[14:15], 0
	s_mov_b64 s[38:39], -1
	s_mov_b64 s[20:21], s[14:15]
	s_branch .LBB222_319
.LBB222_306:                            ;   in Loop: Header=BB222_18 Depth=1
	s_mov_b32 s72, s91
	s_cmp_lg_u64 s[72:73], 0
	s_cbranch_scc0 .LBB222_348
; %bb.307:                              ;   in Loop: Header=BB222_18 Depth=1
	v_cvt_f32_u32_e32 v2, s89
	s_sub_u32 s6, 0, s89
	s_subb_u32 s7, 0, 0
	v_mac_f32_e32 v2, 0, v34
	v_rcp_f32_e32 v2, v2
	v_mul_f32_e32 v2, 0x5f7ffffc, v2
	v_mul_f32_e32 v3, 0x2f800000, v2
	v_trunc_f32_e32 v3, v3
	v_mac_f32_e32 v2, 0xcf800000, v3
	v_cvt_u32_f32_e32 v3, v3
	v_cvt_u32_f32_e32 v2, v2
	v_readfirstlane_b32 s10, v3
	v_readfirstlane_b32 s11, v2
	s_mul_i32 s12, s6, s10
	s_mul_hi_u32 s14, s6, s11
	s_mul_i32 s13, s7, s11
	s_add_i32 s12, s14, s12
	s_mul_i32 s15, s6, s11
	s_add_i32 s12, s12, s13
	s_mul_hi_u32 s14, s11, s15
	s_mul_hi_u32 s13, s11, s12
	s_mul_i32 s11, s11, s12
	s_add_u32 s11, s14, s11
	s_addc_u32 s13, 0, s13
	s_mul_hi_u32 s20, s10, s15
	s_mul_i32 s15, s10, s15
	s_add_u32 s11, s11, s15
	s_mul_hi_u32 s14, s10, s12
	s_addc_u32 s11, s13, s20
	s_addc_u32 s13, s14, 0
	s_mul_i32 s12, s10, s12
	s_add_u32 s11, s11, s12
	s_addc_u32 s12, 0, s13
	v_add_co_u32_e32 v2, vcc, s11, v2
	s_cmp_lg_u64 vcc, 0
	s_addc_u32 s10, s10, s12
	v_readfirstlane_b32 s12, v2
	s_mul_i32 s11, s6, s10
	s_mul_hi_u32 s13, s6, s12
	s_add_i32 s11, s13, s11
	s_mul_i32 s7, s7, s12
	s_add_i32 s11, s11, s7
	s_mul_i32 s6, s6, s12
	s_mul_hi_u32 s13, s10, s6
	s_mul_i32 s14, s10, s6
	s_mul_i32 s20, s12, s11
	s_mul_hi_u32 s6, s12, s6
	s_mul_hi_u32 s15, s12, s11
	s_add_u32 s6, s6, s20
	s_addc_u32 s12, 0, s15
	s_add_u32 s6, s6, s14
	s_mul_hi_u32 s7, s10, s11
	s_addc_u32 s6, s12, s13
	s_addc_u32 s7, s7, 0
	s_mul_i32 s11, s10, s11
	s_add_u32 s6, s6, s11
	s_addc_u32 s7, 0, s7
	v_add_co_u32_e32 v2, vcc, s6, v2
	s_cmp_lg_u64 vcc, 0
	s_addc_u32 s6, s10, s7
	v_readlane_b32 s14, v49, 53
	v_readfirstlane_b32 s11, v2
	s_mul_i32 s10, s14, s6
	s_mul_hi_u32 s12, s14, s11
	s_mul_hi_u32 s7, s14, s6
	s_add_u32 s10, s12, s10
	s_addc_u32 s7, 0, s7
	s_mul_hi_u32 s13, s73, s11
	s_mul_i32 s11, s73, s11
	s_add_u32 s10, s10, s11
	s_mul_hi_u32 s12, s73, s6
	s_addc_u32 s7, s7, s13
	s_addc_u32 s10, s12, 0
	s_mul_i32 s6, s73, s6
	s_add_u32 s6, s7, s6
	s_addc_u32 s7, 0, s10
	s_mul_hi_u32 s10, s89, s6
	s_mul_i32 s6, s89, s6
	s_mul_i32 s7, s89, s7
	v_mov_b32_e32 v2, s6
	s_add_i32 s10, s10, s7
	v_sub_co_u32_e32 v2, vcc, s14, v2
	s_cmp_lg_u64 vcc, 0
	s_subb_u32 s6, s73, s10
	v_subrev_co_u32_e32 v3, vcc, s89, v2
	s_cmp_lg_u64 vcc, 0
	s_subb_u32 s7, s6, 0
	v_subrev_co_u32_e32 v4, vcc, s89, v3
	s_cmp_lg_u64 vcc, 0
	s_subb_u32 s10, s7, 0
	v_cmp_le_u32_e32 vcc, s89, v3
	s_cmp_eq_u32 s7, 0
	v_cndmask_b32_e64 v5, 0, -1, vcc
	s_cselect_b64 vcc, -1, 0
	v_cndmask_b32_e32 v5, -1, v5, vcc
	v_mov_b32_e32 v6, s7
	v_mov_b32_e32 v7, s10
	v_cmp_ne_u32_e32 vcc, 0, v5
	v_cndmask_b32_e32 v5, v6, v7, vcc
	v_cndmask_b32_e32 v4, v3, v4, vcc
	v_cmp_le_u32_e32 vcc, s89, v2
	s_cmp_eq_u32 s6, 0
	v_cndmask_b32_e64 v3, 0, -1, vcc
	s_cselect_b64 vcc, -1, 0
	v_cndmask_b32_e32 v3, -1, v3, vcc
	v_mov_b32_e32 v6, s6
	v_cmp_ne_u32_e32 vcc, 0, v3
	v_cndmask_b32_e32 v3, v6, v5, vcc
	v_cndmask_b32_e32 v2, v2, v4, vcc
	s_cbranch_execnz .LBB222_309
.LBB222_308:                            ;   in Loop: Header=BB222_18 Depth=1
	v_cvt_f32_u32_e32 v2, s89
	s_sub_i32 s6, 0, s89
	v_rcp_iflag_f32_e32 v2, v2
	v_mul_f32_e32 v2, 0x4f7ffffe, v2
	v_cvt_u32_f32_e32 v2, v2
	v_mul_lo_u32 v3, s6, v2
	v_mul_hi_u32 v3, v2, v3
	v_add_u32_e32 v2, v2, v3
	v_readlane_b32 s6, v49, 53
	v_mul_hi_u32 v2, s6, v2
	v_mul_lo_u32 v2, v2, s89
	v_sub_u32_e32 v2, s6, v2
	v_subrev_u32_e32 v3, s89, v2
	v_cmp_le_u32_e32 vcc, s89, v2
	v_cndmask_b32_e32 v2, v2, v3, vcc
	v_subrev_u32_e32 v3, s89, v2
	v_cmp_le_u32_e32 vcc, s89, v2
	v_cndmask_b32_e32 v14, v2, v3, vcc
	v_pk_mov_b32 v[2:3], v[14:15], v[14:15] op_sel:[0,1]
.LBB222_309:                            ;   in Loop: Header=BB222_18 Depth=1
	v_readlane_b32 s6, v49, 53
	v_mov_b32_e32 v4, s73
	v_sub_co_u32_e32 v2, vcc, s6, v2
	v_subb_co_u32_e32 v3, vcc, v4, v3, vcc
	v_cmp_gt_u64_e32 vcc, v[2:3], v[0:1]
	s_mov_b64 s[6:7], 0
                                        ; implicit-def: $vgpr39
	s_and_saveexec_b64 s[10:11], vcc
	s_cbranch_execz .LBB222_318
; %bb.310:                              ;   in Loop: Header=BB222_18 Depth=1
	s_mov_b64 s[12:13], 0
	v_pk_mov_b32 v[4:5], v[0:1], v[0:1] op_sel:[0,1]
                                        ; implicit-def: $sgpr14_sgpr15
	s_branch .LBB222_312
.LBB222_311:                            ;   in Loop: Header=BB222_312 Depth=2
	s_or_b64 exec, exec, s[6:7]
	s_waitcnt lgkmcnt(0)
	s_barrier
	s_waitcnt vmcnt(0)
	ds_read_b32 v6, v15 offset:3072
	v_add_co_u32_e64 v4, s[6:7], s89, v4
	s_waitcnt lgkmcnt(0)
	s_barrier
	v_and_b32_e32 v7, 0x7fff, v6
	v_cmp_ne_u16_e32 vcc, 0, v7
	v_mov_b32_e32 v7, s74
	v_addc_co_u32_e64 v5, s[6:7], v5, v7, s[6:7]
	v_cmp_ge_u64_e64 s[6:7], v[4:5], v[2:3]
	s_or_b64 s[6:7], s[6:7], vcc
	s_and_b64 s[6:7], exec, s[6:7]
	s_or_b64 s[12:13], s[6:7], s[12:13]
	s_andn2_b64 s[6:7], s[14:15], exec
	s_and_b64 s[14:15], vcc, exec
	s_or_b64 s[14:15], s[6:7], s[14:15]
	s_andn2_b64 exec, exec, s[12:13]
	s_cbranch_execz .LBB222_317
.LBB222_312:                            ;   Parent Loop BB222_18 Depth=1
                                        ; =>  This Inner Loop Header: Depth=2
	v_cmp_gt_u64_e32 vcc, s[60:61], v[4:5]
	v_mov_b32_e32 v6, 0
	s_and_saveexec_b64 s[20:21], vcc
	s_cbranch_execz .LBB222_314
; %bb.313:                              ;   in Loop: Header=BB222_312 Depth=2
	v_mul_lo_u32 v8, v5, s58
	v_mul_lo_u32 v9, v4, s59
	v_mad_u64_u32 v[6:7], s[6:7], v4, s58, 0
	v_add3_u32 v7, v7, v9, v8
	v_lshlrev_b64 v[6:7], 1, v[6:7]
	v_mov_b32_e32 v8, s88
	v_add_co_u32_e64 v6, s[6:7], s33, v6
	v_addc_co_u32_e64 v7, s[6:7], v8, v7, s[6:7]
	global_load_ushort v6, v[6:7], off
.LBB222_314:                            ;   in Loop: Header=BB222_312 Depth=2
	s_or_b64 exec, exec, s[20:21]
	s_and_saveexec_b64 s[6:7], vcc
	s_cbranch_execz .LBB222_311
; %bb.315:                              ;   in Loop: Header=BB222_312 Depth=2
	s_waitcnt vmcnt(0)
	v_cmp_lt_i16_e32 vcc, -1, v6
	v_cndmask_b32_e32 v7, v32, v33, vcc
	v_lshlrev_b32_e32 v8, 16, v6
	v_xor_b32_sdwa v7, v7, v6 dst_sel:DWORD dst_unused:UNUSED_PAD src0_sel:DWORD src1_sel:WORD_0
	v_cmp_o_f32_e32 vcc, v8, v8
	v_cndmask_b32_e32 v7, v32, v7, vcc
	v_and_b32_e32 v7, v7, v37
	v_cmp_eq_u32_e32 vcc, v7, v38
	s_and_b64 exec, exec, vcc
	s_cbranch_execz .LBB222_311
; %bb.316:                              ;   in Loop: Header=BB222_312 Depth=2
	s_movk_i32 s20, 0x3f80
	v_perm_b32 v6, v6, s20, v36
	ds_write_b32 v15, v6 offset:3072
	s_branch .LBB222_311
.LBB222_317:                            ;   in Loop: Header=BB222_18 Depth=1
	s_or_b64 exec, exec, s[12:13]
	v_lshrrev_b32_e32 v39, 16, v6
	s_and_b64 s[6:7], s[14:15], exec
.LBB222_318:                            ;   in Loop: Header=BB222_18 Depth=1
	s_or_b64 exec, exec, s[10:11]
	s_mov_b64 s[38:39], 0
	s_mov_b64 s[14:15], -1
	s_mov_b64 s[20:21], 0
.LBB222_319:                            ;   in Loop: Header=BB222_18 Depth=1
	s_orn2_b64 s[6:7], s[6:7], exec
.LBB222_320:                            ;   in Loop: Header=BB222_18 Depth=1
	s_or_b64 exec, exec, s[30:31]
                                        ; implicit-def: $vgpr7
                                        ; implicit-def: $vgpr2_vgpr3
                                        ; implicit-def: $vgpr8
                                        ; implicit-def: $vgpr9
                                        ; implicit-def: $vgpr6
	s_and_saveexec_b64 s[34:35], s[6:7]
	s_cbranch_execz .LBB222_483
; %bb.321:                              ;   in Loop: Header=BB222_18 Depth=1
	v_mov_b32_e32 v2, 1
	s_xor_b64 s[8:9], s[8:9], -1
	s_mov_b64 s[36:37], 0
	v_mov_b32_e32 v3, 0
	v_mov_b32_e32 v7, 1
	s_and_saveexec_b64 s[6:7], s[8:9]
	s_cbranch_execz .LBB222_331
; %bb.322:                              ;   in Loop: Header=BB222_18 Depth=1
	v_cmp_ge_u64_e32 vcc, s[24:25], v[18:19]
                                        ; implicit-def: $sgpr12
                                        ; implicit-def: $sgpr8_sgpr9
	s_and_saveexec_b64 s[10:11], vcc
	s_xor_b64 s[10:11], exec, s[10:11]
	s_cbranch_execz .LBB222_328
; %bb.323:                              ;   in Loop: Header=BB222_18 Depth=1
	ds_read_b64 v[2:3], v15 offset:5120
	s_waitcnt lgkmcnt(0)
	v_cmp_ne_u64_e32 vcc, 0, v[2:3]
	s_cbranch_vccnz .LBB222_327
; %bb.324:                              ;   in Loop: Header=BB222_18 Depth=1
	s_mov_b64 s[8:9], exec
	v_readlane_b32 s12, v49, 32
	v_readlane_b32 s13, v49, 33
	s_and_b64 s[12:13], s[8:9], s[12:13]
	s_mov_b64 exec, s[12:13]
	s_cbranch_execz .LBB222_326
; %bb.325:                              ;   in Loop: Header=BB222_18 Depth=1
	v_pk_mov_b32 v[2:3], s[24:25], s[24:25] op_sel:[0,1]
	ds_write_b64 v15, v[2:3] offset:5128
.LBB222_326:                            ;   in Loop: Header=BB222_18 Depth=1
	s_or_b64 exec, exec, s[8:9]
	s_waitcnt lgkmcnt(0)
	s_barrier
.LBB222_327:                            ;   in Loop: Header=BB222_18 Depth=1
	v_or_b32_e32 v38, s90, v38
	v_or_b32_e32 v37, s90, v37
	s_mov_b64 s[8:9], 0
	s_mov_b32 s12, 5
.LBB222_328:                            ;   in Loop: Header=BB222_18 Depth=1
	s_or_saveexec_b64 s[10:11], s[10:11]
	v_mov_b32_e32 v7, s12
	s_xor_b64 exec, exec, s[10:11]
; %bb.329:                              ;   in Loop: Header=BB222_18 Depth=1
	v_mov_b32_e32 v2, s25
	v_subrev_co_u32_e32 v18, vcc, s24, v18
	v_subb_co_u32_e32 v19, vcc, v19, v2, vcc
	v_mov_b32_e32 v7, 0
	s_or_b64 s[8:9], s[8:9], exec
; %bb.330:                              ;   in Loop: Header=BB222_18 Depth=1
	s_or_b64 exec, exec, s[10:11]
	s_and_b64 s[36:37], s[8:9], exec
	v_pk_mov_b32 v[2:3], v[18:19], v[18:19] op_sel:[0,1]
.LBB222_331:                            ;   in Loop: Header=BB222_18 Depth=1
	s_or_b64 exec, exec, s[6:7]
	s_mov_b64 s[30:31], -1
                                        ; implicit-def: $sgpr8_sgpr9
                                        ; implicit-def: $sgpr10_sgpr11
                                        ; implicit-def: $sgpr12_sgpr13
	s_and_saveexec_b64 s[6:7], s[36:37]
	s_xor_b64 s[24:25], exec, s[6:7]
	s_cbranch_execz .LBB222_480
; %bb.332:                              ;   in Loop: Header=BB222_18 Depth=1
	s_cmp_eq_u64 s[22:23], 1
	s_cselect_b64 s[6:7], -1, 0
	v_cmp_eq_u64_e32 vcc, 1, v[2:3]
	s_and_b64 s[8:9], s[6:7], vcc
	s_mov_b64 s[10:11], -1
                                        ; implicit-def: $sgpr36_sgpr37
                                        ; implicit-def: $sgpr40_sgpr41
                                        ; implicit-def: $sgpr42_sgpr43
	s_and_saveexec_b64 s[30:31], s[8:9]
	s_cbranch_execz .LBB222_366
; %bb.333:                              ;   in Loop: Header=BB222_18 Depth=1
	ds_read_b64 v[4:5], v15 offset:5120
	s_waitcnt lgkmcnt(0)
	s_barrier
	v_readfirstlane_b32 s10, v4
	v_readfirstlane_b32 s11, v5
	s_mov_b64 s[6:7], exec
	v_readlane_b32 s12, v49, 48
	v_readlane_b32 s13, v49, 49
	s_and_b64 s[12:13], s[6:7], s[12:13]
	s_mov_b64 exec, s[12:13]
	s_cbranch_execz .LBB222_335
; %bb.334:                              ;   in Loop: Header=BB222_18 Depth=1
	ds_write_b16 v29, v15
.LBB222_335:                            ;   in Loop: Header=BB222_18 Depth=1
	s_or_b64 exec, exec, s[6:7]
	v_and_b32_e32 v4, s48, v38
	v_lshl_or_b32 v38, 2, s49, v4
	v_or_b32_e32 v37, s90, v37
	s_cmp_eq_u64 s[10:11], 0
	s_waitcnt lgkmcnt(0)
	s_barrier
	s_cbranch_scc1 .LBB222_349
; %bb.336:                              ;   in Loop: Header=BB222_18 Depth=1
	v_readlane_b32 s6, v49, 52
	s_add_u32 s36, s6, s10
	v_readlane_b32 s6, v49, 54
	s_addc_u32 s7, s6, s11
	s_mov_b32 s6, s91
	s_cmp_lg_u64 s[6:7], 0
	s_cbranch_scc0 .LBB222_393
; %bb.337:                              ;   in Loop: Header=BB222_18 Depth=1
	v_cvt_f32_u32_e32 v4, s89
	s_sub_u32 s6, 0, s89
	s_subb_u32 s12, 0, 0
	v_mac_f32_e32 v4, 0, v34
	v_rcp_f32_e32 v4, v4
	v_mul_f32_e32 v4, 0x5f7ffffc, v4
	v_mul_f32_e32 v5, 0x2f800000, v4
	v_trunc_f32_e32 v5, v5
	v_mac_f32_e32 v4, 0xcf800000, v5
	v_cvt_u32_f32_e32 v5, v5
	v_cvt_u32_f32_e32 v4, v4
	v_readfirstlane_b32 s13, v5
	v_readfirstlane_b32 s37, v4
	s_mul_i32 s40, s6, s13
	s_mul_hi_u32 s42, s6, s37
	s_mul_i32 s41, s12, s37
	s_add_i32 s40, s42, s40
	s_mul_i32 s43, s6, s37
	s_add_i32 s40, s40, s41
	s_mul_hi_u32 s42, s37, s43
	s_mul_hi_u32 s41, s37, s40
	s_mul_i32 s37, s37, s40
	s_add_u32 s37, s42, s37
	s_addc_u32 s41, 0, s41
	s_mul_hi_u32 s44, s13, s43
	s_mul_i32 s43, s13, s43
	s_add_u32 s37, s37, s43
	s_mul_hi_u32 s42, s13, s40
	s_addc_u32 s37, s41, s44
	s_addc_u32 s41, s42, 0
	s_mul_i32 s40, s13, s40
	s_add_u32 s37, s37, s40
	s_addc_u32 s40, 0, s41
	v_add_co_u32_e32 v4, vcc, s37, v4
	s_cmp_lg_u64 vcc, 0
	s_addc_u32 s13, s13, s40
	v_readfirstlane_b32 s40, v4
	s_mul_i32 s37, s6, s13
	s_mul_hi_u32 s41, s6, s40
	s_add_i32 s37, s41, s37
	s_mul_i32 s12, s12, s40
	s_add_i32 s37, s37, s12
	s_mul_i32 s6, s6, s40
	s_mul_hi_u32 s41, s13, s6
	s_mul_i32 s42, s13, s6
	s_mul_i32 s44, s40, s37
	s_mul_hi_u32 s6, s40, s6
	s_mul_hi_u32 s43, s40, s37
	s_add_u32 s6, s6, s44
	s_addc_u32 s40, 0, s43
	s_add_u32 s6, s6, s42
	s_mul_hi_u32 s12, s13, s37
	s_addc_u32 s6, s40, s41
	s_addc_u32 s12, s12, 0
	s_mul_i32 s37, s13, s37
	s_add_u32 s6, s6, s37
	s_addc_u32 s12, 0, s12
	v_add_co_u32_e32 v4, vcc, s6, v4
	s_cmp_lg_u64 vcc, 0
	s_addc_u32 s6, s13, s12
	v_readfirstlane_b32 s37, v4
	s_mul_i32 s13, s36, s6
	s_mul_hi_u32 s40, s36, s37
	s_mul_hi_u32 s12, s36, s6
	s_add_u32 s13, s40, s13
	s_addc_u32 s12, 0, s12
	s_mul_hi_u32 s41, s7, s37
	s_mul_i32 s37, s7, s37
	s_add_u32 s13, s13, s37
	s_mul_hi_u32 s40, s7, s6
	s_addc_u32 s12, s12, s41
	s_addc_u32 s13, s40, 0
	s_mul_i32 s6, s7, s6
	s_add_u32 s6, s12, s6
	s_addc_u32 s12, 0, s13
	s_mul_hi_u32 s13, s89, s6
	s_mul_i32 s6, s89, s6
	s_mul_i32 s12, s89, s12
	v_mov_b32_e32 v4, s6
	s_add_i32 s13, s13, s12
	v_sub_co_u32_e32 v4, vcc, s36, v4
	s_cmp_lg_u64 vcc, 0
	s_subb_u32 s6, s7, s13
	v_subrev_co_u32_e32 v5, vcc, s89, v4
	s_cmp_lg_u64 vcc, 0
	s_subb_u32 s12, s6, 0
	v_subrev_co_u32_e32 v6, vcc, s89, v5
	s_cmp_lg_u64 vcc, 0
	s_subb_u32 s13, s12, 0
	v_cmp_le_u32_e32 vcc, s89, v5
	s_cmp_eq_u32 s12, 0
	v_cndmask_b32_e64 v7, 0, -1, vcc
	s_cselect_b64 vcc, -1, 0
	v_cndmask_b32_e32 v7, -1, v7, vcc
	v_mov_b32_e32 v8, s12
	v_mov_b32_e32 v9, s13
	v_cmp_ne_u32_e32 vcc, 0, v7
	v_cndmask_b32_e32 v7, v8, v9, vcc
	v_cndmask_b32_e32 v6, v5, v6, vcc
	v_cmp_le_u32_e32 vcc, s89, v4
	s_cmp_eq_u32 s6, 0
	v_cndmask_b32_e64 v5, 0, -1, vcc
	s_cselect_b64 vcc, -1, 0
	v_cndmask_b32_e32 v5, -1, v5, vcc
	v_mov_b32_e32 v8, s6
	v_cmp_ne_u32_e32 vcc, 0, v5
	v_cndmask_b32_e32 v5, v8, v7, vcc
	v_cndmask_b32_e32 v4, v4, v6, vcc
	s_cbranch_execnz .LBB222_339
.LBB222_338:                            ;   in Loop: Header=BB222_18 Depth=1
	v_cvt_f32_u32_e32 v4, s89
	s_sub_i32 s6, 0, s89
	v_rcp_iflag_f32_e32 v4, v4
	v_mul_f32_e32 v4, 0x4f7ffffe, v4
	v_cvt_u32_f32_e32 v4, v4
	v_mul_lo_u32 v5, s6, v4
	v_mul_hi_u32 v5, v4, v5
	v_add_u32_e32 v4, v4, v5
	v_mul_hi_u32 v4, s36, v4
	v_mul_lo_u32 v4, v4, s89
	v_sub_u32_e32 v4, s36, v4
	v_subrev_u32_e32 v5, s89, v4
	v_cmp_le_u32_e32 vcc, s89, v4
	v_cndmask_b32_e32 v4, v4, v5, vcc
	v_subrev_u32_e32 v5, s89, v4
	v_cmp_le_u32_e32 vcc, s89, v4
	v_cndmask_b32_e32 v14, v4, v5, vcc
	v_pk_mov_b32 v[4:5], v[14:15], v[14:15] op_sel:[0,1]
.LBB222_339:                            ;   in Loop: Header=BB222_18 Depth=1
	v_mov_b32_e32 v6, s7
	v_sub_co_u32_e32 v4, vcc, s36, v4
	v_subb_co_u32_e32 v5, vcc, v6, v5, vcc
	v_cmp_gt_u64_e32 vcc, v[4:5], v[0:1]
	s_mov_b64 s[6:7], 0
                                        ; implicit-def: $vgpr39
	s_and_saveexec_b64 s[12:13], vcc
	s_cbranch_execz .LBB222_351
; %bb.340:                              ;   in Loop: Header=BB222_18 Depth=1
	s_mov_b64 s[36:37], 0
	v_mov_b32_e32 v8, v28
	v_pk_mov_b32 v[6:7], v[0:1], v[0:1] op_sel:[0,1]
                                        ; implicit-def: $sgpr40_sgpr41
	s_branch .LBB222_342
.LBB222_341:                            ;   in Loop: Header=BB222_342 Depth=2
	s_or_b64 exec, exec, s[6:7]
	s_waitcnt lgkmcnt(0)
	s_barrier
	ds_read_b32 v9, v15 offset:3072
	v_add_co_u32_e64 v6, s[6:7], s89, v6
	v_add_u32_e32 v8, s5, v8
	s_waitcnt lgkmcnt(0)
	v_and_b32_e32 v14, 0x7fff, v9
	v_cmp_ne_u16_e32 vcc, 0, v14
	v_mov_b32_e32 v14, s74
	v_addc_co_u32_e64 v7, s[6:7], v7, v14, s[6:7]
	v_cmp_ge_u64_e64 s[6:7], v[6:7], v[4:5]
	s_or_b64 s[6:7], s[6:7], vcc
	s_and_b64 s[6:7], exec, s[6:7]
	s_or_b64 s[36:37], s[6:7], s[36:37]
	s_andn2_b64 s[6:7], s[40:41], exec
	s_and_b64 s[40:41], vcc, exec
	s_or_b64 s[40:41], s[6:7], s[40:41]
	s_barrier
	s_andn2_b64 exec, exec, s[36:37]
	s_cbranch_execz .LBB222_350
.LBB222_342:                            ;   Parent Loop BB222_18 Depth=1
                                        ; =>  This Inner Loop Header: Depth=2
	v_cmp_gt_u64_e32 vcc, s[10:11], v[6:7]
	v_mov_b32_e32 v9, 0
	s_and_saveexec_b64 s[6:7], vcc
	s_cbranch_execz .LBB222_344
; %bb.343:                              ;   in Loop: Header=BB222_342 Depth=2
	ds_read_u16 v9, v8
.LBB222_344:                            ;   in Loop: Header=BB222_342 Depth=2
	s_or_b64 exec, exec, s[6:7]
	s_and_saveexec_b64 s[6:7], vcc
	s_cbranch_execz .LBB222_341
; %bb.345:                              ;   in Loop: Header=BB222_342 Depth=2
	s_waitcnt lgkmcnt(0)
	v_cmp_lt_i16_e32 vcc, -1, v9
	v_cndmask_b32_e32 v14, v32, v33, vcc
	v_lshlrev_b32_e32 v18, 16, v9
	v_xor_b32_sdwa v14, v14, v9 dst_sel:DWORD dst_unused:UNUSED_PAD src0_sel:DWORD src1_sel:WORD_0
	v_cmp_o_f32_e32 vcc, v18, v18
	v_cndmask_b32_e32 v14, v32, v14, vcc
	v_and_b32_e32 v14, v14, v37
	v_cmp_eq_u32_e32 vcc, v14, v38
	s_and_b64 exec, exec, vcc
	s_cbranch_execz .LBB222_341
; %bb.346:                              ;   in Loop: Header=BB222_342 Depth=2
	s_movk_i32 s42, 0x3f80
	v_perm_b32 v9, v9, s42, v36
	ds_write_b32 v15, v9 offset:3072
	s_branch .LBB222_341
.LBB222_347:                            ;   in Loop: Header=BB222_18 Depth=1
                                        ; implicit-def: $vgpr2_vgpr3
	s_branch .LBB222_294
.LBB222_348:                            ;   in Loop: Header=BB222_18 Depth=1
                                        ; implicit-def: $vgpr2_vgpr3
	s_branch .LBB222_308
.LBB222_349:                            ;   in Loop: Header=BB222_18 Depth=1
	s_mov_b64 s[36:37], -1
	s_mov_b64 s[6:7], 0
                                        ; implicit-def: $sgpr40_sgpr41
                                        ; implicit-def: $vgpr39
	s_mov_b64 s[42:43], s[36:37]
	s_cbranch_execnz .LBB222_352
	s_branch .LBB222_365
.LBB222_350:                            ;   in Loop: Header=BB222_18 Depth=1
	s_or_b64 exec, exec, s[36:37]
	v_lshrrev_b32_e32 v39, 16, v9
	s_and_b64 s[6:7], s[40:41], exec
.LBB222_351:                            ;   in Loop: Header=BB222_18 Depth=1
	s_or_b64 exec, exec, s[12:13]
	s_mov_b64 s[36:37], 0
	s_mov_b64 s[40:41], -1
	s_mov_b64 s[42:43], s[36:37]
	s_branch .LBB222_365
.LBB222_352:                            ;   in Loop: Header=BB222_18 Depth=1
	s_mov_b32 s72, s91
	s_cmp_lg_u64 s[72:73], 0
	s_cbranch_scc0 .LBB222_394
; %bb.353:                              ;   in Loop: Header=BB222_18 Depth=1
	v_cvt_f32_u32_e32 v4, s89
	s_sub_u32 s6, 0, s89
	s_subb_u32 s7, 0, 0
	v_mac_f32_e32 v4, 0, v34
	v_rcp_f32_e32 v4, v4
	v_mul_f32_e32 v4, 0x5f7ffffc, v4
	v_mul_f32_e32 v5, 0x2f800000, v4
	v_trunc_f32_e32 v5, v5
	v_mac_f32_e32 v4, 0xcf800000, v5
	v_cvt_u32_f32_e32 v5, v5
	v_cvt_u32_f32_e32 v4, v4
	v_readfirstlane_b32 s10, v5
	v_readfirstlane_b32 s11, v4
	s_mul_i32 s12, s6, s10
	s_mul_hi_u32 s36, s6, s11
	s_mul_i32 s13, s7, s11
	s_add_i32 s12, s36, s12
	s_mul_i32 s37, s6, s11
	s_add_i32 s12, s12, s13
	s_mul_hi_u32 s36, s11, s37
	s_mul_hi_u32 s13, s11, s12
	s_mul_i32 s11, s11, s12
	s_add_u32 s11, s36, s11
	s_addc_u32 s13, 0, s13
	s_mul_hi_u32 s40, s10, s37
	s_mul_i32 s37, s10, s37
	s_add_u32 s11, s11, s37
	s_mul_hi_u32 s36, s10, s12
	s_addc_u32 s11, s13, s40
	s_addc_u32 s13, s36, 0
	s_mul_i32 s12, s10, s12
	s_add_u32 s11, s11, s12
	s_addc_u32 s12, 0, s13
	v_add_co_u32_e32 v4, vcc, s11, v4
	s_cmp_lg_u64 vcc, 0
	s_addc_u32 s10, s10, s12
	v_readfirstlane_b32 s12, v4
	s_mul_i32 s11, s6, s10
	s_mul_hi_u32 s13, s6, s12
	s_add_i32 s11, s13, s11
	s_mul_i32 s7, s7, s12
	s_add_i32 s11, s11, s7
	s_mul_i32 s6, s6, s12
	s_mul_hi_u32 s13, s10, s6
	s_mul_i32 s36, s10, s6
	s_mul_i32 s40, s12, s11
	s_mul_hi_u32 s6, s12, s6
	s_mul_hi_u32 s37, s12, s11
	s_add_u32 s6, s6, s40
	s_addc_u32 s12, 0, s37
	s_add_u32 s6, s6, s36
	s_mul_hi_u32 s7, s10, s11
	s_addc_u32 s6, s12, s13
	s_addc_u32 s7, s7, 0
	s_mul_i32 s11, s10, s11
	s_add_u32 s6, s6, s11
	s_addc_u32 s7, 0, s7
	v_add_co_u32_e32 v4, vcc, s6, v4
	s_cmp_lg_u64 vcc, 0
	s_addc_u32 s6, s10, s7
	v_readlane_b32 s36, v49, 53
	v_readfirstlane_b32 s11, v4
	s_mul_i32 s10, s36, s6
	s_mul_hi_u32 s12, s36, s11
	s_mul_hi_u32 s7, s36, s6
	s_add_u32 s10, s12, s10
	s_addc_u32 s7, 0, s7
	s_mul_hi_u32 s13, s73, s11
	s_mul_i32 s11, s73, s11
	s_add_u32 s10, s10, s11
	s_mul_hi_u32 s12, s73, s6
	s_addc_u32 s7, s7, s13
	s_addc_u32 s10, s12, 0
	s_mul_i32 s6, s73, s6
	s_add_u32 s6, s7, s6
	s_addc_u32 s7, 0, s10
	s_mul_hi_u32 s10, s89, s6
	s_mul_i32 s6, s89, s6
	s_mul_i32 s7, s89, s7
	v_mov_b32_e32 v4, s6
	s_add_i32 s10, s10, s7
	v_sub_co_u32_e32 v4, vcc, s36, v4
	s_cmp_lg_u64 vcc, 0
	s_subb_u32 s6, s73, s10
	v_subrev_co_u32_e32 v5, vcc, s89, v4
	s_cmp_lg_u64 vcc, 0
	s_subb_u32 s7, s6, 0
	v_subrev_co_u32_e32 v6, vcc, s89, v5
	s_cmp_lg_u64 vcc, 0
	s_subb_u32 s10, s7, 0
	v_cmp_le_u32_e32 vcc, s89, v5
	s_cmp_eq_u32 s7, 0
	v_cndmask_b32_e64 v7, 0, -1, vcc
	s_cselect_b64 vcc, -1, 0
	v_cndmask_b32_e32 v7, -1, v7, vcc
	v_mov_b32_e32 v8, s7
	v_mov_b32_e32 v9, s10
	v_cmp_ne_u32_e32 vcc, 0, v7
	v_cndmask_b32_e32 v7, v8, v9, vcc
	v_cndmask_b32_e32 v6, v5, v6, vcc
	v_cmp_le_u32_e32 vcc, s89, v4
	s_cmp_eq_u32 s6, 0
	v_cndmask_b32_e64 v5, 0, -1, vcc
	s_cselect_b64 vcc, -1, 0
	v_cndmask_b32_e32 v5, -1, v5, vcc
	v_mov_b32_e32 v8, s6
	v_cmp_ne_u32_e32 vcc, 0, v5
	v_cndmask_b32_e32 v5, v8, v7, vcc
	v_cndmask_b32_e32 v4, v4, v6, vcc
	s_cbranch_execnz .LBB222_355
.LBB222_354:                            ;   in Loop: Header=BB222_18 Depth=1
	v_cvt_f32_u32_e32 v4, s89
	s_sub_i32 s6, 0, s89
	v_rcp_iflag_f32_e32 v4, v4
	v_mul_f32_e32 v4, 0x4f7ffffe, v4
	v_cvt_u32_f32_e32 v4, v4
	v_mul_lo_u32 v5, s6, v4
	v_mul_hi_u32 v5, v4, v5
	v_add_u32_e32 v4, v4, v5
	v_readlane_b32 s6, v49, 53
	v_mul_hi_u32 v4, s6, v4
	v_mul_lo_u32 v4, v4, s89
	v_sub_u32_e32 v4, s6, v4
	v_subrev_u32_e32 v5, s89, v4
	v_cmp_le_u32_e32 vcc, s89, v4
	v_cndmask_b32_e32 v4, v4, v5, vcc
	v_subrev_u32_e32 v5, s89, v4
	v_cmp_le_u32_e32 vcc, s89, v4
	v_cndmask_b32_e32 v14, v4, v5, vcc
	v_pk_mov_b32 v[4:5], v[14:15], v[14:15] op_sel:[0,1]
.LBB222_355:                            ;   in Loop: Header=BB222_18 Depth=1
	v_readlane_b32 s6, v49, 53
	v_mov_b32_e32 v6, s73
	v_sub_co_u32_e32 v4, vcc, s6, v4
	v_subb_co_u32_e32 v5, vcc, v6, v5, vcc
	v_cmp_gt_u64_e32 vcc, v[4:5], v[0:1]
	s_mov_b64 s[6:7], 0
                                        ; implicit-def: $vgpr39
	s_and_saveexec_b64 s[10:11], vcc
	s_cbranch_execz .LBB222_364
; %bb.356:                              ;   in Loop: Header=BB222_18 Depth=1
	s_mov_b64 s[12:13], 0
	v_pk_mov_b32 v[6:7], v[0:1], v[0:1] op_sel:[0,1]
                                        ; implicit-def: $sgpr36_sgpr37
	s_branch .LBB222_358
.LBB222_357:                            ;   in Loop: Header=BB222_358 Depth=2
	s_or_b64 exec, exec, s[6:7]
	s_waitcnt lgkmcnt(0)
	s_barrier
	s_waitcnt vmcnt(0)
	ds_read_b32 v8, v15 offset:3072
	v_add_co_u32_e64 v6, s[6:7], s89, v6
	s_waitcnt lgkmcnt(0)
	s_barrier
	v_and_b32_e32 v9, 0x7fff, v8
	v_cmp_ne_u16_e32 vcc, 0, v9
	v_mov_b32_e32 v9, s74
	v_addc_co_u32_e64 v7, s[6:7], v7, v9, s[6:7]
	v_cmp_ge_u64_e64 s[6:7], v[6:7], v[4:5]
	s_or_b64 s[6:7], s[6:7], vcc
	s_and_b64 s[6:7], exec, s[6:7]
	s_or_b64 s[12:13], s[6:7], s[12:13]
	s_andn2_b64 s[6:7], s[36:37], exec
	s_and_b64 s[36:37], vcc, exec
	s_or_b64 s[36:37], s[6:7], s[36:37]
	s_andn2_b64 exec, exec, s[12:13]
	s_cbranch_execz .LBB222_363
.LBB222_358:                            ;   Parent Loop BB222_18 Depth=1
                                        ; =>  This Inner Loop Header: Depth=2
	v_cmp_gt_u64_e32 vcc, s[60:61], v[6:7]
	v_mov_b32_e32 v8, 0
	s_and_saveexec_b64 s[40:41], vcc
	s_cbranch_execz .LBB222_360
; %bb.359:                              ;   in Loop: Header=BB222_358 Depth=2
	v_mul_lo_u32 v14, v7, s58
	v_mul_lo_u32 v18, v6, s59
	v_mad_u64_u32 v[8:9], s[6:7], v6, s58, 0
	v_add3_u32 v9, v9, v18, v14
	v_lshlrev_b64 v[8:9], 1, v[8:9]
	v_mov_b32_e32 v14, s88
	v_add_co_u32_e64 v8, s[6:7], s33, v8
	v_addc_co_u32_e64 v9, s[6:7], v14, v9, s[6:7]
	global_load_ushort v8, v[8:9], off
.LBB222_360:                            ;   in Loop: Header=BB222_358 Depth=2
	s_or_b64 exec, exec, s[40:41]
	s_and_saveexec_b64 s[6:7], vcc
	s_cbranch_execz .LBB222_357
; %bb.361:                              ;   in Loop: Header=BB222_358 Depth=2
	s_waitcnt vmcnt(0)
	v_cmp_lt_i16_e32 vcc, -1, v8
	v_cndmask_b32_e32 v9, v32, v33, vcc
	v_lshlrev_b32_e32 v14, 16, v8
	v_xor_b32_sdwa v9, v9, v8 dst_sel:DWORD dst_unused:UNUSED_PAD src0_sel:DWORD src1_sel:WORD_0
	v_cmp_o_f32_e32 vcc, v14, v14
	v_cndmask_b32_e32 v9, v32, v9, vcc
	v_and_b32_e32 v9, v9, v37
	v_cmp_eq_u32_e32 vcc, v9, v38
	s_and_b64 exec, exec, vcc
	s_cbranch_execz .LBB222_357
; %bb.362:                              ;   in Loop: Header=BB222_358 Depth=2
	s_movk_i32 s40, 0x3f80
	v_perm_b32 v8, v8, s40, v36
	ds_write_b32 v15, v8 offset:3072
	s_branch .LBB222_357
.LBB222_363:                            ;   in Loop: Header=BB222_18 Depth=1
	s_or_b64 exec, exec, s[12:13]
	v_lshrrev_b32_e32 v39, 16, v8
	s_and_b64 s[6:7], s[36:37], exec
.LBB222_364:                            ;   in Loop: Header=BB222_18 Depth=1
	s_or_b64 exec, exec, s[10:11]
	s_mov_b64 s[40:41], 0
	s_mov_b64 s[36:37], -1
	s_mov_b64 s[42:43], 0
.LBB222_365:                            ;   in Loop: Header=BB222_18 Depth=1
	s_orn2_b64 s[10:11], s[6:7], exec
.LBB222_366:                            ;   in Loop: Header=BB222_18 Depth=1
	s_or_b64 exec, exec, s[30:31]
	s_mov_b64 s[6:7], 0
                                        ; implicit-def: $vgpr7
	s_and_saveexec_b64 s[44:45], s[10:11]
	s_cbranch_execz .LBB222_479
; %bb.367:                              ;   in Loop: Header=BB222_18 Depth=1
	v_mov_b32_e32 v4, 1
	s_xor_b64 s[8:9], s[8:9], -1
	s_mov_b64 s[30:31], 0
	v_mov_b32_e32 v5, 0
	v_mov_b32_e32 v7, 1
	s_and_saveexec_b64 s[6:7], s[8:9]
	s_cbranch_execz .LBB222_377
; %bb.368:                              ;   in Loop: Header=BB222_18 Depth=1
	v_cmp_ge_u64_e32 vcc, s[22:23], v[2:3]
                                        ; implicit-def: $sgpr12
                                        ; implicit-def: $sgpr8_sgpr9
	s_and_saveexec_b64 s[10:11], vcc
	s_xor_b64 s[10:11], exec, s[10:11]
	s_cbranch_execz .LBB222_374
; %bb.369:                              ;   in Loop: Header=BB222_18 Depth=1
	ds_read_b64 v[4:5], v15 offset:5120
	s_waitcnt lgkmcnt(0)
	v_cmp_ne_u64_e32 vcc, 0, v[4:5]
	s_cbranch_vccnz .LBB222_373
; %bb.370:                              ;   in Loop: Header=BB222_18 Depth=1
	s_mov_b64 s[8:9], exec
	v_readlane_b32 s12, v49, 32
	v_readlane_b32 s13, v49, 33
	s_and_b64 s[12:13], s[8:9], s[12:13]
	s_mov_b64 exec, s[12:13]
	s_cbranch_execz .LBB222_372
; %bb.371:                              ;   in Loop: Header=BB222_18 Depth=1
	v_pk_mov_b32 v[4:5], s[22:23], s[22:23] op_sel:[0,1]
	ds_write_b64 v15, v[4:5] offset:5128
.LBB222_372:                            ;   in Loop: Header=BB222_18 Depth=1
	s_or_b64 exec, exec, s[8:9]
	s_waitcnt lgkmcnt(0)
	s_barrier
.LBB222_373:                            ;   in Loop: Header=BB222_18 Depth=1
	v_and_b32_e32 v4, s48, v38
	v_lshl_or_b32 v38, 2, s49, v4
	v_or_b32_e32 v37, s90, v37
	s_mov_b64 s[8:9], 0
	s_mov_b32 s12, 5
.LBB222_374:                            ;   in Loop: Header=BB222_18 Depth=1
	s_or_saveexec_b64 s[10:11], s[10:11]
	v_mov_b32_e32 v7, s12
	s_xor_b64 exec, exec, s[10:11]
; %bb.375:                              ;   in Loop: Header=BB222_18 Depth=1
	v_mov_b32_e32 v4, s23
	v_subrev_co_u32_e32 v2, vcc, s22, v2
	v_subb_co_u32_e32 v3, vcc, v3, v4, vcc
	v_mov_b32_e32 v7, 0
	s_or_b64 s[8:9], s[8:9], exec
; %bb.376:                              ;   in Loop: Header=BB222_18 Depth=1
	s_or_b64 exec, exec, s[10:11]
	s_and_b64 s[30:31], s[8:9], exec
	v_pk_mov_b32 v[4:5], v[2:3], v[2:3] op_sel:[0,1]
.LBB222_377:                            ;   in Loop: Header=BB222_18 Depth=1
	s_or_b64 exec, exec, s[6:7]
	s_mov_b64 s[6:7], -1
                                        ; implicit-def: $sgpr8_sgpr9
                                        ; implicit-def: $sgpr10_sgpr11
                                        ; implicit-def: $sgpr12_sgpr13
	s_and_saveexec_b64 s[22:23], s[30:31]
	s_cbranch_execz .LBB222_478
; %bb.378:                              ;   in Loop: Header=BB222_18 Depth=1
	s_cmp_eq_u64 s[18:19], 1
	s_cselect_b64 s[6:7], -1, 0
	v_cmp_eq_u64_e32 vcc, 1, v[4:5]
	s_and_b64 s[8:9], s[6:7], vcc
	s_mov_b64 s[10:11], -1
                                        ; implicit-def: $sgpr30_sgpr31
                                        ; implicit-def: $sgpr46_sgpr47
                                        ; implicit-def: $sgpr92_sgpr93
	s_and_saveexec_b64 s[50:51], s[8:9]
	s_cbranch_execz .LBB222_412
; %bb.379:                              ;   in Loop: Header=BB222_18 Depth=1
	ds_read_b64 v[2:3], v15 offset:5120
	s_waitcnt lgkmcnt(0)
	s_barrier
	v_readfirstlane_b32 s10, v2
	v_readfirstlane_b32 s11, v3
	s_mov_b64 s[6:7], exec
	v_readlane_b32 s12, v49, 48
	v_readlane_b32 s13, v49, 49
	s_and_b64 s[12:13], s[6:7], s[12:13]
	s_mov_b64 exec, s[12:13]
	s_cbranch_execz .LBB222_381
; %bb.380:                              ;   in Loop: Header=BB222_18 Depth=1
	ds_write_b16 v29, v15
.LBB222_381:                            ;   in Loop: Header=BB222_18 Depth=1
	s_or_b64 exec, exec, s[6:7]
	v_and_b32_e32 v2, s48, v38
	v_lshl_or_b32 v38, 1, s49, v2
	v_or_b32_e32 v37, s90, v37
	s_cmp_eq_u64 s[10:11], 0
	s_waitcnt lgkmcnt(0)
	s_barrier
	s_cbranch_scc1 .LBB222_395
; %bb.382:                              ;   in Loop: Header=BB222_18 Depth=1
	v_readlane_b32 s6, v49, 52
	s_add_u32 s30, s6, s10
	v_readlane_b32 s6, v49, 54
	s_addc_u32 s7, s6, s11
	s_mov_b32 s6, s91
	s_cmp_lg_u64 s[6:7], 0
	s_cbranch_scc0 .LBB222_430
; %bb.383:                              ;   in Loop: Header=BB222_18 Depth=1
	v_cvt_f32_u32_e32 v2, s89
	s_sub_u32 s6, 0, s89
	s_subb_u32 s12, 0, 0
	v_mac_f32_e32 v2, 0, v34
	v_rcp_f32_e32 v2, v2
	v_mul_f32_e32 v2, 0x5f7ffffc, v2
	v_mul_f32_e32 v3, 0x2f800000, v2
	v_trunc_f32_e32 v3, v3
	v_mac_f32_e32 v2, 0xcf800000, v3
	v_cvt_u32_f32_e32 v3, v3
	v_cvt_u32_f32_e32 v2, v2
	v_readfirstlane_b32 s13, v3
	v_readfirstlane_b32 s31, v2
	s_mul_i32 s46, s6, s13
	s_mul_hi_u32 s52, s6, s31
	s_mul_i32 s47, s12, s31
	s_add_i32 s46, s52, s46
	s_mul_i32 s53, s6, s31
	s_add_i32 s46, s46, s47
	s_mul_hi_u32 s52, s31, s53
	s_mul_hi_u32 s47, s31, s46
	s_mul_i32 s31, s31, s46
	s_add_u32 s31, s52, s31
	s_addc_u32 s47, 0, s47
	s_mul_hi_u32 s54, s13, s53
	s_mul_i32 s53, s13, s53
	s_add_u32 s31, s31, s53
	s_mul_hi_u32 s52, s13, s46
	s_addc_u32 s31, s47, s54
	s_addc_u32 s47, s52, 0
	s_mul_i32 s46, s13, s46
	s_add_u32 s31, s31, s46
	s_addc_u32 s46, 0, s47
	v_add_co_u32_e32 v2, vcc, s31, v2
	s_cmp_lg_u64 vcc, 0
	s_addc_u32 s13, s13, s46
	v_readfirstlane_b32 s46, v2
	s_mul_i32 s31, s6, s13
	s_mul_hi_u32 s47, s6, s46
	s_add_i32 s31, s47, s31
	s_mul_i32 s12, s12, s46
	s_add_i32 s31, s31, s12
	s_mul_i32 s6, s6, s46
	s_mul_hi_u32 s47, s13, s6
	s_mul_i32 s52, s13, s6
	s_mul_i32 s54, s46, s31
	s_mul_hi_u32 s6, s46, s6
	s_mul_hi_u32 s53, s46, s31
	s_add_u32 s6, s6, s54
	s_addc_u32 s46, 0, s53
	s_add_u32 s6, s6, s52
	s_mul_hi_u32 s12, s13, s31
	s_addc_u32 s6, s46, s47
	s_addc_u32 s12, s12, 0
	s_mul_i32 s31, s13, s31
	s_add_u32 s6, s6, s31
	s_addc_u32 s12, 0, s12
	v_add_co_u32_e32 v2, vcc, s6, v2
	s_cmp_lg_u64 vcc, 0
	s_addc_u32 s6, s13, s12
	v_readfirstlane_b32 s31, v2
	s_mul_i32 s13, s30, s6
	s_mul_hi_u32 s46, s30, s31
	s_mul_hi_u32 s12, s30, s6
	s_add_u32 s13, s46, s13
	s_addc_u32 s12, 0, s12
	s_mul_hi_u32 s47, s7, s31
	s_mul_i32 s31, s7, s31
	s_add_u32 s13, s13, s31
	s_mul_hi_u32 s46, s7, s6
	s_addc_u32 s12, s12, s47
	s_addc_u32 s13, s46, 0
	s_mul_i32 s6, s7, s6
	s_add_u32 s6, s12, s6
	s_addc_u32 s12, 0, s13
	s_mul_hi_u32 s13, s89, s6
	s_mul_i32 s6, s89, s6
	s_mul_i32 s12, s89, s12
	v_mov_b32_e32 v2, s6
	s_add_i32 s13, s13, s12
	v_sub_co_u32_e32 v2, vcc, s30, v2
	s_cmp_lg_u64 vcc, 0
	s_subb_u32 s6, s7, s13
	v_subrev_co_u32_e32 v3, vcc, s89, v2
	s_cmp_lg_u64 vcc, 0
	s_subb_u32 s12, s6, 0
	v_subrev_co_u32_e32 v6, vcc, s89, v3
	s_cmp_lg_u64 vcc, 0
	s_subb_u32 s13, s12, 0
	v_cmp_le_u32_e32 vcc, s89, v3
	s_cmp_eq_u32 s12, 0
	v_cndmask_b32_e64 v7, 0, -1, vcc
	s_cselect_b64 vcc, -1, 0
	v_cndmask_b32_e32 v7, -1, v7, vcc
	v_mov_b32_e32 v8, s12
	v_mov_b32_e32 v9, s13
	v_cmp_ne_u32_e32 vcc, 0, v7
	v_cndmask_b32_e32 v7, v8, v9, vcc
	v_cndmask_b32_e32 v6, v3, v6, vcc
	v_cmp_le_u32_e32 vcc, s89, v2
	s_cmp_eq_u32 s6, 0
	v_cndmask_b32_e64 v3, 0, -1, vcc
	s_cselect_b64 vcc, -1, 0
	v_cndmask_b32_e32 v3, -1, v3, vcc
	v_mov_b32_e32 v8, s6
	v_cmp_ne_u32_e32 vcc, 0, v3
	v_cndmask_b32_e32 v3, v8, v7, vcc
	v_cndmask_b32_e32 v2, v2, v6, vcc
	s_cbranch_execnz .LBB222_385
.LBB222_384:                            ;   in Loop: Header=BB222_18 Depth=1
	v_cvt_f32_u32_e32 v2, s89
	s_sub_i32 s6, 0, s89
	v_rcp_iflag_f32_e32 v2, v2
	v_mul_f32_e32 v2, 0x4f7ffffe, v2
	v_cvt_u32_f32_e32 v2, v2
	v_mul_lo_u32 v3, s6, v2
	v_mul_hi_u32 v3, v2, v3
	v_add_u32_e32 v2, v2, v3
	v_mul_hi_u32 v2, s30, v2
	v_mul_lo_u32 v2, v2, s89
	v_sub_u32_e32 v2, s30, v2
	v_subrev_u32_e32 v3, s89, v2
	v_cmp_le_u32_e32 vcc, s89, v2
	v_cndmask_b32_e32 v2, v2, v3, vcc
	v_subrev_u32_e32 v3, s89, v2
	v_cmp_le_u32_e32 vcc, s89, v2
	v_cndmask_b32_e32 v14, v2, v3, vcc
	v_pk_mov_b32 v[2:3], v[14:15], v[14:15] op_sel:[0,1]
.LBB222_385:                            ;   in Loop: Header=BB222_18 Depth=1
	v_mov_b32_e32 v6, s7
	v_sub_co_u32_e32 v2, vcc, s30, v2
	v_subb_co_u32_e32 v3, vcc, v6, v3, vcc
	v_cmp_gt_u64_e32 vcc, v[2:3], v[0:1]
	s_mov_b64 s[6:7], 0
                                        ; implicit-def: $vgpr39
	s_and_saveexec_b64 s[12:13], vcc
	s_cbranch_execz .LBB222_397
; %bb.386:                              ;   in Loop: Header=BB222_18 Depth=1
	s_mov_b64 s[30:31], 0
	v_mov_b32_e32 v8, v28
	v_pk_mov_b32 v[6:7], v[0:1], v[0:1] op_sel:[0,1]
                                        ; implicit-def: $sgpr46_sgpr47
	s_branch .LBB222_388
.LBB222_387:                            ;   in Loop: Header=BB222_388 Depth=2
	s_or_b64 exec, exec, s[6:7]
	s_waitcnt lgkmcnt(0)
	s_barrier
	ds_read_b32 v9, v15 offset:3072
	v_add_co_u32_e64 v6, s[6:7], s89, v6
	v_add_u32_e32 v8, s5, v8
	s_waitcnt lgkmcnt(0)
	v_and_b32_e32 v14, 0x7fff, v9
	v_cmp_ne_u16_e32 vcc, 0, v14
	v_mov_b32_e32 v14, s74
	v_addc_co_u32_e64 v7, s[6:7], v7, v14, s[6:7]
	v_cmp_ge_u64_e64 s[6:7], v[6:7], v[2:3]
	s_or_b64 s[6:7], s[6:7], vcc
	s_and_b64 s[6:7], exec, s[6:7]
	s_or_b64 s[30:31], s[6:7], s[30:31]
	s_andn2_b64 s[6:7], s[46:47], exec
	s_and_b64 s[46:47], vcc, exec
	s_or_b64 s[46:47], s[6:7], s[46:47]
	s_barrier
	s_andn2_b64 exec, exec, s[30:31]
	s_cbranch_execz .LBB222_396
.LBB222_388:                            ;   Parent Loop BB222_18 Depth=1
                                        ; =>  This Inner Loop Header: Depth=2
	v_cmp_gt_u64_e32 vcc, s[10:11], v[6:7]
	v_mov_b32_e32 v9, 0
	s_and_saveexec_b64 s[6:7], vcc
	s_cbranch_execz .LBB222_390
; %bb.389:                              ;   in Loop: Header=BB222_388 Depth=2
	ds_read_u16 v9, v8
.LBB222_390:                            ;   in Loop: Header=BB222_388 Depth=2
	s_or_b64 exec, exec, s[6:7]
	s_and_saveexec_b64 s[6:7], vcc
	s_cbranch_execz .LBB222_387
; %bb.391:                              ;   in Loop: Header=BB222_388 Depth=2
	s_waitcnt lgkmcnt(0)
	v_cmp_lt_i16_e32 vcc, -1, v9
	v_cndmask_b32_e32 v14, v32, v33, vcc
	v_lshlrev_b32_e32 v18, 16, v9
	v_xor_b32_sdwa v14, v14, v9 dst_sel:DWORD dst_unused:UNUSED_PAD src0_sel:DWORD src1_sel:WORD_0
	v_cmp_o_f32_e32 vcc, v18, v18
	v_cndmask_b32_e32 v14, v32, v14, vcc
	v_and_b32_e32 v14, v14, v37
	v_cmp_eq_u32_e32 vcc, v14, v38
	s_and_b64 exec, exec, vcc
	s_cbranch_execz .LBB222_387
; %bb.392:                              ;   in Loop: Header=BB222_388 Depth=2
	s_movk_i32 s52, 0x3f80
	v_perm_b32 v9, v9, s52, v36
	ds_write_b32 v15, v9 offset:3072
	s_branch .LBB222_387
.LBB222_393:                            ;   in Loop: Header=BB222_18 Depth=1
                                        ; implicit-def: $vgpr4_vgpr5
	s_branch .LBB222_338
.LBB222_394:                            ;   in Loop: Header=BB222_18 Depth=1
                                        ; implicit-def: $vgpr4_vgpr5
	s_branch .LBB222_354
.LBB222_395:                            ;   in Loop: Header=BB222_18 Depth=1
	s_mov_b64 s[30:31], -1
	s_mov_b64 s[6:7], 0
                                        ; implicit-def: $sgpr46_sgpr47
                                        ; implicit-def: $vgpr39
	s_mov_b64 s[92:93], s[30:31]
	s_cbranch_execnz .LBB222_398
	s_branch .LBB222_411
.LBB222_396:                            ;   in Loop: Header=BB222_18 Depth=1
	s_or_b64 exec, exec, s[30:31]
	v_lshrrev_b32_e32 v39, 16, v9
	s_and_b64 s[6:7], s[46:47], exec
.LBB222_397:                            ;   in Loop: Header=BB222_18 Depth=1
	s_or_b64 exec, exec, s[12:13]
	s_mov_b64 s[30:31], 0
	s_mov_b64 s[46:47], -1
	s_mov_b64 s[92:93], s[30:31]
	s_branch .LBB222_411
.LBB222_398:                            ;   in Loop: Header=BB222_18 Depth=1
	s_mov_b32 s72, s91
	s_cmp_lg_u64 s[72:73], 0
	s_cbranch_scc0 .LBB222_431
; %bb.399:                              ;   in Loop: Header=BB222_18 Depth=1
	v_cvt_f32_u32_e32 v2, s89
	s_sub_u32 s6, 0, s89
	s_subb_u32 s7, 0, 0
	v_mac_f32_e32 v2, 0, v34
	v_rcp_f32_e32 v2, v2
	v_mul_f32_e32 v2, 0x5f7ffffc, v2
	v_mul_f32_e32 v3, 0x2f800000, v2
	v_trunc_f32_e32 v3, v3
	v_mac_f32_e32 v2, 0xcf800000, v3
	v_cvt_u32_f32_e32 v3, v3
	v_cvt_u32_f32_e32 v2, v2
	v_readfirstlane_b32 s10, v3
	v_readfirstlane_b32 s11, v2
	s_mul_i32 s12, s6, s10
	s_mul_hi_u32 s30, s6, s11
	s_mul_i32 s13, s7, s11
	s_add_i32 s12, s30, s12
	s_mul_i32 s31, s6, s11
	s_add_i32 s12, s12, s13
	s_mul_hi_u32 s30, s11, s31
	s_mul_hi_u32 s13, s11, s12
	s_mul_i32 s11, s11, s12
	s_add_u32 s11, s30, s11
	s_addc_u32 s13, 0, s13
	s_mul_hi_u32 s46, s10, s31
	s_mul_i32 s31, s10, s31
	s_add_u32 s11, s11, s31
	s_mul_hi_u32 s30, s10, s12
	s_addc_u32 s11, s13, s46
	s_addc_u32 s13, s30, 0
	s_mul_i32 s12, s10, s12
	s_add_u32 s11, s11, s12
	s_addc_u32 s12, 0, s13
	v_add_co_u32_e32 v2, vcc, s11, v2
	s_cmp_lg_u64 vcc, 0
	s_addc_u32 s10, s10, s12
	v_readfirstlane_b32 s12, v2
	s_mul_i32 s11, s6, s10
	s_mul_hi_u32 s13, s6, s12
	s_add_i32 s11, s13, s11
	s_mul_i32 s7, s7, s12
	s_add_i32 s11, s11, s7
	s_mul_i32 s6, s6, s12
	s_mul_hi_u32 s13, s10, s6
	s_mul_i32 s30, s10, s6
	s_mul_i32 s46, s12, s11
	s_mul_hi_u32 s6, s12, s6
	s_mul_hi_u32 s31, s12, s11
	s_add_u32 s6, s6, s46
	s_addc_u32 s12, 0, s31
	s_add_u32 s6, s6, s30
	s_mul_hi_u32 s7, s10, s11
	s_addc_u32 s6, s12, s13
	s_addc_u32 s7, s7, 0
	s_mul_i32 s11, s10, s11
	s_add_u32 s6, s6, s11
	s_addc_u32 s7, 0, s7
	v_add_co_u32_e32 v2, vcc, s6, v2
	s_cmp_lg_u64 vcc, 0
	s_addc_u32 s6, s10, s7
	v_readlane_b32 s30, v49, 53
	v_readfirstlane_b32 s11, v2
	s_mul_i32 s10, s30, s6
	s_mul_hi_u32 s12, s30, s11
	s_mul_hi_u32 s7, s30, s6
	s_add_u32 s10, s12, s10
	s_addc_u32 s7, 0, s7
	s_mul_hi_u32 s13, s73, s11
	s_mul_i32 s11, s73, s11
	s_add_u32 s10, s10, s11
	s_mul_hi_u32 s12, s73, s6
	s_addc_u32 s7, s7, s13
	s_addc_u32 s10, s12, 0
	s_mul_i32 s6, s73, s6
	s_add_u32 s6, s7, s6
	s_addc_u32 s7, 0, s10
	s_mul_hi_u32 s10, s89, s6
	s_mul_i32 s6, s89, s6
	s_mul_i32 s7, s89, s7
	v_mov_b32_e32 v2, s6
	s_add_i32 s10, s10, s7
	v_sub_co_u32_e32 v2, vcc, s30, v2
	s_cmp_lg_u64 vcc, 0
	s_subb_u32 s6, s73, s10
	v_subrev_co_u32_e32 v3, vcc, s89, v2
	s_cmp_lg_u64 vcc, 0
	s_subb_u32 s7, s6, 0
	v_subrev_co_u32_e32 v6, vcc, s89, v3
	s_cmp_lg_u64 vcc, 0
	s_subb_u32 s10, s7, 0
	v_cmp_le_u32_e32 vcc, s89, v3
	s_cmp_eq_u32 s7, 0
	v_cndmask_b32_e64 v7, 0, -1, vcc
	s_cselect_b64 vcc, -1, 0
	v_cndmask_b32_e32 v7, -1, v7, vcc
	v_mov_b32_e32 v8, s7
	v_mov_b32_e32 v9, s10
	v_cmp_ne_u32_e32 vcc, 0, v7
	v_cndmask_b32_e32 v7, v8, v9, vcc
	v_cndmask_b32_e32 v6, v3, v6, vcc
	v_cmp_le_u32_e32 vcc, s89, v2
	s_cmp_eq_u32 s6, 0
	v_cndmask_b32_e64 v3, 0, -1, vcc
	s_cselect_b64 vcc, -1, 0
	v_cndmask_b32_e32 v3, -1, v3, vcc
	v_mov_b32_e32 v8, s6
	v_cmp_ne_u32_e32 vcc, 0, v3
	v_cndmask_b32_e32 v3, v8, v7, vcc
	v_cndmask_b32_e32 v2, v2, v6, vcc
	s_cbranch_execnz .LBB222_401
.LBB222_400:                            ;   in Loop: Header=BB222_18 Depth=1
	v_cvt_f32_u32_e32 v2, s89
	s_sub_i32 s6, 0, s89
	v_rcp_iflag_f32_e32 v2, v2
	v_mul_f32_e32 v2, 0x4f7ffffe, v2
	v_cvt_u32_f32_e32 v2, v2
	v_mul_lo_u32 v3, s6, v2
	v_mul_hi_u32 v3, v2, v3
	v_add_u32_e32 v2, v2, v3
	v_readlane_b32 s6, v49, 53
	v_mul_hi_u32 v2, s6, v2
	v_mul_lo_u32 v2, v2, s89
	v_sub_u32_e32 v2, s6, v2
	v_subrev_u32_e32 v3, s89, v2
	v_cmp_le_u32_e32 vcc, s89, v2
	v_cndmask_b32_e32 v2, v2, v3, vcc
	v_subrev_u32_e32 v3, s89, v2
	v_cmp_le_u32_e32 vcc, s89, v2
	v_cndmask_b32_e32 v14, v2, v3, vcc
	v_pk_mov_b32 v[2:3], v[14:15], v[14:15] op_sel:[0,1]
.LBB222_401:                            ;   in Loop: Header=BB222_18 Depth=1
	v_readlane_b32 s6, v49, 53
	v_mov_b32_e32 v6, s73
	v_sub_co_u32_e32 v2, vcc, s6, v2
	v_subb_co_u32_e32 v3, vcc, v6, v3, vcc
	v_cmp_gt_u64_e32 vcc, v[2:3], v[0:1]
	s_mov_b64 s[6:7], 0
                                        ; implicit-def: $vgpr39
	s_and_saveexec_b64 s[10:11], vcc
	s_cbranch_execz .LBB222_410
; %bb.402:                              ;   in Loop: Header=BB222_18 Depth=1
	s_mov_b64 s[12:13], 0
	v_pk_mov_b32 v[6:7], v[0:1], v[0:1] op_sel:[0,1]
                                        ; implicit-def: $sgpr30_sgpr31
	s_branch .LBB222_404
.LBB222_403:                            ;   in Loop: Header=BB222_404 Depth=2
	s_or_b64 exec, exec, s[6:7]
	s_waitcnt lgkmcnt(0)
	s_barrier
	s_waitcnt vmcnt(0)
	ds_read_b32 v8, v15 offset:3072
	v_add_co_u32_e64 v6, s[6:7], s89, v6
	s_waitcnt lgkmcnt(0)
	s_barrier
	v_and_b32_e32 v9, 0x7fff, v8
	v_cmp_ne_u16_e32 vcc, 0, v9
	v_mov_b32_e32 v9, s74
	v_addc_co_u32_e64 v7, s[6:7], v7, v9, s[6:7]
	v_cmp_ge_u64_e64 s[6:7], v[6:7], v[2:3]
	s_or_b64 s[6:7], s[6:7], vcc
	s_and_b64 s[6:7], exec, s[6:7]
	s_or_b64 s[12:13], s[6:7], s[12:13]
	s_andn2_b64 s[6:7], s[30:31], exec
	s_and_b64 s[30:31], vcc, exec
	s_or_b64 s[30:31], s[6:7], s[30:31]
	s_andn2_b64 exec, exec, s[12:13]
	s_cbranch_execz .LBB222_409
.LBB222_404:                            ;   Parent Loop BB222_18 Depth=1
                                        ; =>  This Inner Loop Header: Depth=2
	v_cmp_gt_u64_e32 vcc, s[60:61], v[6:7]
	v_mov_b32_e32 v8, 0
	s_and_saveexec_b64 s[46:47], vcc
	s_cbranch_execz .LBB222_406
; %bb.405:                              ;   in Loop: Header=BB222_404 Depth=2
	v_mul_lo_u32 v14, v7, s58
	v_mul_lo_u32 v18, v6, s59
	v_mad_u64_u32 v[8:9], s[6:7], v6, s58, 0
	v_add3_u32 v9, v9, v18, v14
	v_lshlrev_b64 v[8:9], 1, v[8:9]
	v_mov_b32_e32 v14, s88
	v_add_co_u32_e64 v8, s[6:7], s33, v8
	v_addc_co_u32_e64 v9, s[6:7], v14, v9, s[6:7]
	global_load_ushort v8, v[8:9], off
.LBB222_406:                            ;   in Loop: Header=BB222_404 Depth=2
	s_or_b64 exec, exec, s[46:47]
	s_and_saveexec_b64 s[6:7], vcc
	s_cbranch_execz .LBB222_403
; %bb.407:                              ;   in Loop: Header=BB222_404 Depth=2
	s_waitcnt vmcnt(0)
	v_cmp_lt_i16_e32 vcc, -1, v8
	v_cndmask_b32_e32 v9, v32, v33, vcc
	v_lshlrev_b32_e32 v14, 16, v8
	v_xor_b32_sdwa v9, v9, v8 dst_sel:DWORD dst_unused:UNUSED_PAD src0_sel:DWORD src1_sel:WORD_0
	v_cmp_o_f32_e32 vcc, v14, v14
	v_cndmask_b32_e32 v9, v32, v9, vcc
	v_and_b32_e32 v9, v9, v37
	v_cmp_eq_u32_e32 vcc, v9, v38
	s_and_b64 exec, exec, vcc
	s_cbranch_execz .LBB222_403
; %bb.408:                              ;   in Loop: Header=BB222_404 Depth=2
	s_movk_i32 s46, 0x3f80
	v_perm_b32 v8, v8, s46, v36
	ds_write_b32 v15, v8 offset:3072
	s_branch .LBB222_403
.LBB222_409:                            ;   in Loop: Header=BB222_18 Depth=1
	s_or_b64 exec, exec, s[12:13]
	v_lshrrev_b32_e32 v39, 16, v8
	s_and_b64 s[6:7], s[30:31], exec
.LBB222_410:                            ;   in Loop: Header=BB222_18 Depth=1
	s_or_b64 exec, exec, s[10:11]
	s_mov_b64 s[46:47], 0
	s_mov_b64 s[30:31], -1
	s_mov_b64 s[92:93], 0
.LBB222_411:                            ;   in Loop: Header=BB222_18 Depth=1
	s_orn2_b64 s[10:11], s[6:7], exec
.LBB222_412:                            ;   in Loop: Header=BB222_18 Depth=1
	s_or_b64 exec, exec, s[50:51]
	s_mov_b64 s[6:7], 0
                                        ; implicit-def: $vgpr7
	s_and_saveexec_b64 s[50:51], s[10:11]
	s_cbranch_execz .LBB222_477
; %bb.413:                              ;   in Loop: Header=BB222_18 Depth=1
	v_mov_b32_e32 v2, 1
	s_xor_b64 s[8:9], s[8:9], -1
	s_mov_b64 s[52:53], 0
	v_mov_b32_e32 v3, 0
	v_mov_b32_e32 v7, 1
	s_and_saveexec_b64 s[6:7], s[8:9]
	s_cbranch_execz .LBB222_423
; %bb.414:                              ;   in Loop: Header=BB222_18 Depth=1
	v_cmp_ge_u64_e32 vcc, s[18:19], v[4:5]
                                        ; implicit-def: $sgpr12
                                        ; implicit-def: $sgpr8_sgpr9
	s_and_saveexec_b64 s[10:11], vcc
	s_xor_b64 s[10:11], exec, s[10:11]
	s_cbranch_execz .LBB222_420
; %bb.415:                              ;   in Loop: Header=BB222_18 Depth=1
	ds_read_b64 v[2:3], v15 offset:5120
	s_waitcnt lgkmcnt(0)
	v_cmp_ne_u64_e32 vcc, 0, v[2:3]
	s_cbranch_vccnz .LBB222_419
; %bb.416:                              ;   in Loop: Header=BB222_18 Depth=1
	s_mov_b64 s[8:9], exec
	v_readlane_b32 s12, v49, 32
	v_readlane_b32 s13, v49, 33
	s_and_b64 s[12:13], s[8:9], s[12:13]
	s_mov_b64 exec, s[12:13]
	s_cbranch_execz .LBB222_418
; %bb.417:                              ;   in Loop: Header=BB222_18 Depth=1
	v_pk_mov_b32 v[2:3], s[18:19], s[18:19] op_sel:[0,1]
	ds_write_b64 v15, v[2:3] offset:5128
.LBB222_418:                            ;   in Loop: Header=BB222_18 Depth=1
	s_or_b64 exec, exec, s[8:9]
	s_waitcnt lgkmcnt(0)
	s_barrier
.LBB222_419:                            ;   in Loop: Header=BB222_18 Depth=1
	v_and_b32_e32 v2, s48, v38
	v_lshl_or_b32 v38, 1, s49, v2
	v_or_b32_e32 v37, s90, v37
	s_mov_b64 s[8:9], 0
	s_mov_b32 s12, 5
.LBB222_420:                            ;   in Loop: Header=BB222_18 Depth=1
	s_or_saveexec_b64 s[10:11], s[10:11]
	v_mov_b32_e32 v7, s12
	s_xor_b64 exec, exec, s[10:11]
; %bb.421:                              ;   in Loop: Header=BB222_18 Depth=1
	v_mov_b32_e32 v2, s19
	v_subrev_co_u32_e32 v4, vcc, s18, v4
	v_subb_co_u32_e32 v5, vcc, v5, v2, vcc
	v_mov_b32_e32 v7, 0
	s_or_b64 s[8:9], s[8:9], exec
; %bb.422:                              ;   in Loop: Header=BB222_18 Depth=1
	s_or_b64 exec, exec, s[10:11]
	s_and_b64 s[52:53], s[8:9], exec
	v_pk_mov_b32 v[2:3], v[4:5], v[4:5] op_sel:[0,1]
.LBB222_423:                            ;   in Loop: Header=BB222_18 Depth=1
	s_or_b64 exec, exec, s[6:7]
	s_mov_b64 s[8:9], -1
                                        ; implicit-def: $sgpr6_sgpr7
                                        ; implicit-def: $sgpr10_sgpr11
                                        ; implicit-def: $sgpr12_sgpr13
	s_and_saveexec_b64 s[18:19], s[52:53]
	s_cbranch_execz .LBB222_476
; %bb.424:                              ;   in Loop: Header=BB222_18 Depth=1
	s_cmp_eq_u64 s[16:17], 1
	s_cselect_b64 s[6:7], -1, 0
	v_cmp_eq_u64_e32 vcc, 1, v[2:3]
	s_and_b64 s[8:9], s[6:7], vcc
	s_mov_b64 s[54:55], -1
                                        ; implicit-def: $sgpr6_sgpr7
                                        ; implicit-def: $sgpr10_sgpr11
                                        ; implicit-def: $sgpr12_sgpr13
	s_and_saveexec_b64 s[52:53], s[8:9]
	s_cbranch_execz .LBB222_463
; %bb.425:                              ;   in Loop: Header=BB222_18 Depth=1
	ds_read_b64 v[4:5], v15 offset:5120
	s_waitcnt lgkmcnt(0)
	s_barrier
	v_readfirstlane_b32 s10, v4
	v_readfirstlane_b32 s11, v5
	s_mov_b64 s[6:7], exec
	v_readlane_b32 s12, v49, 48
	v_readlane_b32 s13, v49, 49
	s_and_b64 s[12:13], s[6:7], s[12:13]
	s_mov_b64 exec, s[12:13]
	s_cbranch_execz .LBB222_427
; %bb.426:                              ;   in Loop: Header=BB222_18 Depth=1
	ds_write_b16 v29, v15
.LBB222_427:                            ;   in Loop: Header=BB222_18 Depth=1
	s_or_b64 exec, exec, s[6:7]
	v_and_b32_e32 v38, s48, v38
	v_or_b32_e32 v37, s90, v37
	s_cmp_eq_u64 s[10:11], 0
	s_waitcnt lgkmcnt(0)
	s_barrier
	s_cbranch_scc1 .LBB222_432
; %bb.428:                              ;   in Loop: Header=BB222_18 Depth=1
	v_readlane_b32 s6, v49, 52
	s_add_u32 s49, s6, s10
	v_readlane_b32 s6, v49, 54
	s_addc_u32 s7, s6, s11
	s_mov_b32 s6, s91
	s_cmp_lg_u64 s[6:7], 0
	s_cbranch_scc0 .LBB222_433
; %bb.429:                              ;   in Loop: Header=BB222_18 Depth=1
	v_cvt_f32_u32_e32 v4, s89
	s_sub_u32 s6, 0, s89
	s_subb_u32 s12, 0, 0
	v_mac_f32_e32 v4, 0, v34
	v_rcp_f32_e32 v4, v4
	v_mul_f32_e32 v4, 0x5f7ffffc, v4
	v_mul_f32_e32 v5, 0x2f800000, v4
	v_trunc_f32_e32 v5, v5
	v_mac_f32_e32 v4, 0xcf800000, v5
	v_cvt_u32_f32_e32 v5, v5
	v_cvt_u32_f32_e32 v4, v4
	v_readfirstlane_b32 s13, v5
	v_readfirstlane_b32 s54, v4
	s_mul_i32 s55, s6, s13
	s_mul_hi_u32 s57, s6, s54
	s_mul_i32 s56, s12, s54
	s_add_i32 s55, s57, s55
	s_mul_i32 s72, s6, s54
	s_add_i32 s55, s55, s56
	s_mul_hi_u32 s57, s54, s72
	s_mul_hi_u32 s56, s54, s55
	s_mul_i32 s54, s54, s55
	s_add_u32 s54, s57, s54
	s_addc_u32 s56, 0, s56
	s_mul_hi_u32 s94, s13, s72
	s_mul_i32 s72, s13, s72
	s_add_u32 s54, s54, s72
	s_mul_hi_u32 s57, s13, s55
	s_addc_u32 s54, s56, s94
	s_addc_u32 s56, s57, 0
	s_mul_i32 s55, s13, s55
	s_add_u32 s54, s54, s55
	s_addc_u32 s55, 0, s56
	v_add_co_u32_e32 v4, vcc, s54, v4
	s_cmp_lg_u64 vcc, 0
	s_addc_u32 s13, s13, s55
	v_readfirstlane_b32 s55, v4
	s_mul_i32 s54, s6, s13
	s_mul_hi_u32 s56, s6, s55
	s_add_i32 s54, s56, s54
	s_mul_i32 s12, s12, s55
	s_add_i32 s54, s54, s12
	s_mul_i32 s6, s6, s55
	s_mul_hi_u32 s56, s13, s6
	s_mul_i32 s57, s13, s6
	s_mul_i32 s94, s55, s54
	s_mul_hi_u32 s6, s55, s6
	s_mul_hi_u32 s72, s55, s54
	s_add_u32 s6, s6, s94
	s_addc_u32 s55, 0, s72
	s_add_u32 s6, s6, s57
	s_mul_hi_u32 s12, s13, s54
	s_addc_u32 s6, s55, s56
	s_addc_u32 s12, s12, 0
	s_mul_i32 s54, s13, s54
	s_add_u32 s6, s6, s54
	s_addc_u32 s12, 0, s12
	v_add_co_u32_e32 v4, vcc, s6, v4
	s_cmp_lg_u64 vcc, 0
	s_addc_u32 s6, s13, s12
	v_readfirstlane_b32 s54, v4
	s_mul_i32 s13, s49, s6
	s_mul_hi_u32 s55, s49, s54
	s_mul_hi_u32 s12, s49, s6
	s_add_u32 s13, s55, s13
	s_addc_u32 s12, 0, s12
	s_mul_hi_u32 s56, s7, s54
	s_mul_i32 s54, s7, s54
	s_add_u32 s13, s13, s54
	s_mul_hi_u32 s55, s7, s6
	s_addc_u32 s12, s12, s56
	s_addc_u32 s13, s55, 0
	s_mul_i32 s6, s7, s6
	s_add_u32 s6, s12, s6
	s_addc_u32 s12, 0, s13
	s_mul_hi_u32 s13, s89, s6
	s_mul_i32 s6, s89, s6
	s_mul_i32 s12, s89, s12
	v_mov_b32_e32 v4, s6
	s_add_i32 s13, s13, s12
	v_sub_co_u32_e32 v4, vcc, s49, v4
	s_cmp_lg_u64 vcc, 0
	s_subb_u32 s6, s7, s13
	v_subrev_co_u32_e32 v5, vcc, s89, v4
	s_cmp_lg_u64 vcc, 0
	s_subb_u32 s12, s6, 0
	v_subrev_co_u32_e32 v6, vcc, s89, v5
	s_cmp_lg_u64 vcc, 0
	s_subb_u32 s13, s12, 0
	v_cmp_le_u32_e32 vcc, s89, v5
	s_cmp_eq_u32 s12, 0
	v_cndmask_b32_e64 v7, 0, -1, vcc
	s_cselect_b64 vcc, -1, 0
	v_cndmask_b32_e32 v7, -1, v7, vcc
	v_mov_b32_e32 v8, s12
	v_mov_b32_e32 v9, s13
	v_cmp_ne_u32_e32 vcc, 0, v7
	v_cndmask_b32_e32 v7, v8, v9, vcc
	v_cndmask_b32_e32 v6, v5, v6, vcc
	v_cmp_le_u32_e32 vcc, s89, v4
	s_cmp_eq_u32 s6, 0
	v_cndmask_b32_e64 v5, 0, -1, vcc
	s_cselect_b64 vcc, -1, 0
	v_cndmask_b32_e32 v5, -1, v5, vcc
	v_mov_b32_e32 v8, s6
	v_cmp_ne_u32_e32 vcc, 0, v5
	v_cndmask_b32_e32 v5, v8, v7, vcc
	v_cndmask_b32_e32 v4, v4, v6, vcc
	s_mov_b64 s[12:13], 0
	s_branch .LBB222_434
.LBB222_430:                            ;   in Loop: Header=BB222_18 Depth=1
                                        ; implicit-def: $vgpr2_vgpr3
	s_branch .LBB222_384
.LBB222_431:                            ;   in Loop: Header=BB222_18 Depth=1
                                        ; implicit-def: $vgpr2_vgpr3
	s_branch .LBB222_400
.LBB222_432:                            ;   in Loop: Header=BB222_18 Depth=1
	s_mov_b64 s[6:7], -1
	s_mov_b64 s[54:55], 0
                                        ; implicit-def: $sgpr10_sgpr11
                                        ; implicit-def: $vgpr39
	s_branch .LBB222_446
.LBB222_433:                            ;   in Loop: Header=BB222_18 Depth=1
	s_mov_b64 s[12:13], -1
                                        ; implicit-def: $vgpr4_vgpr5
.LBB222_434:                            ;   in Loop: Header=BB222_18 Depth=1
	s_andn2_b64 vcc, exec, s[12:13]
	s_cbranch_vccnz .LBB222_436
; %bb.435:                              ;   in Loop: Header=BB222_18 Depth=1
	v_cvt_f32_u32_e32 v4, s89
	s_sub_i32 s6, 0, s89
	v_rcp_iflag_f32_e32 v4, v4
	v_mul_f32_e32 v4, 0x4f7ffffe, v4
	v_cvt_u32_f32_e32 v4, v4
	v_mul_lo_u32 v5, s6, v4
	v_mul_hi_u32 v5, v4, v5
	v_add_u32_e32 v4, v4, v5
	v_mul_hi_u32 v4, s49, v4
	v_mul_lo_u32 v4, v4, s89
	v_sub_u32_e32 v4, s49, v4
	v_subrev_u32_e32 v5, s89, v4
	v_cmp_le_u32_e32 vcc, s89, v4
	v_cndmask_b32_e32 v4, v4, v5, vcc
	v_subrev_u32_e32 v5, s89, v4
	v_cmp_le_u32_e32 vcc, s89, v4
	v_cndmask_b32_e32 v14, v4, v5, vcc
	v_pk_mov_b32 v[4:5], v[14:15], v[14:15] op_sel:[0,1]
.LBB222_436:                            ;   in Loop: Header=BB222_18 Depth=1
	v_mov_b32_e32 v6, s7
	v_sub_co_u32_e32 v4, vcc, s49, v4
	v_subb_co_u32_e32 v5, vcc, v6, v5, vcc
	v_cmp_gt_u64_e32 vcc, v[4:5], v[0:1]
	s_mov_b64 s[54:55], 0
                                        ; implicit-def: $vgpr39
	s_and_saveexec_b64 s[12:13], vcc
	s_cbranch_execz .LBB222_445
; %bb.437:                              ;   in Loop: Header=BB222_18 Depth=1
	v_mov_b32_e32 v8, v28
	v_pk_mov_b32 v[6:7], v[0:1], v[0:1] op_sel:[0,1]
                                        ; implicit-def: $sgpr56_sgpr57
	s_branch .LBB222_439
.LBB222_438:                            ;   in Loop: Header=BB222_439 Depth=2
	s_or_b64 exec, exec, s[6:7]
	s_waitcnt lgkmcnt(0)
	s_barrier
	ds_read_b32 v9, v15 offset:3072
	v_add_co_u32_e64 v6, s[6:7], s89, v6
	v_add_u32_e32 v8, s5, v8
	s_waitcnt lgkmcnt(0)
	v_and_b32_e32 v14, 0x7fff, v9
	v_cmp_ne_u16_e32 vcc, 0, v14
	v_mov_b32_e32 v14, s74
	v_addc_co_u32_e64 v7, s[6:7], v7, v14, s[6:7]
	v_cmp_ge_u64_e64 s[6:7], v[6:7], v[4:5]
	s_or_b64 s[6:7], s[6:7], vcc
	s_and_b64 s[6:7], exec, s[6:7]
	s_or_b64 s[54:55], s[6:7], s[54:55]
	s_andn2_b64 s[6:7], s[56:57], exec
	s_and_b64 s[56:57], vcc, exec
	s_or_b64 s[56:57], s[6:7], s[56:57]
	s_barrier
	s_andn2_b64 exec, exec, s[54:55]
	s_cbranch_execz .LBB222_444
.LBB222_439:                            ;   Parent Loop BB222_18 Depth=1
                                        ; =>  This Inner Loop Header: Depth=2
	v_cmp_gt_u64_e32 vcc, s[10:11], v[6:7]
	v_mov_b32_e32 v9, 0
	s_and_saveexec_b64 s[6:7], vcc
	s_cbranch_execz .LBB222_441
; %bb.440:                              ;   in Loop: Header=BB222_439 Depth=2
	ds_read_u16 v9, v8
.LBB222_441:                            ;   in Loop: Header=BB222_439 Depth=2
	s_or_b64 exec, exec, s[6:7]
	s_and_saveexec_b64 s[6:7], vcc
	s_cbranch_execz .LBB222_438
; %bb.442:                              ;   in Loop: Header=BB222_439 Depth=2
	s_waitcnt lgkmcnt(0)
	v_cmp_lt_i16_e32 vcc, -1, v9
	v_cndmask_b32_e32 v14, v32, v33, vcc
	v_lshlrev_b32_e32 v18, 16, v9
	v_xor_b32_sdwa v14, v14, v9 dst_sel:DWORD dst_unused:UNUSED_PAD src0_sel:DWORD src1_sel:WORD_0
	v_cmp_o_f32_e32 vcc, v18, v18
	v_cndmask_b32_e32 v14, v32, v14, vcc
	v_and_b32_e32 v14, v14, v37
	v_cmp_eq_u32_e32 vcc, v14, v38
	s_and_b64 exec, exec, vcc
	s_cbranch_execz .LBB222_438
; %bb.443:                              ;   in Loop: Header=BB222_439 Depth=2
	s_movk_i32 s49, 0x3f80
	v_perm_b32 v9, v9, s49, v36
	ds_write_b32 v15, v9 offset:3072
	s_branch .LBB222_438
.LBB222_444:                            ;   in Loop: Header=BB222_18 Depth=1
	s_or_b64 exec, exec, s[54:55]
	v_lshrrev_b32_e32 v39, 16, v9
	s_and_b64 s[54:55], s[56:57], exec
.LBB222_445:                            ;   in Loop: Header=BB222_18 Depth=1
	s_or_b64 exec, exec, s[12:13]
	s_mov_b64 s[6:7], 0
	s_mov_b64 s[10:11], -1
.LBB222_446:                            ;   in Loop: Header=BB222_18 Depth=1
	s_and_b64 vcc, exec, s[6:7]
	s_mov_b64 s[12:13], s[6:7]
	s_cbranch_vccz .LBB222_462
; %bb.447:                              ;   in Loop: Header=BB222_18 Depth=1
	s_mov_b32 s72, s91
	s_cmp_lg_u64 s[72:73], 0
	s_cbranch_scc0 .LBB222_449
; %bb.448:                              ;   in Loop: Header=BB222_18 Depth=1
	v_cvt_f32_u32_e32 v4, s89
	s_sub_u32 s6, 0, s89
	s_subb_u32 s7, 0, 0
	v_mac_f32_e32 v4, 0, v34
	v_rcp_f32_e32 v4, v4
	v_mul_f32_e32 v4, 0x5f7ffffc, v4
	v_mul_f32_e32 v5, 0x2f800000, v4
	v_trunc_f32_e32 v5, v5
	v_mac_f32_e32 v4, 0xcf800000, v5
	v_cvt_u32_f32_e32 v5, v5
	v_cvt_u32_f32_e32 v4, v4
	v_readfirstlane_b32 s10, v5
	v_readfirstlane_b32 s11, v4
	s_mul_i32 s12, s6, s10
	s_mul_hi_u32 s49, s6, s11
	s_mul_i32 s13, s7, s11
	s_add_i32 s12, s49, s12
	s_mul_i32 s54, s6, s11
	s_add_i32 s12, s12, s13
	s_mul_hi_u32 s49, s11, s54
	s_mul_hi_u32 s13, s11, s12
	s_mul_i32 s11, s11, s12
	s_add_u32 s11, s49, s11
	s_addc_u32 s13, 0, s13
	s_mul_hi_u32 s55, s10, s54
	s_mul_i32 s54, s10, s54
	s_add_u32 s11, s11, s54
	s_mul_hi_u32 s49, s10, s12
	s_addc_u32 s11, s13, s55
	s_addc_u32 s13, s49, 0
	s_mul_i32 s12, s10, s12
	s_add_u32 s11, s11, s12
	s_addc_u32 s12, 0, s13
	v_add_co_u32_e32 v4, vcc, s11, v4
	s_cmp_lg_u64 vcc, 0
	s_addc_u32 s10, s10, s12
	v_readfirstlane_b32 s12, v4
	s_mul_i32 s11, s6, s10
	s_mul_hi_u32 s13, s6, s12
	s_add_i32 s11, s13, s11
	s_mul_i32 s7, s7, s12
	s_add_i32 s11, s11, s7
	s_mul_i32 s6, s6, s12
	s_mul_hi_u32 s13, s10, s6
	s_mul_i32 s49, s10, s6
	s_mul_i32 s55, s12, s11
	s_mul_hi_u32 s6, s12, s6
	s_mul_hi_u32 s54, s12, s11
	s_add_u32 s6, s6, s55
	s_addc_u32 s12, 0, s54
	s_add_u32 s6, s6, s49
	s_mul_hi_u32 s7, s10, s11
	s_addc_u32 s6, s12, s13
	s_addc_u32 s7, s7, 0
	s_mul_i32 s11, s10, s11
	s_add_u32 s6, s6, s11
	s_addc_u32 s7, 0, s7
	v_add_co_u32_e32 v4, vcc, s6, v4
	s_cmp_lg_u64 vcc, 0
	s_addc_u32 s6, s10, s7
	v_readlane_b32 s49, v49, 53
	v_readfirstlane_b32 s11, v4
	s_mul_i32 s10, s49, s6
	s_mul_hi_u32 s12, s49, s11
	s_mul_hi_u32 s7, s49, s6
	s_add_u32 s10, s12, s10
	s_addc_u32 s7, 0, s7
	s_mul_hi_u32 s13, s73, s11
	s_mul_i32 s11, s73, s11
	s_add_u32 s10, s10, s11
	s_mul_hi_u32 s12, s73, s6
	s_addc_u32 s7, s7, s13
	s_addc_u32 s10, s12, 0
	s_mul_i32 s6, s73, s6
	s_add_u32 s6, s7, s6
	s_addc_u32 s7, 0, s10
	s_mul_hi_u32 s10, s89, s6
	s_mul_i32 s6, s89, s6
	s_mul_i32 s7, s89, s7
	v_mov_b32_e32 v4, s6
	s_add_i32 s10, s10, s7
	v_sub_co_u32_e32 v4, vcc, s49, v4
	s_cmp_lg_u64 vcc, 0
	s_subb_u32 s6, s73, s10
	v_subrev_co_u32_e32 v5, vcc, s89, v4
	s_cmp_lg_u64 vcc, 0
	s_subb_u32 s7, s6, 0
	v_subrev_co_u32_e32 v6, vcc, s89, v5
	s_cmp_lg_u64 vcc, 0
	s_subb_u32 s10, s7, 0
	v_cmp_le_u32_e32 vcc, s89, v5
	s_cmp_eq_u32 s7, 0
	v_cndmask_b32_e64 v7, 0, -1, vcc
	s_cselect_b64 vcc, -1, 0
	v_cndmask_b32_e32 v7, -1, v7, vcc
	v_mov_b32_e32 v8, s7
	v_mov_b32_e32 v9, s10
	v_cmp_ne_u32_e32 vcc, 0, v7
	v_cndmask_b32_e32 v7, v8, v9, vcc
	v_cndmask_b32_e32 v6, v5, v6, vcc
	v_cmp_le_u32_e32 vcc, s89, v4
	s_cmp_eq_u32 s6, 0
	v_cndmask_b32_e64 v5, 0, -1, vcc
	s_cselect_b64 vcc, -1, 0
	v_cndmask_b32_e32 v5, -1, v5, vcc
	v_mov_b32_e32 v8, s6
	v_cmp_ne_u32_e32 vcc, 0, v5
	v_cndmask_b32_e32 v5, v8, v7, vcc
	v_cndmask_b32_e32 v4, v4, v6, vcc
	s_mov_b64 s[6:7], 0
	s_branch .LBB222_450
.LBB222_449:                            ;   in Loop: Header=BB222_18 Depth=1
	s_mov_b64 s[6:7], -1
                                        ; implicit-def: $vgpr4_vgpr5
.LBB222_450:                            ;   in Loop: Header=BB222_18 Depth=1
	s_andn2_b64 vcc, exec, s[6:7]
	s_cbranch_vccnz .LBB222_452
; %bb.451:                              ;   in Loop: Header=BB222_18 Depth=1
	v_cvt_f32_u32_e32 v4, s89
	s_sub_i32 s6, 0, s89
	v_rcp_iflag_f32_e32 v4, v4
	v_mul_f32_e32 v4, 0x4f7ffffe, v4
	v_cvt_u32_f32_e32 v4, v4
	v_mul_lo_u32 v5, s6, v4
	v_mul_hi_u32 v5, v4, v5
	v_add_u32_e32 v4, v4, v5
	v_readlane_b32 s6, v49, 53
	v_mul_hi_u32 v4, s6, v4
	v_mul_lo_u32 v4, v4, s89
	v_sub_u32_e32 v4, s6, v4
	v_subrev_u32_e32 v5, s89, v4
	v_cmp_le_u32_e32 vcc, s89, v4
	v_cndmask_b32_e32 v4, v4, v5, vcc
	v_subrev_u32_e32 v5, s89, v4
	v_cmp_le_u32_e32 vcc, s89, v4
	v_cndmask_b32_e32 v14, v4, v5, vcc
	v_pk_mov_b32 v[4:5], v[14:15], v[14:15] op_sel:[0,1]
.LBB222_452:                            ;   in Loop: Header=BB222_18 Depth=1
	v_readlane_b32 s6, v49, 53
	v_mov_b32_e32 v6, s73
	v_sub_co_u32_e32 v4, vcc, s6, v4
	v_subb_co_u32_e32 v5, vcc, v6, v5, vcc
	v_cmp_gt_u64_e32 vcc, v[4:5], v[0:1]
	s_mov_b64 s[54:55], 0
                                        ; implicit-def: $vgpr39
	s_and_saveexec_b64 s[10:11], vcc
	s_cbranch_execz .LBB222_461
; %bb.453:                              ;   in Loop: Header=BB222_18 Depth=1
	s_mov_b64 s[12:13], 0
	v_pk_mov_b32 v[6:7], v[0:1], v[0:1] op_sel:[0,1]
                                        ; implicit-def: $sgpr54_sgpr55
	s_branch .LBB222_455
.LBB222_454:                            ;   in Loop: Header=BB222_455 Depth=2
	s_or_b64 exec, exec, s[6:7]
	s_waitcnt lgkmcnt(0)
	s_barrier
	s_waitcnt vmcnt(0)
	ds_read_b32 v8, v15 offset:3072
	v_add_co_u32_e64 v6, s[6:7], s89, v6
	s_waitcnt lgkmcnt(0)
	s_barrier
	v_and_b32_e32 v9, 0x7fff, v8
	v_cmp_ne_u16_e32 vcc, 0, v9
	v_mov_b32_e32 v9, s74
	v_addc_co_u32_e64 v7, s[6:7], v7, v9, s[6:7]
	v_cmp_ge_u64_e64 s[6:7], v[6:7], v[4:5]
	s_or_b64 s[6:7], s[6:7], vcc
	s_and_b64 s[6:7], exec, s[6:7]
	s_or_b64 s[12:13], s[6:7], s[12:13]
	s_andn2_b64 s[6:7], s[54:55], exec
	s_and_b64 s[54:55], vcc, exec
	s_or_b64 s[54:55], s[6:7], s[54:55]
	s_andn2_b64 exec, exec, s[12:13]
	s_cbranch_execz .LBB222_460
.LBB222_455:                            ;   Parent Loop BB222_18 Depth=1
                                        ; =>  This Inner Loop Header: Depth=2
	v_cmp_gt_u64_e32 vcc, s[60:61], v[6:7]
	v_mov_b32_e32 v8, 0
	s_and_saveexec_b64 s[56:57], vcc
	s_cbranch_execz .LBB222_457
; %bb.456:                              ;   in Loop: Header=BB222_455 Depth=2
	v_mul_lo_u32 v14, v7, s58
	v_mul_lo_u32 v18, v6, s59
	v_mad_u64_u32 v[8:9], s[6:7], v6, s58, 0
	v_add3_u32 v9, v9, v18, v14
	v_lshlrev_b64 v[8:9], 1, v[8:9]
	v_mov_b32_e32 v14, s88
	v_add_co_u32_e64 v8, s[6:7], s33, v8
	v_addc_co_u32_e64 v9, s[6:7], v14, v9, s[6:7]
	global_load_ushort v8, v[8:9], off
.LBB222_457:                            ;   in Loop: Header=BB222_455 Depth=2
	s_or_b64 exec, exec, s[56:57]
	s_and_saveexec_b64 s[6:7], vcc
	s_cbranch_execz .LBB222_454
; %bb.458:                              ;   in Loop: Header=BB222_455 Depth=2
	s_waitcnt vmcnt(0)
	v_cmp_lt_i16_e32 vcc, -1, v8
	v_cndmask_b32_e32 v9, v32, v33, vcc
	v_lshlrev_b32_e32 v14, 16, v8
	v_xor_b32_sdwa v9, v9, v8 dst_sel:DWORD dst_unused:UNUSED_PAD src0_sel:DWORD src1_sel:WORD_0
	v_cmp_o_f32_e32 vcc, v14, v14
	v_cndmask_b32_e32 v9, v32, v9, vcc
	v_and_b32_e32 v9, v9, v37
	v_cmp_eq_u32_e32 vcc, v9, v38
	s_and_b64 exec, exec, vcc
	s_cbranch_execz .LBB222_454
; %bb.459:                              ;   in Loop: Header=BB222_455 Depth=2
	s_movk_i32 s49, 0x3f80
	v_perm_b32 v8, v8, s49, v36
	ds_write_b32 v15, v8 offset:3072
	s_branch .LBB222_454
.LBB222_460:                            ;   in Loop: Header=BB222_18 Depth=1
	s_or_b64 exec, exec, s[12:13]
	v_lshrrev_b32_e32 v39, 16, v8
	s_and_b64 s[54:55], s[54:55], exec
.LBB222_461:                            ;   in Loop: Header=BB222_18 Depth=1
	s_or_b64 exec, exec, s[10:11]
	s_mov_b64 s[10:11], 0
	s_mov_b64 s[6:7], -1
	s_mov_b64 s[12:13], 0
.LBB222_462:                            ;   in Loop: Header=BB222_18 Depth=1
	s_orn2_b64 s[54:55], s[54:55], exec
.LBB222_463:                            ;   in Loop: Header=BB222_18 Depth=1
	s_or_b64 exec, exec, s[52:53]
	s_mov_b64 s[56:57], 0
                                        ; implicit-def: $vgpr7
                                        ; implicit-def: $vgpr4_vgpr5
	s_and_saveexec_b64 s[52:53], s[54:55]
	s_cbranch_execz .LBB222_475
; %bb.464:                              ;   in Loop: Header=BB222_18 Depth=1
	v_mov_b32_e32 v4, 1
	s_xor_b64 s[54:55], s[8:9], -1
	v_mov_b32_e32 v7, 1
	v_mov_b32_e32 v5, 0
	s_and_saveexec_b64 s[8:9], s[54:55]
	s_cbranch_execz .LBB222_474
; %bb.465:                              ;   in Loop: Header=BB222_18 Depth=1
	v_cmp_ge_u64_e32 vcc, s[16:17], v[2:3]
                                        ; implicit-def: $sgpr49
	s_and_saveexec_b64 s[54:55], vcc
	s_xor_b64 s[54:55], exec, s[54:55]
	s_cbranch_execz .LBB222_471
; %bb.466:                              ;   in Loop: Header=BB222_18 Depth=1
	ds_read_b64 v[4:5], v15 offset:5120
	s_waitcnt lgkmcnt(0)
	v_cmp_ne_u64_e32 vcc, 0, v[4:5]
	s_cbranch_vccnz .LBB222_470
; %bb.467:                              ;   in Loop: Header=BB222_18 Depth=1
	s_mov_b64 s[56:57], exec
	v_readlane_b32 s94, v49, 32
	v_readlane_b32 s95, v49, 33
	s_and_b64 s[94:95], s[56:57], s[94:95]
	s_mov_b64 exec, s[94:95]
	s_cbranch_execz .LBB222_469
; %bb.468:                              ;   in Loop: Header=BB222_18 Depth=1
	v_pk_mov_b32 v[4:5], s[16:17], s[16:17] op_sel:[0,1]
	ds_write_b64 v15, v[4:5] offset:5128
.LBB222_469:                            ;   in Loop: Header=BB222_18 Depth=1
	s_or_b64 exec, exec, s[56:57]
	s_waitcnt lgkmcnt(0)
	s_barrier
.LBB222_470:                            ;   in Loop: Header=BB222_18 Depth=1
	v_and_b32_e32 v38, s48, v38
	v_or_b32_e32 v37, s90, v37
	s_mov_b32 s49, 5
.LBB222_471:                            ;   in Loop: Header=BB222_18 Depth=1
	s_or_saveexec_b64 s[54:55], s[54:55]
	v_mov_b32_e32 v7, s49
	s_xor_b64 exec, exec, s[54:55]
; %bb.472:                              ;   in Loop: Header=BB222_18 Depth=1
	v_mov_b32_e32 v4, s17
	v_subrev_co_u32_e32 v2, vcc, s16, v2
	v_subb_co_u32_e32 v3, vcc, v3, v4, vcc
	v_mov_b32_e32 v7, 5
; %bb.473:                              ;   in Loop: Header=BB222_18 Depth=1
	s_or_b64 exec, exec, s[54:55]
	v_pk_mov_b32 v[4:5], v[2:3], v[2:3] op_sel:[0,1]
.LBB222_474:                            ;   in Loop: Header=BB222_18 Depth=1
	s_or_b64 exec, exec, s[8:9]
	s_mov_b64 s[56:57], exec
.LBB222_475:                            ;   in Loop: Header=BB222_18 Depth=1
	s_or_b64 exec, exec, s[52:53]
	s_orn2_b64 s[8:9], s[56:57], exec
	v_pk_mov_b32 v[2:3], v[4:5], v[4:5] op_sel:[0,1]
.LBB222_476:                            ;   in Loop: Header=BB222_18 Depth=1
	s_or_b64 exec, exec, s[18:19]
	s_andn2_b64 s[16:17], s[30:31], exec
	s_and_b64 s[6:7], s[6:7], exec
	s_or_b64 s[30:31], s[16:17], s[6:7]
	s_andn2_b64 s[6:7], s[46:47], exec
	s_and_b64 s[10:11], s[10:11], exec
	s_or_b64 s[46:47], s[6:7], s[10:11]
	;; [unrolled: 3-line block ×3, first 2 shown]
	s_and_b64 s[6:7], s[8:9], exec
	v_pk_mov_b32 v[4:5], v[2:3], v[2:3] op_sel:[0,1]
.LBB222_477:                            ;   in Loop: Header=BB222_18 Depth=1
	s_or_b64 exec, exec, s[50:51]
	s_and_b64 s[12:13], s[30:31], exec
	s_and_b64 s[10:11], s[46:47], exec
	;; [unrolled: 1-line block ×3, first 2 shown]
	s_orn2_b64 s[6:7], s[6:7], exec
.LBB222_478:                            ;   in Loop: Header=BB222_18 Depth=1
	s_or_b64 exec, exec, s[22:23]
	s_andn2_b64 s[16:17], s[36:37], exec
	s_and_b64 s[12:13], s[12:13], exec
	s_or_b64 s[36:37], s[16:17], s[12:13]
	s_andn2_b64 s[12:13], s[40:41], exec
	s_and_b64 s[10:11], s[10:11], exec
	s_or_b64 s[40:41], s[12:13], s[10:11]
	;; [unrolled: 3-line block ×3, first 2 shown]
	s_and_b64 s[6:7], s[6:7], exec
	v_pk_mov_b32 v[2:3], v[4:5], v[4:5] op_sel:[0,1]
.LBB222_479:                            ;   in Loop: Header=BB222_18 Depth=1
	s_or_b64 exec, exec, s[44:45]
	s_and_b64 s[12:13], s[36:37], exec
	s_and_b64 s[10:11], s[40:41], exec
	;; [unrolled: 1-line block ×3, first 2 shown]
	s_orn2_b64 s[30:31], s[6:7], exec
.LBB222_480:                            ;   in Loop: Header=BB222_18 Depth=1
	s_or_b64 exec, exec, s[24:25]
	s_mov_b64 s[6:7], s[28:29]
	s_mov_b64 s[16:17], s[26:27]
	s_and_saveexec_b64 s[18:19], s[30:31]
; %bb.481:                              ;   in Loop: Header=BB222_18 Depth=1
	v_cmp_ne_u32_e64 s[6:7], 5, v7
	v_cmp_eq_u32_e32 vcc, 5, v7
	s_andn2_b64 s[16:17], s[26:27], exec
	s_and_b64 s[6:7], s[6:7], exec
	s_or_b64 s[16:17], s[16:17], s[6:7]
	s_andn2_b64 s[6:7], s[28:29], exec
	s_and_b64 s[22:23], vcc, exec
	s_andn2_b64 s[12:13], s[12:13], exec
	s_andn2_b64 s[10:11], s[10:11], exec
	;; [unrolled: 1-line block ×3, first 2 shown]
	s_or_b64 s[6:7], s[6:7], s[22:23]
; %bb.482:                              ;   in Loop: Header=BB222_18 Depth=1
	s_or_b64 exec, exec, s[18:19]
	s_andn2_b64 s[14:15], s[14:15], exec
	s_and_b64 s[12:13], s[12:13], exec
	s_or_b64 s[14:15], s[14:15], s[12:13]
	s_andn2_b64 s[12:13], s[38:39], exec
	s_and_b64 s[10:11], s[10:11], exec
	s_or_b64 s[38:39], s[12:13], s[10:11]
	;; [unrolled: 3-line block ×5, first 2 shown]
	v_mov_b32_e32 v8, v38
	v_mov_b32_e32 v9, v37
	;; [unrolled: 1-line block ×3, first 2 shown]
.LBB222_483:                            ;   in Loop: Header=BB222_18 Depth=1
	s_or_b64 exec, exec, s[34:35]
	s_mov_b64 s[36:37], s[20:21]
	s_mov_b64 s[34:35], s[20:21]
	s_and_saveexec_b64 s[6:7], s[28:29]
.LBB222_484:                            ;   in Loop: Header=BB222_18 Depth=1
	v_mov_b32_e32 v7, 0
	s_andn2_b64 s[20:21], s[20:21], exec
	s_andn2_b64 s[14:15], s[14:15], exec
	;; [unrolled: 1-line block ×5, first 2 shown]
	s_or_b64 s[26:27], s[26:27], exec
.LBB222_485:                            ;   in Loop: Header=BB222_18 Depth=1
	s_or_b64 exec, exec, s[6:7]
	s_andn2_b64 s[6:7], s[78:79], exec
	s_and_b64 s[10:11], s[20:21], exec
	s_or_b64 s[78:79], s[6:7], s[10:11]
	s_andn2_b64 s[6:7], s[76:77], exec
	s_and_b64 s[10:11], s[14:15], exec
	s_or_b64 s[76:77], s[6:7], s[10:11]
	;; [unrolled: 3-line block ×4, first 2 shown]
	s_andn2_b64 s[6:7], s[70:71], exec
	s_and_b64 s[10:11], s[34:35], exec
	s_mov_b64 s[8:9], -1
	s_or_b64 s[70:71], s[6:7], s[10:11]
                                        ; implicit-def: $vgpr37
                                        ; implicit-def: $vgpr38
                                        ; implicit-def: $vgpr18_vgpr19
                                        ; implicit-def: $vgpr39
	s_and_saveexec_b64 s[6:7], s[26:27]
	s_xor_b64 s[6:7], exec, s[6:7]
	s_cbranch_execz .LBB222_17
; %bb.486:                              ;   in Loop: Header=BB222_18 Depth=1
	v_cmp_eq_u32_e32 vcc, 0, v7
	s_mov_b64 s[10:11], -1
	s_and_saveexec_b64 s[12:13], vcc
	s_cbranch_execz .LBB222_16
; %bb.487:                              ;   in Loop: Header=BB222_18 Depth=1
	v_readlane_b32 s8, v49, 62
	s_xor_b32 s8, s8, 1
	s_add_i32 s14, s75, -2
	s_cmp_eq_u32 s75, 0
	v_writelane_b32 v49, s8, 62
	s_cselect_b64 s[8:9], -1, 0
	s_xor_b64 s[10:11], exec, -1
	s_orn2_b64 s[8:9], s[8:9], exec
	s_mov_b32 s75, s14
	s_branch .LBB222_16
.LBB222_488:
	s_or_b64 exec, exec, s[82:83]
	s_xor_b64 s[4:5], s[68:69], -1
	s_xor_b64 s[12:13], s[66:67], -1
	;; [unrolled: 1-line block ×5, first 2 shown]
	s_mov_b64 s[6:7], 0
	s_and_saveexec_b64 s[14:15], s[10:11]
	s_xor_b64 s[10:11], exec, s[14:15]
	s_cbranch_execnz .LBB222_493
; %bb.489:
	s_andn2_saveexec_b64 s[0:1], s[10:11]
	s_cbranch_execnz .LBB222_512
.LBB222_490:
	s_or_b64 exec, exec, s[0:1]
	s_and_saveexec_b64 s[0:1], s[6:7]
.LBB222_491:
	; divergent unreachable
.LBB222_492:
	s_endpgm
.LBB222_493:
	s_and_saveexec_b64 s[14:15], s[8:9]
	s_xor_b64 s[8:9], exec, s[14:15]
	s_cbranch_execz .LBB222_510
; %bb.494:
	s_and_saveexec_b64 s[14:15], s[12:13]
	s_xor_b64 s[12:13], exec, s[14:15]
	s_cbranch_execz .LBB222_508
; %bb.495:
	;; [unrolled: 4-line block ×3, first 2 shown]
	s_and_saveexec_b64 s[4:5], s[2:3]
	s_xor_b64 s[2:3], exec, s[4:5]
; %bb.497:
	v_and_b32_e32 v2, 0x8000, v8
	v_mov_b32_e32 v3, 0x8000
	v_mov_b32_e32 v4, 0xffff
	v_cmp_eq_u32_e32 vcc, 0, v2
	v_cndmask_b32_e32 v2, v3, v4, vcc
	v_xor_b32_e32 v6, v2, v8
; %bb.498:
	s_or_b64 exec, exec, s[2:3]
	s_mov_b64 s[2:3], exec
	v_readlane_b32 s4, v49, 32
	v_readlane_b32 s5, v49, 33
	;; [unrolled: 1-line block ×4, first 2 shown]
	s_and_b64 s[4:5], s[2:3], s[4:5]
	v_readlane_b32 s25, v49, 37
	v_readlane_b32 s20, v49, 34
	;; [unrolled: 1-line block ×4, first 2 shown]
	s_mov_b64 exec, s[4:5]
	s_cbranch_execz .LBB222_500
; %bb.499:
	v_mov_b32_e32 v2, 0
	v_mov_b32_e32 v3, v2
	ds_write_b64 v2, v[2:3] offset:5136
.LBB222_500:
	s_or_b64 exec, exec, s[2:3]
	v_mov_b32_e32 v19, 0
	s_waitcnt lgkmcnt(0)
	s_barrier
	s_mov_b64 s[2:3], exec
	v_readlane_b32 s4, v49, 46
	v_readlane_b32 s5, v49, 47
	s_and_b64 s[4:5], s[2:3], s[4:5]
	s_mov_b64 exec, s[4:5]
	s_cbranch_execz .LBB222_502
; %bb.501:
	global_load_ushort v19, v[12:13], off
.LBB222_502:
	s_or_b64 exec, exec, s[2:3]
	v_readlane_b32 s36, v49, 24
	s_add_u32 s2, s60, 63
	v_readlane_b32 s38, v49, 26
	v_readlane_b32 s39, v49, 27
	;; [unrolled: 1-line block ×3, first 2 shown]
	s_addc_u32 s17, s61, 0
	s_and_b32 s16, s2, 0xffffffc0
	s_mul_i32 s2, s34, s39
	s_mul_hi_u32 s3, s34, s38
	s_add_i32 s3, s3, s2
	s_mul_i32 s2, s34, s38
	v_readlane_b32 s6, v49, 10
	s_sub_u32 s2, s20, s2
	v_readlane_b32 s7, v49, 11
	s_subb_u32 s3, 0, s3
	s_mul_i32 s4, s2, s7
	s_mul_hi_u32 s5, s2, s6
	s_add_i32 s4, s5, s4
	s_mul_i32 s3, s3, s6
	s_add_i32 s3, s4, s3
	v_readlane_b32 s28, v49, 4
	v_readlane_b32 s4, v49, 0
	;; [unrolled: 1-line block ×4, first 2 shown]
	s_mov_b32 s18, s4
	s_mul_i32 s4, s4, s29
	s_mul_hi_u32 s5, s18, s28
	s_add_i32 s5, s5, s4
	s_mul_i32 s4, s18, s28
	v_readlane_b32 s22, v49, 2
	v_readlane_b32 s40, v49, 18
	;; [unrolled: 1-line block ×3, first 2 shown]
	s_sub_u32 s4, s22, s4
	v_readlane_b32 s42, v49, 20
	v_readlane_b32 s43, v49, 21
	s_mul_i32 s2, s2, s6
	s_subb_u32 s5, s23, s5
	s_mul_i32 s6, s4, s43
	s_mul_hi_u32 s7, s4, s42
	v_readlane_b32 s41, v49, 19
	s_add_i32 s6, s7, s6
	s_mul_i32 s5, s5, s42
	v_readlane_b32 s30, v49, 6
	v_readlane_b32 s31, v49, 7
	s_add_i32 s5, s6, s5
	s_mul_i32 s6, s18, s41
	s_mul_hi_u32 s7, s18, s40
	s_add_i32 s7, s7, s6
	s_mul_i32 s6, s18, s40
	s_mul_i32 s18, s22, s31
	s_mul_hi_u32 s19, s22, s30
	s_add_i32 s19, s19, s18
	s_mul_i32 s18, s22, s30
	v_readlane_b32 s22, v49, 16
	s_sub_u32 s18, s20, s18
	v_readlane_b32 s23, v49, 17
	s_subb_u32 s19, 0, s19
	s_mul_i32 s20, s18, s23
	s_mul_hi_u32 s21, s18, s22
	s_add_i32 s20, s21, s20
	s_mul_i32 s19, s19, s22
	s_add_i32 s19, s20, s19
	v_readlane_b32 s20, v49, 8
	v_readlane_b32 s37, v49, 25
	;; [unrolled: 1-line block ×3, first 2 shown]
	s_mov_b32 s26, s20
	s_mul_i32 s20, s20, s37
	s_mul_hi_u32 s21, s26, s36
	s_add_i32 s21, s21, s20
	s_mul_i32 s20, s26, s36
	v_readlane_b32 s28, v49, 12
	v_readlane_b32 s35, v49, 23
	s_sub_u32 s20, s34, s20
	v_readlane_b32 s30, v49, 14
	v_readlane_b32 s31, v49, 15
	s_mul_i32 s18, s18, s22
	s_subb_u32 s21, s35, s21
	s_mul_i32 s22, s20, s31
	s_mul_hi_u32 s23, s20, s30
	v_readlane_b32 s29, v49, 13
	s_add_i32 s22, s23, s22
	s_mul_i32 s21, s21, s30
	s_add_i32 s21, s22, s21
	s_mul_i32 s22, s26, s29
	s_mul_hi_u32 s23, s26, s28
	s_add_i32 s23, s23, s22
	s_mul_i32 s22, s26, s28
	s_lshl_b64 s[6:7], s[6:7], 1
	v_readlane_b32 s26, v49, 30
	s_mul_i32 s4, s4, s42
	v_readlane_b32 s27, v49, 31
	s_add_u32 s6, s26, s6
	s_addc_u32 s7, s27, s7
	s_lshl_b64 s[4:5], s[4:5], 1
	s_add_u32 s6, s6, s4
	s_addc_u32 s7, s7, s5
	s_lshl_b64 s[4:5], s[18:19], 1
	;; [unrolled: 3-line block ×3, first 2 shown]
	v_readlane_b32 s6, v49, 28
	s_mul_i32 s20, s20, s30
	v_readlane_b32 s7, v49, 29
	s_add_u32 s6, s6, s4
	s_addc_u32 s7, s7, s5
	s_lshl_b64 s[4:5], s[20:21], 3
	s_load_dwordx2 s[18:19], s[24:25], 0x368
	s_load_dwordx2 s[20:21], s[24:25], 0x510
	v_mov_b32_e32 v17, 0xffff
	v_mov_b32_e32 v18, 0x8000
	v_cmp_lt_i16_e32 vcc, -1, v6
	s_add_u32 s4, s6, s4
	v_cndmask_b32_e32 v2, v17, v18, vcc
	v_lshlrev_b32_e32 v3, 16, v6
	s_addc_u32 s5, s7, s5
	s_lshl_b64 s[2:3], s[2:3], 3
	v_xor_b32_sdwa v2, v2, v6 dst_sel:DWORD dst_unused:UNUSED_PAD src0_sel:DWORD src1_sel:WORD_0
	v_cmp_o_f32_e32 vcc, v3, v3
	s_add_u32 s40, s4, s2
	v_cndmask_b32_e32 v16, v17, v2, vcc
	s_addc_u32 s41, s5, s3
	v_cmp_gt_u64_e32 vcc, s[16:17], v[0:1]
	s_mov_b64 s[24:25], -1
	s_mov_b64 s[2:3], 0
	s_mov_b64 s[4:5], 0
	s_and_saveexec_b64 s[22:23], vcc
	s_cbranch_execnz .LBB222_513
; %bb.503:
	s_or_b64 exec, exec, s[22:23]
	s_and_saveexec_b64 s[6:7], s[24:25]
	s_cbranch_execnz .LBB222_530
.LBB222_504:
	s_or_b64 exec, exec, s[6:7]
	s_and_saveexec_b64 s[0:1], s[4:5]
	s_xor_b64 s[0:1], exec, s[0:1]
	s_cbranch_execnz .LBB222_555
.LBB222_505:
	s_or_b64 exec, exec, s[0:1]
	s_and_b64 s[6:7], s[2:3], exec
.LBB222_506:
	s_andn2_saveexec_b64 s[0:1], s[14:15]
	s_cbranch_execnz .LBB222_557
.LBB222_507:
	s_or_b64 exec, exec, s[0:1]
	s_and_b64 s[6:7], s[6:7], exec
.LBB222_508:
	s_andn2_saveexec_b64 s[0:1], s[12:13]
	s_cbranch_execnz .LBB222_556
.LBB222_509:
	s_or_b64 exec, exec, s[0:1]
	s_and_b64 s[6:7], s[6:7], exec
.LBB222_510:
	s_andn2_saveexec_b64 s[0:1], s[8:9]
	s_cbranch_execnz .LBB222_551
.LBB222_511:
	s_or_b64 exec, exec, s[0:1]
	s_and_b64 s[6:7], s[6:7], exec
	s_andn2_saveexec_b64 s[0:1], s[10:11]
	s_cbranch_execz .LBB222_490
.LBB222_512:
	s_or_b64 s[6:7], s[6:7], exec
	s_trap 2
	s_or_b64 exec, exec, s[0:1]
	s_and_saveexec_b64 s[0:1], s[6:7]
	s_cbranch_execnz .LBB222_491
	s_branch .LBB222_492
.LBB222_513:
	s_mov_b64 s[24:25], 0
	v_mov_b32_e32 v20, s74
	v_mov_b32_e32 v3, 0
	v_pk_mov_b32 v[8:9], v[0:1], v[0:1] op_sel:[0,1]
                                        ; implicit-def: $sgpr26_sgpr27
                                        ; implicit-def: $vgpr6_vgpr7
	s_branch .LBB222_515
.LBB222_514:                            ;   in Loop: Header=BB222_515 Depth=1
	s_or_b64 exec, exec, s[28:29]
	s_xor_b64 s[4:5], s[34:35], -1
	s_and_b64 s[6:7], exec, s[6:7]
	s_or_b64 s[24:25], s[6:7], s[24:25]
	s_andn2_b64 s[6:7], s[26:27], exec
	s_and_b64 s[4:5], s[4:5], exec
	s_or_b64 s[26:27], s[6:7], s[4:5]
	v_pk_mov_b32 v[8:9], v[4:5], v[4:5] op_sel:[0,1]
	s_waitcnt vmcnt(0)
	v_mov_b32_e32 v19, v21
	s_andn2_b64 exec, exec, s[24:25]
	s_cbranch_execz .LBB222_529
.LBB222_515:                            ; =>This Inner Loop Header: Depth=1
	v_add_co_u32_e64 v4, s[4:5], s89, v8
	v_addc_co_u32_e64 v5, s[4:5], v9, v20, s[4:5]
	v_cmp_gt_u64_e64 s[4:5], s[60:61], v[4:5]
	v_mov_b32_e32 v21, 0
	s_and_saveexec_b64 s[6:7], s[4:5]
	s_cbranch_execz .LBB222_517
; %bb.516:                              ;   in Loop: Header=BB222_515 Depth=1
	v_mul_lo_u32 v2, v5, s58
	v_mul_lo_u32 v21, v4, s59
	v_mad_u64_u32 v[14:15], s[4:5], v4, s58, 0
	v_add3_u32 v15, v15, v21, v2
	v_lshlrev_b64 v[14:15], 1, v[14:15]
	v_mov_b32_e32 v2, s88
	v_add_co_u32_e64 v14, s[4:5], s33, v14
	v_addc_co_u32_e64 v15, s[4:5], v2, v15, s[4:5]
	global_load_ushort v21, v[14:15], off
.LBB222_517:                            ;   in Loop: Header=BB222_515 Depth=1
	s_or_b64 exec, exec, s[6:7]
	v_cmp_gt_u64_e64 s[4:5], s[60:61], v[8:9]
	s_mov_b64 s[28:29], 0
	s_and_saveexec_b64 s[6:7], s[4:5]
	s_cbranch_execz .LBB222_519
; %bb.518:                              ;   in Loop: Header=BB222_515 Depth=1
	s_waitcnt vmcnt(0)
	v_cmp_lt_i16_e64 s[4:5], -1, v19
	v_cndmask_b32_e64 v2, v17, v18, s[4:5]
	v_lshlrev_b32_e32 v14, 16, v19
	v_xor_b32_sdwa v2, v2, v19 dst_sel:DWORD dst_unused:UNUSED_PAD src0_sel:DWORD src1_sel:WORD_0
	v_cmp_o_f32_e64 s[4:5], v14, v14
	v_cndmask_b32_e64 v2, v17, v2, s[4:5]
	v_cmp_gt_u32_e64 s[4:5], v2, v16
	v_cndmask_b32_e64 v14, 0, 1, s[4:5]
	v_cmp_lt_u32_e64 s[4:5], v2, v16
	v_cndmask_b32_e64 v2, 0, 1, s[4:5]
	v_cndmask_b32_e64 v2, v2, v14, s[44:45]
	v_and_b32_e32 v2, 1, v2
	v_cmp_eq_u32_e64 s[4:5], 1, v2
	s_and_b64 s[28:29], s[4:5], exec
.LBB222_519:                            ;   in Loop: Header=BB222_515 Depth=1
	s_or_b64 exec, exec, s[6:7]
	v_cndmask_b32_e64 v2, 0, 1, s[28:29]
	v_cmp_ne_u32_e64 s[4:5], 0, v2
	s_cmp_lg_u64 s[4:5], 0
	s_cselect_b64 s[6:7], -1, 0
	s_and_b64 s[6:7], s[0:1], s[6:7]
	s_and_saveexec_b64 s[30:31], s[6:7]
	s_cbranch_execz .LBB222_523
; %bb.520:                              ;   in Loop: Header=BB222_515 Depth=1
	s_mov_b64 s[36:37], exec
	v_mbcnt_lo_u32_b32 v2, s36, 0
	v_mbcnt_hi_u32_b32 v14, s37, v2
	s_bcnt1_i32_b64 s42, s[4:5]
	v_cmp_eq_u32_e64 s[6:7], 0, v14
                                        ; implicit-def: $vgpr6_vgpr7
	s_and_saveexec_b64 s[34:35], s[6:7]
	s_cbranch_execz .LBB222_522
; %bb.521:                              ;   in Loop: Header=BB222_515 Depth=1
	s_bcnt1_i32_b64 s6, s[36:37]
	s_mul_i32 s6, s42, s6
	v_mov_b32_e32 v2, s6
	s_waitcnt lgkmcnt(0)
	ds_add_rtn_u64 v[6:7], v3, v[2:3] offset:5136
.LBB222_522:                            ;   in Loop: Header=BB222_515 Depth=1
	s_or_b64 exec, exec, s[34:35]
	s_waitcnt lgkmcnt(0)
	v_readfirstlane_b32 s6, v7
	v_readfirstlane_b32 s7, v6
	v_mov_b32_e32 v6, s7
	v_mov_b32_e32 v7, s6
	v_mad_u64_u32 v[6:7], s[6:7], s42, v14, v[6:7]
.LBB222_523:                            ;   in Loop: Header=BB222_515 Depth=1
	s_or_b64 exec, exec, s[30:31]
	s_waitcnt lgkmcnt(0)
	ds_bpermute_b32 v6, v24, v6
	ds_bpermute_b32 v7, v24, v7
	s_mov_b64 s[6:7], -1
	s_mov_b64 s[36:37], -1
                                        ; implicit-def: $sgpr34_sgpr35
	s_and_saveexec_b64 s[30:31], s[28:29]
	s_cbranch_execz .LBB222_527
; %bb.524:                              ;   in Loop: Header=BB222_515 Depth=1
	v_and_b32_e32 v14, s4, v10
	v_and_b32_e32 v2, s5, v11
	v_bcnt_u32_b32 v14, v14, 0
	v_bcnt_u32_b32 v2, v2, v14
	s_waitcnt lgkmcnt(0)
	v_add_co_u32_e64 v14, s[4:5], v6, v2
	v_addc_co_u32_e64 v15, s[4:5], 0, v7, s[4:5]
	v_cmp_gt_u64_e64 s[4:5], s[62:63], v[14:15]
	s_mov_b64 s[28:29], 0
	s_and_saveexec_b64 s[34:35], s[4:5]
	s_cbranch_execz .LBB222_526
; %bb.525:                              ;   in Loop: Header=BB222_515 Depth=1
	v_mul_lo_u32 v2, v15, s18
	v_mul_lo_u32 v25, v14, s19
	v_mad_u64_u32 v[22:23], s[4:5], v14, s18, 0
	v_add3_u32 v23, v23, v25, v2
	v_mul_lo_u32 v2, v15, s20
	v_mul_lo_u32 v25, v14, s21
	v_mad_u64_u32 v[14:15], s[4:5], v14, s20, 0
	v_lshlrev_b64 v[22:23], 1, v[22:23]
	v_add3_u32 v15, v15, v25, v2
	v_mov_b32_e32 v2, s39
	v_add_co_u32_e64 v22, s[4:5], s38, v22
	v_addc_co_u32_e64 v23, s[4:5], v2, v23, s[4:5]
	v_lshlrev_b64 v[14:15], 3, v[14:15]
	v_mov_b32_e32 v2, s41
	v_add_co_u32_e64 v14, s[4:5], s40, v14
	s_mov_b64 s[28:29], exec
	v_addc_co_u32_e64 v15, s[4:5], v2, v15, s[4:5]
	s_waitcnt vmcnt(0)
	global_store_short v[22:23], v19, off
	global_store_dwordx2 v[14:15], v[8:9], off
.LBB222_526:                            ;   in Loop: Header=BB222_515 Depth=1
	s_or_b64 exec, exec, s[34:35]
	s_mov_b64 s[34:35], -1
	s_orn2_b64 s[36:37], s[28:29], exec
.LBB222_527:                            ;   in Loop: Header=BB222_515 Depth=1
	s_or_b64 exec, exec, s[30:31]
	s_and_saveexec_b64 s[28:29], s[36:37]
	s_cbranch_execz .LBB222_514
; %bb.528:                              ;   in Loop: Header=BB222_515 Depth=1
	v_cmp_le_u64_e64 s[4:5], s[16:17], v[4:5]
	s_andn2_b64 s[34:35], s[34:35], exec
	s_orn2_b64 s[6:7], s[4:5], exec
	s_branch .LBB222_514
.LBB222_529:
	s_or_b64 exec, exec, s[24:25]
	s_mov_b64 s[4:5], exec
	s_orn2_b64 s[24:25], s[26:27], exec
	s_or_b64 exec, exec, s[22:23]
	s_and_saveexec_b64 s[6:7], s[24:25]
	s_cbranch_execz .LBB222_504
.LBB222_530:
	v_mov_b32_e32 v15, 0
	s_waitcnt lgkmcnt(0)
	s_barrier
	s_mov_b64 s[2:3], exec
	v_readlane_b32 s22, v49, 46
	v_readlane_b32 s23, v49, 47
	s_and_b64 s[22:23], s[2:3], s[22:23]
	s_mov_b64 exec, s[22:23]
	s_cbranch_execz .LBB222_532
; %bb.531:
	global_load_ushort v15, v[12:13], off
.LBB222_532:
	s_or_b64 exec, exec, s[2:3]
	s_mov_b64 s[2:3], 0
	s_and_saveexec_b64 s[22:23], vcc
	s_cbranch_execz .LBB222_554
; %bb.533:
	s_mov_b64 s[24:25], 0
	v_mov_b32_e32 v12, s74
	v_mov_b32_e32 v3, 0
	;; [unrolled: 1-line block ×4, first 2 shown]
                                        ; implicit-def: $sgpr26_sgpr27
                                        ; implicit-def: $vgpr4_vgpr5
	s_branch .LBB222_536
.LBB222_534:                            ;   in Loop: Header=BB222_536 Depth=1
	s_or_b64 exec, exec, s[30:31]
	s_orn2_b64 s[34:35], s[34:35], exec
	s_orn2_b64 s[30:31], s[28:29], exec
	s_waitcnt vmcnt(0)
	v_mov_b32_e32 v15, v17
	v_pk_mov_b32 v[0:1], v[6:7], v[6:7] op_sel:[0,1]
.LBB222_535:                            ;   in Loop: Header=BB222_536 Depth=1
	s_or_b64 exec, exec, s[2:3]
	s_xor_b64 s[2:3], s[34:35], -1
	s_and_b64 s[28:29], exec, s[30:31]
	s_or_b64 s[24:25], s[28:29], s[24:25]
	s_andn2_b64 s[26:27], s[26:27], exec
	s_and_b64 s[2:3], s[2:3], exec
	s_or_b64 s[26:27], s[26:27], s[2:3]
	s_andn2_b64 exec, exec, s[24:25]
	s_cbranch_execz .LBB222_552
.LBB222_536:                            ; =>This Inner Loop Header: Depth=1
	v_add_co_u32_e32 v6, vcc, s89, v0
	v_addc_co_u32_e32 v7, vcc, v1, v12, vcc
	v_cmp_gt_u64_e32 vcc, s[60:61], v[6:7]
	s_waitcnt vmcnt(0)
	v_mov_b32_e32 v17, 0
	s_and_saveexec_b64 s[2:3], vcc
	s_cbranch_execz .LBB222_538
; %bb.537:                              ;   in Loop: Header=BB222_536 Depth=1
	v_mul_lo_u32 v2, v7, s58
	v_mul_lo_u32 v17, v6, s59
	v_mad_u64_u32 v[8:9], s[28:29], v6, s58, 0
	v_add3_u32 v9, v9, v17, v2
	v_lshlrev_b64 v[8:9], 1, v[8:9]
	v_mov_b32_e32 v2, s88
	v_add_co_u32_e32 v8, vcc, s33, v8
	v_addc_co_u32_e32 v9, vcc, v2, v9, vcc
	global_load_ushort v17, v[8:9], off
.LBB222_538:                            ;   in Loop: Header=BB222_536 Depth=1
	s_or_b64 exec, exec, s[2:3]
	v_cmp_gt_u64_e32 vcc, s[60:61], v[0:1]
	s_mov_b64 s[28:29], 0
	s_and_saveexec_b64 s[2:3], vcc
	s_cbranch_execz .LBB222_540
; %bb.539:                              ;   in Loop: Header=BB222_536 Depth=1
	s_waitcnt vmcnt(0)
	v_cmp_lt_i16_e32 vcc, -1, v15
	v_cndmask_b32_e32 v2, v13, v14, vcc
	v_lshlrev_b32_e32 v8, 16, v15
	v_xor_b32_sdwa v2, v2, v15 dst_sel:DWORD dst_unused:UNUSED_PAD src0_sel:DWORD src1_sel:WORD_0
	v_cmp_o_f32_e32 vcc, v8, v8
	v_cndmask_b32_e32 v2, v13, v2, vcc
	v_cmp_eq_u32_e32 vcc, v2, v16
	s_and_b64 s[28:29], vcc, exec
.LBB222_540:                            ;   in Loop: Header=BB222_536 Depth=1
	s_or_b64 exec, exec, s[2:3]
	v_cndmask_b32_e64 v2, 0, 1, s[28:29]
	v_cmp_ne_u32_e32 vcc, 0, v2
	s_cmp_lg_u64 vcc, 0
	s_cselect_b64 s[2:3], -1, 0
	s_and_b64 s[2:3], s[0:1], s[2:3]
	s_and_saveexec_b64 s[30:31], s[2:3]
	s_cbranch_execz .LBB222_544
; %bb.541:                              ;   in Loop: Header=BB222_536 Depth=1
	s_mov_b64 s[36:37], exec
	v_mbcnt_lo_u32_b32 v2, s36, 0
	v_mbcnt_hi_u32_b32 v8, s37, v2
	s_bcnt1_i32_b64 s42, vcc
	v_cmp_eq_u32_e64 s[2:3], 0, v8
                                        ; implicit-def: $vgpr4_vgpr5
	s_and_saveexec_b64 s[34:35], s[2:3]
	s_cbranch_execz .LBB222_543
; %bb.542:                              ;   in Loop: Header=BB222_536 Depth=1
	s_bcnt1_i32_b64 s2, s[36:37]
	s_mul_i32 s2, s42, s2
	v_mov_b32_e32 v2, s2
	ds_add_rtn_u64 v[4:5], v3, v[2:3] offset:5136
.LBB222_543:                            ;   in Loop: Header=BB222_536 Depth=1
	s_or_b64 exec, exec, s[34:35]
	s_waitcnt lgkmcnt(0)
	v_readfirstlane_b32 s2, v5
	v_readfirstlane_b32 s3, v4
	v_mov_b32_e32 v4, s3
	v_mov_b32_e32 v5, s2
	v_mad_u64_u32 v[4:5], s[2:3], s42, v8, v[4:5]
.LBB222_544:                            ;   in Loop: Header=BB222_536 Depth=1
	s_or_b64 exec, exec, s[30:31]
	ds_bpermute_b32 v4, v24, v4
	ds_bpermute_b32 v5, v24, v5
	s_cmp_eq_u64 vcc, 0
	s_cselect_b64 s[34:35], -1, 0
	s_mov_b64 s[30:31], -1
	s_waitcnt lgkmcnt(0)
	v_cmp_gt_u64_e64 s[2:3], s[62:63], v[4:5]
	s_or_b64 s[36:37], s[34:35], s[2:3]
	s_mov_b64 s[34:35], -1
	s_and_saveexec_b64 s[2:3], s[36:37]
	s_cbranch_execz .LBB222_535
; %bb.545:                              ;   in Loop: Header=BB222_536 Depth=1
	v_and_b32_e32 v8, vcc_lo, v10
	v_and_b32_e32 v2, vcc_hi, v11
	v_bcnt_u32_b32 v8, v8, 0
	v_bcnt_u32_b32 v2, v2, v8
	v_mov_b32_e32 v9, s63
	v_sub_co_u32_e32 v8, vcc, s62, v4
	v_subb_co_u32_e32 v9, vcc, v9, v5, vcc
	v_cmp_gt_u64_e32 vcc, v[8:9], v[2:3]
	s_and_b64 s[42:43], s[28:29], vcc
	s_mov_b64 s[28:29], -1
	s_mov_b64 s[36:37], -1
	s_and_saveexec_b64 s[30:31], s[42:43]
	s_cbranch_execz .LBB222_549
; %bb.546:                              ;   in Loop: Header=BB222_536 Depth=1
	v_add_co_u32_e32 v8, vcc, v4, v2
	v_addc_co_u32_e32 v9, vcc, 0, v5, vcc
	v_cmp_gt_u64_e32 vcc, s[62:63], v[8:9]
	s_mov_b64 s[36:37], 0
	s_and_saveexec_b64 s[34:35], vcc
	s_cbranch_execz .LBB222_548
; %bb.547:                              ;   in Loop: Header=BB222_536 Depth=1
	v_mul_lo_u32 v2, v9, s18
	v_mul_lo_u32 v20, v8, s19
	s_waitcnt vmcnt(0)
	v_mad_u64_u32 v[18:19], s[42:43], v8, s18, 0
	v_add3_u32 v19, v19, v20, v2
	v_mul_lo_u32 v2, v9, s20
	v_mul_lo_u32 v20, v8, s21
	v_mad_u64_u32 v[8:9], s[42:43], v8, s20, 0
	v_lshlrev_b64 v[18:19], 1, v[18:19]
	v_add3_u32 v9, v9, v20, v2
	v_mov_b32_e32 v2, s39
	v_add_co_u32_e32 v18, vcc, s38, v18
	v_addc_co_u32_e32 v19, vcc, v2, v19, vcc
	v_lshlrev_b64 v[8:9], 3, v[8:9]
	v_mov_b32_e32 v2, s41
	v_add_co_u32_e32 v8, vcc, s40, v8
	s_mov_b64 s[36:37], exec
	v_addc_co_u32_e32 v9, vcc, v2, v9, vcc
	global_store_short v[18:19], v15, off
	global_store_dwordx2 v[8:9], v[0:1], off
.LBB222_548:                            ;   in Loop: Header=BB222_536 Depth=1
	s_or_b64 exec, exec, s[34:35]
	s_xor_b64 s[34:35], exec, -1
	s_orn2_b64 s[36:37], s[36:37], exec
.LBB222_549:                            ;   in Loop: Header=BB222_536 Depth=1
	s_or_b64 exec, exec, s[30:31]
	s_and_saveexec_b64 s[30:31], s[36:37]
	s_cbranch_execz .LBB222_534
; %bb.550:                              ;   in Loop: Header=BB222_536 Depth=1
	v_cmp_le_u64_e32 vcc, s[16:17], v[6:7]
	s_or_b64 s[34:35], s[34:35], exec
	s_orn2_b64 s[28:29], vcc, exec
	s_branch .LBB222_534
.LBB222_551:
	s_or_b64 s[6:7], s[6:7], exec
	s_trap 2
	s_branch .LBB222_511
.LBB222_552:
	s_or_b64 exec, exec, s[24:25]
	s_mov_b64 s[0:1], 0
	s_and_saveexec_b64 s[2:3], s[26:27]
	s_xor_b64 s[2:3], exec, s[2:3]
	s_cbranch_execnz .LBB222_558
.LBB222_553:
	s_or_b64 exec, exec, s[2:3]
	s_and_b64 s[2:3], s[0:1], exec
.LBB222_554:
	s_or_b64 exec, exec, s[22:23]
	s_and_b64 s[2:3], s[2:3], exec
	s_andn2_b64 s[4:5], s[4:5], exec
	s_or_b64 exec, exec, s[6:7]
	s_and_saveexec_b64 s[0:1], s[4:5]
	s_xor_b64 s[0:1], exec, s[0:1]
	s_cbranch_execz .LBB222_505
.LBB222_555:
	s_trap 2
	s_or_b64 s[2:3], s[2:3], exec
	s_branch .LBB222_505
.LBB222_556:
	s_or_b64 s[6:7], s[6:7], exec
	s_trap 2
	s_branch .LBB222_509
.LBB222_557:
	s_trap 2
	s_or_b64 s[6:7], s[6:7], exec
	s_branch .LBB222_507
.LBB222_558:
	s_mov_b64 s[0:1], exec
	s_trap 2
	s_branch .LBB222_553
	.section	.rodata,"a",@progbits
	.p2align	6, 0x0
	.amdhsa_kernel _ZN2at6native6sbtopk10gatherTopKIN3c108BFloat16EmLi3ELb0EEEvNS_4cuda6detail10TensorInfoIKT_T0_EESA_SA_bSA_SA_NS7_IS8_SA_EESA_NS7_IlSA_EESA_PS8_
		.amdhsa_group_segment_fixed_size 5152
		.amdhsa_private_segment_fixed_size 0
		.amdhsa_kernarg_size 1568
		.amdhsa_user_sgpr_count 6
		.amdhsa_user_sgpr_private_segment_buffer 1
		.amdhsa_user_sgpr_dispatch_ptr 0
		.amdhsa_user_sgpr_queue_ptr 0
		.amdhsa_user_sgpr_kernarg_segment_ptr 1
		.amdhsa_user_sgpr_dispatch_id 0
		.amdhsa_user_sgpr_flat_scratch_init 0
		.amdhsa_user_sgpr_kernarg_preload_length 0
		.amdhsa_user_sgpr_kernarg_preload_offset 0
		.amdhsa_user_sgpr_private_segment_size 0
		.amdhsa_uses_dynamic_stack 0
		.amdhsa_system_sgpr_private_segment_wavefront_offset 0
		.amdhsa_system_sgpr_workgroup_id_x 1
		.amdhsa_system_sgpr_workgroup_id_y 1
		.amdhsa_system_sgpr_workgroup_id_z 1
		.amdhsa_system_sgpr_workgroup_info 0
		.amdhsa_system_vgpr_workitem_id 0
		.amdhsa_next_free_vgpr 50
		.amdhsa_next_free_sgpr 96
		.amdhsa_accum_offset 52
		.amdhsa_reserve_vcc 1
		.amdhsa_reserve_flat_scratch 0
		.amdhsa_float_round_mode_32 0
		.amdhsa_float_round_mode_16_64 0
		.amdhsa_float_denorm_mode_32 3
		.amdhsa_float_denorm_mode_16_64 3
		.amdhsa_dx10_clamp 1
		.amdhsa_ieee_mode 1
		.amdhsa_fp16_overflow 0
		.amdhsa_tg_split 0
		.amdhsa_exception_fp_ieee_invalid_op 0
		.amdhsa_exception_fp_denorm_src 0
		.amdhsa_exception_fp_ieee_div_zero 0
		.amdhsa_exception_fp_ieee_overflow 0
		.amdhsa_exception_fp_ieee_underflow 0
		.amdhsa_exception_fp_ieee_inexact 0
		.amdhsa_exception_int_div_zero 0
	.end_amdhsa_kernel
	.section	.text._ZN2at6native6sbtopk10gatherTopKIN3c108BFloat16EmLi3ELb0EEEvNS_4cuda6detail10TensorInfoIKT_T0_EESA_SA_bSA_SA_NS7_IS8_SA_EESA_NS7_IlSA_EESA_PS8_,"axG",@progbits,_ZN2at6native6sbtopk10gatherTopKIN3c108BFloat16EmLi3ELb0EEEvNS_4cuda6detail10TensorInfoIKT_T0_EESA_SA_bSA_SA_NS7_IS8_SA_EESA_NS7_IlSA_EESA_PS8_,comdat
.Lfunc_end222:
	.size	_ZN2at6native6sbtopk10gatherTopKIN3c108BFloat16EmLi3ELb0EEEvNS_4cuda6detail10TensorInfoIKT_T0_EESA_SA_bSA_SA_NS7_IS8_SA_EESA_NS7_IlSA_EESA_PS8_, .Lfunc_end222-_ZN2at6native6sbtopk10gatherTopKIN3c108BFloat16EmLi3ELb0EEEvNS_4cuda6detail10TensorInfoIKT_T0_EESA_SA_bSA_SA_NS7_IS8_SA_EESA_NS7_IlSA_EESA_PS8_
                                        ; -- End function
	.section	.AMDGPU.csdata,"",@progbits
; Kernel info:
; codeLenInByte = 28860
; NumSgprs: 100
; NumVgprs: 50
; NumAgprs: 0
; TotalNumVgprs: 50
; ScratchSize: 0
; MemoryBound: 0
; FloatMode: 240
; IeeeMode: 1
; LDSByteSize: 5152 bytes/workgroup (compile time only)
; SGPRBlocks: 12
; VGPRBlocks: 6
; NumSGPRsForWavesPerEU: 100
; NumVGPRsForWavesPerEU: 50
; AccumOffset: 52
; Occupancy: 8
; WaveLimiterHint : 1
; COMPUTE_PGM_RSRC2:SCRATCH_EN: 0
; COMPUTE_PGM_RSRC2:USER_SGPR: 6
; COMPUTE_PGM_RSRC2:TRAP_HANDLER: 0
; COMPUTE_PGM_RSRC2:TGID_X_EN: 1
; COMPUTE_PGM_RSRC2:TGID_Y_EN: 1
; COMPUTE_PGM_RSRC2:TGID_Z_EN: 1
; COMPUTE_PGM_RSRC2:TIDIG_COMP_CNT: 0
; COMPUTE_PGM_RSRC3_GFX90A:ACCUM_OFFSET: 12
; COMPUTE_PGM_RSRC3_GFX90A:TG_SPLIT: 0
	.section	.text._ZN2at6native6mbtopk23computeBlockDigitCountsIN3c108BFloat16EmjLin1EEEvNS_4cuda6detail10TensorInfoIKT_T0_EEjPjjSA_iijT1_PSD_Ps,"axG",@progbits,_ZN2at6native6mbtopk23computeBlockDigitCountsIN3c108BFloat16EmjLin1EEEvNS_4cuda6detail10TensorInfoIKT_T0_EEjPjjSA_iijT1_PSD_Ps,comdat
	.protected	_ZN2at6native6mbtopk23computeBlockDigitCountsIN3c108BFloat16EmjLin1EEEvNS_4cuda6detail10TensorInfoIKT_T0_EEjPjjSA_iijT1_PSD_Ps ; -- Begin function _ZN2at6native6mbtopk23computeBlockDigitCountsIN3c108BFloat16EmjLin1EEEvNS_4cuda6detail10TensorInfoIKT_T0_EEjPjjSA_iijT1_PSD_Ps
	.globl	_ZN2at6native6mbtopk23computeBlockDigitCountsIN3c108BFloat16EmjLin1EEEvNS_4cuda6detail10TensorInfoIKT_T0_EEjPjjSA_iijT1_PSD_Ps
	.p2align	8
	.type	_ZN2at6native6mbtopk23computeBlockDigitCountsIN3c108BFloat16EmjLin1EEEvNS_4cuda6detail10TensorInfoIKT_T0_EEjPjjSA_iijT1_PSD_Ps,@function
_ZN2at6native6mbtopk23computeBlockDigitCountsIN3c108BFloat16EmjLin1EEEvNS_4cuda6detail10TensorInfoIKT_T0_EEjPjjSA_iijT1_PSD_Ps: ; @_ZN2at6native6mbtopk23computeBlockDigitCountsIN3c108BFloat16EmjLin1EEEvNS_4cuda6detail10TensorInfoIKT_T0_EEjPjjSA_iijT1_PSD_Ps
; %bb.0:
	s_load_dwordx4 s[12:15], s[4:5], 0x1c0
	s_load_dword s2, s[4:5], 0x1b0
	s_load_dwordx2 s[0:1], s[4:5], 0x1e0
	s_mov_b32 s9, 0
	s_waitcnt lgkmcnt(0)
	v_cvt_f32_u32_e32 v1, s14
	s_sub_i32 s3, 0, s14
	s_mul_i32 s1, s1, s8
	s_add_i32 s1, s1, s7
	v_rcp_iflag_f32_e32 v1, v1
	s_mul_i32 s26, s1, s0
	s_add_i32 s26, s26, s6
	v_mul_f32_e32 v1, 0x4f7ffffe, v1
	v_cvt_u32_f32_e32 v1, v1
	v_readfirstlane_b32 s0, v1
	s_mul_i32 s3, s3, s0
	s_mul_hi_u32 s1, s0, s3
	s_add_i32 s0, s0, s1
	s_mul_hi_u32 s0, s26, s0
	s_mul_i32 s1, s0, s14
	s_sub_i32 s1, s26, s1
	s_add_i32 s3, s0, 1
	s_sub_i32 s6, s1, s14
	s_cmp_ge_u32 s1, s14
	s_cselect_b32 s0, s3, s0
	s_cselect_b32 s1, s6, s1
	s_add_i32 s3, s0, 1
	s_cmp_ge_u32 s1, s14
	s_cselect_b32 s8, s3, s0
	s_cmp_ge_u32 s8, s2
	s_cbranch_scc1 .LBB223_32
; %bb.1:
	s_load_dwordx4 s[0:3], s[4:5], 0x1d0
	s_load_dword s16, s[4:5], 0x198
	s_lshl_b64 s[6:7], s[8:9], 2
	s_mov_b64 s[20:21], s[8:9]
	s_waitcnt lgkmcnt(0)
	s_add_u32 s10, s0, s6
	s_addc_u32 s11, s1, s7
	s_cmp_lt_i32 s16, 2
	s_mov_b64 s[6:7], 0
	s_cbranch_scc1 .LBB223_9
; %bb.2:
	s_add_i32 s9, s16, 1
	s_add_i32 s0, s16, -1
	s_mov_b32 s16, 0
	s_mov_b32 s1, s16
	s_lshl_b64 s[0:1], s[0:1], 3
	s_add_u32 s0, s0, s4
	s_addc_u32 s1, s1, s5
	s_add_u32 s18, s0, 8
	s_addc_u32 s19, s1, 0
.LBB223_3:                              ; =>This Inner Loop Header: Depth=1
	s_load_dwordx2 s[22:23], s[18:19], 0x0
	s_waitcnt lgkmcnt(0)
	s_or_b64 s[0:1], s[20:21], s[22:23]
	s_mov_b32 s17, s1
	s_cmp_lg_u64 s[16:17], 0
	s_cbranch_scc0 .LBB223_8
; %bb.4:                                ;   in Loop: Header=BB223_3 Depth=1
	v_cvt_f32_u32_e32 v1, s22
	v_cvt_f32_u32_e32 v2, s23
	s_sub_u32 s0, 0, s22
	s_subb_u32 s1, 0, s23
	v_mac_f32_e32 v1, 0x4f800000, v2
	v_rcp_f32_e32 v1, v1
	v_mul_f32_e32 v1, 0x5f7ffffc, v1
	v_mul_f32_e32 v2, 0x2f800000, v1
	v_trunc_f32_e32 v2, v2
	v_mac_f32_e32 v1, 0xcf800000, v2
	v_cvt_u32_f32_e32 v2, v2
	v_cvt_u32_f32_e32 v1, v1
	v_readfirstlane_b32 s17, v2
	v_readfirstlane_b32 s24, v1
	s_mul_i32 s25, s0, s17
	s_mul_hi_u32 s28, s0, s24
	s_mul_i32 s27, s1, s24
	s_add_i32 s25, s28, s25
	s_mul_i32 s29, s0, s24
	s_add_i32 s25, s25, s27
	s_mul_hi_u32 s27, s24, s25
	s_mul_i32 s28, s24, s25
	s_mul_hi_u32 s24, s24, s29
	s_add_u32 s24, s24, s28
	s_addc_u32 s27, 0, s27
	s_mul_hi_u32 s30, s17, s29
	s_mul_i32 s29, s17, s29
	s_add_u32 s24, s24, s29
	s_mul_hi_u32 s28, s17, s25
	s_addc_u32 s24, s27, s30
	s_addc_u32 s27, s28, 0
	s_mul_i32 s25, s17, s25
	s_add_u32 s24, s24, s25
	s_addc_u32 s25, 0, s27
	v_add_co_u32_e32 v1, vcc, s24, v1
	s_cmp_lg_u64 vcc, 0
	s_addc_u32 s17, s17, s25
	v_readfirstlane_b32 s25, v1
	s_mul_i32 s24, s0, s17
	s_mul_hi_u32 s27, s0, s25
	s_add_i32 s24, s27, s24
	s_mul_i32 s1, s1, s25
	s_add_i32 s24, s24, s1
	s_mul_i32 s0, s0, s25
	s_mul_hi_u32 s27, s17, s0
	s_mul_i32 s28, s17, s0
	s_mul_i32 s30, s25, s24
	s_mul_hi_u32 s0, s25, s0
	s_mul_hi_u32 s29, s25, s24
	s_add_u32 s0, s0, s30
	s_addc_u32 s25, 0, s29
	s_add_u32 s0, s0, s28
	s_mul_hi_u32 s1, s17, s24
	s_addc_u32 s0, s25, s27
	s_addc_u32 s1, s1, 0
	s_mul_i32 s24, s17, s24
	s_add_u32 s0, s0, s24
	s_addc_u32 s1, 0, s1
	v_add_co_u32_e32 v1, vcc, s0, v1
	s_cmp_lg_u64 vcc, 0
	s_addc_u32 s0, s17, s1
	v_readfirstlane_b32 s24, v1
	s_mul_i32 s17, s20, s0
	s_mul_hi_u32 s25, s20, s24
	s_mul_hi_u32 s1, s20, s0
	s_add_u32 s17, s25, s17
	s_addc_u32 s1, 0, s1
	s_mul_hi_u32 s27, s21, s24
	s_mul_i32 s24, s21, s24
	s_add_u32 s17, s17, s24
	s_mul_hi_u32 s25, s21, s0
	s_addc_u32 s1, s1, s27
	s_addc_u32 s17, s25, 0
	s_mul_i32 s0, s21, s0
	s_add_u32 s24, s1, s0
	s_addc_u32 s17, 0, s17
	s_mul_i32 s0, s22, s17
	s_mul_hi_u32 s1, s22, s24
	s_add_i32 s0, s1, s0
	s_mul_i32 s1, s23, s24
	s_add_i32 s25, s0, s1
	s_mul_i32 s1, s22, s24
	v_mov_b32_e32 v1, s1
	s_sub_i32 s0, s21, s25
	v_sub_co_u32_e32 v1, vcc, s20, v1
	s_cmp_lg_u64 vcc, 0
	s_subb_u32 s27, s0, s23
	v_subrev_co_u32_e64 v2, s[0:1], s22, v1
	s_cmp_lg_u64 s[0:1], 0
	s_subb_u32 s0, s27, 0
	s_cmp_ge_u32 s0, s23
	v_readfirstlane_b32 s27, v2
	s_cselect_b32 s1, -1, 0
	s_cmp_ge_u32 s27, s22
	s_cselect_b32 s27, -1, 0
	s_cmp_eq_u32 s0, s23
	s_cselect_b32 s0, s27, s1
	s_add_u32 s1, s24, 1
	s_addc_u32 s27, s17, 0
	s_add_u32 s28, s24, 2
	s_addc_u32 s29, s17, 0
	s_cmp_lg_u32 s0, 0
	s_cselect_b32 s0, s28, s1
	s_cselect_b32 s1, s29, s27
	s_cmp_lg_u64 vcc, 0
	s_subb_u32 s25, s21, s25
	s_cmp_ge_u32 s25, s23
	v_readfirstlane_b32 s28, v1
	s_cselect_b32 s27, -1, 0
	s_cmp_ge_u32 s28, s22
	s_cselect_b32 s28, -1, 0
	s_cmp_eq_u32 s25, s23
	s_cselect_b32 s25, s28, s27
	s_cmp_lg_u32 s25, 0
	s_cselect_b32 s1, s1, s17
	s_cselect_b32 s0, s0, s24
	s_cbranch_execnz .LBB223_6
.LBB223_5:                              ;   in Loop: Header=BB223_3 Depth=1
	v_cvt_f32_u32_e32 v1, s22
	s_sub_i32 s0, 0, s22
	v_rcp_iflag_f32_e32 v1, v1
	v_mul_f32_e32 v1, 0x4f7ffffe, v1
	v_cvt_u32_f32_e32 v1, v1
	v_readfirstlane_b32 s1, v1
	s_mul_i32 s0, s0, s1
	s_mul_hi_u32 s0, s1, s0
	s_add_i32 s1, s1, s0
	s_mul_hi_u32 s0, s20, s1
	s_mul_i32 s17, s0, s22
	s_sub_i32 s17, s20, s17
	s_add_i32 s1, s0, 1
	s_sub_i32 s24, s17, s22
	s_cmp_ge_u32 s17, s22
	s_cselect_b32 s0, s1, s0
	s_cselect_b32 s17, s24, s17
	s_add_i32 s1, s0, 1
	s_cmp_ge_u32 s17, s22
	s_cselect_b32 s0, s1, s0
	s_mov_b32 s1, s16
.LBB223_6:                              ;   in Loop: Header=BB223_3 Depth=1
	s_mul_i32 s17, s0, s23
	s_mul_hi_u32 s23, s0, s22
	s_load_dwordx2 s[24:25], s[18:19], 0xc8
	s_add_i32 s17, s23, s17
	s_mul_i32 s23, s1, s22
	s_add_i32 s17, s17, s23
	s_mul_i32 s22, s0, s22
	s_sub_u32 s20, s20, s22
	s_subb_u32 s17, s21, s17
	s_waitcnt lgkmcnt(0)
	s_mul_i32 s17, s24, s17
	s_mul_hi_u32 s21, s24, s20
	s_add_i32 s17, s21, s17
	s_mul_i32 s21, s25, s20
	s_add_i32 s17, s17, s21
	s_mul_i32 s20, s24, s20
	s_add_u32 s6, s20, s6
	s_addc_u32 s7, s17, s7
	s_add_i32 s9, s9, -1
	s_add_u32 s18, s18, -8
	s_addc_u32 s19, s19, -1
	s_cmp_gt_u32 s9, 2
	s_cbranch_scc0 .LBB223_10
; %bb.7:                                ;   in Loop: Header=BB223_3 Depth=1
	s_mov_b64 s[20:21], s[0:1]
	s_branch .LBB223_3
.LBB223_8:                              ;   in Loop: Header=BB223_3 Depth=1
                                        ; implicit-def: $sgpr0_sgpr1
	s_branch .LBB223_5
.LBB223_9:
	s_mov_b64 s[0:1], s[20:21]
.LBB223_10:
	s_load_dword s16, s[10:11], 0x0
	s_movk_i32 s9, 0x100
	v_cmp_gt_u32_e32 vcc, s9, v0
	v_lshlrev_b32_e32 v1, 2, v0
	s_and_saveexec_b64 s[10:11], vcc
	s_cbranch_execz .LBB223_12
; %bb.11:
	v_mov_b32_e32 v2, 0
	ds_write_b32 v1, v2
.LBB223_12:
	s_or_b64 exec, exec, s[10:11]
	s_load_dword s10, s[4:5], 0x1a0
	s_mul_i32 s8, s8, s14
	s_sub_i32 s8, s26, s8
	s_add_i32 s9, s8, 1
	s_mul_i32 s8, s13, s8
	s_lshl_b32 s17, s8, 8
	s_waitcnt lgkmcnt(0)
	s_sub_i32 s8, s10, s17
	s_add_u32 s8, s8, 0xff
	s_addc_u32 s11, 0, 0
	v_mov_b32_e32 v2, s8
	v_alignbit_b32 v2, s11, v2, 8
	s_cmp_lt_u32 s9, s14
	v_readfirstlane_b32 s8, v2
	s_cselect_b32 s11, s13, s8
	s_cmp_lt_i32 s11, 1
	s_mov_b32 s14, 0
	s_barrier
	s_cbranch_scc1 .LBB223_28
; %bb.13:
	s_load_dwordx2 s[18:19], s[4:5], 0xd0
	s_load_dwordx2 s[8:9], s[4:5], 0x1b8
	s_load_dwordx2 s[20:21], s[4:5], 0x0
	v_add_u32_e32 v2, s17, v0
	s_waitcnt lgkmcnt(0)
	s_mul_i32 s1, s18, s1
	s_mul_hi_u32 s4, s18, s0
	s_mul_i32 s5, s19, s0
	s_add_i32 s1, s4, s1
	s_add_i32 s1, s1, s5
	s_mul_i32 s0, s18, s0
	s_lshl_b64 s[0:1], s[0:1], 1
	s_add_u32 s4, s20, s0
	s_addc_u32 s5, s21, s1
	s_lshl_b64 s[0:1], s[6:7], 1
	s_add_u32 s7, s4, s0
	s_addc_u32 s13, s5, s1
	s_and_b32 s6, s12, 0xff
	s_cmp_eq_u32 s11, 1
	s_cbranch_scc1 .LBB223_23
; %bb.14:
	s_and_b32 s12, s11, 0x7ffffffe
	v_mov_b32_e32 v3, 1
	v_mov_b32_e32 v4, 0xffff
	;; [unrolled: 1-line block ×4, first 2 shown]
	s_branch .LBB223_16
.LBB223_15:                             ;   in Loop: Header=BB223_16 Depth=1
	s_or_b64 exec, exec, s[4:5]
	s_add_i32 s14, s14, 2
	s_cmp_eq_u32 s12, s14
	v_add_u32_e32 v6, 0x200, v6
	s_cbranch_scc1 .LBB223_22
.LBB223_16:                             ; =>This Inner Loop Header: Depth=1
	v_cmp_gt_u32_e64 s[0:1], s10, v6
	s_and_saveexec_b64 s[4:5], s[0:1]
	s_cbranch_execz .LBB223_19
; %bb.17:                               ;   in Loop: Header=BB223_16 Depth=1
	v_mad_u64_u32 v[8:9], s[0:1], v6, s8, 0
	v_mov_b32_e32 v10, v9
	v_mad_u64_u32 v[10:11], s[0:1], v6, s9, v[10:11]
	v_mov_b32_e32 v9, v10
	v_lshlrev_b64 v[8:9], 1, v[8:9]
	v_mov_b32_e32 v7, s13
	v_add_co_u32_e64 v8, s[0:1], s7, v8
	v_addc_co_u32_e64 v9, s[0:1], v7, v9, s[0:1]
	global_load_ushort v7, v[8:9], off
	s_waitcnt vmcnt(0)
	v_cmp_lt_i16_e64 s[0:1], -1, v7
	v_cndmask_b32_e64 v8, v4, v5, s[0:1]
	v_lshlrev_b32_e32 v9, 16, v7
	v_xor_b32_sdwa v7, v8, v7 dst_sel:DWORD dst_unused:UNUSED_PAD src0_sel:DWORD src1_sel:WORD_0
	v_cmp_o_f32_e64 s[0:1], v9, v9
	v_cndmask_b32_e64 v7, v4, v7, s[0:1]
	v_xor_b32_e32 v8, s16, v7
	v_and_b32_e32 v8, s15, v8
	v_cmp_eq_u32_e64 s[0:1], 0, v8
	s_and_b64 exec, exec, s[0:1]
	s_cbranch_execz .LBB223_19
; %bb.18:                               ;   in Loop: Header=BB223_16 Depth=1
	v_bfe_u32 v7, v7, s6, 8
	v_lshlrev_b32_e32 v7, 2, v7
	ds_add_u32 v7, v3
.LBB223_19:                             ;   in Loop: Header=BB223_16 Depth=1
	s_or_b64 exec, exec, s[4:5]
	v_add_u32_e32 v7, 0x100, v6
	v_cmp_gt_u32_e64 s[0:1], s10, v7
	s_and_saveexec_b64 s[4:5], s[0:1]
	s_cbranch_execz .LBB223_15
; %bb.20:                               ;   in Loop: Header=BB223_16 Depth=1
	v_mad_u64_u32 v[8:9], s[0:1], v7, s8, 0
	v_mov_b32_e32 v10, v9
	v_mad_u64_u32 v[10:11], s[0:1], v7, s9, v[10:11]
	v_mov_b32_e32 v9, v10
	v_lshlrev_b64 v[8:9], 1, v[8:9]
	v_mov_b32_e32 v7, s13
	v_add_co_u32_e64 v8, s[0:1], s7, v8
	v_addc_co_u32_e64 v9, s[0:1], v7, v9, s[0:1]
	global_load_ushort v7, v[8:9], off
	s_waitcnt vmcnt(0)
	v_cmp_lt_i16_e64 s[0:1], -1, v7
	v_cndmask_b32_e64 v8, v4, v5, s[0:1]
	v_lshlrev_b32_e32 v9, 16, v7
	v_xor_b32_sdwa v7, v8, v7 dst_sel:DWORD dst_unused:UNUSED_PAD src0_sel:DWORD src1_sel:WORD_0
	v_cmp_o_f32_e64 s[0:1], v9, v9
	v_cndmask_b32_e64 v7, v4, v7, s[0:1]
	v_xor_b32_e32 v8, s16, v7
	v_and_b32_e32 v8, s15, v8
	v_cmp_eq_u32_e64 s[0:1], 0, v8
	s_and_b64 exec, exec, s[0:1]
	s_cbranch_execz .LBB223_15
; %bb.21:                               ;   in Loop: Header=BB223_16 Depth=1
	v_bfe_u32 v7, v7, s6, 8
	v_lshlrev_b32_e32 v7, 2, v7
	ds_add_u32 v7, v3
	s_branch .LBB223_15
.LBB223_22:
	s_lshl_b32 s14, s12, 8
.LBB223_23:
	s_bitcmp0_b32 s11, 0
	s_cbranch_scc1 .LBB223_28
; %bb.24:
	v_add_u32_e32 v2, s14, v2
	v_cmp_gt_u32_e64 s[0:1], s10, v2
	s_and_saveexec_b64 s[4:5], s[0:1]
	s_cbranch_execz .LBB223_27
; %bb.25:
	v_mad_u64_u32 v[4:5], s[0:1], v2, s8, 0
	v_mov_b32_e32 v6, v5
	v_mad_u64_u32 v[2:3], s[0:1], v2, s9, v[6:7]
	v_mov_b32_e32 v5, v2
	v_lshlrev_b64 v[2:3], 1, v[4:5]
	v_mov_b32_e32 v4, s13
	v_add_co_u32_e64 v2, s[0:1], s7, v2
	v_addc_co_u32_e64 v3, s[0:1], v4, v3, s[0:1]
	global_load_ushort v2, v[2:3], off
	v_mov_b32_e32 v3, 0xffff
	v_mov_b32_e32 v4, 0x8000
	s_waitcnt vmcnt(0)
	v_cmp_lt_i16_e64 s[0:1], -1, v2
	v_cndmask_b32_e64 v4, v3, v4, s[0:1]
	v_lshlrev_b32_e32 v5, 16, v2
	v_xor_b32_sdwa v2, v4, v2 dst_sel:DWORD dst_unused:UNUSED_PAD src0_sel:DWORD src1_sel:WORD_0
	v_cmp_o_f32_e64 s[0:1], v5, v5
	v_cndmask_b32_e64 v2, v3, v2, s[0:1]
	v_xor_b32_e32 v3, s16, v2
	v_and_b32_e32 v3, s15, v3
	v_cmp_eq_u32_e64 s[0:1], 0, v3
	s_and_b64 exec, exec, s[0:1]
	s_cbranch_execz .LBB223_27
; %bb.26:
	v_bfe_u32 v2, v2, s6, 8
	v_lshlrev_b32_e32 v2, 2, v2
	v_mov_b32_e32 v3, 1
	ds_add_u32 v2, v3
.LBB223_27:
	s_or_b64 exec, exec, s[4:5]
.LBB223_28:
	v_mov_b32_e32 v2, 0
	s_waitcnt lgkmcnt(0)
	s_barrier
	s_and_saveexec_b64 s[0:1], vcc
	s_cbranch_execz .LBB223_30
; %bb.29:
	ds_read_b32 v2, v1
.LBB223_30:
	s_or_b64 exec, exec, s[0:1]
	s_and_saveexec_b64 s[0:1], vcc
	s_cbranch_execz .LBB223_32
; %bb.31:
	v_lshl_or_b32 v0, s26, 8, v0
	v_mov_b32_e32 v1, 0
	v_lshlrev_b64 v[0:1], 1, v[0:1]
	v_mov_b32_e32 v3, s3
	v_add_co_u32_e32 v0, vcc, s2, v0
	v_addc_co_u32_e32 v1, vcc, v3, v1, vcc
	s_waitcnt lgkmcnt(0)
	global_store_short v[0:1], v2, off
.LBB223_32:
	s_endpgm
	.section	.rodata,"a",@progbits
	.p2align	6, 0x0
	.amdhsa_kernel _ZN2at6native6mbtopk23computeBlockDigitCountsIN3c108BFloat16EmjLin1EEEvNS_4cuda6detail10TensorInfoIKT_T0_EEjPjjSA_iijT1_PSD_Ps
		.amdhsa_group_segment_fixed_size 1024
		.amdhsa_private_segment_fixed_size 0
		.amdhsa_kernarg_size 736
		.amdhsa_user_sgpr_count 6
		.amdhsa_user_sgpr_private_segment_buffer 1
		.amdhsa_user_sgpr_dispatch_ptr 0
		.amdhsa_user_sgpr_queue_ptr 0
		.amdhsa_user_sgpr_kernarg_segment_ptr 1
		.amdhsa_user_sgpr_dispatch_id 0
		.amdhsa_user_sgpr_flat_scratch_init 0
		.amdhsa_user_sgpr_kernarg_preload_length 0
		.amdhsa_user_sgpr_kernarg_preload_offset 0
		.amdhsa_user_sgpr_private_segment_size 0
		.amdhsa_uses_dynamic_stack 0
		.amdhsa_system_sgpr_private_segment_wavefront_offset 0
		.amdhsa_system_sgpr_workgroup_id_x 1
		.amdhsa_system_sgpr_workgroup_id_y 1
		.amdhsa_system_sgpr_workgroup_id_z 1
		.amdhsa_system_sgpr_workgroup_info 0
		.amdhsa_system_vgpr_workitem_id 0
		.amdhsa_next_free_vgpr 12
		.amdhsa_next_free_sgpr 31
		.amdhsa_accum_offset 12
		.amdhsa_reserve_vcc 1
		.amdhsa_reserve_flat_scratch 0
		.amdhsa_float_round_mode_32 0
		.amdhsa_float_round_mode_16_64 0
		.amdhsa_float_denorm_mode_32 3
		.amdhsa_float_denorm_mode_16_64 3
		.amdhsa_dx10_clamp 1
		.amdhsa_ieee_mode 1
		.amdhsa_fp16_overflow 0
		.amdhsa_tg_split 0
		.amdhsa_exception_fp_ieee_invalid_op 0
		.amdhsa_exception_fp_denorm_src 0
		.amdhsa_exception_fp_ieee_div_zero 0
		.amdhsa_exception_fp_ieee_overflow 0
		.amdhsa_exception_fp_ieee_underflow 0
		.amdhsa_exception_fp_ieee_inexact 0
		.amdhsa_exception_int_div_zero 0
	.end_amdhsa_kernel
	.section	.text._ZN2at6native6mbtopk23computeBlockDigitCountsIN3c108BFloat16EmjLin1EEEvNS_4cuda6detail10TensorInfoIKT_T0_EEjPjjSA_iijT1_PSD_Ps,"axG",@progbits,_ZN2at6native6mbtopk23computeBlockDigitCountsIN3c108BFloat16EmjLin1EEEvNS_4cuda6detail10TensorInfoIKT_T0_EEjPjjSA_iijT1_PSD_Ps,comdat
.Lfunc_end223:
	.size	_ZN2at6native6mbtopk23computeBlockDigitCountsIN3c108BFloat16EmjLin1EEEvNS_4cuda6detail10TensorInfoIKT_T0_EEjPjjSA_iijT1_PSD_Ps, .Lfunc_end223-_ZN2at6native6mbtopk23computeBlockDigitCountsIN3c108BFloat16EmjLin1EEEvNS_4cuda6detail10TensorInfoIKT_T0_EEjPjjSA_iijT1_PSD_Ps
                                        ; -- End function
	.section	.AMDGPU.csdata,"",@progbits
; Kernel info:
; codeLenInByte = 1876
; NumSgprs: 35
; NumVgprs: 12
; NumAgprs: 0
; TotalNumVgprs: 12
; ScratchSize: 0
; MemoryBound: 0
; FloatMode: 240
; IeeeMode: 1
; LDSByteSize: 1024 bytes/workgroup (compile time only)
; SGPRBlocks: 4
; VGPRBlocks: 1
; NumSGPRsForWavesPerEU: 35
; NumVGPRsForWavesPerEU: 12
; AccumOffset: 12
; Occupancy: 8
; WaveLimiterHint : 0
; COMPUTE_PGM_RSRC2:SCRATCH_EN: 0
; COMPUTE_PGM_RSRC2:USER_SGPR: 6
; COMPUTE_PGM_RSRC2:TRAP_HANDLER: 0
; COMPUTE_PGM_RSRC2:TGID_X_EN: 1
; COMPUTE_PGM_RSRC2:TGID_Y_EN: 1
; COMPUTE_PGM_RSRC2:TGID_Z_EN: 1
; COMPUTE_PGM_RSRC2:TIDIG_COMP_CNT: 0
; COMPUTE_PGM_RSRC3_GFX90A:ACCUM_OFFSET: 2
; COMPUTE_PGM_RSRC3_GFX90A:TG_SPLIT: 0
	.section	.text._ZN2at6native6mbtopk10gatherTopKIN3c108BFloat16EmLin1EEEvNS_4cuda6detail10TensorInfoIKT_T0_EESA_SA_bjSA_NS7_IS8_SA_EESA_NS7_IlSA_EESA_jjPS8_PjSF_j,"axG",@progbits,_ZN2at6native6mbtopk10gatherTopKIN3c108BFloat16EmLin1EEEvNS_4cuda6detail10TensorInfoIKT_T0_EESA_SA_bjSA_NS7_IS8_SA_EESA_NS7_IlSA_EESA_jjPS8_PjSF_j,comdat
	.protected	_ZN2at6native6mbtopk10gatherTopKIN3c108BFloat16EmLin1EEEvNS_4cuda6detail10TensorInfoIKT_T0_EESA_SA_bjSA_NS7_IS8_SA_EESA_NS7_IlSA_EESA_jjPS8_PjSF_j ; -- Begin function _ZN2at6native6mbtopk10gatherTopKIN3c108BFloat16EmLin1EEEvNS_4cuda6detail10TensorInfoIKT_T0_EESA_SA_bjSA_NS7_IS8_SA_EESA_NS7_IlSA_EESA_jjPS8_PjSF_j
	.globl	_ZN2at6native6mbtopk10gatherTopKIN3c108BFloat16EmLin1EEEvNS_4cuda6detail10TensorInfoIKT_T0_EESA_SA_bjSA_NS7_IS8_SA_EESA_NS7_IlSA_EESA_jjPS8_PjSF_j
	.p2align	8
	.type	_ZN2at6native6mbtopk10gatherTopKIN3c108BFloat16EmLin1EEEvNS_4cuda6detail10TensorInfoIKT_T0_EESA_SA_bjSA_NS7_IS8_SA_EESA_NS7_IlSA_EESA_jjPS8_PjSF_j,@function
_ZN2at6native6mbtopk10gatherTopKIN3c108BFloat16EmLin1EEEvNS_4cuda6detail10TensorInfoIKT_T0_EESA_SA_bjSA_NS7_IS8_SA_EESA_NS7_IlSA_EESA_jjPS8_PjSF_j: ; @_ZN2at6native6mbtopk10gatherTopKIN3c108BFloat16EmLin1EEEvNS_4cuda6detail10TensorInfoIKT_T0_EESA_SA_bjSA_NS7_IS8_SA_EESA_NS7_IlSA_EESA_jjPS8_PjSF_j
; %bb.0:
	s_load_dwordx2 s[0:1], s[4:5], 0x538
	s_load_dword s2, s[4:5], 0x530
	s_waitcnt lgkmcnt(0)
	s_mul_i32 s1, s1, s8
	s_add_i32 s1, s1, s7
	s_mul_i32 s0, s1, s0
	s_add_i32 s0, s0, s6
	s_cmp_ge_u32 s0, s2
	s_cbranch_scc1 .LBB224_67
; %bb.1:
	s_load_dwordx2 s[20:21], s[4:5], 0x510
	s_load_dwordx4 s[8:11], s[4:5], 0x1a0
	s_mov_b32 s3, 0
	s_waitcnt lgkmcnt(0)
	v_cvt_f32_u32_e32 v1, s21
	s_sub_i32 s2, 0, s21
	s_lshl_b32 s1, s20, 8
	v_rcp_iflag_f32_e32 v1, v1
	v_mul_f32_e32 v1, 0x4f7ffffe, v1
	v_cvt_u32_f32_e32 v1, v1
	v_readfirstlane_b32 s6, v1
	s_mul_i32 s2, s2, s6
	s_mul_hi_u32 s2, s6, s2
	s_add_i32 s6, s6, s2
	s_mul_hi_u32 s2, s0, s6
	s_mul_i32 s6, s2, s21
	s_sub_i32 s6, s0, s6
	s_add_i32 s7, s2, 1
	s_sub_i32 s12, s6, s21
	s_cmp_ge_u32 s6, s21
	s_cselect_b32 s2, s7, s2
	s_cselect_b32 s6, s12, s6
	s_add_i32 s7, s2, 1
	s_cmp_ge_u32 s6, s21
	s_cselect_b32 s2, s7, s2
	s_mul_i32 s22, s2, s21
	s_sub_i32 s54, s0, s22
	s_add_i32 s0, s54, 1
	s_cmp_lt_u32 s0, s21
	s_mul_i32 s33, s54, s1
	s_cbranch_scc1 .LBB224_3
; %bb.2:
	s_sub_u32 s0, s8, s33
	s_subb_u32 s1, s9, 0
	s_add_u32 s0, s0, 0xff
	s_addc_u32 s1, s1, 0
	s_ashr_i32 s6, s1, 31
	s_lshr_b32 s6, s6, 24
	s_add_u32 s0, s0, s6
	s_addc_u32 s1, s1, 0
	v_mov_b32_e32 v1, s0
	v_alignbit_b32 v1, s1, v1, 8
	v_readfirstlane_b32 s20, v1
.LBB224_3:
	s_load_dword s0, s[4:5], 0x198
	s_mov_b64 s[6:7], 0
	s_mov_b64 s[24:25], s[2:3]
	s_waitcnt lgkmcnt(0)
	s_cmp_lt_i32 s0, 2
	s_cbranch_scc1 .LBB224_11
; %bb.4:
	s_mov_b32 s12, 0
	s_add_i32 s23, s0, 1
	s_add_i32 s0, s0, -1
	s_mov_b32 s1, s12
	s_lshl_b64 s[0:1], s[0:1], 3
	s_add_u32 s0, s0, s4
	s_addc_u32 s1, s1, s5
	s_add_u32 s14, s0, 8
	s_addc_u32 s15, s1, 0
	s_mov_b64 s[16:17], s[2:3]
.LBB224_5:                              ; =>This Inner Loop Header: Depth=1
	s_load_dwordx2 s[18:19], s[14:15], 0x0
	s_waitcnt lgkmcnt(0)
	s_or_b64 s[0:1], s[16:17], s[18:19]
	s_mov_b32 s13, s1
	s_cmp_lg_u64 s[12:13], 0
	s_cbranch_scc0 .LBB224_10
; %bb.6:                                ;   in Loop: Header=BB224_5 Depth=1
	v_cvt_f32_u32_e32 v1, s18
	v_cvt_f32_u32_e32 v2, s19
	s_sub_u32 s0, 0, s18
	s_subb_u32 s1, 0, s19
	v_mac_f32_e32 v1, 0x4f800000, v2
	v_rcp_f32_e32 v1, v1
	v_mul_f32_e32 v1, 0x5f7ffffc, v1
	v_mul_f32_e32 v2, 0x2f800000, v1
	v_trunc_f32_e32 v2, v2
	v_mac_f32_e32 v1, 0xcf800000, v2
	v_cvt_u32_f32_e32 v2, v2
	v_cvt_u32_f32_e32 v1, v1
	v_readfirstlane_b32 s13, v2
	v_readfirstlane_b32 s24, v1
	s_mul_i32 s25, s0, s13
	s_mul_hi_u32 s27, s0, s24
	s_mul_i32 s26, s1, s24
	s_add_i32 s25, s27, s25
	s_mul_i32 s28, s0, s24
	s_add_i32 s25, s25, s26
	s_mul_hi_u32 s26, s24, s25
	s_mul_i32 s27, s24, s25
	s_mul_hi_u32 s24, s24, s28
	s_add_u32 s24, s24, s27
	s_addc_u32 s26, 0, s26
	s_mul_hi_u32 s29, s13, s28
	s_mul_i32 s28, s13, s28
	s_add_u32 s24, s24, s28
	s_mul_hi_u32 s27, s13, s25
	s_addc_u32 s24, s26, s29
	s_addc_u32 s26, s27, 0
	s_mul_i32 s25, s13, s25
	s_add_u32 s24, s24, s25
	s_addc_u32 s25, 0, s26
	v_add_co_u32_e32 v1, vcc, s24, v1
	s_cmp_lg_u64 vcc, 0
	s_addc_u32 s13, s13, s25
	v_readfirstlane_b32 s25, v1
	s_mul_i32 s24, s0, s13
	s_mul_hi_u32 s26, s0, s25
	s_add_i32 s24, s26, s24
	s_mul_i32 s1, s1, s25
	s_add_i32 s24, s24, s1
	s_mul_i32 s0, s0, s25
	s_mul_hi_u32 s26, s13, s0
	s_mul_i32 s27, s13, s0
	s_mul_i32 s29, s25, s24
	s_mul_hi_u32 s0, s25, s0
	s_mul_hi_u32 s28, s25, s24
	s_add_u32 s0, s0, s29
	s_addc_u32 s25, 0, s28
	s_add_u32 s0, s0, s27
	s_mul_hi_u32 s1, s13, s24
	s_addc_u32 s0, s25, s26
	s_addc_u32 s1, s1, 0
	s_mul_i32 s24, s13, s24
	s_add_u32 s0, s0, s24
	s_addc_u32 s1, 0, s1
	v_add_co_u32_e32 v1, vcc, s0, v1
	s_cmp_lg_u64 vcc, 0
	s_addc_u32 s0, s13, s1
	v_readfirstlane_b32 s24, v1
	s_mul_i32 s13, s16, s0
	s_mul_hi_u32 s25, s16, s24
	s_mul_hi_u32 s1, s16, s0
	s_add_u32 s13, s25, s13
	s_addc_u32 s1, 0, s1
	s_mul_hi_u32 s26, s17, s24
	s_mul_i32 s24, s17, s24
	s_add_u32 s13, s13, s24
	s_mul_hi_u32 s25, s17, s0
	s_addc_u32 s1, s1, s26
	s_addc_u32 s13, s25, 0
	s_mul_i32 s0, s17, s0
	s_add_u32 s24, s1, s0
	s_addc_u32 s13, 0, s13
	s_mul_i32 s0, s18, s13
	s_mul_hi_u32 s1, s18, s24
	s_add_i32 s0, s1, s0
	s_mul_i32 s1, s19, s24
	s_add_i32 s25, s0, s1
	s_mul_i32 s1, s18, s24
	v_mov_b32_e32 v1, s1
	s_sub_i32 s0, s17, s25
	v_sub_co_u32_e32 v1, vcc, s16, v1
	s_cmp_lg_u64 vcc, 0
	s_subb_u32 s26, s0, s19
	v_subrev_co_u32_e64 v2, s[0:1], s18, v1
	s_cmp_lg_u64 s[0:1], 0
	s_subb_u32 s0, s26, 0
	s_cmp_ge_u32 s0, s19
	v_readfirstlane_b32 s26, v2
	s_cselect_b32 s1, -1, 0
	s_cmp_ge_u32 s26, s18
	s_cselect_b32 s26, -1, 0
	s_cmp_eq_u32 s0, s19
	s_cselect_b32 s0, s26, s1
	s_add_u32 s1, s24, 1
	s_addc_u32 s26, s13, 0
	s_add_u32 s27, s24, 2
	s_addc_u32 s28, s13, 0
	s_cmp_lg_u32 s0, 0
	s_cselect_b32 s0, s27, s1
	s_cselect_b32 s1, s28, s26
	s_cmp_lg_u64 vcc, 0
	s_subb_u32 s25, s17, s25
	s_cmp_ge_u32 s25, s19
	v_readfirstlane_b32 s27, v1
	s_cselect_b32 s26, -1, 0
	s_cmp_ge_u32 s27, s18
	s_cselect_b32 s27, -1, 0
	s_cmp_eq_u32 s25, s19
	s_cselect_b32 s25, s27, s26
	s_cmp_lg_u32 s25, 0
	s_cselect_b32 s25, s1, s13
	s_cselect_b32 s24, s0, s24
	s_cbranch_execnz .LBB224_8
.LBB224_7:                              ;   in Loop: Header=BB224_5 Depth=1
	v_cvt_f32_u32_e32 v1, s18
	s_sub_i32 s0, 0, s18
	s_mov_b32 s25, s12
	v_rcp_iflag_f32_e32 v1, v1
	v_mul_f32_e32 v1, 0x4f7ffffe, v1
	v_cvt_u32_f32_e32 v1, v1
	v_readfirstlane_b32 s1, v1
	s_mul_i32 s0, s0, s1
	s_mul_hi_u32 s0, s1, s0
	s_add_i32 s1, s1, s0
	s_mul_hi_u32 s0, s16, s1
	s_mul_i32 s13, s0, s18
	s_sub_i32 s13, s16, s13
	s_add_i32 s1, s0, 1
	s_sub_i32 s24, s13, s18
	s_cmp_ge_u32 s13, s18
	s_cselect_b32 s0, s1, s0
	s_cselect_b32 s13, s24, s13
	s_add_i32 s1, s0, 1
	s_cmp_ge_u32 s13, s18
	s_cselect_b32 s24, s1, s0
.LBB224_8:                              ;   in Loop: Header=BB224_5 Depth=1
	s_mul_i32 s0, s24, s19
	s_mul_hi_u32 s1, s24, s18
	s_add_i32 s13, s1, s0
	s_load_dwordx2 s[0:1], s[14:15], 0xc8
	s_mul_i32 s19, s25, s18
	s_add_i32 s13, s13, s19
	s_mul_i32 s18, s24, s18
	s_sub_u32 s16, s16, s18
	s_subb_u32 s13, s17, s13
	s_waitcnt lgkmcnt(0)
	s_mul_i32 s13, s0, s13
	s_mul_hi_u32 s17, s0, s16
	s_add_i32 s13, s17, s13
	s_mul_i32 s1, s1, s16
	s_add_i32 s13, s13, s1
	s_mul_i32 s0, s0, s16
	s_add_u32 s6, s0, s6
	s_addc_u32 s7, s13, s7
	s_add_i32 s23, s23, -1
	s_add_u32 s14, s14, -8
	s_addc_u32 s15, s15, -1
	s_cmp_gt_u32 s23, 2
	s_cbranch_scc0 .LBB224_11
; %bb.9:                                ;   in Loop: Header=BB224_5 Depth=1
	s_mov_b64 s[16:17], s[24:25]
	s_branch .LBB224_5
.LBB224_10:                             ;   in Loop: Header=BB224_5 Depth=1
                                        ; implicit-def: $sgpr24_sgpr25
	s_branch .LBB224_7
.LBB224_11:
	s_load_dword s0, s[4:5], 0x358
	s_load_dwordx2 s[28:29], s[4:5], 0xd0
	s_add_u32 s12, s4, 0x1c0
	s_addc_u32 s13, s5, 0
	s_mov_b64 s[26:27], 0
	s_waitcnt lgkmcnt(0)
	s_cmp_lt_i32 s0, 2
	s_mov_b64 s[30:31], s[2:3]
	s_cbranch_scc1 .LBB224_19
; %bb.12:
	s_mov_b32 s14, 0
	s_add_i32 s23, s0, 1
	s_add_i32 s0, s0, -1
	s_mov_b32 s1, s14
	s_lshl_b64 s[0:1], s[0:1], 3
	s_add_u32 s0, s0, s12
	s_addc_u32 s1, s1, s13
	s_add_u32 s16, s0, 8
	s_addc_u32 s17, s1, 0
	s_mov_b64 s[18:19], s[2:3]
.LBB224_13:                             ; =>This Inner Loop Header: Depth=1
	s_load_dwordx2 s[34:35], s[16:17], 0x0
	s_waitcnt lgkmcnt(0)
	s_or_b64 s[0:1], s[18:19], s[34:35]
	s_mov_b32 s15, s1
	s_cmp_lg_u64 s[14:15], 0
	s_cbranch_scc0 .LBB224_18
; %bb.14:                               ;   in Loop: Header=BB224_13 Depth=1
	v_cvt_f32_u32_e32 v1, s34
	v_cvt_f32_u32_e32 v2, s35
	s_sub_u32 s0, 0, s34
	s_subb_u32 s1, 0, s35
	v_mac_f32_e32 v1, 0x4f800000, v2
	v_rcp_f32_e32 v1, v1
	v_mul_f32_e32 v1, 0x5f7ffffc, v1
	v_mul_f32_e32 v2, 0x2f800000, v1
	v_trunc_f32_e32 v2, v2
	v_mac_f32_e32 v1, 0xcf800000, v2
	v_cvt_u32_f32_e32 v2, v2
	v_cvt_u32_f32_e32 v1, v1
	v_readfirstlane_b32 s15, v2
	v_readfirstlane_b32 s30, v1
	s_mul_i32 s31, s0, s15
	s_mul_hi_u32 s37, s0, s30
	s_mul_i32 s36, s1, s30
	s_add_i32 s31, s37, s31
	s_mul_i32 s38, s0, s30
	s_add_i32 s31, s31, s36
	s_mul_hi_u32 s36, s30, s31
	s_mul_i32 s37, s30, s31
	s_mul_hi_u32 s30, s30, s38
	s_add_u32 s30, s30, s37
	s_addc_u32 s36, 0, s36
	s_mul_hi_u32 s39, s15, s38
	s_mul_i32 s38, s15, s38
	s_add_u32 s30, s30, s38
	s_mul_hi_u32 s37, s15, s31
	s_addc_u32 s30, s36, s39
	s_addc_u32 s36, s37, 0
	s_mul_i32 s31, s15, s31
	s_add_u32 s30, s30, s31
	s_addc_u32 s31, 0, s36
	v_add_co_u32_e32 v1, vcc, s30, v1
	s_cmp_lg_u64 vcc, 0
	s_addc_u32 s15, s15, s31
	v_readfirstlane_b32 s31, v1
	s_mul_i32 s30, s0, s15
	s_mul_hi_u32 s36, s0, s31
	s_add_i32 s30, s36, s30
	s_mul_i32 s1, s1, s31
	s_add_i32 s30, s30, s1
	s_mul_i32 s0, s0, s31
	s_mul_hi_u32 s36, s15, s0
	s_mul_i32 s37, s15, s0
	s_mul_i32 s39, s31, s30
	s_mul_hi_u32 s0, s31, s0
	s_mul_hi_u32 s38, s31, s30
	s_add_u32 s0, s0, s39
	s_addc_u32 s31, 0, s38
	s_add_u32 s0, s0, s37
	s_mul_hi_u32 s1, s15, s30
	s_addc_u32 s0, s31, s36
	s_addc_u32 s1, s1, 0
	s_mul_i32 s30, s15, s30
	s_add_u32 s0, s0, s30
	s_addc_u32 s1, 0, s1
	v_add_co_u32_e32 v1, vcc, s0, v1
	s_cmp_lg_u64 vcc, 0
	s_addc_u32 s0, s15, s1
	v_readfirstlane_b32 s30, v1
	s_mul_i32 s15, s18, s0
	s_mul_hi_u32 s31, s18, s30
	s_mul_hi_u32 s1, s18, s0
	s_add_u32 s15, s31, s15
	s_addc_u32 s1, 0, s1
	s_mul_hi_u32 s36, s19, s30
	s_mul_i32 s30, s19, s30
	s_add_u32 s15, s15, s30
	s_mul_hi_u32 s31, s19, s0
	s_addc_u32 s1, s1, s36
	s_addc_u32 s15, s31, 0
	s_mul_i32 s0, s19, s0
	s_add_u32 s30, s1, s0
	s_addc_u32 s15, 0, s15
	s_mul_i32 s0, s34, s15
	s_mul_hi_u32 s1, s34, s30
	s_add_i32 s0, s1, s0
	s_mul_i32 s1, s35, s30
	s_add_i32 s31, s0, s1
	s_mul_i32 s1, s34, s30
	v_mov_b32_e32 v1, s1
	s_sub_i32 s0, s19, s31
	v_sub_co_u32_e32 v1, vcc, s18, v1
	s_cmp_lg_u64 vcc, 0
	s_subb_u32 s36, s0, s35
	v_subrev_co_u32_e64 v2, s[0:1], s34, v1
	s_cmp_lg_u64 s[0:1], 0
	s_subb_u32 s0, s36, 0
	s_cmp_ge_u32 s0, s35
	v_readfirstlane_b32 s36, v2
	s_cselect_b32 s1, -1, 0
	s_cmp_ge_u32 s36, s34
	s_cselect_b32 s36, -1, 0
	s_cmp_eq_u32 s0, s35
	s_cselect_b32 s0, s36, s1
	s_add_u32 s1, s30, 1
	s_addc_u32 s36, s15, 0
	s_add_u32 s37, s30, 2
	s_addc_u32 s38, s15, 0
	s_cmp_lg_u32 s0, 0
	s_cselect_b32 s0, s37, s1
	s_cselect_b32 s1, s38, s36
	s_cmp_lg_u64 vcc, 0
	s_subb_u32 s31, s19, s31
	s_cmp_ge_u32 s31, s35
	v_readfirstlane_b32 s37, v1
	s_cselect_b32 s36, -1, 0
	s_cmp_ge_u32 s37, s34
	s_cselect_b32 s37, -1, 0
	s_cmp_eq_u32 s31, s35
	s_cselect_b32 s31, s37, s36
	s_cmp_lg_u32 s31, 0
	s_cselect_b32 s31, s1, s15
	s_cselect_b32 s30, s0, s30
	s_cbranch_execnz .LBB224_16
.LBB224_15:                             ;   in Loop: Header=BB224_13 Depth=1
	v_cvt_f32_u32_e32 v1, s34
	s_sub_i32 s0, 0, s34
	s_mov_b32 s31, s14
	v_rcp_iflag_f32_e32 v1, v1
	v_mul_f32_e32 v1, 0x4f7ffffe, v1
	v_cvt_u32_f32_e32 v1, v1
	v_readfirstlane_b32 s1, v1
	s_mul_i32 s0, s0, s1
	s_mul_hi_u32 s0, s1, s0
	s_add_i32 s1, s1, s0
	s_mul_hi_u32 s0, s18, s1
	s_mul_i32 s15, s0, s34
	s_sub_i32 s15, s18, s15
	s_add_i32 s1, s0, 1
	s_sub_i32 s30, s15, s34
	s_cmp_ge_u32 s15, s34
	s_cselect_b32 s0, s1, s0
	s_cselect_b32 s15, s30, s15
	s_add_i32 s1, s0, 1
	s_cmp_ge_u32 s15, s34
	s_cselect_b32 s30, s1, s0
.LBB224_16:                             ;   in Loop: Header=BB224_13 Depth=1
	s_mul_i32 s0, s30, s35
	s_mul_hi_u32 s1, s30, s34
	s_add_i32 s15, s1, s0
	s_load_dwordx2 s[0:1], s[16:17], 0xc8
	s_mul_i32 s35, s31, s34
	s_add_i32 s15, s15, s35
	s_mul_i32 s34, s30, s34
	s_sub_u32 s18, s18, s34
	s_subb_u32 s15, s19, s15
	s_waitcnt lgkmcnt(0)
	s_mul_i32 s15, s0, s15
	s_mul_hi_u32 s19, s0, s18
	s_add_i32 s15, s19, s15
	s_mul_i32 s1, s1, s18
	s_add_i32 s15, s15, s1
	s_mul_i32 s0, s0, s18
	s_add_u32 s26, s0, s26
	s_addc_u32 s27, s15, s27
	s_add_i32 s23, s23, -1
	s_add_u32 s16, s16, -8
	s_addc_u32 s17, s17, -1
	s_cmp_gt_u32 s23, 2
	s_cbranch_scc0 .LBB224_19
; %bb.17:                               ;   in Loop: Header=BB224_13 Depth=1
	s_mov_b64 s[18:19], s[30:31]
	s_branch .LBB224_13
.LBB224_18:                             ;   in Loop: Header=BB224_13 Depth=1
                                        ; implicit-def: $sgpr30_sgpr31
	s_branch .LBB224_15
.LBB224_19:
	s_load_dword s14, s[4:5], 0x500
	s_load_dwordx2 s[36:37], s[12:13], 0xd0
	s_add_u32 s0, s4, 0x368
	s_addc_u32 s1, s5, 0
	s_mov_b64 s[34:35], 0
	s_waitcnt lgkmcnt(0)
	s_cmp_lt_i32 s14, 2
	s_cbranch_scc1 .LBB224_27
; %bb.20:
	s_mov_b32 s12, 0
	s_add_i32 s23, s14, 1
	s_add_i32 s14, s14, -1
	s_mov_b32 s15, s12
	s_lshl_b64 s[14:15], s[14:15], 3
	s_add_u32 s0, s14, s0
	s_addc_u32 s1, s15, s1
	s_add_u32 s14, s0, 8
	s_addc_u32 s15, s1, 0
	s_mov_b64 s[16:17], s[2:3]
.LBB224_21:                             ; =>This Inner Loop Header: Depth=1
	s_load_dwordx2 s[18:19], s[14:15], 0x0
	s_waitcnt lgkmcnt(0)
	s_or_b64 s[0:1], s[16:17], s[18:19]
	s_mov_b32 s13, s1
	s_cmp_lg_u64 s[12:13], 0
	s_cbranch_scc0 .LBB224_26
; %bb.22:                               ;   in Loop: Header=BB224_21 Depth=1
	v_cvt_f32_u32_e32 v1, s18
	v_cvt_f32_u32_e32 v2, s19
	s_sub_u32 s0, 0, s18
	s_subb_u32 s1, 0, s19
	v_mac_f32_e32 v1, 0x4f800000, v2
	v_rcp_f32_e32 v1, v1
	v_mul_f32_e32 v1, 0x5f7ffffc, v1
	v_mul_f32_e32 v2, 0x2f800000, v1
	v_trunc_f32_e32 v2, v2
	v_mac_f32_e32 v1, 0xcf800000, v2
	v_cvt_u32_f32_e32 v2, v2
	v_cvt_u32_f32_e32 v1, v1
	v_readfirstlane_b32 s13, v2
	v_readfirstlane_b32 s38, v1
	s_mul_i32 s39, s0, s13
	s_mul_hi_u32 s41, s0, s38
	s_mul_i32 s40, s1, s38
	s_add_i32 s39, s41, s39
	s_mul_i32 s42, s0, s38
	s_add_i32 s39, s39, s40
	s_mul_hi_u32 s40, s38, s39
	s_mul_i32 s41, s38, s39
	s_mul_hi_u32 s38, s38, s42
	s_add_u32 s38, s38, s41
	s_addc_u32 s40, 0, s40
	s_mul_hi_u32 s43, s13, s42
	s_mul_i32 s42, s13, s42
	s_add_u32 s38, s38, s42
	s_mul_hi_u32 s41, s13, s39
	s_addc_u32 s38, s40, s43
	s_addc_u32 s40, s41, 0
	s_mul_i32 s39, s13, s39
	s_add_u32 s38, s38, s39
	s_addc_u32 s39, 0, s40
	v_add_co_u32_e32 v1, vcc, s38, v1
	s_cmp_lg_u64 vcc, 0
	s_addc_u32 s13, s13, s39
	v_readfirstlane_b32 s39, v1
	s_mul_i32 s38, s0, s13
	s_mul_hi_u32 s40, s0, s39
	s_add_i32 s38, s40, s38
	s_mul_i32 s1, s1, s39
	s_add_i32 s38, s38, s1
	s_mul_i32 s0, s0, s39
	s_mul_hi_u32 s40, s13, s0
	s_mul_i32 s41, s13, s0
	s_mul_i32 s43, s39, s38
	s_mul_hi_u32 s0, s39, s0
	s_mul_hi_u32 s42, s39, s38
	s_add_u32 s0, s0, s43
	s_addc_u32 s39, 0, s42
	s_add_u32 s0, s0, s41
	s_mul_hi_u32 s1, s13, s38
	s_addc_u32 s0, s39, s40
	s_addc_u32 s1, s1, 0
	s_mul_i32 s38, s13, s38
	s_add_u32 s0, s0, s38
	s_addc_u32 s1, 0, s1
	v_add_co_u32_e32 v1, vcc, s0, v1
	s_cmp_lg_u64 vcc, 0
	s_addc_u32 s0, s13, s1
	v_readfirstlane_b32 s38, v1
	s_mul_i32 s13, s16, s0
	s_mul_hi_u32 s39, s16, s38
	s_mul_hi_u32 s1, s16, s0
	s_add_u32 s13, s39, s13
	s_addc_u32 s1, 0, s1
	s_mul_hi_u32 s40, s17, s38
	s_mul_i32 s38, s17, s38
	s_add_u32 s13, s13, s38
	s_mul_hi_u32 s39, s17, s0
	s_addc_u32 s1, s1, s40
	s_addc_u32 s13, s39, 0
	s_mul_i32 s0, s17, s0
	s_add_u32 s38, s1, s0
	s_addc_u32 s13, 0, s13
	s_mul_i32 s0, s18, s13
	s_mul_hi_u32 s1, s18, s38
	s_add_i32 s0, s1, s0
	s_mul_i32 s1, s19, s38
	s_add_i32 s39, s0, s1
	s_mul_i32 s1, s18, s38
	v_mov_b32_e32 v1, s1
	s_sub_i32 s0, s17, s39
	v_sub_co_u32_e32 v1, vcc, s16, v1
	s_cmp_lg_u64 vcc, 0
	s_subb_u32 s40, s0, s19
	v_subrev_co_u32_e64 v2, s[0:1], s18, v1
	s_cmp_lg_u64 s[0:1], 0
	s_subb_u32 s0, s40, 0
	s_cmp_ge_u32 s0, s19
	v_readfirstlane_b32 s40, v2
	s_cselect_b32 s1, -1, 0
	s_cmp_ge_u32 s40, s18
	s_cselect_b32 s40, -1, 0
	s_cmp_eq_u32 s0, s19
	s_cselect_b32 s0, s40, s1
	s_add_u32 s1, s38, 1
	s_addc_u32 s40, s13, 0
	s_add_u32 s41, s38, 2
	s_addc_u32 s42, s13, 0
	s_cmp_lg_u32 s0, 0
	s_cselect_b32 s0, s41, s1
	s_cselect_b32 s1, s42, s40
	s_cmp_lg_u64 vcc, 0
	s_subb_u32 s39, s17, s39
	s_cmp_ge_u32 s39, s19
	v_readfirstlane_b32 s41, v1
	s_cselect_b32 s40, -1, 0
	s_cmp_ge_u32 s41, s18
	s_cselect_b32 s41, -1, 0
	s_cmp_eq_u32 s39, s19
	s_cselect_b32 s39, s41, s40
	s_cmp_lg_u32 s39, 0
	s_cselect_b32 s39, s1, s13
	s_cselect_b32 s38, s0, s38
	s_cbranch_execnz .LBB224_24
.LBB224_23:                             ;   in Loop: Header=BB224_21 Depth=1
	v_cvt_f32_u32_e32 v1, s18
	s_sub_i32 s0, 0, s18
	s_mov_b32 s39, s12
	v_rcp_iflag_f32_e32 v1, v1
	v_mul_f32_e32 v1, 0x4f7ffffe, v1
	v_cvt_u32_f32_e32 v1, v1
	v_readfirstlane_b32 s1, v1
	s_mul_i32 s0, s0, s1
	s_mul_hi_u32 s0, s1, s0
	s_add_i32 s1, s1, s0
	s_mul_hi_u32 s0, s16, s1
	s_mul_i32 s13, s0, s18
	s_sub_i32 s13, s16, s13
	s_add_i32 s1, s0, 1
	s_sub_i32 s38, s13, s18
	s_cmp_ge_u32 s13, s18
	s_cselect_b32 s0, s1, s0
	s_cselect_b32 s13, s38, s13
	s_add_i32 s1, s0, 1
	s_cmp_ge_u32 s13, s18
	s_cselect_b32 s38, s1, s0
.LBB224_24:                             ;   in Loop: Header=BB224_21 Depth=1
	s_mul_i32 s0, s38, s19
	s_mul_hi_u32 s1, s38, s18
	s_add_i32 s13, s1, s0
	s_load_dwordx2 s[0:1], s[14:15], 0xc8
	s_mul_i32 s19, s39, s18
	s_add_i32 s13, s13, s19
	s_mul_i32 s18, s38, s18
	s_sub_u32 s16, s16, s18
	s_subb_u32 s13, s17, s13
	s_waitcnt lgkmcnt(0)
	s_mul_i32 s13, s0, s13
	s_mul_hi_u32 s17, s0, s16
	s_add_i32 s13, s17, s13
	s_mul_i32 s1, s1, s16
	s_add_i32 s13, s13, s1
	s_mul_i32 s0, s0, s16
	s_add_u32 s34, s0, s34
	s_addc_u32 s35, s13, s35
	s_add_i32 s23, s23, -1
	s_add_u32 s14, s14, -8
	s_addc_u32 s15, s15, -1
	s_cmp_gt_u32 s23, 2
	s_cbranch_scc0 .LBB224_28
; %bb.25:                               ;   in Loop: Header=BB224_21 Depth=1
	s_mov_b64 s[16:17], s[38:39]
	s_branch .LBB224_21
.LBB224_26:                             ;   in Loop: Header=BB224_21 Depth=1
                                        ; implicit-def: $sgpr38_sgpr39
	s_branch .LBB224_23
.LBB224_27:
	s_mov_b64 s[38:39], s[2:3]
.LBB224_28:
	s_load_dwordx4 s[12:15], s[4:5], 0x518
	s_lshl_b64 s[0:1], s[2:3], 1
	v_mov_b32_e32 v1, 0
	s_mov_b32 s23, 0
	v_cmp_eq_u32_e64 s[2:3], 0, v0
	s_waitcnt lgkmcnt(0)
	s_add_u32 s0, s12, s0
	s_addc_u32 s1, s13, s1
	global_load_ushort v1, v1, s[0:1]
	s_load_dwordx2 s[42:43], s[4:5], 0x0
	s_load_dwordx2 s[40:41], s[4:5], 0x1c0
	;; [unrolled: 1-line block ×4, first 2 shown]
	v_cmp_ne_u32_e64 s[0:1], 0, v0
	s_waitcnt vmcnt(0)
	v_readfirstlane_b32 s55, v1
	s_and_saveexec_b64 s[46:47], s[2:3]
	s_cbranch_execz .LBB224_44
; %bb.29:
	s_load_dwordx2 s[48:49], s[4:5], 0x528
	s_lshl_b64 s[50:51], s[22:23], 2
	s_add_u32 s16, s14, s50
	s_addc_u32 s17, s15, s51
	s_mov_b32 s22, 0
	s_waitcnt lgkmcnt(0)
	s_add_u32 s18, s48, s50
	s_addc_u32 s19, s49, s51
	s_mov_b32 s56, 0
	s_cmp_lt_u32 s21, 4
	s_cbranch_scc1 .LBB224_41
; %bb.30:
	s_mov_b32 s57, 0
.LBB224_31:                             ; =>This Inner Loop Header: Depth=1
	s_add_u32 s16, s14, s50
	s_addc_u32 s17, s15, s51
	s_load_dwordx4 s[16:19], s[16:17], 0x0
	s_add_u32 s52, s48, s50
	s_addc_u32 s53, s49, s51
	s_cmp_ge_u32 s57, s54
	s_cbranch_scc0 .LBB224_38
; %bb.32:                               ;   in Loop: Header=BB224_31 Depth=1
	s_add_i32 s58, s57, 1
	s_cmp_ge_u32 s58, s54
	s_cbranch_scc0 .LBB224_39
.LBB224_33:                             ;   in Loop: Header=BB224_31 Depth=1
	s_add_i32 s58, s58, 1
	s_cmp_ge_u32 s58, s54
	s_cbranch_scc0 .LBB224_40
.LBB224_34:                             ;   in Loop: Header=BB224_31 Depth=1
	s_add_i32 s58, s58, 1
	s_cmp_ge_u32 s58, s54
	s_cbranch_scc1 .LBB224_36
.LBB224_35:                             ;   in Loop: Header=BB224_31 Depth=1
	s_load_dword s52, s[52:53], 0xc
	s_waitcnt lgkmcnt(0)
	s_add_i32 s23, s23, s19
	s_add_i32 s22, s52, s22
.LBB224_36:                             ;   in Loop: Header=BB224_31 Depth=1
	s_waitcnt lgkmcnt(0)
	s_add_i32 s16, s16, s56
	s_add_i32 s16, s16, s17
	;; [unrolled: 1-line block ×4, first 2 shown]
	s_add_u32 s14, s14, 16
	s_addc_u32 s15, s15, 0
	s_add_u32 s48, s48, 16
	s_addc_u32 s49, s49, 0
	s_add_i32 s53, s58, 4
	s_add_u32 s18, s48, s50
	s_addc_u32 s19, s49, s51
	s_add_u32 s16, s14, s50
	s_addc_u32 s17, s15, s51
	s_add_i32 s52, s58, 1
	s_cmp_ge_u32 s53, s21
	s_cbranch_scc1 .LBB224_42
; %bb.37:                               ;   in Loop: Header=BB224_31 Depth=1
	s_mov_b32 s57, s52
	s_branch .LBB224_31
.LBB224_38:                             ;   in Loop: Header=BB224_31 Depth=1
	s_load_dword s58, s[52:53], 0x0
	s_waitcnt lgkmcnt(0)
	s_add_i32 s23, s16, s23
	s_add_i32 s22, s58, s22
	;; [unrolled: 1-line block ×3, first 2 shown]
	s_cmp_ge_u32 s58, s54
	s_cbranch_scc1 .LBB224_33
.LBB224_39:                             ;   in Loop: Header=BB224_31 Depth=1
	s_load_dword s59, s[52:53], 0x4
	s_waitcnt lgkmcnt(0)
	s_add_i32 s23, s23, s17
	s_add_i32 s22, s59, s22
	;; [unrolled: 1-line block ×3, first 2 shown]
	s_cmp_ge_u32 s58, s54
	s_cbranch_scc1 .LBB224_34
.LBB224_40:                             ;   in Loop: Header=BB224_31 Depth=1
	s_load_dword s59, s[52:53], 0x8
	s_waitcnt lgkmcnt(0)
	s_add_i32 s23, s23, s18
	s_add_i32 s22, s59, s22
	;; [unrolled: 1-line block ×3, first 2 shown]
	s_cmp_ge_u32 s58, s54
	s_cbranch_scc0 .LBB224_35
	s_branch .LBB224_36
.LBB224_41:
	s_mov_b32 s14, 0
	s_cmp_ge_u32 s14, s21
	s_cbranch_scc0 .LBB224_65
	s_branch .LBB224_43
.LBB224_42:
	s_add_i32 s14, s57, 4
	s_cmp_ge_u32 s14, s21
	s_cbranch_scc0 .LBB224_65
.LBB224_43:
	v_mov_b32_e32 v2, s22
	v_mov_b32_e32 v3, s56
	;; [unrolled: 1-line block ×4, first 2 shown]
	ds_write_b96 v1, v[2:4] offset:1056
.LBB224_44:
	s_or_b64 exec, exec, s[46:47]
	s_cmp_eq_u32 s20, 0
	s_waitcnt lgkmcnt(0)
	s_barrier
	s_cbranch_scc1 .LBB224_67
; %bb.45:
	s_mul_i32 s16, s28, s25
	s_mul_hi_u32 s17, s28, s24
	s_mul_i32 s14, s36, s31
	s_mul_hi_u32 s15, s36, s30
	s_add_i32 s16, s17, s16
	s_mul_i32 s17, s29, s24
	s_mul_i32 s18, s44, s39
	s_mul_hi_u32 s19, s44, s38
	s_add_i32 s14, s15, s14
	s_mul_i32 s15, s37, s30
	s_add_i32 s17, s16, s17
	s_mul_i32 s16, s28, s24
	;; [unrolled: 2-line block ×3, first 2 shown]
	s_add_i32 s15, s14, s15
	s_add_i32 s19, s18, s19
	s_lshl_b64 s[16:17], s[16:17], 1
	s_add_u32 s16, s42, s16
	s_addc_u32 s17, s43, s17
	s_lshl_b64 s[6:7], s[6:7], 1
	s_mul_i32 s14, s36, s30
	s_add_u32 s21, s16, s6
	s_addc_u32 s22, s17, s7
	s_lshl_b64 s[6:7], s[14:15], 1
	s_add_u32 s14, s40, s6
	s_addc_u32 s15, s41, s7
	s_lshl_b64 s[6:7], s[26:27], 1
	s_mul_i32 s18, s44, s38
	s_add_u32 s23, s14, s6
	s_addc_u32 s24, s15, s7
	s_lshl_b64 s[6:7], s[18:19], 3
	s_add_u32 s12, s12, s6
	s_addc_u32 s13, s13, s7
	s_lshl_b64 s[6:7], s[34:35], 3
	s_add_u32 s25, s12, s6
	v_mov_b32_e32 v1, 0
	s_addc_u32 s26, s13, s7
	s_and_b32 s12, 0xffff, s55
	s_sext_i32_i16 s6, s55
	ds_read_b96 v[2:4], v1 offset:1056
	s_cmp_gt_i32 s6, -1
	s_mov_b32 s6, 0x8000
	s_cselect_b32 s13, s6, 0xffff
	s_lshl_b32 s6, s55, 16
	v_cmp_o_f32_e64 s[6:7], s6, s6
	s_xor_b32 s12, s13, s12
	s_and_b64 s[6:7], s[6:7], exec
	s_load_dword s6, s[4:5], 0x1b0
	s_waitcnt lgkmcnt(0)
	v_add_u32_e32 v2, v2, v3
	v_lshrrev_b32_e32 v3, 5, v0
	s_cselect_b32 s27, s12, 0xffff
	s_load_dwordx2 s[12:13], s[4:5], 0x1b8
	s_load_dwordx2 s[14:15], s[4:5], 0x360
	;; [unrolled: 1-line block ×3, first 2 shown]
	v_add_lshl_u32 v5, v3, v0, 2
	v_lshlrev_b32_e32 v3, 2, v0
	v_lshrrev_b32_e32 v6, 3, v0
	v_add_lshl_u32 v8, v6, v3, 2
	v_add_u32_e32 v3, -1, v0
	v_lshrrev_b32_e32 v6, 5, v3
	v_add_lshl_u32 v9, v6, v3, 2
	v_mbcnt_lo_u32_b32 v3, -1, 0
	s_bitcmp1_b32 s6, 0
	v_mbcnt_hi_u32_b32 v12, -1, v3
	s_cselect_b64 s[4:5], -1, 0
	v_cmp_gt_u32_e64 s[6:7], 64, v0
	v_add_u32_e32 v0, s33, v0
	v_mov_b32_e32 v10, 0xffff
	v_mov_b32_e32 v11, 0x8000
	v_and_b32_e32 v13, 15, v12
	v_bfe_i32 v14, v12, 4, 1
	v_add_u32_e32 v15, -1, v12
	v_and_b32_e32 v16, 64, v12
                                        ; implicit-def: $vgpr17
	s_branch .LBB224_48
.LBB224_46:                             ;   in Loop: Header=BB224_48 Depth=1
	s_or_b64 exec, exec, s[18:19]
	v_add_u32_e32 v2, v3, v2
.LBB224_47:                             ;   in Loop: Header=BB224_48 Depth=1
	s_add_i32 s20, s20, -1
	v_add_u32_e32 v4, v18, v4
	s_cmp_lg_u32 s20, 0
	v_add_u32_e32 v0, 0x100, v0
	s_cbranch_scc0 .LBB224_67
.LBB224_48:                             ; =>This Inner Loop Header: Depth=1
	v_cmp_gt_u64_e32 vcc, s[8:9], v[0:1]
	v_mov_b32_e32 v3, v1
	v_mov_b32_e32 v6, v1
	s_and_saveexec_b64 s[18:19], vcc
	s_cbranch_execz .LBB224_50
; %bb.49:                               ;   in Loop: Header=BB224_48 Depth=1
	s_waitcnt lgkmcnt(0)
	v_mad_u64_u32 v[6:7], s[28:29], v0, s12, 0
	v_mov_b32_e32 v18, v7
	v_mad_u64_u32 v[18:19], s[28:29], v0, s13, v[18:19]
	v_mov_b32_e32 v7, v18
	v_lshlrev_b64 v[6:7], 1, v[6:7]
	v_mov_b32_e32 v3, s22
	v_add_co_u32_e32 v6, vcc, s21, v6
	v_addc_co_u32_e32 v7, vcc, v3, v7, vcc
	global_load_ushort v17, v[6:7], off
	s_waitcnt vmcnt(0)
	v_cmp_lt_i16_e32 vcc, -1, v17
	v_cndmask_b32_e32 v3, v10, v11, vcc
	v_lshlrev_b32_e32 v6, 16, v17
	v_xor_b32_sdwa v3, v3, v17 dst_sel:DWORD dst_unused:UNUSED_PAD src0_sel:DWORD src1_sel:WORD_0
	v_cmp_o_f32_e32 vcc, v6, v6
	v_cndmask_b32_e32 v6, v10, v3, vcc
	v_cmp_lt_u32_e32 vcc, s27, v6
	v_cndmask_b32_e64 v3, 0, 1, vcc
	v_cmp_gt_u32_e32 vcc, s27, v6
	v_cndmask_b32_e64 v7, 0, 1, vcc
	v_cndmask_b32_e64 v3, v7, v3, s[4:5]
	v_cmp_eq_u32_e32 vcc, s27, v6
	v_and_b32_e32 v3, 1, v3
	v_cndmask_b32_e64 v6, 0, 1, vcc
.LBB224_50:                             ;   in Loop: Header=BB224_48 Depth=1
	s_or_b64 exec, exec, s[18:19]
	ds_write_b32 v5, v3
	s_waitcnt lgkmcnt(0)
	s_barrier
	s_and_saveexec_b64 s[18:19], s[6:7]
	s_cbranch_execz .LBB224_52
; %bb.51:                               ;   in Loop: Header=BB224_48 Depth=1
	ds_read2_b32 v[18:19], v8 offset1:1
	ds_read2_b32 v[20:21], v8 offset0:2 offset1:3
	v_cmp_ne_u32_e32 vcc, 0, v13
	; wave barrier
	s_waitcnt lgkmcnt(1)
	v_add_u32_e32 v7, v19, v18
	s_waitcnt lgkmcnt(0)
	v_add3_u32 v7, v7, v20, v21
	s_nop 1
	v_mov_b32_dpp v19, v7 row_shr:1 row_mask:0xf bank_mask:0xf
	v_cndmask_b32_e32 v19, 0, v19, vcc
	v_add_u32_e32 v7, v19, v7
	v_cmp_lt_u32_e32 vcc, 1, v13
	s_nop 0
	v_mov_b32_dpp v19, v7 row_shr:2 row_mask:0xf bank_mask:0xf
	v_cndmask_b32_e32 v19, 0, v19, vcc
	v_add_u32_e32 v7, v7, v19
	v_cmp_lt_u32_e32 vcc, 3, v13
	;; [unrolled: 5-line block ×4, first 2 shown]
	s_nop 0
	v_mov_b32_dpp v19, v7 row_bcast:15 row_mask:0xf bank_mask:0xf
	v_and_b32_e32 v19, v14, v19
	v_add_u32_e32 v7, v7, v19
	s_nop 1
	v_mov_b32_dpp v19, v7 row_bcast:31 row_mask:0xf bank_mask:0xf
	v_cndmask_b32_e32 v19, 0, v19, vcc
	v_cmp_lt_i32_e32 vcc, v15, v16
	v_add_u32_e32 v7, v7, v19
	v_cndmask_b32_e32 v19, v15, v12, vcc
	v_lshlrev_b32_e32 v19, 2, v19
	ds_bpermute_b32 v7, v19, v7
	s_waitcnt lgkmcnt(0)
	v_add_u32_e32 v7, v7, v18
	v_cndmask_b32_e64 v7, v7, v3, s[2:3]
	ds_write_b32 v8, v7
	; wave barrier
	ds_read2_b32 v[18:19], v8 offset0:1 offset1:2
	ds_read_b32 v20, v8 offset:12
	s_waitcnt lgkmcnt(1)
	v_add_u32_e32 v7, v18, v7
	v_add_u32_e32 v18, v19, v7
	ds_write2_b32 v8, v7, v18 offset0:1 offset1:2
	s_waitcnt lgkmcnt(1)
	v_add_u32_e32 v7, v20, v18
	ds_write_b32 v8, v7 offset:12
.LBB224_52:                             ;   in Loop: Header=BB224_48 Depth=1
	s_or_b64 exec, exec, s[18:19]
	v_mov_b32_e32 v7, 0
	s_waitcnt lgkmcnt(0)
	s_barrier
	s_and_saveexec_b64 s[18:19], s[0:1]
	s_cbranch_execz .LBB224_54
; %bb.53:                               ;   in Loop: Header=BB224_48 Depth=1
	ds_read_b32 v7, v9
.LBB224_54:                             ;   in Loop: Header=BB224_48 Depth=1
	s_or_b64 exec, exec, s[18:19]
	ds_read_b32 v18, v1 offset:1048
	v_cmp_ne_u32_e32 vcc, 0, v3
	s_waitcnt lgkmcnt(0)
	s_barrier
	s_and_saveexec_b64 s[18:19], vcc
	s_cbranch_execz .LBB224_56
; %bb.55:                               ;   in Loop: Header=BB224_48 Depth=1
	v_add_u32_e32 v3, v7, v4
	v_mad_u64_u32 v[20:21], s[28:29], v3, s14, 0
	v_mov_b32_e32 v22, v21
	v_mad_u64_u32 v[22:23], s[28:29], v3, s15, v[22:23]
	v_mov_b32_e32 v21, v22
	v_lshlrev_b64 v[20:21], 1, v[20:21]
	v_mov_b32_e32 v7, s24
	v_add_co_u32_e32 v20, vcc, s23, v20
	v_addc_co_u32_e32 v21, vcc, v7, v21, vcc
	global_store_short v[20:21], v17, off
	v_mad_u64_u32 v[20:21], s[28:29], v3, s16, 0
	v_mov_b32_e32 v22, v21
	v_mad_u64_u32 v[22:23], s[28:29], v3, s17, v[22:23]
	v_mov_b32_e32 v21, v22
	v_lshlrev_b64 v[20:21], 3, v[20:21]
	v_mov_b32_e32 v3, s26
	v_add_co_u32_e32 v20, vcc, s25, v20
	v_addc_co_u32_e32 v21, vcc, v3, v21, vcc
	global_store_dwordx2 v[20:21], v[0:1], off
.LBB224_56:                             ;   in Loop: Header=BB224_48 Depth=1
	s_or_b64 exec, exec, s[18:19]
	v_mov_b32_e32 v3, v1
	v_cmp_le_u64_e32 vcc, s[10:11], v[2:3]
	s_cbranch_vccnz .LBB224_47
; %bb.57:                               ;   in Loop: Header=BB224_48 Depth=1
	ds_write_b32 v5, v6
	s_waitcnt lgkmcnt(0)
	s_barrier
	s_and_saveexec_b64 s[18:19], s[6:7]
	s_cbranch_execz .LBB224_59
; %bb.58:                               ;   in Loop: Header=BB224_48 Depth=1
	ds_read2_b32 v[20:21], v8 offset1:1
	ds_read2_b32 v[22:23], v8 offset0:2 offset1:3
	v_cmp_ne_u32_e32 vcc, 0, v13
	; wave barrier
	s_waitcnt lgkmcnt(1)
	v_add_u32_e32 v3, v21, v20
	s_waitcnt lgkmcnt(0)
	v_add3_u32 v3, v3, v22, v23
	s_nop 1
	v_mov_b32_dpp v7, v3 row_shr:1 row_mask:0xf bank_mask:0xf
	v_cndmask_b32_e32 v7, 0, v7, vcc
	v_add_u32_e32 v3, v7, v3
	v_cmp_lt_u32_e32 vcc, 1, v13
	s_nop 0
	v_mov_b32_dpp v7, v3 row_shr:2 row_mask:0xf bank_mask:0xf
	v_cndmask_b32_e32 v7, 0, v7, vcc
	v_add_u32_e32 v3, v3, v7
	v_cmp_lt_u32_e32 vcc, 3, v13
	;; [unrolled: 5-line block ×4, first 2 shown]
	s_nop 0
	v_mov_b32_dpp v7, v3 row_bcast:15 row_mask:0xf bank_mask:0xf
	v_and_b32_e32 v7, v14, v7
	v_add_u32_e32 v3, v3, v7
	s_nop 1
	v_mov_b32_dpp v7, v3 row_bcast:31 row_mask:0xf bank_mask:0xf
	v_cndmask_b32_e32 v7, 0, v7, vcc
	v_cmp_lt_i32_e32 vcc, v15, v16
	v_add_u32_e32 v3, v3, v7
	v_cndmask_b32_e32 v7, v15, v12, vcc
	v_lshlrev_b32_e32 v7, 2, v7
	ds_bpermute_b32 v3, v7, v3
	s_waitcnt lgkmcnt(0)
	v_add_u32_e32 v3, v3, v20
	v_cndmask_b32_e64 v3, v3, v6, s[2:3]
	ds_write_b32 v8, v3
	; wave barrier
	ds_read2_b32 v[20:21], v8 offset0:1 offset1:2
	ds_read_b32 v7, v8 offset:12
	s_waitcnt lgkmcnt(1)
	v_add_u32_e32 v3, v20, v3
	v_add_u32_e32 v19, v21, v3
	ds_write2_b32 v8, v3, v19 offset0:1 offset1:2
	s_waitcnt lgkmcnt(1)
	v_add_u32_e32 v3, v7, v19
	ds_write_b32 v8, v3 offset:12
.LBB224_59:                             ;   in Loop: Header=BB224_48 Depth=1
	s_or_b64 exec, exec, s[18:19]
	v_mov_b32_e32 v7, 0
	s_waitcnt lgkmcnt(0)
	s_barrier
	s_and_saveexec_b64 s[18:19], s[0:1]
	s_cbranch_execz .LBB224_61
; %bb.60:                               ;   in Loop: Header=BB224_48 Depth=1
	ds_read_b32 v7, v9
.LBB224_61:                             ;   in Loop: Header=BB224_48 Depth=1
	s_or_b64 exec, exec, s[18:19]
	ds_read_b32 v3, v1 offset:1048
	v_cmp_ne_u32_e32 vcc, 0, v6
	s_waitcnt lgkmcnt(0)
	s_barrier
	s_and_saveexec_b64 s[18:19], vcc
	s_cbranch_execz .LBB224_46
; %bb.62:                               ;   in Loop: Header=BB224_48 Depth=1
	v_add_u32_e32 v6, v7, v2
	v_mov_b32_e32 v7, v1
	v_cmp_gt_u64_e32 vcc, s[10:11], v[6:7]
	s_and_b64 exec, exec, vcc
	s_cbranch_execz .LBB224_46
; %bb.63:                               ;   in Loop: Header=BB224_48 Depth=1
	v_mad_u64_u32 v[20:21], s[28:29], v6, s14, 0
	v_mov_b32_e32 v22, v21
	v_mad_u64_u32 v[22:23], s[28:29], v6, s15, v[22:23]
	v_mov_b32_e32 v21, v22
	v_lshlrev_b64 v[20:21], 1, v[20:21]
	v_mov_b32_e32 v7, s24
	v_add_co_u32_e32 v20, vcc, s23, v20
	v_addc_co_u32_e32 v21, vcc, v7, v21, vcc
	global_store_short v[20:21], v17, off
	v_mad_u64_u32 v[20:21], s[28:29], v6, s16, 0
	v_mov_b32_e32 v22, v21
	v_mad_u64_u32 v[6:7], s[28:29], v6, s17, v[22:23]
	v_mov_b32_e32 v21, v6
	v_lshlrev_b64 v[6:7], 3, v[20:21]
	v_mov_b32_e32 v19, s26
	v_add_co_u32_e32 v6, vcc, s25, v6
	v_addc_co_u32_e32 v7, vcc, v19, v7, vcc
	global_store_dwordx2 v[6:7], v[0:1], off
	s_branch .LBB224_46
.LBB224_64:                             ;   in Loop: Header=BB224_65 Depth=1
	s_add_u32 s16, s16, 4
	s_addc_u32 s17, s17, 0
	s_waitcnt lgkmcnt(0)
	s_add_i32 s56, s15, s56
	s_add_u32 s18, s18, 4
	s_addc_u32 s19, s19, 0
	s_add_i32 s14, s14, 1
	s_cmp_lt_u32 s14, s21
	s_cbranch_scc0 .LBB224_43
.LBB224_65:                             ; =>This Inner Loop Header: Depth=1
	s_load_dword s15, s[16:17], 0x0
	s_cmp_ge_u32 s14, s54
	s_cbranch_scc1 .LBB224_64
; %bb.66:                               ;   in Loop: Header=BB224_65 Depth=1
	s_load_dword s48, s[18:19], 0x0
	s_waitcnt lgkmcnt(0)
	s_add_i32 s23, s15, s23
	s_add_i32 s22, s48, s22
	s_branch .LBB224_64
.LBB224_67:
	s_endpgm
	.section	.rodata,"a",@progbits
	.p2align	6, 0x0
	.amdhsa_kernel _ZN2at6native6mbtopk10gatherTopKIN3c108BFloat16EmLin1EEEvNS_4cuda6detail10TensorInfoIKT_T0_EESA_SA_bjSA_NS7_IS8_SA_EESA_NS7_IlSA_EESA_jjPS8_PjSF_j
		.amdhsa_group_segment_fixed_size 1068
		.amdhsa_private_segment_fixed_size 0
		.amdhsa_kernarg_size 1592
		.amdhsa_user_sgpr_count 6
		.amdhsa_user_sgpr_private_segment_buffer 1
		.amdhsa_user_sgpr_dispatch_ptr 0
		.amdhsa_user_sgpr_queue_ptr 0
		.amdhsa_user_sgpr_kernarg_segment_ptr 1
		.amdhsa_user_sgpr_dispatch_id 0
		.amdhsa_user_sgpr_flat_scratch_init 0
		.amdhsa_user_sgpr_kernarg_preload_length 0
		.amdhsa_user_sgpr_kernarg_preload_offset 0
		.amdhsa_user_sgpr_private_segment_size 0
		.amdhsa_uses_dynamic_stack 0
		.amdhsa_system_sgpr_private_segment_wavefront_offset 0
		.amdhsa_system_sgpr_workgroup_id_x 1
		.amdhsa_system_sgpr_workgroup_id_y 1
		.amdhsa_system_sgpr_workgroup_id_z 1
		.amdhsa_system_sgpr_workgroup_info 0
		.amdhsa_system_vgpr_workitem_id 0
		.amdhsa_next_free_vgpr 24
		.amdhsa_next_free_sgpr 60
		.amdhsa_accum_offset 24
		.amdhsa_reserve_vcc 1
		.amdhsa_reserve_flat_scratch 0
		.amdhsa_float_round_mode_32 0
		.amdhsa_float_round_mode_16_64 0
		.amdhsa_float_denorm_mode_32 3
		.amdhsa_float_denorm_mode_16_64 3
		.amdhsa_dx10_clamp 1
		.amdhsa_ieee_mode 1
		.amdhsa_fp16_overflow 0
		.amdhsa_tg_split 0
		.amdhsa_exception_fp_ieee_invalid_op 0
		.amdhsa_exception_fp_denorm_src 0
		.amdhsa_exception_fp_ieee_div_zero 0
		.amdhsa_exception_fp_ieee_overflow 0
		.amdhsa_exception_fp_ieee_underflow 0
		.amdhsa_exception_fp_ieee_inexact 0
		.amdhsa_exception_int_div_zero 0
	.end_amdhsa_kernel
	.section	.text._ZN2at6native6mbtopk10gatherTopKIN3c108BFloat16EmLin1EEEvNS_4cuda6detail10TensorInfoIKT_T0_EESA_SA_bjSA_NS7_IS8_SA_EESA_NS7_IlSA_EESA_jjPS8_PjSF_j,"axG",@progbits,_ZN2at6native6mbtopk10gatherTopKIN3c108BFloat16EmLin1EEEvNS_4cuda6detail10TensorInfoIKT_T0_EESA_SA_bjSA_NS7_IS8_SA_EESA_NS7_IlSA_EESA_jjPS8_PjSF_j,comdat
.Lfunc_end224:
	.size	_ZN2at6native6mbtopk10gatherTopKIN3c108BFloat16EmLin1EEEvNS_4cuda6detail10TensorInfoIKT_T0_EESA_SA_bjSA_NS7_IS8_SA_EESA_NS7_IlSA_EESA_jjPS8_PjSF_j, .Lfunc_end224-_ZN2at6native6mbtopk10gatherTopKIN3c108BFloat16EmLin1EEEvNS_4cuda6detail10TensorInfoIKT_T0_EESA_SA_bjSA_NS7_IS8_SA_EESA_NS7_IlSA_EESA_jjPS8_PjSF_j
                                        ; -- End function
	.section	.AMDGPU.csdata,"",@progbits
; Kernel info:
; codeLenInByte = 4724
; NumSgprs: 64
; NumVgprs: 24
; NumAgprs: 0
; TotalNumVgprs: 24
; ScratchSize: 0
; MemoryBound: 0
; FloatMode: 240
; IeeeMode: 1
; LDSByteSize: 1068 bytes/workgroup (compile time only)
; SGPRBlocks: 7
; VGPRBlocks: 2
; NumSGPRsForWavesPerEU: 64
; NumVGPRsForWavesPerEU: 24
; AccumOffset: 24
; Occupancy: 8
; WaveLimiterHint : 1
; COMPUTE_PGM_RSRC2:SCRATCH_EN: 0
; COMPUTE_PGM_RSRC2:USER_SGPR: 6
; COMPUTE_PGM_RSRC2:TRAP_HANDLER: 0
; COMPUTE_PGM_RSRC2:TGID_X_EN: 1
; COMPUTE_PGM_RSRC2:TGID_Y_EN: 1
; COMPUTE_PGM_RSRC2:TGID_Z_EN: 1
; COMPUTE_PGM_RSRC2:TIDIG_COMP_CNT: 0
; COMPUTE_PGM_RSRC3_GFX90A:ACCUM_OFFSET: 5
; COMPUTE_PGM_RSRC3_GFX90A:TG_SPLIT: 0
	.section	.text._ZN2at6native6sbtopk10gatherTopKIN3c108BFloat16EmLin1ELb0EEEvNS_4cuda6detail10TensorInfoIKT_T0_EESA_SA_bSA_SA_NS7_IS8_SA_EESA_NS7_IlSA_EESA_PS8_,"axG",@progbits,_ZN2at6native6sbtopk10gatherTopKIN3c108BFloat16EmLin1ELb0EEEvNS_4cuda6detail10TensorInfoIKT_T0_EESA_SA_bSA_SA_NS7_IS8_SA_EESA_NS7_IlSA_EESA_PS8_,comdat
	.protected	_ZN2at6native6sbtopk10gatherTopKIN3c108BFloat16EmLin1ELb0EEEvNS_4cuda6detail10TensorInfoIKT_T0_EESA_SA_bSA_SA_NS7_IS8_SA_EESA_NS7_IlSA_EESA_PS8_ ; -- Begin function _ZN2at6native6sbtopk10gatherTopKIN3c108BFloat16EmLin1ELb0EEEvNS_4cuda6detail10TensorInfoIKT_T0_EESA_SA_bSA_SA_NS7_IS8_SA_EESA_NS7_IlSA_EESA_PS8_
	.globl	_ZN2at6native6sbtopk10gatherTopKIN3c108BFloat16EmLin1ELb0EEEvNS_4cuda6detail10TensorInfoIKT_T0_EESA_SA_bSA_SA_NS7_IS8_SA_EESA_NS7_IlSA_EESA_PS8_
	.p2align	8
	.type	_ZN2at6native6sbtopk10gatherTopKIN3c108BFloat16EmLin1ELb0EEEvNS_4cuda6detail10TensorInfoIKT_T0_EESA_SA_bSA_SA_NS7_IS8_SA_EESA_NS7_IlSA_EESA_PS8_,@function
_ZN2at6native6sbtopk10gatherTopKIN3c108BFloat16EmLin1ELb0EEEvNS_4cuda6detail10TensorInfoIKT_T0_EESA_SA_bSA_SA_NS7_IS8_SA_EESA_NS7_IlSA_EESA_PS8_: ; @_ZN2at6native6sbtopk10gatherTopKIN3c108BFloat16EmLin1ELb0EEEvNS_4cuda6detail10TensorInfoIKT_T0_EESA_SA_bSA_SA_NS7_IS8_SA_EESA_NS7_IlSA_EESA_PS8_
; %bb.0:
	s_load_dwordx4 s[56:59], s[4:5], 0x1b8
	s_load_dwordx2 s[34:35], s[4:5], 0x520
	s_add_u32 s2, s4, 0x520
	s_addc_u32 s3, s5, 0
	s_mov_b32 s11, 0
	s_waitcnt lgkmcnt(0)
	v_mov_b32_e32 v2, s56
	s_mul_i32 s0, s35, s8
	s_add_i32 s0, s0, s7
	s_mul_i32 s0, s0, s34
	v_mov_b32_e32 v3, s57
	s_add_i32 s10, s0, s6
	v_cmp_ge_u64_e32 vcc, s[10:11], v[2:3]
	s_cbranch_vccnz .LBB225_505
; %bb.1:
	s_load_dword s0, s[4:5], 0x198
	s_mov_b64 s[8:9], 0
	s_mov_b64 s[12:13], s[10:11]
	s_waitcnt lgkmcnt(0)
	s_cmp_lt_i32 s0, 2
	s_cbranch_scc1 .LBB225_9
; %bb.2:
	s_mov_b32 s14, 0
	s_add_i32 s25, s0, 1
	s_add_i32 s0, s0, -1
	s_mov_b32 s1, s14
	s_lshl_b64 s[0:1], s[0:1], 3
	s_add_u32 s0, s0, s4
	s_addc_u32 s1, s1, s5
	s_add_u32 s16, s0, 8
	s_addc_u32 s17, s1, 0
	s_mov_b64 s[18:19], s[10:11]
.LBB225_3:                              ; =>This Inner Loop Header: Depth=1
	s_load_dwordx2 s[20:21], s[16:17], 0x0
	s_waitcnt lgkmcnt(0)
	s_or_b64 s[0:1], s[18:19], s[20:21]
	s_mov_b32 s15, s1
	s_cmp_lg_u64 s[14:15], 0
	s_cbranch_scc0 .LBB225_8
; %bb.4:                                ;   in Loop: Header=BB225_3 Depth=1
	v_cvt_f32_u32_e32 v1, s20
	v_cvt_f32_u32_e32 v2, s21
	s_sub_u32 s0, 0, s20
	s_subb_u32 s1, 0, s21
	v_mac_f32_e32 v1, 0x4f800000, v2
	v_rcp_f32_e32 v1, v1
	v_mul_f32_e32 v1, 0x5f7ffffc, v1
	v_mul_f32_e32 v2, 0x2f800000, v1
	v_trunc_f32_e32 v2, v2
	v_mac_f32_e32 v1, 0xcf800000, v2
	v_cvt_u32_f32_e32 v2, v2
	v_cvt_u32_f32_e32 v1, v1
	v_readfirstlane_b32 s7, v2
	v_readfirstlane_b32 s12, v1
	s_mul_i32 s13, s0, s7
	s_mul_hi_u32 s22, s0, s12
	s_mul_i32 s15, s1, s12
	s_add_i32 s13, s22, s13
	s_mul_i32 s23, s0, s12
	s_add_i32 s13, s13, s15
	s_mul_hi_u32 s15, s12, s13
	s_mul_i32 s22, s12, s13
	s_mul_hi_u32 s12, s12, s23
	s_add_u32 s12, s12, s22
	s_addc_u32 s15, 0, s15
	s_mul_hi_u32 s24, s7, s23
	s_mul_i32 s23, s7, s23
	s_add_u32 s12, s12, s23
	s_mul_hi_u32 s22, s7, s13
	s_addc_u32 s12, s15, s24
	s_addc_u32 s15, s22, 0
	s_mul_i32 s13, s7, s13
	s_add_u32 s12, s12, s13
	s_addc_u32 s13, 0, s15
	v_add_co_u32_e32 v1, vcc, s12, v1
	s_cmp_lg_u64 vcc, 0
	s_addc_u32 s7, s7, s13
	v_readfirstlane_b32 s13, v1
	s_mul_i32 s12, s0, s7
	s_mul_hi_u32 s15, s0, s13
	s_add_i32 s12, s15, s12
	s_mul_i32 s1, s1, s13
	s_add_i32 s12, s12, s1
	s_mul_i32 s0, s0, s13
	s_mul_hi_u32 s15, s7, s0
	s_mul_i32 s22, s7, s0
	s_mul_i32 s24, s13, s12
	s_mul_hi_u32 s0, s13, s0
	s_mul_hi_u32 s23, s13, s12
	s_add_u32 s0, s0, s24
	s_addc_u32 s13, 0, s23
	s_add_u32 s0, s0, s22
	s_mul_hi_u32 s1, s7, s12
	s_addc_u32 s0, s13, s15
	s_addc_u32 s1, s1, 0
	s_mul_i32 s12, s7, s12
	s_add_u32 s0, s0, s12
	s_addc_u32 s1, 0, s1
	v_add_co_u32_e32 v1, vcc, s0, v1
	s_cmp_lg_u64 vcc, 0
	s_addc_u32 s0, s7, s1
	v_readfirstlane_b32 s12, v1
	s_mul_i32 s7, s18, s0
	s_mul_hi_u32 s13, s18, s12
	s_mul_hi_u32 s1, s18, s0
	s_add_u32 s7, s13, s7
	s_addc_u32 s1, 0, s1
	s_mul_hi_u32 s15, s19, s12
	s_mul_i32 s12, s19, s12
	s_add_u32 s7, s7, s12
	s_mul_hi_u32 s13, s19, s0
	s_addc_u32 s1, s1, s15
	s_addc_u32 s7, s13, 0
	s_mul_i32 s0, s19, s0
	s_add_u32 s12, s1, s0
	s_addc_u32 s7, 0, s7
	s_mul_i32 s0, s20, s7
	s_mul_hi_u32 s1, s20, s12
	s_add_i32 s0, s1, s0
	s_mul_i32 s1, s21, s12
	s_add_i32 s13, s0, s1
	s_mul_i32 s1, s20, s12
	v_mov_b32_e32 v1, s1
	s_sub_i32 s0, s19, s13
	v_sub_co_u32_e32 v1, vcc, s18, v1
	s_cmp_lg_u64 vcc, 0
	s_subb_u32 s15, s0, s21
	v_subrev_co_u32_e64 v2, s[0:1], s20, v1
	s_cmp_lg_u64 s[0:1], 0
	s_subb_u32 s0, s15, 0
	s_cmp_ge_u32 s0, s21
	v_readfirstlane_b32 s15, v2
	s_cselect_b32 s1, -1, 0
	s_cmp_ge_u32 s15, s20
	s_cselect_b32 s15, -1, 0
	s_cmp_eq_u32 s0, s21
	s_cselect_b32 s0, s15, s1
	s_add_u32 s1, s12, 1
	s_addc_u32 s15, s7, 0
	s_add_u32 s22, s12, 2
	s_addc_u32 s23, s7, 0
	s_cmp_lg_u32 s0, 0
	s_cselect_b32 s0, s22, s1
	s_cselect_b32 s1, s23, s15
	s_cmp_lg_u64 vcc, 0
	s_subb_u32 s13, s19, s13
	s_cmp_ge_u32 s13, s21
	v_readfirstlane_b32 s22, v1
	s_cselect_b32 s15, -1, 0
	s_cmp_ge_u32 s22, s20
	s_cselect_b32 s22, -1, 0
	s_cmp_eq_u32 s13, s21
	s_cselect_b32 s13, s22, s15
	s_cmp_lg_u32 s13, 0
	s_cselect_b32 s13, s1, s7
	s_cselect_b32 s12, s0, s12
	s_cbranch_execnz .LBB225_6
.LBB225_5:                              ;   in Loop: Header=BB225_3 Depth=1
	v_cvt_f32_u32_e32 v1, s20
	s_sub_i32 s0, 0, s20
	s_mov_b32 s13, s14
	v_rcp_iflag_f32_e32 v1, v1
	v_mul_f32_e32 v1, 0x4f7ffffe, v1
	v_cvt_u32_f32_e32 v1, v1
	v_readfirstlane_b32 s1, v1
	s_mul_i32 s0, s0, s1
	s_mul_hi_u32 s0, s1, s0
	s_add_i32 s1, s1, s0
	s_mul_hi_u32 s0, s18, s1
	s_mul_i32 s7, s0, s20
	s_sub_i32 s7, s18, s7
	s_add_i32 s1, s0, 1
	s_sub_i32 s12, s7, s20
	s_cmp_ge_u32 s7, s20
	s_cselect_b32 s0, s1, s0
	s_cselect_b32 s7, s12, s7
	s_add_i32 s1, s0, 1
	s_cmp_ge_u32 s7, s20
	s_cselect_b32 s12, s1, s0
.LBB225_6:                              ;   in Loop: Header=BB225_3 Depth=1
	s_mul_i32 s0, s12, s21
	s_mul_hi_u32 s1, s12, s20
	s_add_i32 s7, s1, s0
	s_load_dwordx2 s[0:1], s[16:17], 0xc8
	s_mul_i32 s15, s13, s20
	s_add_i32 s7, s7, s15
	s_mul_i32 s15, s12, s20
	s_sub_u32 s15, s18, s15
	s_subb_u32 s7, s19, s7
	s_waitcnt lgkmcnt(0)
	s_mul_i32 s7, s0, s7
	s_mul_hi_u32 s18, s0, s15
	s_add_i32 s7, s18, s7
	s_mul_i32 s1, s1, s15
	s_add_i32 s7, s7, s1
	s_mul_i32 s0, s0, s15
	s_add_u32 s8, s0, s8
	s_addc_u32 s9, s7, s9
	s_add_i32 s25, s25, -1
	s_add_u32 s16, s16, -8
	s_addc_u32 s17, s17, -1
	s_cmp_gt_u32 s25, 2
	s_cbranch_scc0 .LBB225_9
; %bb.7:                                ;   in Loop: Header=BB225_3 Depth=1
	s_mov_b64 s[18:19], s[12:13]
	s_branch .LBB225_3
.LBB225_8:                              ;   in Loop: Header=BB225_3 Depth=1
                                        ; implicit-def: $sgpr12_sgpr13
	s_branch .LBB225_5
.LBB225_9:
	s_load_dword s0, s[4:5], 0x360
	s_load_dwordx2 s[14:15], s[4:5], 0xd0
	s_add_u32 s16, s4, 0x1c8
	s_addc_u32 s17, s5, 0
	s_mov_b64 s[56:57], 0
	s_waitcnt lgkmcnt(0)
	s_cmp_lt_i32 s0, 2
	s_mov_b64 s[28:29], s[10:11]
	s_cbranch_scc1 .LBB225_17
; %bb.10:
	s_mov_b32 s18, 0
	s_add_i32 s31, s0, 1
	s_add_i32 s0, s0, -1
	s_mov_b32 s1, s18
	s_lshl_b64 s[0:1], s[0:1], 3
	s_add_u32 s0, s0, s16
	s_addc_u32 s1, s1, s17
	s_add_u32 s20, s0, 8
	s_addc_u32 s21, s1, 0
	s_mov_b64 s[22:23], s[10:11]
.LBB225_11:                             ; =>This Inner Loop Header: Depth=1
	s_load_dwordx2 s[24:25], s[20:21], 0x0
	s_waitcnt lgkmcnt(0)
	s_or_b64 s[0:1], s[22:23], s[24:25]
	s_mov_b32 s19, s1
	s_cmp_lg_u64 s[18:19], 0
	s_cbranch_scc0 .LBB225_16
; %bb.12:                               ;   in Loop: Header=BB225_11 Depth=1
	v_cvt_f32_u32_e32 v1, s24
	v_cvt_f32_u32_e32 v2, s25
	s_sub_u32 s0, 0, s24
	s_subb_u32 s1, 0, s25
	v_mac_f32_e32 v1, 0x4f800000, v2
	v_rcp_f32_e32 v1, v1
	v_mul_f32_e32 v1, 0x5f7ffffc, v1
	v_mul_f32_e32 v2, 0x2f800000, v1
	v_trunc_f32_e32 v2, v2
	v_mac_f32_e32 v1, 0xcf800000, v2
	v_cvt_u32_f32_e32 v2, v2
	v_cvt_u32_f32_e32 v1, v1
	v_readfirstlane_b32 s7, v2
	v_readfirstlane_b32 s19, v1
	s_mul_i32 s26, s0, s7
	s_mul_hi_u32 s28, s0, s19
	s_mul_i32 s27, s1, s19
	s_add_i32 s26, s28, s26
	s_mul_i32 s29, s0, s19
	s_add_i32 s26, s26, s27
	s_mul_hi_u32 s27, s19, s26
	s_mul_i32 s28, s19, s26
	s_mul_hi_u32 s19, s19, s29
	s_add_u32 s19, s19, s28
	s_addc_u32 s27, 0, s27
	s_mul_hi_u32 s30, s7, s29
	s_mul_i32 s29, s7, s29
	s_add_u32 s19, s19, s29
	s_mul_hi_u32 s28, s7, s26
	s_addc_u32 s19, s27, s30
	s_addc_u32 s27, s28, 0
	s_mul_i32 s26, s7, s26
	s_add_u32 s19, s19, s26
	s_addc_u32 s26, 0, s27
	v_add_co_u32_e32 v1, vcc, s19, v1
	s_cmp_lg_u64 vcc, 0
	s_addc_u32 s7, s7, s26
	v_readfirstlane_b32 s26, v1
	s_mul_i32 s19, s0, s7
	s_mul_hi_u32 s27, s0, s26
	s_add_i32 s19, s27, s19
	s_mul_i32 s1, s1, s26
	s_add_i32 s19, s19, s1
	s_mul_i32 s0, s0, s26
	s_mul_hi_u32 s27, s7, s0
	s_mul_i32 s28, s7, s0
	s_mul_i32 s30, s26, s19
	s_mul_hi_u32 s0, s26, s0
	s_mul_hi_u32 s29, s26, s19
	s_add_u32 s0, s0, s30
	s_addc_u32 s26, 0, s29
	s_add_u32 s0, s0, s28
	s_mul_hi_u32 s1, s7, s19
	s_addc_u32 s0, s26, s27
	s_addc_u32 s1, s1, 0
	s_mul_i32 s19, s7, s19
	s_add_u32 s0, s0, s19
	s_addc_u32 s1, 0, s1
	v_add_co_u32_e32 v1, vcc, s0, v1
	s_cmp_lg_u64 vcc, 0
	s_addc_u32 s0, s7, s1
	v_readfirstlane_b32 s19, v1
	s_mul_i32 s7, s22, s0
	s_mul_hi_u32 s26, s22, s19
	s_mul_hi_u32 s1, s22, s0
	s_add_u32 s7, s26, s7
	s_addc_u32 s1, 0, s1
	s_mul_hi_u32 s27, s23, s19
	s_mul_i32 s19, s23, s19
	s_add_u32 s7, s7, s19
	s_mul_hi_u32 s26, s23, s0
	s_addc_u32 s1, s1, s27
	s_addc_u32 s7, s26, 0
	s_mul_i32 s0, s23, s0
	s_add_u32 s19, s1, s0
	s_addc_u32 s7, 0, s7
	s_mul_i32 s0, s24, s7
	s_mul_hi_u32 s1, s24, s19
	s_add_i32 s0, s1, s0
	s_mul_i32 s1, s25, s19
	s_add_i32 s26, s0, s1
	s_mul_i32 s1, s24, s19
	v_mov_b32_e32 v1, s1
	s_sub_i32 s0, s23, s26
	v_sub_co_u32_e32 v1, vcc, s22, v1
	s_cmp_lg_u64 vcc, 0
	s_subb_u32 s27, s0, s25
	v_subrev_co_u32_e64 v2, s[0:1], s24, v1
	s_cmp_lg_u64 s[0:1], 0
	s_subb_u32 s0, s27, 0
	s_cmp_ge_u32 s0, s25
	v_readfirstlane_b32 s27, v2
	s_cselect_b32 s1, -1, 0
	s_cmp_ge_u32 s27, s24
	s_cselect_b32 s27, -1, 0
	s_cmp_eq_u32 s0, s25
	s_cselect_b32 s0, s27, s1
	s_add_u32 s1, s19, 1
	s_addc_u32 s27, s7, 0
	s_add_u32 s28, s19, 2
	s_addc_u32 s29, s7, 0
	s_cmp_lg_u32 s0, 0
	s_cselect_b32 s0, s28, s1
	s_cselect_b32 s1, s29, s27
	s_cmp_lg_u64 vcc, 0
	s_subb_u32 s26, s23, s26
	s_cmp_ge_u32 s26, s25
	v_readfirstlane_b32 s28, v1
	s_cselect_b32 s27, -1, 0
	s_cmp_ge_u32 s28, s24
	s_cselect_b32 s28, -1, 0
	s_cmp_eq_u32 s26, s25
	s_cselect_b32 s26, s28, s27
	s_cmp_lg_u32 s26, 0
	s_cselect_b32 s29, s1, s7
	s_cselect_b32 s28, s0, s19
	s_cbranch_execnz .LBB225_14
.LBB225_13:                             ;   in Loop: Header=BB225_11 Depth=1
	v_cvt_f32_u32_e32 v1, s24
	s_sub_i32 s0, 0, s24
	s_mov_b32 s29, s18
	v_rcp_iflag_f32_e32 v1, v1
	v_mul_f32_e32 v1, 0x4f7ffffe, v1
	v_cvt_u32_f32_e32 v1, v1
	v_readfirstlane_b32 s1, v1
	s_mul_i32 s0, s0, s1
	s_mul_hi_u32 s0, s1, s0
	s_add_i32 s1, s1, s0
	s_mul_hi_u32 s0, s22, s1
	s_mul_i32 s7, s0, s24
	s_sub_i32 s7, s22, s7
	s_add_i32 s1, s0, 1
	s_sub_i32 s19, s7, s24
	s_cmp_ge_u32 s7, s24
	s_cselect_b32 s0, s1, s0
	s_cselect_b32 s7, s19, s7
	s_add_i32 s1, s0, 1
	s_cmp_ge_u32 s7, s24
	s_cselect_b32 s28, s1, s0
.LBB225_14:                             ;   in Loop: Header=BB225_11 Depth=1
	s_mul_i32 s0, s28, s25
	s_mul_hi_u32 s1, s28, s24
	s_add_i32 s7, s1, s0
	s_load_dwordx2 s[0:1], s[20:21], 0xc8
	s_mul_i32 s19, s29, s24
	s_add_i32 s7, s7, s19
	s_mul_i32 s19, s28, s24
	s_sub_u32 s19, s22, s19
	s_subb_u32 s7, s23, s7
	s_waitcnt lgkmcnt(0)
	s_mul_i32 s7, s0, s7
	s_mul_hi_u32 s22, s0, s19
	s_add_i32 s7, s22, s7
	s_mul_i32 s1, s1, s19
	s_add_i32 s7, s7, s1
	s_mul_i32 s0, s0, s19
	s_add_u32 s56, s0, s56
	s_addc_u32 s57, s7, s57
	s_add_i32 s31, s31, -1
	s_add_u32 s20, s20, -8
	s_addc_u32 s21, s21, -1
	s_cmp_gt_u32 s31, 2
	s_cbranch_scc0 .LBB225_17
; %bb.15:                               ;   in Loop: Header=BB225_11 Depth=1
	s_mov_b64 s[22:23], s[28:29]
	s_branch .LBB225_11
.LBB225_16:                             ;   in Loop: Header=BB225_11 Depth=1
                                        ; implicit-def: $sgpr28_sgpr29
	s_branch .LBB225_13
.LBB225_17:
	s_load_dword s7, s[4:5], 0x508
	s_load_dwordx2 s[0:1], s[16:17], 0xd0
                                        ; implicit-def: $vgpr61 : SGPR spill to VGPR lane
	s_mov_b64 s[74:75], 0
                                        ; kill: killed $sgpr16 killed $sgpr17
	s_waitcnt lgkmcnt(0)
	v_writelane_b32 v61, s0, 0
	v_writelane_b32 v61, s1, 1
	s_add_u32 s0, s4, 0x370
	s_addc_u32 s1, s5, 0
	s_cmp_lt_i32 s7, 2
	s_cbranch_scc1 .LBB225_25
; %bb.18:
	s_mov_b32 s16, 0
	s_add_i32 s18, s7, -1
	s_mov_b32 s19, s16
	s_add_i32 s27, s7, 1
	s_lshl_b64 s[18:19], s[18:19], 3
	s_add_u32 s0, s18, s0
	s_addc_u32 s1, s19, s1
	s_add_u32 s18, s0, 8
	s_addc_u32 s19, s1, 0
.LBB225_19:                             ; =>This Inner Loop Header: Depth=1
	s_load_dwordx2 s[20:21], s[18:19], 0x0
	s_waitcnt lgkmcnt(0)
	s_or_b64 s[0:1], s[10:11], s[20:21]
	s_mov_b32 s17, s1
	s_cmp_lg_u64 s[16:17], 0
	s_cbranch_scc0 .LBB225_24
; %bb.20:                               ;   in Loop: Header=BB225_19 Depth=1
	v_cvt_f32_u32_e32 v1, s20
	v_cvt_f32_u32_e32 v2, s21
	s_sub_u32 s0, 0, s20
	s_subb_u32 s1, 0, s21
	v_mac_f32_e32 v1, 0x4f800000, v2
	v_rcp_f32_e32 v1, v1
	v_mul_f32_e32 v1, 0x5f7ffffc, v1
	v_mul_f32_e32 v2, 0x2f800000, v1
	v_trunc_f32_e32 v2, v2
	v_mac_f32_e32 v1, 0xcf800000, v2
	v_cvt_u32_f32_e32 v2, v2
	v_cvt_u32_f32_e32 v1, v1
	v_readfirstlane_b32 s7, v2
	v_readfirstlane_b32 s17, v1
	s_mul_i32 s22, s0, s7
	s_mul_hi_u32 s24, s0, s17
	s_mul_i32 s23, s1, s17
	s_add_i32 s22, s24, s22
	s_mul_i32 s25, s0, s17
	s_add_i32 s22, s22, s23
	s_mul_hi_u32 s23, s17, s22
	s_mul_i32 s24, s17, s22
	s_mul_hi_u32 s17, s17, s25
	s_add_u32 s17, s17, s24
	s_addc_u32 s23, 0, s23
	s_mul_hi_u32 s26, s7, s25
	s_mul_i32 s25, s7, s25
	s_add_u32 s17, s17, s25
	s_mul_hi_u32 s24, s7, s22
	s_addc_u32 s17, s23, s26
	s_addc_u32 s23, s24, 0
	s_mul_i32 s22, s7, s22
	s_add_u32 s17, s17, s22
	s_addc_u32 s22, 0, s23
	v_add_co_u32_e32 v1, vcc, s17, v1
	s_cmp_lg_u64 vcc, 0
	s_addc_u32 s7, s7, s22
	v_readfirstlane_b32 s22, v1
	s_mul_i32 s17, s0, s7
	s_mul_hi_u32 s23, s0, s22
	s_add_i32 s17, s23, s17
	s_mul_i32 s1, s1, s22
	s_add_i32 s17, s17, s1
	s_mul_i32 s0, s0, s22
	s_mul_hi_u32 s23, s7, s0
	s_mul_i32 s24, s7, s0
	s_mul_i32 s26, s22, s17
	s_mul_hi_u32 s0, s22, s0
	s_mul_hi_u32 s25, s22, s17
	s_add_u32 s0, s0, s26
	s_addc_u32 s22, 0, s25
	s_add_u32 s0, s0, s24
	s_mul_hi_u32 s1, s7, s17
	s_addc_u32 s0, s22, s23
	s_addc_u32 s1, s1, 0
	s_mul_i32 s17, s7, s17
	s_add_u32 s0, s0, s17
	s_addc_u32 s1, 0, s1
	v_add_co_u32_e32 v1, vcc, s0, v1
	s_cmp_lg_u64 vcc, 0
	s_addc_u32 s0, s7, s1
	v_readfirstlane_b32 s17, v1
	s_mul_i32 s7, s10, s0
	s_mul_hi_u32 s22, s10, s17
	s_mul_hi_u32 s1, s10, s0
	s_add_u32 s7, s22, s7
	s_addc_u32 s1, 0, s1
	s_mul_hi_u32 s23, s11, s17
	s_mul_i32 s17, s11, s17
	s_add_u32 s7, s7, s17
	s_mul_hi_u32 s22, s11, s0
	s_addc_u32 s1, s1, s23
	s_addc_u32 s7, s22, 0
	s_mul_i32 s0, s11, s0
	s_add_u32 s17, s1, s0
	s_addc_u32 s7, 0, s7
	s_mul_i32 s0, s20, s7
	s_mul_hi_u32 s1, s20, s17
	s_add_i32 s0, s1, s0
	s_mul_i32 s1, s21, s17
	s_add_i32 s22, s0, s1
	s_mul_i32 s1, s20, s17
	v_mov_b32_e32 v1, s1
	s_sub_i32 s0, s11, s22
	v_sub_co_u32_e32 v1, vcc, s10, v1
	s_cmp_lg_u64 vcc, 0
	s_subb_u32 s23, s0, s21
	v_subrev_co_u32_e64 v2, s[0:1], s20, v1
	s_cmp_lg_u64 s[0:1], 0
	s_subb_u32 s0, s23, 0
	s_cmp_ge_u32 s0, s21
	v_readfirstlane_b32 s23, v2
	s_cselect_b32 s1, -1, 0
	s_cmp_ge_u32 s23, s20
	s_cselect_b32 s23, -1, 0
	s_cmp_eq_u32 s0, s21
	s_cselect_b32 s0, s23, s1
	s_add_u32 s1, s17, 1
	s_addc_u32 s23, s7, 0
	s_add_u32 s24, s17, 2
	s_addc_u32 s25, s7, 0
	s_cmp_lg_u32 s0, 0
	s_cselect_b32 s0, s24, s1
	s_cselect_b32 s1, s25, s23
	s_cmp_lg_u64 vcc, 0
	s_subb_u32 s22, s11, s22
	s_cmp_ge_u32 s22, s21
	v_readfirstlane_b32 s24, v1
	s_cselect_b32 s23, -1, 0
	s_cmp_ge_u32 s24, s20
	s_cselect_b32 s24, -1, 0
	s_cmp_eq_u32 s22, s21
	s_cselect_b32 s22, s24, s23
	s_cmp_lg_u32 s22, 0
	s_cselect_b32 s79, s1, s7
	s_cselect_b32 s78, s0, s17
	s_cbranch_execnz .LBB225_22
.LBB225_21:                             ;   in Loop: Header=BB225_19 Depth=1
	v_cvt_f32_u32_e32 v1, s20
	s_sub_i32 s0, 0, s20
	s_mov_b32 s79, s16
	v_rcp_iflag_f32_e32 v1, v1
	v_mul_f32_e32 v1, 0x4f7ffffe, v1
	v_cvt_u32_f32_e32 v1, v1
	v_readfirstlane_b32 s1, v1
	s_mul_i32 s0, s0, s1
	s_mul_hi_u32 s0, s1, s0
	s_add_i32 s1, s1, s0
	s_mul_hi_u32 s0, s10, s1
	s_mul_i32 s7, s0, s20
	s_sub_i32 s7, s10, s7
	s_add_i32 s1, s0, 1
	s_sub_i32 s17, s7, s20
	s_cmp_ge_u32 s7, s20
	s_cselect_b32 s0, s1, s0
	s_cselect_b32 s7, s17, s7
	s_add_i32 s1, s0, 1
	s_cmp_ge_u32 s7, s20
	s_cselect_b32 s78, s1, s0
.LBB225_22:                             ;   in Loop: Header=BB225_19 Depth=1
	s_mul_i32 s0, s78, s21
	s_mul_hi_u32 s1, s78, s20
	s_add_i32 s7, s1, s0
	s_load_dwordx2 s[0:1], s[18:19], 0xc8
	s_mul_i32 s17, s79, s20
	s_add_i32 s7, s7, s17
	s_mul_i32 s17, s78, s20
	s_sub_u32 s10, s10, s17
	s_subb_u32 s7, s11, s7
	s_waitcnt lgkmcnt(0)
	s_mul_i32 s7, s0, s7
	s_mul_hi_u32 s11, s0, s10
	s_add_i32 s7, s11, s7
	s_mul_i32 s1, s1, s10
	s_add_i32 s7, s7, s1
	s_mul_i32 s0, s0, s10
	s_add_u32 s74, s0, s74
	s_addc_u32 s75, s7, s75
	s_add_i32 s27, s27, -1
	s_add_u32 s18, s18, -8
	s_addc_u32 s19, s19, -1
	s_cmp_gt_u32 s27, 2
	s_cbranch_scc0 .LBB225_26
; %bb.23:                               ;   in Loop: Header=BB225_19 Depth=1
	s_mov_b64 s[10:11], s[78:79]
	s_branch .LBB225_19
.LBB225_24:                             ;   in Loop: Header=BB225_19 Depth=1
                                        ; implicit-def: $sgpr78_sgpr79
	s_branch .LBB225_21
.LBB225_25:
	s_mov_b64 s[78:79], s[10:11]
.LBB225_26:
	s_load_dwordx4 s[60:63], s[4:5], 0x1a0
	s_load_dwordx2 s[16:17], s[4:5], 0x0
	s_load_dwordx2 s[0:1], s[4:5], 0x1c8
	v_writelane_b32 v61, s28, 2
	v_writelane_b32 v61, s29, 3
	s_mov_b32 s87, 0
	v_cmp_eq_u32_e64 s[10:11], 0, v0
	s_waitcnt lgkmcnt(0)
	v_writelane_b32 v61, s0, 4
	v_writelane_b32 v61, s1, 5
	s_load_dwordx2 s[0:1], s[4:5], 0x440
	s_waitcnt lgkmcnt(0)
	v_writelane_b32 v61, s0, 6
	v_writelane_b32 v61, s1, 7
	s_load_dwordx2 s[0:1], s[4:5], 0x370
	s_waitcnt lgkmcnt(0)
	v_writelane_b32 v61, s0, 8
	v_writelane_b32 v61, s1, 9
	s_mov_b64 s[0:1], exec
	v_writelane_b32 v61, s10, 10
	v_writelane_b32 v61, s11, 11
	s_and_b64 s[10:11], s[0:1], s[10:11]
	s_mov_b64 exec, s[10:11]
	s_cbranch_execz .LBB225_28
; %bb.27:
	v_mov_b32_e32 v2, 0
	v_mov_b32_e32 v4, s60
	;; [unrolled: 1-line block ×4, first 2 shown]
	ds_write_b32 v2, v2 offset:5144
	ds_write_b128 v2, v[2:5] offset:5120
.LBB225_28:
	s_or_b64 exec, exec, s[0:1]
	s_mul_i32 s0, s14, s13
	s_mul_hi_u32 s1, s14, s12
	s_add_i32 s0, s1, s0
	s_mul_i32 s1, s15, s12
	s_add_i32 s1, s0, s1
	s_mul_i32 s0, s14, s12
	v_writelane_b32 v61, s4, 12
	s_lshl_b64 s[14:15], s[0:1], 1
	s_lshl_b64 s[72:73], s[8:9], 1
	v_writelane_b32 v61, s5, 13
	s_load_dword s5, s[4:5], 0x1b0
	s_add_u32 s0, s16, s14
	s_addc_u32 s1, s17, s15
	s_add_u32 s93, s0, s72
	s_addc_u32 s12, s1, s73
	s_waitcnt lgkmcnt(0)
	s_bitcmp1_b32 s5, 0
	s_cselect_b64 s[4:5], -1, 0
	v_writelane_b32 v61, s4, 14
	v_mbcnt_lo_u32_b32 v1, -1, 0
	v_writelane_b32 v61, s5, 15
	s_xor_b64 s[4:5], s[4:5], -1
	v_mbcnt_hi_u32_b32 v43, -1, v1
	v_writelane_b32 v61, s4, 16
	v_cmp_gt_u32_e32 vcc, 64, v0
	v_cmp_gt_i32_e64 s[10:11], 4, v43
	v_writelane_b32 v61, s5, 17
	s_and_b64 s[4:5], vcc, s[10:11]
	v_mov_b32_e32 v2, 0x600
	v_writelane_b32 v61, s4, 18
	v_mov_b32_e32 v3, 0
	v_mov_b32_e32 v15, 0
	v_writelane_b32 v61, s5, 19
	v_cmp_gt_u64_e64 s[4:5], s[60:61], v[2:3]
	v_writelane_b32 v61, s4, 20
	v_mov_b32_e32 v1, v15
	v_writelane_b32 v61, s5, 21
	v_cmp_gt_u64_e64 s[4:5], s[60:61], v[0:1]
	v_writelane_b32 v61, s4, 22
	v_writelane_b32 v61, s5, 23
	v_cmp_gt_u32_e64 s[4:5], 2, v0
	v_writelane_b32 v61, s4, 24
	s_barrier
	v_writelane_b32 v61, s5, 25
	s_load_dword s5, s[2:3], 0xc
	v_mad_u64_u32 v[4:5], s[8:9], v0, s58, 0
	v_mov_b32_e32 v2, v5
	v_mad_u64_u32 v[2:3], s[8:9], v0, s59, v[2:3]
	s_waitcnt lgkmcnt(0)
	s_and_b32 s33, s5, 0xffff
	s_bfe_u32 s7, s5, 0xa0006
	v_cmp_gt_u16_e64 s[4:5], s5, 63
	v_writelane_b32 v61, s4, 26
	v_writelane_b32 v61, s5, 27
	s_add_u32 s4, s33, -1
	s_addc_u32 s5, 0, -1
	v_writelane_b32 v61, s4, 28
	s_add_u32 s4, s4, s60
	v_writelane_b32 v61, s4, 29
	v_writelane_b32 v61, s5, 30
	s_addc_u32 s5, s5, s61
	v_writelane_b32 v61, s4, 31
	s_cmp_lt_u32 s6, s34
	v_writelane_b32 v61, s5, 32
	s_cselect_b32 s4, 12, 18
	s_add_u32 s2, s2, s4
	s_addc_u32 s3, s3, 0
	v_writelane_b32 v61, s2, 33
	v_writelane_b32 v61, s3, 34
	s_add_i32 s2, s7, -1
	s_bfe_u32 s3, s33, 0x30006
	s_cmp_gt_u32 s2, 6
	s_cselect_b64 s[4:5], -1, 0
	v_writelane_b32 v61, s4, 35
	s_and_b32 s13, s7, 0x3f8
	v_writelane_b32 v61, s5, 36
	s_cmp_lg_u32 s3, 0
	v_writelane_b32 v61, s3, 37
	s_cselect_b64 s[2:3], -1, 0
	v_writelane_b32 v61, s2, 38
	v_mov_b32_e32 v5, v2
	v_writelane_b32 v61, s3, 39
	s_add_u32 s2, s14, s72
	v_lshlrev_b64 v[2:3], 1, v[4:5]
	s_addc_u32 s3, s15, s73
	v_mov_b32_e32 v6, s12
	v_add_co_u32_e32 v12, vcc, s93, v2
	s_add_u32 s2, s16, s2
	v_addc_co_u32_e32 v13, vcc, v6, v3, vcc
	v_lshrrev_b32_e32 v6, 4, v0
	s_addc_u32 s3, s17, s3
	v_and_b32_e32 v44, 60, v6
	v_lshlrev_b32_e32 v6, 2, v43
	v_writelane_b32 v61, s2, 40
	v_and_b32_e32 v42, 0x100, v6
	v_lshlrev_b64 v[6:7], v43, -1
	v_writelane_b32 v61, s3, 41
	s_lshl_b64 s[2:3], s[58:59], 1
	v_lshlrev_b32_e32 v47, 3, v0
	v_not_b32_e32 v11, v7
	v_not_b32_e32 v10, v6
	v_writelane_b32 v61, s2, 42
	v_or_b32_e32 v9, 6, v47
	v_pk_mov_b32 v[6:7], s[0:1], s[0:1] op_sel:[0,1]
	v_writelane_b32 v61, s3, 43
	v_mad_u64_u32 v[18:19], s[2:3], s58, v9, v[6:7]
	v_mov_b32_e32 v8, v19
	v_mad_u64_u32 v[8:9], s[2:3], s59, v9, v[8:9]
	s_lshl_b64 s[2:3], s[58:59], 3
	v_writelane_b32 v61, s2, 44
	v_or_b32_e32 v9, 4, v47
	v_writelane_b32 v61, s3, 45
	v_mad_u64_u32 v[20:21], s[2:3], s58, v9, v[6:7]
	v_mov_b32_e32 v19, v8
	v_mov_b32_e32 v8, v21
	v_mad_u64_u32 v[8:9], s[2:3], s59, v9, v[8:9]
	v_mov_b32_e32 v21, v8
	v_or_b32_e32 v8, 2, v47
	v_mad_u64_u32 v[22:23], s[2:3], s58, v8, v[6:7]
	v_mov_b32_e32 v6, v23
	v_lshlrev_b64 v[4:5], 3, v[4:5]
	s_lshl_b32 s10, s33, 1
	v_mad_u64_u32 v[6:7], s[2:3], s59, v8, v[6:7]
	v_add_co_u32_e32 v24, vcc, s0, v4
	s_add_u32 s0, s16, s72
	v_mov_b32_e32 v23, v6
	v_mov_b32_e32 v6, s1
	v_writelane_b32 v61, s16, 46
	s_addc_u32 s1, s17, s73
	v_writelane_b32 v61, s17, 47
	s_add_u32 s0, s0, s14
	v_addc_co_u32_e32 v25, vcc, v6, v5, vcc
	v_mov_b32_e32 v4, 0xc00
	v_writelane_b32 v61, s14, 48
	s_addc_u32 s1, s1, s15
	v_lshl_or_b32 v48, v43, 3, v4
	v_mov_b32_e32 v4, s1
	v_add_co_u32_e32 v26, vcc, s0, v2
	s_mul_i32 s0, s59, s33
	s_mul_hi_u32 s1, s58, s33
	s_add_i32 s1, s1, s0
	s_mul_i32 s0, s58, s33
	v_writelane_b32 v61, s15, 49
	s_lshl_b64 s[64:65], s[0:1], 1
	s_mov_b32 s0, 14
	v_writelane_b32 v61, s0, 50
	s_mov_b32 s0, 0
	v_cmp_eq_u32_e64 s[90:91], 0, v43
	v_lshlrev_b32_e32 v45, 1, v0
	v_writelane_b32 v61, s0, 51
	v_lshlrev_b32_e32 v16, 2, v0
	v_mov_b32_e32 v17, v15
	v_add_u32_e32 v46, 0xc00, v45
	s_mov_b32 s92, s87
	v_addc_co_u32_e32 v27, vcc, v4, v3, vcc
	s_mov_b64 s[70:71], 0
	v_pk_mov_b32 v[28:29], s[62:63], s[62:63] op_sel:[0,1]
	v_mov_b32_e32 v49, 0xffff
	v_mov_b32_e32 v50, 0x8000
	v_mov_b32_e32 v51, 0x4f800000
	v_mov_b32_e32 v52, -1
	v_mov_b32_e32 v53, 0x5040100
	v_mov_b32_e32 v56, 0
	;; [unrolled: 1-line block ×4, first 2 shown]
	v_writelane_b32 v61, s90, 52
                                        ; implicit-def: $sgpr82_sgpr83
                                        ; implicit-def: $sgpr76_sgpr77
                                        ; implicit-def: $sgpr30_sgpr31
                                        ; implicit-def: $sgpr8_sgpr9
                                        ; implicit-def: $sgpr84_sgpr85
                                        ; implicit-def: $sgpr24_sgpr25
                                        ; implicit-def: $sgpr28_sgpr29
                                        ; implicit-def: $sgpr26_sgpr27
                                        ; implicit-def: $sgpr34_sgpr35
                                        ; implicit-def: $sgpr4_sgpr5
	v_writelane_b32 v61, s91, 53
	s_branch .LBB225_31
.LBB225_29:                             ;   in Loop: Header=BB225_31 Depth=1
	s_or_b64 exec, exec, s[14:15]
	s_andn2_b64 s[4:5], s[4:5], exec
	s_and_b64 s[6:7], s[6:7], exec
	s_or_b64 s[4:5], s[4:5], s[6:7]
	s_andn2_b64 s[34:35], s[34:35], exec
	s_andn2_b64 s[26:27], s[26:27], exec
	;; [unrolled: 1-line block ×4, first 2 shown]
	s_orn2_b64 s[2:3], s[2:3], exec
	v_mov_b32_e32 v54, v31
	v_mov_b32_e32 v55, v30
	v_pk_mov_b32 v[28:29], v[2:3], v[2:3] op_sel:[0,1]
	v_mov_b32_e32 v56, v6
.LBB225_30:                             ;   in Loop: Header=BB225_31 Depth=1
	s_or_b64 exec, exec, s[0:1]
	s_and_b64 s[0:1], exec, s[2:3]
	s_or_b64 s[70:71], s[0:1], s[70:71]
	s_andn2_b64 s[0:1], s[84:85], exec
	s_and_b64 s[2:3], s[4:5], exec
	s_or_b64 s[84:85], s[0:1], s[2:3]
	s_andn2_b64 s[0:1], s[8:9], exec
	s_and_b64 s[2:3], s[34:35], exec
	;; [unrolled: 3-line block ×5, first 2 shown]
	s_or_b64 s[82:83], s[0:1], s[2:3]
	s_andn2_b64 exec, exec, s[70:71]
	s_cbranch_execz .LBB225_501
.LBB225_31:                             ; =>This Loop Header: Depth=1
                                        ;     Child Loop BB225_36 Depth 2
                                        ;     Child Loop BB225_51 Depth 2
                                        ;     Child Loop BB225_78 Depth 2
                                        ;     Child Loop BB225_82 Depth 2
                                        ;     Child Loop BB225_64 Depth 2
                                        ;     Child Loop BB225_71 Depth 2
                                        ;     Child Loop BB225_91 Depth 2
                                        ;     Child Loop BB225_97 Depth 2
                                        ;     Child Loop BB225_129 Depth 2
                                        ;     Child Loop BB225_110 Depth 2
                                        ;     Child Loop BB225_175 Depth 2
                                        ;     Child Loop BB225_159 Depth 2
                                        ;     Child Loop BB225_221 Depth 2
                                        ;     Child Loop BB225_205 Depth 2
                                        ;     Child Loop BB225_256 Depth 2
                                        ;     Child Loop BB225_272 Depth 2
                                        ;     Child Loop BB225_325 Depth 2
                                        ;     Child Loop BB225_311 Depth 2
                                        ;     Child Loop BB225_371 Depth 2
                                        ;     Child Loop BB225_355 Depth 2
                                        ;     Child Loop BB225_417 Depth 2
                                        ;     Child Loop BB225_401 Depth 2
                                        ;     Child Loop BB225_452 Depth 2
                                        ;     Child Loop BB225_468 Depth 2
	ds_read_b128 v[2:5], v15 offset:5120
	s_waitcnt lgkmcnt(0)
	v_readfirstlane_b32 s3, v3
	v_readfirstlane_b32 s2, v2
	s_cmp_lg_u64 s[2:3], 0
	s_cbranch_scc1 .LBB225_58
; %bb.32:                               ;   in Loop: Header=BB225_31 Depth=1
	v_readlane_b32 s0, v61, 20
	v_readlane_b32 s1, v61, 21
	s_and_b64 vcc, exec, s[0:1]
	s_cbranch_vccz .LBB225_44
; %bb.33:                               ;   in Loop: Header=BB225_31 Depth=1
	s_mov_b64 s[0:1], 0x601
	v_cmp_gt_u64_e32 vcc, s[0:1], v[4:5]
	s_mov_b64 s[2:3], 0
	s_mov_b64 s[0:1], 0
	s_cbranch_vccz .LBB225_45
; %bb.34:                               ;   in Loop: Header=BB225_31 Depth=1
	v_readlane_b32 s0, v61, 33
	v_readlane_b32 s1, v61, 34
	s_nop 4
	global_load_ushort v6, v15, s[0:1]
	global_load_ushort v7, v[12:13], off
	v_readlane_b32 s0, v61, 40
	v_readlane_b32 s1, v61, 41
	;; [unrolled: 1-line block ×3, first 2 shown]
	v_pk_mov_b32 v[2:3], s[0:1], s[0:1] op_sel:[0,1]
	v_readlane_b32 s17, v61, 43
	s_mov_b64 s[0:1], 0
	s_waitcnt vmcnt(1)
	v_readfirstlane_b32 s6, v6
	s_and_b32 s6, 0xffff, s6
	v_add_u32_e32 v5, s6, v0
	s_mul_i32 s14, s17, s6
	s_mul_hi_u32 s15, s16, s6
	s_mul_i32 s11, s16, s6
	v_mad_u64_u32 v[2:3], s[6:7], s16, v5, v[2:3]
	v_mov_b32_e32 v4, v3
	v_mad_u64_u32 v[4:5], s[6:7], s17, v5, v[4:5]
	s_add_i32 s22, s15, s14
	v_mov_b32_e32 v3, v4
	v_pk_mov_b32 v[4:5], v[0:1], v[0:1] op_sel:[0,1]
	s_branch .LBB225_36
.LBB225_35:                             ;   in Loop: Header=BB225_36 Depth=2
	s_or_b64 exec, exec, s[6:7]
	v_mov_b32_e32 v7, s22
	v_add_co_u32_e32 v2, vcc, s11, v2
	v_addc_co_u32_e32 v3, vcc, v3, v7, vcc
	v_mov_b32_e32 v7, v8
	s_andn2_b64 exec, exec, s[0:1]
	s_cbranch_execz .LBB225_117
.LBB225_36:                             ;   Parent Loop BB225_31 Depth=1
                                        ; =>  This Inner Loop Header: Depth=2
	v_add_co_u32_sdwa v4, vcc, v4, v6 dst_sel:DWORD dst_unused:UNUSED_PAD src0_sel:DWORD src1_sel:WORD_0
	v_addc_co_u32_e32 v5, vcc, 0, v5, vcc
	v_cmp_gt_u64_e64 s[6:7], s[60:61], v[4:5]
	v_cmp_le_u64_e32 vcc, s[60:61], v[4:5]
	s_waitcnt lgkmcnt(0)
	v_mov_b32_e32 v9, 0
	v_mov_b32_e32 v8, 0
	s_and_saveexec_b64 s[14:15], s[6:7]
	s_cbranch_execz .LBB225_38
; %bb.37:                               ;   in Loop: Header=BB225_36 Depth=2
	global_load_ushort v8, v[2:3], off
.LBB225_38:                             ;   in Loop: Header=BB225_36 Depth=2
	s_or_b64 exec, exec, s[14:15]
	s_waitcnt vmcnt(0)
	v_cmp_lt_i16_e64 s[6:7], -1, v7
	v_cndmask_b32_e64 v14, v49, v50, s[6:7]
	v_lshlrev_b32_e32 v30, 16, v7
	v_xor_b32_sdwa v14, v14, v7 dst_sel:DWORD dst_unused:UNUSED_PAD src0_sel:DWORD src1_sel:WORD_0
	v_cmp_o_f32_e64 s[6:7], v30, v30
	v_cndmask_b32_e64 v14, v49, v14, s[6:7]
	v_and_b32_e32 v14, v14, v54
	v_cmp_eq_u32_e64 s[14:15], v14, v55
	s_cmp_lg_u64 s[14:15], 0
	s_cselect_b64 s[6:7], -1, 0
	s_and_b64 s[6:7], s[90:91], s[6:7]
	s_and_saveexec_b64 s[16:17], s[6:7]
	s_cbranch_execz .LBB225_42
; %bb.39:                               ;   in Loop: Header=BB225_36 Depth=2
	s_mov_b64 s[20:21], exec
	v_mbcnt_lo_u32_b32 v9, s20, 0
	v_mbcnt_hi_u32_b32 v9, s21, v9
	s_bcnt1_i32_b64 s23, s[14:15]
	v_cmp_eq_u32_e64 s[6:7], 0, v9
                                        ; implicit-def: $vgpr14
	s_and_saveexec_b64 s[18:19], s[6:7]
	s_cbranch_execz .LBB225_41
; %bb.40:                               ;   in Loop: Header=BB225_36 Depth=2
	s_bcnt1_i32_b64 s6, s[20:21]
	s_mul_i32 s6, s23, s6
	v_mov_b32_e32 v14, s6
	ds_add_rtn_u32 v14, v15, v14 offset:5144
.LBB225_41:                             ;   in Loop: Header=BB225_36 Depth=2
	s_or_b64 exec, exec, s[18:19]
	s_waitcnt lgkmcnt(0)
	v_readfirstlane_b32 s6, v14
	v_mov_b32_e32 v14, s6
	v_mad_u32_u24 v9, s23, v9, v14
.LBB225_42:                             ;   in Loop: Header=BB225_36 Depth=2
	s_or_b64 exec, exec, s[16:17]
	ds_bpermute_b32 v9, v42, v9
	s_and_b64 s[6:7], exec, vcc
	s_or_b64 s[0:1], s[6:7], s[0:1]
	s_and_saveexec_b64 s[6:7], s[14:15]
	s_cbranch_execz .LBB225_35
; %bb.43:                               ;   in Loop: Header=BB225_36 Depth=2
	v_and_b32_e32 v30, s14, v10
	v_and_b32_e32 v14, s15, v11
	v_bcnt_u32_b32 v30, v30, 0
	v_bcnt_u32_b32 v14, v14, v30
	v_lshlrev_b32_e32 v14, 1, v14
	s_waitcnt lgkmcnt(0)
	v_lshl_add_u32 v9, v9, 1, v14
	ds_write_b16 v9, v7
	s_branch .LBB225_35
.LBB225_44:                             ;   in Loop: Header=BB225_31 Depth=1
	s_mov_b64 s[2:3], -1
	s_mov_b64 s[0:1], 0
.LBB225_45:                             ;   in Loop: Header=BB225_31 Depth=1
	s_and_b64 vcc, exec, s[2:3]
	s_cbranch_vccz .LBB225_56
.LBB225_46:                             ;   in Loop: Header=BB225_31 Depth=1
	v_mov_b32_e32 v6, 0
	s_mov_b64 s[0:1], exec
	v_readlane_b32 s2, v61, 22
	v_readlane_b32 s3, v61, 23
	s_and_b64 s[2:3], s[0:1], s[2:3]
	s_mov_b64 exec, s[2:3]
	s_cbranch_execz .LBB225_48
; %bb.47:                               ;   in Loop: Header=BB225_31 Depth=1
	global_load_ushort v6, v[12:13], off
.LBB225_48:                             ;   in Loop: Header=BB225_31 Depth=1
	s_or_b64 exec, exec, s[0:1]
	s_mov_b64 s[0:1], exec
	v_readlane_b32 s2, v61, 22
	v_readlane_b32 s3, v61, 23
	s_and_b64 s[2:3], s[0:1], s[2:3]
	s_mov_b64 exec, s[2:3]
	s_cbranch_execz .LBB225_53
; %bb.49:                               ;   in Loop: Header=BB225_31 Depth=1
	v_readlane_b32 s2, v61, 33
	v_readlane_b32 s3, v61, 34
	;; [unrolled: 1-line block ×4, first 2 shown]
	v_mov_b32_e32 v8, v45
	s_nop 1
	global_load_ushort v7, v15, s[2:3]
	v_readlane_b32 s2, v61, 40
	v_readlane_b32 s3, v61, 41
	v_pk_mov_b32 v[2:3], s[2:3], s[2:3] op_sel:[0,1]
	s_mov_b64 s[2:3], 0
	s_waitcnt vmcnt(0)
	v_readfirstlane_b32 s6, v7
	s_and_b32 s6, 0xffff, s6
	v_add_u32_e32 v5, s6, v0
	s_lshl_b32 s11, s6, 1
	s_mul_i32 s14, s19, s6
	s_mul_hi_u32 s15, s18, s6
	s_mul_i32 s16, s18, s6
	v_mad_u64_u32 v[2:3], s[6:7], s18, v5, v[2:3]
	v_mov_b32_e32 v4, v3
	v_mad_u64_u32 v[4:5], s[6:7], s19, v5, v[4:5]
	s_add_i32 s17, s15, s14
	v_mov_b32_e32 v3, v4
	v_pk_mov_b32 v[4:5], v[0:1], v[0:1] op_sel:[0,1]
	s_branch .LBB225_51
.LBB225_50:                             ;   in Loop: Header=BB225_51 Depth=2
	s_or_b64 exec, exec, s[14:15]
	s_and_b64 s[6:7], exec, vcc
	ds_write_b16 v8, v6
	v_mov_b32_e32 v6, s17
	v_add_co_u32_e32 v2, vcc, s16, v2
	s_or_b64 s[2:3], s[6:7], s[2:3]
	v_add_u32_e32 v8, s11, v8
	v_addc_co_u32_e32 v3, vcc, v3, v6, vcc
	s_waitcnt vmcnt(0)
	v_mov_b32_e32 v6, v9
	s_andn2_b64 exec, exec, s[2:3]
	s_cbranch_execz .LBB225_53
.LBB225_51:                             ;   Parent Loop BB225_31 Depth=1
                                        ; =>  This Inner Loop Header: Depth=2
	v_add_co_u32_sdwa v4, vcc, v4, v7 dst_sel:DWORD dst_unused:UNUSED_PAD src0_sel:DWORD src1_sel:WORD_0
	v_addc_co_u32_e32 v5, vcc, 0, v5, vcc
	v_cmp_gt_u64_e64 s[6:7], s[60:61], v[4:5]
	v_cmp_le_u64_e32 vcc, s[60:61], v[4:5]
	v_mov_b32_e32 v9, 0
	s_and_saveexec_b64 s[14:15], s[6:7]
	s_cbranch_execz .LBB225_50
; %bb.52:                               ;   in Loop: Header=BB225_51 Depth=2
	global_load_ushort v9, v[2:3], off
	s_branch .LBB225_50
.LBB225_53:                             ;   in Loop: Header=BB225_31 Depth=1
	s_or_b64 exec, exec, s[0:1]
	s_waitcnt lgkmcnt(0)
	s_barrier
	s_mov_b64 s[0:1], exec
	v_readlane_b32 s2, v61, 10
	v_readlane_b32 s3, v61, 11
	s_and_b64 s[2:3], s[0:1], s[2:3]
	s_mov_b64 exec, s[2:3]
	s_cbranch_execz .LBB225_55
; %bb.54:                               ;   in Loop: Header=BB225_31 Depth=1
	v_pk_mov_b32 v[2:3], s[60:61], s[60:61] op_sel:[0,1]
	ds_write_b64 v15, v[2:3] offset:5120
.LBB225_55:                             ;   in Loop: Header=BB225_31 Depth=1
	s_or_b64 exec, exec, s[0:1]
	s_mov_b64 s[0:1], -1
	s_waitcnt lgkmcnt(0)
	s_barrier
                                        ; implicit-def: $sgpr2_sgpr3
.LBB225_56:                             ;   in Loop: Header=BB225_31 Depth=1
	s_and_b64 vcc, exec, s[0:1]
	s_cbranch_vccz .LBB225_58
; %bb.57:                               ;   in Loop: Header=BB225_31 Depth=1
	ds_read_b64 v[2:3], v15 offset:5120
	s_waitcnt lgkmcnt(0)
	v_readfirstlane_b32 s2, v2
.LBB225_58:                             ;   in Loop: Header=BB225_31 Depth=1
	v_writelane_b32 v61, s24, 54
	v_writelane_b32 v61, s25, 55
	;; [unrolled: 1-line block ×6, first 2 shown]
	s_cmp_lt_i32 s2, 1
	v_writelane_b32 v61, s34, 60
	v_writelane_b32 v61, s35, 61
	s_cbranch_scc0 .LBB225_73
; %bb.59:                               ;   in Loop: Header=BB225_31 Depth=1
	v_readlane_b32 s0, v61, 33
	v_readlane_b32 s1, v61, 34
	s_nop 4
	global_load_ushort v2, v15, s[0:1]
	s_mov_b32 s0, s87
	s_waitcnt vmcnt(0)
	v_readfirstlane_b32 s1, v2
	s_and_b32 s3, s1, 0xffff
	s_lshl_b32 s86, s3, 2
	s_mov_b32 s1, s61
	s_cmp_lg_u64 s[0:1], 0
	s_cbranch_scc0 .LBB225_93
; %bb.60:                               ;   in Loop: Header=BB225_31 Depth=1
	v_cvt_f32_u32_e32 v2, s86
	s_sub_u32 s0, 0, s86
	s_subb_u32 s1, 0, 0
	v_mac_f32_e32 v2, 0, v51
	v_rcp_f32_e32 v2, v2
	v_mul_f32_e32 v2, 0x5f7ffffc, v2
	v_mul_f32_e32 v3, 0x2f800000, v2
	v_trunc_f32_e32 v3, v3
	v_mac_f32_e32 v2, 0xcf800000, v3
	v_cvt_u32_f32_e32 v3, v3
	v_cvt_u32_f32_e32 v2, v2
	v_readfirstlane_b32 s6, v3
	v_readfirstlane_b32 s7, v2
	s_mul_i32 s11, s0, s6
	s_mul_hi_u32 s15, s0, s7
	s_mul_i32 s14, s1, s7
	s_add_i32 s11, s15, s11
	s_mul_i32 s16, s0, s7
	s_add_i32 s11, s11, s14
	s_mul_hi_u32 s15, s7, s16
	s_mul_hi_u32 s14, s7, s11
	s_mul_i32 s7, s7, s11
	s_add_u32 s7, s15, s7
	s_addc_u32 s14, 0, s14
	s_mul_hi_u32 s17, s6, s16
	s_mul_i32 s16, s6, s16
	s_add_u32 s7, s7, s16
	s_mul_hi_u32 s15, s6, s11
	s_addc_u32 s7, s14, s17
	s_addc_u32 s14, s15, 0
	s_mul_i32 s11, s6, s11
	s_add_u32 s7, s7, s11
	s_addc_u32 s11, 0, s14
	v_add_co_u32_e32 v2, vcc, s7, v2
	s_cmp_lg_u64 vcc, 0
	s_addc_u32 s6, s6, s11
	v_readfirstlane_b32 s11, v2
	s_mul_i32 s7, s0, s6
	s_mul_hi_u32 s14, s0, s11
	s_add_i32 s7, s14, s7
	s_mul_i32 s1, s1, s11
	s_add_i32 s7, s7, s1
	s_mul_i32 s0, s0, s11
	s_mul_hi_u32 s14, s6, s0
	s_mul_i32 s15, s6, s0
	s_mul_i32 s17, s11, s7
	s_mul_hi_u32 s0, s11, s0
	s_mul_hi_u32 s16, s11, s7
	s_add_u32 s0, s0, s17
	s_addc_u32 s11, 0, s16
	s_add_u32 s0, s0, s15
	s_mul_hi_u32 s1, s6, s7
	s_addc_u32 s0, s11, s14
	s_addc_u32 s1, s1, 0
	s_mul_i32 s7, s6, s7
	s_add_u32 s0, s0, s7
	s_addc_u32 s1, 0, s1
	v_add_co_u32_e32 v2, vcc, s0, v2
	s_cmp_lg_u64 vcc, 0
	s_addc_u32 s0, s6, s1
	v_readfirstlane_b32 s7, v2
	s_mul_i32 s6, s60, s0
	s_mul_hi_u32 s11, s60, s7
	s_mul_hi_u32 s1, s60, s0
	s_add_u32 s6, s11, s6
	s_addc_u32 s1, 0, s1
	s_mul_hi_u32 s14, s61, s7
	s_mul_i32 s7, s61, s7
	s_add_u32 s6, s6, s7
	s_mul_hi_u32 s11, s61, s0
	s_addc_u32 s1, s1, s14
	s_addc_u32 s6, s11, 0
	s_mul_i32 s0, s61, s0
	s_add_u32 s0, s1, s0
	s_addc_u32 s1, 0, s6
	s_mul_hi_u32 s6, s86, s0
	s_mul_i32 s0, s86, s0
	s_mul_i32 s1, s86, s1
	v_mov_b32_e32 v2, s0
	s_add_i32 s6, s6, s1
	v_sub_co_u32_e32 v2, vcc, s60, v2
	s_cmp_lg_u64 vcc, 0
	s_subb_u32 s0, s61, s6
	v_subrev_co_u32_e32 v3, vcc, s86, v2
	s_cmp_lg_u64 vcc, 0
	s_subb_u32 s1, s0, 0
	v_subrev_co_u32_e32 v4, vcc, s86, v3
	s_cmp_lg_u64 vcc, 0
	s_subb_u32 s6, s1, 0
	v_cmp_le_u32_e32 vcc, s86, v3
	s_cmp_eq_u32 s1, 0
	v_cndmask_b32_e64 v5, 0, -1, vcc
	s_cselect_b64 vcc, -1, 0
	v_cndmask_b32_e32 v5, -1, v5, vcc
	v_mov_b32_e32 v6, s1
	v_mov_b32_e32 v7, s6
	v_cmp_ne_u32_e32 vcc, 0, v5
	v_cndmask_b32_e32 v5, v6, v7, vcc
	v_cndmask_b32_e32 v4, v3, v4, vcc
	v_cmp_le_u32_e32 vcc, s86, v2
	s_cmp_eq_u32 s0, 0
	v_cndmask_b32_e64 v3, 0, -1, vcc
	s_cselect_b64 vcc, -1, 0
	v_cndmask_b32_e32 v3, -1, v3, vcc
	v_mov_b32_e32 v6, s0
	v_cmp_ne_u32_e32 vcc, 0, v3
	v_cndmask_b32_e32 v3, v6, v5, vcc
	v_cndmask_b32_e32 v2, v2, v4, vcc
	s_cbranch_execnz .LBB225_62
.LBB225_61:                             ;   in Loop: Header=BB225_31 Depth=1
	v_cvt_f32_u32_e32 v2, s86
	s_sub_i32 s0, 0, s86
	v_rcp_iflag_f32_e32 v2, v2
	v_mul_f32_e32 v2, 0x4f7ffffe, v2
	v_cvt_u32_f32_e32 v2, v2
	v_mul_lo_u32 v3, s0, v2
	v_mul_hi_u32 v3, v2, v3
	v_add_u32_e32 v2, v2, v3
	v_mul_hi_u32 v2, s60, v2
	v_mul_lo_u32 v2, v2, s86
	v_sub_u32_e32 v2, s60, v2
	v_subrev_u32_e32 v3, s86, v2
	v_cmp_le_u32_e32 vcc, s86, v2
	v_cndmask_b32_e32 v2, v2, v3, vcc
	v_subrev_u32_e32 v3, s86, v2
	v_cmp_le_u32_e32 vcc, s86, v2
	v_cndmask_b32_e32 v14, v2, v3, vcc
	v_pk_mov_b32 v[2:3], v[14:15], v[14:15] op_sel:[0,1]
.LBB225_62:                             ;   in Loop: Header=BB225_31 Depth=1
	v_mov_b32_e32 v4, s61
	v_sub_co_u32_e32 v30, vcc, s60, v2
	v_subb_co_u32_e32 v31, vcc, v4, v3, vcc
	v_pk_mov_b32 v[2:3], 0, 0
	v_cmp_gt_u64_e32 vcc, v[30:31], v[16:17]
	s_mov_b64 s[90:91], 0
	v_pk_mov_b32 v[4:5], v[2:3], v[2:3] op_sel:[0,1]
	v_pk_mov_b32 v[6:7], v[2:3], v[2:3] op_sel:[0,1]
	;; [unrolled: 1-line block ×3, first 2 shown]
	s_and_saveexec_b64 s[88:89], vcc
	s_cbranch_execz .LBB225_66
; %bb.63:                               ;   in Loop: Header=BB225_31 Depth=1
	v_readlane_b32 s6, v61, 44
	v_readlane_b32 s0, v61, 50
	;; [unrolled: 1-line block ×3, first 2 shown]
	s_and_b32 s11, s0, 0xfe
	s_mul_i32 s0, s7, s3
	s_mul_hi_u32 s1, s6, s3
	s_add_i32 s68, s1, s0
	s_mul_i32 s69, s6, s3
	v_pk_mov_b32 v[32:33], v[24:25], v[24:25] op_sel:[0,1]
	v_pk_mov_b32 v[34:35], v[22:23], v[22:23] op_sel:[0,1]
	;; [unrolled: 1-line block ×4, first 2 shown]
	s_mov_b64 s[80:81], 0
	s_mov_b64 s[94:95], 0
	;; [unrolled: 1-line block ×4, first 2 shown]
	v_pk_mov_b32 v[40:41], v[16:17], v[16:17] op_sel:[0,1]
.LBB225_64:                             ;   Parent Loop BB225_31 Depth=1
                                        ; =>  This Inner Loop Header: Depth=2
	v_mov_b32_e32 v7, s73
	v_add_co_u32_e32 v2, vcc, s72, v34
	v_add_co_u32_e64 v8, s[22:23], s72, v32
	v_add_co_u32_e64 v4, s[14:15], s72, v36
	;; [unrolled: 1-line block ×3, first 2 shown]
	v_addc_co_u32_e64 v9, s[22:23], v33, v7, s[22:23]
	v_addc_co_u32_e32 v3, vcc, v35, v7, vcc
	v_addc_co_u32_e64 v5, vcc, v37, v7, s[14:15]
	v_addc_co_u32_e64 v7, vcc, v39, v7, s[16:17]
	global_load_ushort v8, v[8:9], off
	s_nop 0
	global_load_ushort v2, v[2:3], off
	s_nop 0
	;; [unrolled: 2-line block ×3, first 2 shown]
	global_load_ushort v4, v[6:7], off
	v_mov_b32_e32 v14, s68
	v_add_co_u32_e64 v38, s[6:7], s69, v38
	v_add_co_u32_e64 v36, s[18:19], s69, v36
	;; [unrolled: 1-line block ×4, first 2 shown]
	v_addc_co_u32_e64 v39, vcc, v39, v14, s[6:7]
	v_addc_co_u32_e64 v37, vcc, v37, v14, s[18:19]
	v_addc_co_u32_e64 v35, vcc, v35, v14, s[20:21]
	v_addc_co_u32_e64 v33, vcc, v33, v14, s[24:25]
	v_add_co_u32_e64 v40, s[26:27], s86, v40
	v_addc_co_u32_e64 v41, s[26:27], 0, v41, s[26:27]
	v_cmp_ge_u64_e32 vcc, v[40:41], v[30:31]
	s_waitcnt vmcnt(3)
	v_cmp_lt_i16_e64 s[6:7], -1, v8
	v_cndmask_b32_e64 v14, v49, v50, s[6:7]
	s_waitcnt vmcnt(2)
	v_cmp_lt_i16_e64 s[6:7], -1, v2
	v_cndmask_b32_e64 v57, v49, v50, s[6:7]
	s_waitcnt vmcnt(1)
	v_cmp_lt_i16_e64 s[6:7], -1, v3
	v_lshlrev_b32_e32 v5, 16, v8
	v_lshlrev_b32_e32 v6, 16, v2
	v_cndmask_b32_e64 v58, v49, v50, s[6:7]
	s_waitcnt vmcnt(0)
	v_cmp_lt_i16_e64 s[6:7], -1, v4
	v_cndmask_b32_e64 v59, v49, v50, s[6:7]
	v_cmp_o_f32_e64 s[6:7], v6, v6
	v_xor_b32_sdwa v6, v14, v8 dst_sel:DWORD dst_unused:UNUSED_PAD src0_sel:DWORD src1_sel:WORD_0
	v_cmp_o_f32_e64 s[18:19], v5, v5
	v_lshlrev_b32_e32 v7, 16, v3
	v_xor_b32_sdwa v2, v57, v2 dst_sel:DWORD dst_unused:UNUSED_PAD src0_sel:DWORD src1_sel:WORD_0
	v_cndmask_b32_e64 v5, v49, v6, s[18:19]
	v_lshlrev_b32_e32 v9, 16, v4
	v_xor_b32_sdwa v3, v58, v3 dst_sel:DWORD dst_unused:UNUSED_PAD src0_sel:DWORD src1_sel:WORD_0
	v_cmp_o_f32_e64 s[14:15], v7, v7
	v_cndmask_b32_e64 v2, v49, v2, s[6:7]
	v_and_b32_e32 v6, v5, v54
	v_bfe_u32 v5, v5, s11, 2
	v_xor_b32_sdwa v4, v59, v4 dst_sel:DWORD dst_unused:UNUSED_PAD src0_sel:DWORD src1_sel:WORD_0
	v_cmp_o_f32_e64 s[16:17], v9, v9
	v_cndmask_b32_e64 v3, v49, v3, s[14:15]
	v_and_b32_e32 v7, v2, v54
	v_bfe_u32 v2, v2, s11, 2
	v_cmp_eq_u32_e64 s[20:21], v6, v55
	v_cmp_eq_u32_e64 s[6:7], 0, v5
	v_cndmask_b32_e64 v4, v49, v4, s[16:17]
	v_and_b32_e32 v8, v3, v54
	v_bfe_u32 v3, v3, s11, 2
	v_cmp_eq_u32_e64 s[18:19], v7, v55
	v_cmp_eq_u32_e64 s[34:35], 0, v2
	s_and_b64 s[6:7], s[20:21], s[6:7]
	v_and_b32_e32 v9, v4, v54
	v_bfe_u32 v4, v4, s11, 2
	v_cmp_eq_u32_e64 s[16:17], v8, v55
	v_cmp_eq_u32_e64 s[36:37], 0, v3
	;; [unrolled: 1-line block ×5, first 2 shown]
	v_cndmask_b32_e64 v2, 0, 1, s[6:7]
	s_and_b64 s[6:7], s[18:19], s[34:35]
	v_cmp_eq_u32_e64 s[14:15], v9, v55
	v_cmp_eq_u32_e64 s[38:39], 0, v4
	v_cmp_eq_u32_e64 s[44:45], 1, v3
	v_cmp_eq_u32_e64 s[52:53], 2, v3
	v_cmp_eq_u32_e64 s[24:25], 3, v3
	v_cndmask_b32_e64 v3, 0, 1, s[6:7]
	s_and_b64 s[6:7], s[16:17], s[36:37]
	v_cmp_eq_u32_e64 s[46:47], 1, v4
	v_cmp_eq_u32_e64 s[54:55], 2, v4
	;; [unrolled: 1-line block ×3, first 2 shown]
	v_cndmask_b32_e64 v4, 0, 1, s[6:7]
	s_and_b64 s[6:7], s[14:15], s[38:39]
	v_cmp_eq_u32_e64 s[40:41], 1, v5
	v_cmp_eq_u32_e64 s[48:49], 2, v5
	;; [unrolled: 1-line block ×3, first 2 shown]
	v_cndmask_b32_e64 v5, 0, 1, s[6:7]
	v_cmp_ne_u32_e64 s[6:7], 0, v2
	v_cmp_ne_u32_e64 s[34:35], 0, v3
	v_cmp_ne_u32_e64 s[36:37], 0, v4
	v_cmp_ne_u32_e64 s[38:39], 0, v5
	s_bcnt1_i32_b64 s6, s[6:7]
	s_bcnt1_i32_b64 s7, s[34:35]
	s_bcnt1_i32_b64 s34, s[36:37]
	s_bcnt1_i32_b64 s35, s[38:39]
	s_add_u32 s6, s6, s66
	s_addc_u32 s36, 0, s67
	s_add_u32 s6, s6, s7
	s_addc_u32 s7, s36, 0
	s_add_u32 s6, s6, s34
	s_addc_u32 s7, s7, 0
	s_add_u32 s66, s6, s35
	s_addc_u32 s67, s7, 0
	s_and_b64 s[6:7], s[20:21], s[40:41]
	v_cndmask_b32_e64 v4, 0, 1, s[6:7]
	s_and_b64 s[6:7], s[18:19], s[42:43]
	v_cndmask_b32_e64 v5, 0, 1, s[6:7]
	s_and_b64 s[6:7], s[16:17], s[44:45]
	v_cndmask_b32_e64 v6, 0, 1, s[6:7]
	s_and_b64 s[6:7], s[14:15], s[46:47]
	v_cndmask_b32_e64 v7, 0, 1, s[6:7]
	v_cmp_ne_u32_e64 s[6:7], 0, v4
	v_cmp_ne_u32_e64 s[34:35], 0, v5
	v_cmp_ne_u32_e64 s[36:37], 0, v6
	v_cmp_ne_u32_e64 s[38:39], 0, v7
	s_bcnt1_i32_b64 s6, s[6:7]
	s_bcnt1_i32_b64 s7, s[34:35]
	s_bcnt1_i32_b64 s34, s[36:37]
	s_bcnt1_i32_b64 s35, s[38:39]
	s_add_u32 s0, s6, s0
	s_addc_u32 s1, 0, s1
	s_add_u32 s0, s0, s7
	s_addc_u32 s1, s1, 0
	s_add_u32 s0, s0, s34
	s_addc_u32 s1, s1, 0
	s_add_u32 s0, s0, s35
	s_addc_u32 s1, s1, 0
	s_and_b64 s[6:7], s[20:21], s[48:49]
	v_cndmask_b32_e64 v6, 0, 1, s[6:7]
	s_and_b64 s[6:7], s[18:19], s[50:51]
	v_cndmask_b32_e64 v7, 0, 1, s[6:7]
	s_and_b64 s[6:7], s[16:17], s[52:53]
	v_cndmask_b32_e64 v8, 0, 1, s[6:7]
	s_and_b64 s[6:7], s[14:15], s[54:55]
	;; [unrolled: 24-line block ×3, first 2 shown]
	v_cndmask_b32_e64 v57, 0, 1, s[6:7]
	v_cmp_ne_u32_e64 s[6:7], 0, v8
	v_cmp_ne_u32_e64 s[14:15], 0, v9
	;; [unrolled: 1-line block ×4, first 2 shown]
	s_bcnt1_i32_b64 s6, s[6:7]
	s_bcnt1_i32_b64 s7, s[14:15]
	;; [unrolled: 1-line block ×4, first 2 shown]
	s_add_u32 s6, s6, s80
	s_addc_u32 s16, 0, s81
	s_add_u32 s6, s6, s7
	s_addc_u32 s7, s16, 0
	;; [unrolled: 2-line block ×4, first 2 shown]
	v_pk_mov_b32 v[2:3], s[66:67], s[66:67] op_sel:[0,1]
	v_pk_mov_b32 v[4:5], s[0:1], s[0:1] op_sel:[0,1]
	;; [unrolled: 1-line block ×3, first 2 shown]
	s_or_b64 s[90:91], vcc, s[90:91]
	v_pk_mov_b32 v[8:9], s[80:81], s[80:81] op_sel:[0,1]
	s_andn2_b64 exec, exec, s[90:91]
	s_cbranch_execnz .LBB225_64
; %bb.65:                               ;   in Loop: Header=BB225_31 Depth=1
	s_or_b64 exec, exec, s[90:91]
.LBB225_66:                             ;   in Loop: Header=BB225_31 Depth=1
	s_or_b64 exec, exec, s[88:89]
	v_add_co_u32_e32 v30, vcc, v30, v0
	v_readlane_b32 s90, v61, 52
	v_addc_co_u32_e32 v31, vcc, 0, v31, vcc
	v_readlane_b32 s91, v61, 53
	v_cmp_gt_u64_e32 vcc, s[60:61], v[30:31]
	v_mov_b32_e32 v14, 0
	s_and_saveexec_b64 s[0:1], vcc
	s_cbranch_execz .LBB225_68
; %bb.67:                               ;   in Loop: Header=BB225_31 Depth=1
	v_mul_lo_u32 v14, v31, s58
	v_mul_lo_u32 v34, v30, s59
	v_mad_u64_u32 v[32:33], s[6:7], v30, s58, 0
	v_add3_u32 v33, v33, v34, v14
	v_lshlrev_b64 v[32:33], 1, v[32:33]
	v_mov_b32_e32 v14, s12
	v_add_co_u32_e64 v32, s[6:7], s93, v32
	v_addc_co_u32_e64 v33, s[6:7], v14, v33, s[6:7]
	global_load_ushort v14, v[32:33], off
.LBB225_68:                             ;   in Loop: Header=BB225_31 Depth=1
	s_or_b64 exec, exec, s[0:1]
	s_and_saveexec_b64 s[0:1], vcc
	s_cbranch_execz .LBB225_75
; %bb.69:                               ;   in Loop: Header=BB225_31 Depth=1
	v_readlane_b32 s6, v61, 50
	s_and_b32 s11, s6, 0xfe
	s_mov_b64 s[14:15], 0
	s_branch .LBB225_71
.LBB225_70:                             ;   in Loop: Header=BB225_71 Depth=2
	s_or_b64 exec, exec, s[16:17]
	s_and_b64 s[6:7], exec, vcc
	s_waitcnt vmcnt(0)
	v_cmp_lt_i16_e32 vcc, -1, v14
	v_cndmask_b32_e32 v33, v49, v50, vcc
	v_lshlrev_b32_e32 v34, 16, v14
	v_xor_b32_sdwa v14, v33, v14 dst_sel:DWORD dst_unused:UNUSED_PAD src0_sel:DWORD src1_sel:WORD_0
	v_cmp_o_f32_e32 vcc, v34, v34
	v_cndmask_b32_e32 v14, v49, v14, vcc
	v_and_b32_e32 v33, v14, v54
	v_bfe_u32 v14, v14, s11, 2
	s_or_b64 s[14:15], s[6:7], s[14:15]
	v_cmp_eq_u32_e32 vcc, v33, v55
	v_cmp_eq_u32_e64 s[6:7], 0, v14
	s_and_b64 s[6:7], vcc, s[6:7]
	v_cndmask_b32_e64 v33, 0, 1, s[6:7]
	v_cmp_ne_u32_e64 s[6:7], 0, v33
	s_bcnt1_i32_b64 s6, s[6:7]
	v_add_co_u32_e64 v2, s[6:7], s6, v2
	v_addc_co_u32_e64 v3, s[6:7], 0, v3, s[6:7]
	v_cmp_eq_u32_e64 s[6:7], 1, v14
	s_and_b64 s[6:7], vcc, s[6:7]
	v_cndmask_b32_e64 v33, 0, 1, s[6:7]
	v_cmp_ne_u32_e64 s[6:7], 0, v33
	s_bcnt1_i32_b64 s6, s[6:7]
	v_add_co_u32_e64 v4, s[6:7], s6, v4
	v_addc_co_u32_e64 v5, s[6:7], 0, v5, s[6:7]
	;; [unrolled: 7-line block ×3, first 2 shown]
	v_cmp_eq_u32_e64 s[6:7], 3, v14
	s_and_b64 s[6:7], vcc, s[6:7]
	v_cndmask_b32_e64 v14, 0, 1, s[6:7]
	v_cmp_ne_u32_e32 vcc, 0, v14
	s_bcnt1_i32_b64 s6, vcc
	v_add_co_u32_e32 v8, vcc, s6, v8
	v_addc_co_u32_e32 v9, vcc, 0, v9, vcc
	v_mov_b32_e32 v14, v32
	s_andn2_b64 exec, exec, s[14:15]
	s_cbranch_execz .LBB225_74
.LBB225_71:                             ;   Parent Loop BB225_31 Depth=1
                                        ; =>  This Inner Loop Header: Depth=2
	v_mov_b32_e32 v32, s87
	v_add_co_u32_e32 v30, vcc, s3, v30
	v_addc_co_u32_e32 v31, vcc, v31, v32, vcc
	v_cmp_gt_u64_e64 s[6:7], s[60:61], v[30:31]
	v_cmp_le_u64_e32 vcc, s[60:61], v[30:31]
	v_mov_b32_e32 v32, 0
	s_and_saveexec_b64 s[16:17], s[6:7]
	s_cbranch_execz .LBB225_70
; %bb.72:                               ;   in Loop: Header=BB225_71 Depth=2
	v_mul_lo_u32 v34, v31, s58
	v_mul_lo_u32 v35, v30, s59
	v_mad_u64_u32 v[32:33], s[6:7], v30, s58, 0
	v_add3_u32 v33, v33, v35, v34
	v_lshlrev_b64 v[32:33], 1, v[32:33]
	v_mov_b32_e32 v34, s12
	v_add_co_u32_e64 v32, s[6:7], s93, v32
	v_addc_co_u32_e64 v33, s[6:7], v34, v33, s[6:7]
	global_load_ushort v32, v[32:33], off
	s_branch .LBB225_70
.LBB225_73:                             ;   in Loop: Header=BB225_31 Depth=1
                                        ; implicit-def: $vgpr8_vgpr9
                                        ; implicit-def: $vgpr4_vgpr5
	s_cbranch_execnz .LBB225_76
	s_branch .LBB225_85
.LBB225_74:                             ;   in Loop: Header=BB225_31 Depth=1
	s_or_b64 exec, exec, s[14:15]
.LBB225_75:                             ;   in Loop: Header=BB225_31 Depth=1
	s_or_b64 exec, exec, s[0:1]
	s_branch .LBB225_85
.LBB225_76:                             ;   in Loop: Header=BB225_31 Depth=1
	v_readlane_b32 s0, v61, 33
	v_readlane_b32 s1, v61, 34
	s_nop 4
	global_load_ushort v8, v15, s[0:1]
	s_waitcnt vmcnt(0)
	v_readfirstlane_b32 s0, v8
	s_and_b32 s0, 0xffff, s0
	s_lshl_b32 s3, s0, 2
	v_cvt_f32_u32_e32 v2, s3
	s_sub_i32 s6, 0, s3
	s_mov_b64 s[0:1], 0
	v_and_b32_e32 v32, 0xffff, v8
	v_rcp_iflag_f32_e32 v6, v2
	v_pk_mov_b32 v[2:3], 0, 0
	v_pk_mov_b32 v[4:5], v[2:3], v[2:3] op_sel:[0,1]
	v_mul_f32_e32 v6, 0x4f7ffffe, v6
	v_cvt_u32_f32_e32 v9, v6
	v_pk_mov_b32 v[6:7], v[2:3], v[2:3] op_sel:[0,1]
	v_readfirstlane_b32 s7, v9
	s_mul_i32 s6, s6, s7
	s_mul_hi_u32 s6, s7, s6
	s_add_i32 s7, s7, s6
	s_mul_hi_u32 s6, s2, s7
	s_mul_i32 s6, s6, s3
	s_sub_i32 s6, s2, s6
	s_sub_i32 s7, s6, s3
	s_cmp_ge_u32 s6, s3
	s_cselect_b32 s6, s7, s6
	s_sub_i32 s7, s6, s3
	s_cmp_ge_u32 s6, s3
	s_cselect_b32 s6, s7, s6
	s_sub_i32 s86, s2, s6
	v_cmp_gt_u32_e32 vcc, s86, v16
	v_pk_mov_b32 v[8:9], v[2:3], v[2:3] op_sel:[0,1]
	s_and_saveexec_b64 s[66:67], vcc
	s_cbranch_execz .LBB225_80
; %bb.77:                               ;   in Loop: Header=BB225_31 Depth=1
	v_readlane_b32 s6, v61, 50
	s_and_b32 s11, s6, 0xfe
	v_lshlrev_b32_e32 v14, 3, v32
	v_mov_b32_e32 v33, v47
	s_mov_b64 s[80:81], 0
	s_mov_b64 s[88:89], 0
	;; [unrolled: 1-line block ×4, first 2 shown]
	v_pk_mov_b32 v[30:31], v[16:17], v[16:17] op_sel:[0,1]
.LBB225_78:                             ;   Parent Loop BB225_31 Depth=1
                                        ; =>  This Inner Loop Header: Depth=2
	ds_read_b64 v[2:3], v33
	v_add_co_u32_e32 v30, vcc, s3, v30
	v_addc_co_u32_e32 v31, vcc, 0, v31, vcc
	s_waitcnt lgkmcnt(0)
	v_cmp_lt_i16_e64 s[6:7], -1, v2
	v_cndmask_b32_e64 v8, v49, v50, s[6:7]
	v_cmp_gt_i16_sdwa s[6:7], v2, v52 src0_sel:WORD_1 src1_sel:DWORD
	v_lshlrev_b32_e32 v4, 16, v2
	v_cndmask_b32_e64 v9, v49, v50, s[6:7]
	v_cmp_lt_i16_e64 s[6:7], -1, v3
	v_and_b32_e32 v5, 0xffff0000, v2
	v_cndmask_b32_e64 v34, v49, v50, s[6:7]
	v_cmp_gt_i16_sdwa s[6:7], v3, v52 src0_sel:WORD_1 src1_sel:DWORD
	v_xor_b32_sdwa v9, v9, v2 dst_sel:DWORD dst_unused:UNUSED_PAD src0_sel:DWORD src1_sel:WORD_1
	v_xor_b32_sdwa v2, v8, v2 dst_sel:DWORD dst_unused:UNUSED_PAD src0_sel:DWORD src1_sel:WORD_0
	v_cmp_o_f32_e64 s[18:19], v4, v4
	v_lshlrev_b32_e32 v6, 16, v3
	v_cndmask_b32_e64 v35, v49, v50, s[6:7]
	v_cmp_o_f32_e64 s[6:7], v5, v5
	v_cndmask_b32_e64 v2, v49, v2, s[18:19]
	v_and_b32_e32 v7, 0xffff0000, v3
	v_xor_b32_sdwa v5, v34, v3 dst_sel:DWORD dst_unused:UNUSED_PAD src0_sel:DWORD src1_sel:WORD_0
	v_cmp_o_f32_e64 s[14:15], v6, v6
	v_cndmask_b32_e64 v4, v49, v9, s[6:7]
	v_and_b32_e32 v6, v2, v54
	v_bfe_u32 v2, v2, s11, 2
	v_xor_b32_sdwa v3, v35, v3 dst_sel:DWORD dst_unused:UNUSED_PAD src0_sel:DWORD src1_sel:WORD_1
	v_cmp_o_f32_e64 s[16:17], v7, v7
	v_cndmask_b32_e64 v5, v49, v5, s[14:15]
	v_and_b32_e32 v7, v4, v54
	v_bfe_u32 v4, v4, s11, 2
	v_cmp_eq_u32_e64 s[20:21], v6, v55
	v_cmp_eq_u32_e64 s[6:7], 0, v2
	v_cndmask_b32_e64 v3, v49, v3, s[16:17]
	v_and_b32_e32 v8, v5, v54
	v_bfe_u32 v5, v5, s11, 2
	v_cmp_eq_u32_e64 s[18:19], v7, v55
	v_cmp_eq_u32_e64 s[34:35], 0, v4
	s_and_b64 s[6:7], s[20:21], s[6:7]
	v_and_b32_e32 v9, v3, v54
	v_bfe_u32 v3, v3, s11, 2
	v_cmp_eq_u32_e64 s[16:17], v8, v55
	v_cmp_eq_u32_e64 s[36:37], 0, v5
	;; [unrolled: 1-line block ×5, first 2 shown]
	v_cndmask_b32_e64 v2, 0, 1, s[6:7]
	s_and_b64 s[6:7], s[18:19], s[34:35]
	v_cmp_eq_u32_e64 s[14:15], v9, v55
	v_cmp_eq_u32_e64 s[38:39], 0, v3
	;; [unrolled: 1-line block ×5, first 2 shown]
	v_cndmask_b32_e64 v3, 0, 1, s[6:7]
	s_and_b64 s[6:7], s[16:17], s[36:37]
	v_cmp_eq_u32_e64 s[42:43], 1, v4
	v_cmp_eq_u32_e64 s[50:51], 2, v4
	;; [unrolled: 1-line block ×3, first 2 shown]
	v_cndmask_b32_e64 v4, 0, 1, s[6:7]
	s_and_b64 s[6:7], s[14:15], s[38:39]
	v_cmp_eq_u32_e64 s[44:45], 1, v5
	v_cmp_eq_u32_e64 s[52:53], 2, v5
	;; [unrolled: 1-line block ×3, first 2 shown]
	v_cndmask_b32_e64 v5, 0, 1, s[6:7]
	v_cmp_ne_u32_e64 s[6:7], 0, v2
	v_cmp_ne_u32_e64 s[34:35], 0, v3
	v_cmp_ne_u32_e64 s[36:37], 0, v4
	v_cmp_ne_u32_e64 s[38:39], 0, v5
	s_bcnt1_i32_b64 s6, s[6:7]
	s_bcnt1_i32_b64 s7, s[34:35]
	s_bcnt1_i32_b64 s34, s[36:37]
	s_bcnt1_i32_b64 s35, s[38:39]
	s_add_u32 s6, s6, s94
	s_addc_u32 s36, 0, s95
	s_add_u32 s6, s6, s7
	s_addc_u32 s7, s36, 0
	s_add_u32 s6, s6, s34
	s_addc_u32 s7, s7, 0
	s_add_u32 s94, s6, s35
	s_addc_u32 s95, s7, 0
	s_and_b64 s[6:7], s[20:21], s[40:41]
	v_cndmask_b32_e64 v4, 0, 1, s[6:7]
	s_and_b64 s[6:7], s[18:19], s[42:43]
	v_cndmask_b32_e64 v5, 0, 1, s[6:7]
	s_and_b64 s[6:7], s[16:17], s[44:45]
	v_cndmask_b32_e64 v6, 0, 1, s[6:7]
	s_and_b64 s[6:7], s[14:15], s[46:47]
	v_cndmask_b32_e64 v7, 0, 1, s[6:7]
	v_cmp_ne_u32_e64 s[6:7], 0, v4
	v_cmp_ne_u32_e64 s[34:35], 0, v5
	v_cmp_ne_u32_e64 s[36:37], 0, v6
	v_cmp_ne_u32_e64 s[38:39], 0, v7
	s_bcnt1_i32_b64 s6, s[6:7]
	s_bcnt1_i32_b64 s7, s[34:35]
	s_bcnt1_i32_b64 s34, s[36:37]
	s_bcnt1_i32_b64 s35, s[38:39]
	s_add_u32 s6, s6, s90
	s_addc_u32 s36, 0, s91
	s_add_u32 s6, s6, s7
	s_addc_u32 s7, s36, 0
	s_add_u32 s6, s6, s34
	s_addc_u32 s7, s7, 0
	s_add_u32 s90, s6, s35
	s_addc_u32 s91, s7, 0
	s_and_b64 s[6:7], s[20:21], s[48:49]
	v_cndmask_b32_e64 v6, 0, 1, s[6:7]
	s_and_b64 s[6:7], s[18:19], s[50:51]
	v_cndmask_b32_e64 v7, 0, 1, s[6:7]
	s_and_b64 s[6:7], s[16:17], s[52:53]
	v_cndmask_b32_e64 v8, 0, 1, s[6:7]
	s_and_b64 s[6:7], s[14:15], s[54:55]
	;; [unrolled: 24-line block ×3, first 2 shown]
	v_cndmask_b32_e64 v35, 0, 1, s[6:7]
	v_cmp_ne_u32_e64 s[6:7], 0, v8
	v_cmp_ne_u32_e64 s[14:15], 0, v9
	;; [unrolled: 1-line block ×4, first 2 shown]
	s_bcnt1_i32_b64 s6, s[6:7]
	s_bcnt1_i32_b64 s7, s[14:15]
	;; [unrolled: 1-line block ×4, first 2 shown]
	s_add_u32 s6, s6, s80
	s_addc_u32 s16, 0, s81
	s_add_u32 s6, s6, s7
	s_addc_u32 s7, s16, 0
	;; [unrolled: 2-line block ×3, first 2 shown]
	s_add_u32 s80, s6, s15
	v_cmp_le_u64_e32 vcc, s[86:87], v[30:31]
	s_addc_u32 s81, s7, 0
	v_add_u32_e32 v33, v33, v14
	v_pk_mov_b32 v[2:3], s[94:95], s[94:95] op_sel:[0,1]
	v_pk_mov_b32 v[4:5], s[90:91], s[90:91] op_sel:[0,1]
	;; [unrolled: 1-line block ×3, first 2 shown]
	s_or_b64 s[0:1], vcc, s[0:1]
	v_pk_mov_b32 v[8:9], s[80:81], s[80:81] op_sel:[0,1]
	s_andn2_b64 exec, exec, s[0:1]
	s_cbranch_execnz .LBB225_78
; %bb.79:                               ;   in Loop: Header=BB225_31 Depth=1
	s_or_b64 exec, exec, s[0:1]
	v_readlane_b32 s90, v61, 52
	v_readlane_b32 s91, v61, 53
.LBB225_80:                             ;   in Loop: Header=BB225_31 Depth=1
	s_or_b64 exec, exec, s[66:67]
	v_add_u32_e32 v14, s86, v0
	v_cmp_gt_u32_e32 vcc, s2, v14
	s_and_saveexec_b64 s[0:1], vcc
	s_cbranch_execz .LBB225_84
; %bb.81:                               ;   in Loop: Header=BB225_31 Depth=1
	s_and_b32 s86, s2, 0x7fffffff
	v_readlane_b32 s2, v61, 50
	s_and_b32 s11, s2, 0xfe
	v_lshlrev_b32_e32 v33, 1, v14
	v_lshlrev_b32_e32 v34, 1, v32
	s_mov_b64 s[2:3], 0
	v_pk_mov_b32 v[30:31], v[14:15], v[14:15] op_sel:[0,1]
.LBB225_82:                             ;   Parent Loop BB225_31 Depth=1
                                        ; =>  This Inner Loop Header: Depth=2
	ds_read_u16 v14, v33
	v_add_co_u32_e32 v30, vcc, v30, v32
	v_addc_co_u32_e32 v31, vcc, 0, v31, vcc
	s_waitcnt lgkmcnt(0)
	v_cmp_lt_i16_e64 s[6:7], -1, v14
	v_lshlrev_b32_e32 v35, 16, v14
	v_cndmask_b32_e64 v36, v49, v50, s[6:7]
	v_xor_b32_sdwa v14, v36, v14 dst_sel:DWORD dst_unused:UNUSED_PAD src0_sel:DWORD src1_sel:WORD_0
	v_cmp_o_f32_e64 s[6:7], v35, v35
	v_cndmask_b32_e64 v14, v49, v14, s[6:7]
	v_and_b32_e32 v35, v14, v54
	v_bfe_u32 v14, v14, s11, 2
	v_cmp_eq_u32_e64 s[6:7], v35, v55
	v_cmp_eq_u32_e64 s[14:15], 0, v14
	;; [unrolled: 1-line block ×3, first 2 shown]
	s_and_b64 s[14:15], s[6:7], s[14:15]
	v_cmp_eq_u32_e64 s[18:19], 2, v14
	v_cmp_eq_u32_e64 s[20:21], 3, v14
	v_cndmask_b32_e64 v14, 0, 1, s[14:15]
	s_and_b64 s[14:15], s[6:7], s[16:17]
	v_cndmask_b32_e64 v35, 0, 1, s[14:15]
	s_and_b64 s[14:15], s[6:7], s[18:19]
	s_and_b64 s[6:7], s[6:7], s[20:21]
	v_cndmask_b32_e64 v36, 0, 1, s[14:15]
	v_cndmask_b32_e64 v37, 0, 1, s[6:7]
	v_cmp_ne_u32_e64 s[6:7], 0, v14
	v_cmp_ne_u32_e64 s[14:15], 0, v35
	v_cmp_ne_u32_e64 s[16:17], 0, v36
	v_cmp_ne_u32_e64 s[18:19], 0, v37
	v_cmp_le_u64_e32 vcc, s[86:87], v[30:31]
	s_bcnt1_i32_b64 s6, s[6:7]
	s_bcnt1_i32_b64 s7, s[14:15]
	;; [unrolled: 1-line block ×4, first 2 shown]
	s_or_b64 s[2:3], vcc, s[2:3]
	v_add_co_u32_e32 v2, vcc, s6, v2
	v_addc_co_u32_e32 v3, vcc, 0, v3, vcc
	v_add_co_u32_e32 v4, vcc, s7, v4
	v_addc_co_u32_e32 v5, vcc, 0, v5, vcc
	;; [unrolled: 2-line block ×3, first 2 shown]
	v_add_co_u32_e32 v8, vcc, s15, v8
	v_add_u32_e32 v33, v33, v34
	v_addc_co_u32_e32 v9, vcc, 0, v9, vcc
	s_andn2_b64 exec, exec, s[2:3]
	s_cbranch_execnz .LBB225_82
; %bb.83:                               ;   in Loop: Header=BB225_31 Depth=1
	s_or_b64 exec, exec, s[2:3]
.LBB225_84:                             ;   in Loop: Header=BB225_31 Depth=1
	s_or_b64 exec, exec, s[0:1]
.LBB225_85:                             ;   in Loop: Header=BB225_31 Depth=1
	v_readlane_b32 s0, v61, 51
	s_lshl_b32 s2, s0, 6
	s_and_saveexec_b64 s[0:1], s[90:91]
	s_cbranch_execz .LBB225_87
; %bb.86:                               ;   in Loop: Header=BB225_31 Depth=1
	s_waitcnt vmcnt(0)
	v_or_b32_e32 v14, s2, v44
	v_lshlrev_b32_e32 v14, 3, v14
	ds_write_b128 v14, v[2:5] offset:3072
	ds_write_b128 v14, v[6:9] offset:3088
.LBB225_87:                             ;   in Loop: Header=BB225_31 Depth=1
	s_or_b64 exec, exec, s[0:1]
	s_waitcnt lgkmcnt(0)
	s_barrier
	s_mov_b64 s[0:1], exec
	v_readlane_b32 s6, v61, 18
	v_readlane_b32 s7, v61, 19
	s_and_b64 s[6:7], s[0:1], s[6:7]
	s_mov_b64 exec, s[6:7]
	s_cbranch_execz .LBB225_99
; %bb.88:                               ;   in Loop: Header=BB225_31 Depth=1
	v_readlane_b32 s6, v61, 26
	v_readlane_b32 s7, v61, 27
	s_andn2_b64 vcc, exec, s[6:7]
	v_pk_mov_b32 v[2:3], 0, 0
	s_cbranch_vccnz .LBB225_98
; %bb.89:                               ;   in Loop: Header=BB225_31 Depth=1
	v_readlane_b32 s6, v61, 35
	v_readlane_b32 s7, v61, 36
	s_andn2_b64 vcc, exec, s[6:7]
	s_cbranch_vccnz .LBB225_94
; %bb.90:                               ;   in Loop: Header=BB225_31 Depth=1
	v_readlane_b32 s3, v61, 51
	v_lshl_add_u32 v4, s3, 9, v48
	s_mov_b32 s3, 0
	v_pk_mov_b32 v[2:3], 0, 0
.LBB225_91:                             ;   Parent Loop BB225_31 Depth=1
                                        ; =>  This Inner Loop Header: Depth=2
	s_waitcnt vmcnt(0)
	ds_read2_b64 v[6:9], v4 offset1:4
	ds_read2_b64 v[30:33], v4 offset0:8 offset1:12
	ds_read2_b64 v[34:37], v4 offset0:16 offset1:20
	;; [unrolled: 1-line block ×3, first 2 shown]
	s_add_i32 s3, s3, 8
	s_waitcnt lgkmcnt(3)
	v_add_co_u32_e32 v2, vcc, v6, v2
	v_addc_co_u32_e32 v3, vcc, v7, v3, vcc
	v_add_co_u32_e32 v2, vcc, v8, v2
	v_addc_co_u32_e32 v3, vcc, v9, v3, vcc
	s_waitcnt lgkmcnt(2)
	v_add_co_u32_e32 v2, vcc, v30, v2
	v_addc_co_u32_e32 v3, vcc, v31, v3, vcc
	v_add_co_u32_e32 v2, vcc, v32, v2
	v_addc_co_u32_e32 v3, vcc, v33, v3, vcc
	;; [unrolled: 5-line block ×3, first 2 shown]
	s_waitcnt lgkmcnt(0)
	v_add_co_u32_e32 v2, vcc, v38, v2
	v_addc_co_u32_e32 v3, vcc, v39, v3, vcc
	v_add_co_u32_e32 v2, vcc, v40, v2
	v_add_u32_e32 v4, 0x100, v4
	s_cmp_eq_u32 s13, s3
	v_addc_co_u32_e32 v3, vcc, v41, v3, vcc
	s_cbranch_scc0 .LBB225_91
; %bb.92:                               ;   in Loop: Header=BB225_31 Depth=1
	s_mov_b32 s3, s13
	s_branch .LBB225_95
.LBB225_93:                             ;   in Loop: Header=BB225_31 Depth=1
                                        ; implicit-def: $vgpr2_vgpr3
	s_branch .LBB225_61
.LBB225_94:                             ;   in Loop: Header=BB225_31 Depth=1
	s_mov_b32 s3, 0
	v_pk_mov_b32 v[2:3], 0, 0
.LBB225_95:                             ;   in Loop: Header=BB225_31 Depth=1
	v_readlane_b32 s6, v61, 38
	v_readlane_b32 s7, v61, 39
	s_andn2_b64 vcc, exec, s[6:7]
	s_cbranch_vccnz .LBB225_98
; %bb.96:                               ;   in Loop: Header=BB225_31 Depth=1
	v_readlane_b32 s6, v61, 51
	s_lshl_b32 s6, s6, 9
	s_lshl_b32 s3, s3, 5
	s_add_i32 s6, s6, s3
	v_add_u32_e32 v4, s6, v48
	v_readlane_b32 s3, v61, 37
.LBB225_97:                             ;   Parent Loop BB225_31 Depth=1
                                        ; =>  This Inner Loop Header: Depth=2
	s_waitcnt vmcnt(0)
	ds_read_b64 v[6:7], v4
	s_add_i32 s3, s3, -1
	v_add_u32_e32 v4, 32, v4
	s_cmp_lg_u32 s3, 0
	s_waitcnt lgkmcnt(0)
	v_add_co_u32_e32 v2, vcc, v6, v2
	v_addc_co_u32_e32 v3, vcc, v7, v3, vcc
	s_cbranch_scc1 .LBB225_97
.LBB225_98:                             ;   in Loop: Header=BB225_31 Depth=1
	v_add_lshl_u32 v4, s2, v43, 3
	ds_write_b64 v4, v[2:3] offset:3072
.LBB225_99:                             ;   in Loop: Header=BB225_31 Depth=1
	s_or_b64 exec, exec, s[0:1]
	s_lshl_b32 s0, s2, 3
	s_waitcnt vmcnt(0)
	v_mov_b32_e32 v6, s0
	s_waitcnt lgkmcnt(0)
	s_barrier
	ds_read_b128 v[2:5], v6 offset:3072
	ds_read_b128 v[6:9], v6 offset:3088
	v_readlane_b32 s0, v61, 50
	s_and_b32 s95, s0, 0xfe
	v_readlane_b32 s0, v61, 16
	s_lshl_b32 s86, 3, s95
	v_readlane_b32 s1, v61, 17
	s_waitcnt lgkmcnt(1)
	v_readfirstlane_b32 s17, v3
	v_readfirstlane_b32 s16, v2
	;; [unrolled: 1-line block ×4, first 2 shown]
	s_waitcnt lgkmcnt(0)
	v_readfirstlane_b32 s23, v7
	v_readfirstlane_b32 s22, v6
	;; [unrolled: 1-line block ×4, first 2 shown]
	s_not_b32 s94, s86
	s_andn2_b64 vcc, exec, s[0:1]
	v_cmp_eq_u64_e64 s[14:15], 1, v[28:29]
	s_cbranch_vccnz .LBB225_115
; %bb.100:                              ;   in Loop: Header=BB225_31 Depth=1
	s_cmp_eq_u64 s[16:17], 1
	s_cselect_b64 s[0:1], -1, 0
	s_and_b64 s[2:3], s[0:1], s[14:15]
	s_mov_b64 s[0:1], -1
	v_mov_b32_e32 v30, v55
	v_mov_b32_e32 v31, v54
	v_mov_b32_e32 v6, v56
                                        ; implicit-def: $sgpr20_sgpr21
                                        ; implicit-def: $sgpr36_sgpr37
                                        ; implicit-def: $sgpr34_sgpr35
	s_and_saveexec_b64 s[26:27], s[2:3]
	s_cbranch_execz .LBB225_137
; %bb.101:                              ;   in Loop: Header=BB225_31 Depth=1
	ds_read_b64 v[2:3], v15 offset:5120
	s_waitcnt lgkmcnt(0)
	s_barrier
	v_readfirstlane_b32 s0, v2
	v_readfirstlane_b32 s1, v3
	s_mov_b64 s[6:7], exec
	v_readlane_b32 s20, v61, 24
	v_readlane_b32 s21, v61, 25
	s_and_b64 s[20:21], s[6:7], s[20:21]
	s_mov_b64 exec, s[20:21]
	s_cbranch_execz .LBB225_103
; %bb.102:                              ;   in Loop: Header=BB225_31 Depth=1
	ds_write_b16 v46, v15
.LBB225_103:                            ;   in Loop: Header=BB225_31 Depth=1
	s_or_b64 exec, exec, s[6:7]
	v_and_b32_e32 v30, s94, v55
	v_or_b32_e32 v31, s86, v54
	s_cmp_eq_u64 s[0:1], 0
	s_waitcnt lgkmcnt(0)
	s_barrier
	s_cbranch_scc1 .LBB225_120
; %bb.104:                              ;   in Loop: Header=BB225_31 Depth=1
	v_readlane_b32 s6, v61, 28
	s_add_u32 s11, s6, s0
	v_readlane_b32 s6, v61, 30
	s_addc_u32 s7, s6, s1
	s_mov_b32 s6, s87
	s_cmp_lg_u64 s[6:7], 0
	s_cbranch_scc0 .LBB225_164
; %bb.105:                              ;   in Loop: Header=BB225_31 Depth=1
	v_cvt_f32_u32_e32 v2, s33
	s_sub_u32 s6, 0, s33
	s_subb_u32 s20, 0, 0
	v_mac_f32_e32 v2, 0, v51
	v_rcp_f32_e32 v2, v2
	v_mul_f32_e32 v2, 0x5f7ffffc, v2
	v_mul_f32_e32 v3, 0x2f800000, v2
	v_trunc_f32_e32 v3, v3
	v_mac_f32_e32 v2, 0xcf800000, v3
	v_cvt_u32_f32_e32 v3, v3
	v_cvt_u32_f32_e32 v2, v2
	v_readfirstlane_b32 s21, v3
	v_readfirstlane_b32 s28, v2
	s_mul_i32 s29, s6, s21
	s_mul_hi_u32 s35, s6, s28
	s_mul_i32 s34, s20, s28
	s_add_i32 s29, s35, s29
	s_mul_i32 s36, s6, s28
	s_add_i32 s29, s29, s34
	s_mul_hi_u32 s35, s28, s36
	s_mul_hi_u32 s34, s28, s29
	s_mul_i32 s28, s28, s29
	s_add_u32 s28, s35, s28
	s_addc_u32 s34, 0, s34
	s_mul_hi_u32 s37, s21, s36
	s_mul_i32 s36, s21, s36
	s_add_u32 s28, s28, s36
	s_mul_hi_u32 s35, s21, s29
	s_addc_u32 s28, s34, s37
	s_addc_u32 s34, s35, 0
	s_mul_i32 s29, s21, s29
	s_add_u32 s28, s28, s29
	s_addc_u32 s29, 0, s34
	v_add_co_u32_e32 v2, vcc, s28, v2
	s_cmp_lg_u64 vcc, 0
	s_addc_u32 s21, s21, s29
	v_readfirstlane_b32 s29, v2
	s_mul_i32 s28, s6, s21
	s_mul_hi_u32 s34, s6, s29
	s_add_i32 s28, s34, s28
	s_mul_i32 s20, s20, s29
	s_add_i32 s28, s28, s20
	s_mul_i32 s6, s6, s29
	s_mul_hi_u32 s34, s21, s6
	s_mul_i32 s35, s21, s6
	s_mul_i32 s37, s29, s28
	s_mul_hi_u32 s6, s29, s6
	s_mul_hi_u32 s36, s29, s28
	s_add_u32 s6, s6, s37
	s_addc_u32 s29, 0, s36
	s_add_u32 s6, s6, s35
	s_mul_hi_u32 s20, s21, s28
	s_addc_u32 s6, s29, s34
	s_addc_u32 s20, s20, 0
	s_mul_i32 s28, s21, s28
	s_add_u32 s6, s6, s28
	s_addc_u32 s20, 0, s20
	v_add_co_u32_e32 v2, vcc, s6, v2
	s_cmp_lg_u64 vcc, 0
	s_addc_u32 s6, s21, s20
	v_readfirstlane_b32 s28, v2
	s_mul_i32 s21, s11, s6
	s_mul_hi_u32 s29, s11, s28
	s_mul_hi_u32 s20, s11, s6
	s_add_u32 s21, s29, s21
	s_addc_u32 s20, 0, s20
	s_mul_hi_u32 s34, s7, s28
	s_mul_i32 s28, s7, s28
	s_add_u32 s21, s21, s28
	s_mul_hi_u32 s29, s7, s6
	s_addc_u32 s20, s20, s34
	s_addc_u32 s21, s29, 0
	s_mul_i32 s6, s7, s6
	s_add_u32 s6, s20, s6
	s_addc_u32 s20, 0, s21
	s_mul_hi_u32 s21, s33, s6
	s_mul_i32 s6, s33, s6
	s_mul_i32 s20, s33, s20
	v_mov_b32_e32 v2, s6
	s_add_i32 s21, s21, s20
	v_sub_co_u32_e32 v2, vcc, s11, v2
	s_cmp_lg_u64 vcc, 0
	s_subb_u32 s6, s7, s21
	v_subrev_co_u32_e32 v3, vcc, s33, v2
	s_cmp_lg_u64 vcc, 0
	s_subb_u32 s20, s6, 0
	v_subrev_co_u32_e32 v4, vcc, s33, v3
	s_cmp_lg_u64 vcc, 0
	s_subb_u32 s21, s20, 0
	v_cmp_le_u32_e32 vcc, s33, v3
	s_cmp_eq_u32 s20, 0
	v_cndmask_b32_e64 v5, 0, -1, vcc
	s_cselect_b64 vcc, -1, 0
	v_cndmask_b32_e32 v5, -1, v5, vcc
	v_mov_b32_e32 v6, s20
	v_mov_b32_e32 v7, s21
	v_cmp_ne_u32_e32 vcc, 0, v5
	v_cndmask_b32_e32 v5, v6, v7, vcc
	v_cndmask_b32_e32 v4, v3, v4, vcc
	v_cmp_le_u32_e32 vcc, s33, v2
	s_cmp_eq_u32 s6, 0
	v_cndmask_b32_e64 v3, 0, -1, vcc
	s_cselect_b64 vcc, -1, 0
	v_cndmask_b32_e32 v3, -1, v3, vcc
	v_mov_b32_e32 v6, s6
	v_cmp_ne_u32_e32 vcc, 0, v3
	v_cndmask_b32_e32 v3, v6, v5, vcc
	v_cndmask_b32_e32 v2, v2, v4, vcc
	s_cbranch_execnz .LBB225_107
.LBB225_106:                            ;   in Loop: Header=BB225_31 Depth=1
	v_cvt_f32_u32_e32 v2, s33
	s_sub_i32 s6, 0, s33
	v_rcp_iflag_f32_e32 v2, v2
	v_mul_f32_e32 v2, 0x4f7ffffe, v2
	v_cvt_u32_f32_e32 v2, v2
	v_mul_lo_u32 v3, s6, v2
	v_mul_hi_u32 v3, v2, v3
	v_add_u32_e32 v2, v2, v3
	v_mul_hi_u32 v2, s11, v2
	v_mul_lo_u32 v2, v2, s33
	v_sub_u32_e32 v2, s11, v2
	v_subrev_u32_e32 v3, s33, v2
	v_cmp_le_u32_e32 vcc, s33, v2
	v_cndmask_b32_e32 v2, v2, v3, vcc
	v_subrev_u32_e32 v3, s33, v2
	v_cmp_le_u32_e32 vcc, s33, v2
	v_cndmask_b32_e32 v14, v2, v3, vcc
	v_pk_mov_b32 v[2:3], v[14:15], v[14:15] op_sel:[0,1]
.LBB225_107:                            ;   in Loop: Header=BB225_31 Depth=1
	v_mov_b32_e32 v4, s7
	v_sub_co_u32_e32 v2, vcc, s11, v2
	v_subb_co_u32_e32 v3, vcc, v4, v3, vcc
	v_cmp_gt_u64_e32 vcc, v[2:3], v[0:1]
	s_mov_b64 s[6:7], 0
                                        ; implicit-def: $vgpr6
	s_and_saveexec_b64 s[20:21], vcc
	s_cbranch_execz .LBB225_122
; %bb.108:                              ;   in Loop: Header=BB225_31 Depth=1
	s_mov_b64 s[28:29], 0
	v_mov_b32_e32 v6, v45
	v_pk_mov_b32 v[4:5], v[0:1], v[0:1] op_sel:[0,1]
                                        ; implicit-def: $sgpr34_sgpr35
	s_branch .LBB225_110
.LBB225_109:                            ;   in Loop: Header=BB225_110 Depth=2
	s_or_b64 exec, exec, s[6:7]
	s_waitcnt lgkmcnt(0)
	s_barrier
	ds_read_b32 v7, v15 offset:3072
	v_add_co_u32_e64 v4, s[6:7], s33, v4
	v_add_u32_e32 v6, s10, v6
	s_waitcnt lgkmcnt(0)
	v_and_b32_e32 v8, 0x7fff, v7
	v_cmp_ne_u16_e32 vcc, 0, v8
	v_mov_b32_e32 v8, s92
	v_addc_co_u32_e64 v5, s[6:7], v5, v8, s[6:7]
	v_cmp_ge_u64_e64 s[6:7], v[4:5], v[2:3]
	s_or_b64 s[6:7], s[6:7], vcc
	s_and_b64 s[6:7], exec, s[6:7]
	s_or_b64 s[28:29], s[6:7], s[28:29]
	s_andn2_b64 s[6:7], s[34:35], exec
	s_and_b64 s[34:35], vcc, exec
	s_or_b64 s[34:35], s[6:7], s[34:35]
	s_barrier
	s_andn2_b64 exec, exec, s[28:29]
	s_cbranch_execz .LBB225_121
.LBB225_110:                            ;   Parent Loop BB225_31 Depth=1
                                        ; =>  This Inner Loop Header: Depth=2
	v_cmp_gt_u64_e32 vcc, s[0:1], v[4:5]
	v_mov_b32_e32 v7, 0
	s_and_saveexec_b64 s[6:7], vcc
	s_cbranch_execz .LBB225_112
; %bb.111:                              ;   in Loop: Header=BB225_110 Depth=2
	ds_read_u16 v7, v6
.LBB225_112:                            ;   in Loop: Header=BB225_110 Depth=2
	s_or_b64 exec, exec, s[6:7]
	s_and_saveexec_b64 s[6:7], vcc
	s_cbranch_execz .LBB225_109
; %bb.113:                              ;   in Loop: Header=BB225_110 Depth=2
	s_waitcnt lgkmcnt(0)
	v_cmp_lt_i16_e32 vcc, -1, v7
	v_cndmask_b32_e32 v8, v49, v50, vcc
	v_lshlrev_b32_e32 v9, 16, v7
	v_xor_b32_sdwa v8, v8, v7 dst_sel:DWORD dst_unused:UNUSED_PAD src0_sel:DWORD src1_sel:WORD_0
	v_cmp_o_f32_e32 vcc, v9, v9
	v_cndmask_b32_e32 v8, v49, v8, vcc
	v_and_b32_e32 v8, v8, v31
	v_cmp_eq_u32_e32 vcc, v8, v30
	s_and_b64 exec, exec, vcc
	s_cbranch_execz .LBB225_109
; %bb.114:                              ;   in Loop: Header=BB225_110 Depth=2
	s_movk_i32 s11, 0x3f80
	v_perm_b32 v7, v7, s11, v53
	ds_write_b32 v15, v7 offset:3072
	s_branch .LBB225_109
.LBB225_115:                            ;   in Loop: Header=BB225_31 Depth=1
	s_mov_b64 s[28:29], 0
	s_mov_b64 s[26:27], 0
                                        ; implicit-def: $sgpr34_sgpr35
                                        ; implicit-def: $sgpr36_sgpr37
                                        ; implicit-def: $sgpr20_sgpr21
                                        ; implicit-def: $vgpr7
                                        ; implicit-def: $vgpr2_vgpr3
                                        ; implicit-def: $vgpr30
                                        ; implicit-def: $vgpr31
                                        ; implicit-def: $vgpr6
	s_cbranch_execnz .LBB225_301
.LBB225_116:                            ;   in Loop: Header=BB225_31 Depth=1
	s_mov_b64 s[14:15], s[20:21]
	s_mov_b64 s[38:39], s[20:21]
	s_and_saveexec_b64 s[0:1], s[28:29]
	s_cbranch_execnz .LBB225_497
	s_branch .LBB225_498
.LBB225_117:                            ;   in Loop: Header=BB225_31 Depth=1
	s_or_b64 exec, exec, s[0:1]
	s_waitcnt lgkmcnt(0)
	s_barrier
	s_mov_b64 s[0:1], exec
	v_readlane_b32 s6, v61, 10
	v_readlane_b32 s7, v61, 11
	s_and_b64 s[6:7], s[0:1], s[6:7]
	s_mov_b64 exec, s[6:7]
	s_cbranch_execz .LBB225_119
; %bb.118:                              ;   in Loop: Header=BB225_31 Depth=1
	ds_read_b32 v2, v15 offset:5144
	s_waitcnt lgkmcnt(0)
	v_ashrrev_i32_e32 v3, 31, v2
	ds_write_b64 v15, v[2:3] offset:5120
.LBB225_119:                            ;   in Loop: Header=BB225_31 Depth=1
	s_or_b64 exec, exec, s[0:1]
	s_waitcnt lgkmcnt(0)
	s_barrier
	s_mov_b64 s[0:1], -1
	s_and_b64 vcc, exec, s[2:3]
	s_cbranch_vccnz .LBB225_46
	s_branch .LBB225_56
.LBB225_120:                            ;   in Loop: Header=BB225_31 Depth=1
	s_mov_b64 s[20:21], -1
	s_mov_b64 s[6:7], 0
                                        ; implicit-def: $sgpr34_sgpr35
                                        ; implicit-def: $vgpr6
	s_mov_b64 s[36:37], s[20:21]
	s_cbranch_execnz .LBB225_123
	s_branch .LBB225_136
.LBB225_121:                            ;   in Loop: Header=BB225_31 Depth=1
	s_or_b64 exec, exec, s[28:29]
	v_lshrrev_b32_e32 v6, 16, v7
	s_and_b64 s[6:7], s[34:35], exec
.LBB225_122:                            ;   in Loop: Header=BB225_31 Depth=1
	s_or_b64 exec, exec, s[20:21]
	s_mov_b64 s[34:35], -1
	s_mov_b64 s[20:21], 0
	s_mov_b64 s[36:37], s[20:21]
	s_branch .LBB225_136
.LBB225_123:                            ;   in Loop: Header=BB225_31 Depth=1
	v_readlane_b32 s34, v61, 31
	v_readlane_b32 s35, v61, 32
	s_mov_b32 s34, s87
	s_cmp_lg_u64 s[34:35], 0
	v_writelane_b32 v61, s34, 31
	v_writelane_b32 v61, s35, 32
	s_cbranch_scc0 .LBB225_165
; %bb.124:                              ;   in Loop: Header=BB225_31 Depth=1
	v_cvt_f32_u32_e32 v2, s33
	s_sub_u32 s0, 0, s33
	s_subb_u32 s1, 0, 0
	v_mac_f32_e32 v2, 0, v51
	v_rcp_f32_e32 v2, v2
	v_mul_f32_e32 v2, 0x5f7ffffc, v2
	v_mul_f32_e32 v3, 0x2f800000, v2
	v_trunc_f32_e32 v3, v3
	v_mac_f32_e32 v2, 0xcf800000, v3
	v_cvt_u32_f32_e32 v3, v3
	v_cvt_u32_f32_e32 v2, v2
	v_readfirstlane_b32 s6, v3
	v_readfirstlane_b32 s7, v2
	s_mul_i32 s11, s0, s6
	s_mul_hi_u32 s21, s0, s7
	s_mul_i32 s20, s1, s7
	s_add_i32 s11, s21, s11
	s_mul_i32 s28, s0, s7
	s_add_i32 s11, s11, s20
	s_mul_hi_u32 s21, s7, s28
	s_mul_hi_u32 s20, s7, s11
	s_mul_i32 s7, s7, s11
	s_add_u32 s7, s21, s7
	s_addc_u32 s20, 0, s20
	s_mul_hi_u32 s29, s6, s28
	s_mul_i32 s28, s6, s28
	s_add_u32 s7, s7, s28
	s_mul_hi_u32 s21, s6, s11
	s_addc_u32 s7, s20, s29
	s_addc_u32 s20, s21, 0
	s_mul_i32 s11, s6, s11
	s_add_u32 s7, s7, s11
	s_addc_u32 s11, 0, s20
	v_add_co_u32_e32 v2, vcc, s7, v2
	s_cmp_lg_u64 vcc, 0
	s_addc_u32 s6, s6, s11
	v_readfirstlane_b32 s11, v2
	s_mul_i32 s7, s0, s6
	s_mul_hi_u32 s20, s0, s11
	s_add_i32 s7, s20, s7
	s_mul_i32 s1, s1, s11
	s_add_i32 s7, s7, s1
	s_mul_i32 s0, s0, s11
	s_mul_hi_u32 s20, s6, s0
	s_mul_i32 s21, s6, s0
	s_mul_i32 s29, s11, s7
	s_mul_hi_u32 s0, s11, s0
	s_mul_hi_u32 s28, s11, s7
	s_add_u32 s0, s0, s29
	s_addc_u32 s11, 0, s28
	s_add_u32 s0, s0, s21
	s_mul_hi_u32 s1, s6, s7
	s_addc_u32 s0, s11, s20
	s_addc_u32 s1, s1, 0
	s_mul_i32 s7, s6, s7
	s_add_u32 s0, s0, s7
	s_addc_u32 s1, 0, s1
	v_add_co_u32_e32 v2, vcc, s0, v2
	s_cmp_lg_u64 vcc, 0
	s_addc_u32 s0, s6, s1
	v_readlane_b32 s21, v61, 29
	v_readfirstlane_b32 s7, v2
	s_mul_i32 s6, s21, s0
	s_mul_hi_u32 s11, s21, s7
	s_mul_hi_u32 s1, s21, s0
	s_add_u32 s6, s11, s6
	s_addc_u32 s1, 0, s1
	s_mul_hi_u32 s20, s35, s7
	s_mul_i32 s7, s35, s7
	s_add_u32 s6, s6, s7
	s_mul_hi_u32 s11, s35, s0
	s_addc_u32 s1, s1, s20
	s_addc_u32 s6, s11, 0
	s_mul_i32 s0, s35, s0
	s_add_u32 s0, s1, s0
	s_addc_u32 s1, 0, s6
	s_mul_hi_u32 s6, s33, s0
	s_mul_i32 s0, s33, s0
	s_mul_i32 s1, s33, s1
	v_mov_b32_e32 v2, s0
	s_add_i32 s6, s6, s1
	v_sub_co_u32_e32 v2, vcc, s21, v2
	s_cmp_lg_u64 vcc, 0
	s_subb_u32 s0, s35, s6
	v_subrev_co_u32_e32 v3, vcc, s33, v2
	s_cmp_lg_u64 vcc, 0
	s_subb_u32 s1, s0, 0
	v_subrev_co_u32_e32 v4, vcc, s33, v3
	s_cmp_lg_u64 vcc, 0
	s_subb_u32 s6, s1, 0
	v_cmp_le_u32_e32 vcc, s33, v3
	s_cmp_eq_u32 s1, 0
	v_cndmask_b32_e64 v5, 0, -1, vcc
	s_cselect_b64 vcc, -1, 0
	v_cndmask_b32_e32 v5, -1, v5, vcc
	v_mov_b32_e32 v6, s1
	v_mov_b32_e32 v7, s6
	v_cmp_ne_u32_e32 vcc, 0, v5
	v_cndmask_b32_e32 v5, v6, v7, vcc
	v_cndmask_b32_e32 v4, v3, v4, vcc
	v_cmp_le_u32_e32 vcc, s33, v2
	s_cmp_eq_u32 s0, 0
	v_cndmask_b32_e64 v3, 0, -1, vcc
	s_cselect_b64 vcc, -1, 0
	v_cndmask_b32_e32 v3, -1, v3, vcc
	v_mov_b32_e32 v6, s0
	v_cmp_ne_u32_e32 vcc, 0, v3
	v_cndmask_b32_e32 v3, v6, v5, vcc
	v_cndmask_b32_e32 v2, v2, v4, vcc
	s_cbranch_execnz .LBB225_126
.LBB225_125:                            ;   in Loop: Header=BB225_31 Depth=1
	v_cvt_f32_u32_e32 v2, s33
	s_sub_i32 s0, 0, s33
	v_rcp_iflag_f32_e32 v2, v2
	v_mul_f32_e32 v2, 0x4f7ffffe, v2
	v_cvt_u32_f32_e32 v2, v2
	v_mul_lo_u32 v3, s0, v2
	v_mul_hi_u32 v3, v2, v3
	v_add_u32_e32 v2, v2, v3
	v_readlane_b32 s0, v61, 29
	v_mul_hi_u32 v2, s0, v2
	v_mul_lo_u32 v2, v2, s33
	v_sub_u32_e32 v2, s0, v2
	v_subrev_u32_e32 v3, s33, v2
	v_cmp_le_u32_e32 vcc, s33, v2
	v_cndmask_b32_e32 v2, v2, v3, vcc
	v_subrev_u32_e32 v3, s33, v2
	v_cmp_le_u32_e32 vcc, s33, v2
	v_cndmask_b32_e32 v14, v2, v3, vcc
	v_pk_mov_b32 v[2:3], v[14:15], v[14:15] op_sel:[0,1]
.LBB225_126:                            ;   in Loop: Header=BB225_31 Depth=1
	v_readlane_b32 s0, v61, 31
	v_readlane_b32 s1, v61, 32
	;; [unrolled: 1-line block ×3, first 2 shown]
	v_mov_b32_e32 v4, s1
	v_sub_co_u32_e32 v2, vcc, s0, v2
	v_subb_co_u32_e32 v3, vcc, v4, v3, vcc
	v_cmp_gt_u64_e32 vcc, v[2:3], v[0:1]
	s_mov_b64 s[6:7], 0
                                        ; implicit-def: $vgpr6
	s_and_saveexec_b64 s[0:1], vcc
	s_cbranch_execz .LBB225_135
; %bb.127:                              ;   in Loop: Header=BB225_31 Depth=1
	s_mov_b64 s[20:21], 0
	v_pk_mov_b32 v[4:5], v[26:27], v[26:27] op_sel:[0,1]
	v_pk_mov_b32 v[6:7], v[0:1], v[0:1] op_sel:[0,1]
                                        ; implicit-def: $sgpr28_sgpr29
	s_branch .LBB225_129
.LBB225_128:                            ;   in Loop: Header=BB225_129 Depth=2
	s_or_b64 exec, exec, s[6:7]
	s_waitcnt lgkmcnt(0)
	s_barrier
	s_waitcnt vmcnt(0)
	ds_read_b32 v8, v15 offset:3072
	v_add_co_u32_e64 v6, s[6:7], s33, v6
	s_waitcnt lgkmcnt(0)
	s_barrier
	v_and_b32_e32 v9, 0x7fff, v8
	v_cmp_ne_u16_e32 vcc, 0, v9
	v_mov_b32_e32 v9, s92
	v_addc_co_u32_e64 v7, s[6:7], v7, v9, s[6:7]
	v_cmp_ge_u64_e64 s[6:7], v[6:7], v[2:3]
	s_or_b64 s[34:35], s[6:7], vcc
	v_mov_b32_e32 v9, s65
	v_add_co_u32_e64 v4, s[6:7], s64, v4
	v_addc_co_u32_e64 v5, s[6:7], v5, v9, s[6:7]
	s_and_b64 s[6:7], exec, s[34:35]
	s_or_b64 s[20:21], s[6:7], s[20:21]
	s_andn2_b64 s[6:7], s[28:29], exec
	s_and_b64 s[28:29], vcc, exec
	s_or_b64 s[28:29], s[6:7], s[28:29]
	s_andn2_b64 exec, exec, s[20:21]
	s_cbranch_execz .LBB225_134
.LBB225_129:                            ;   Parent Loop BB225_31 Depth=1
                                        ; =>  This Inner Loop Header: Depth=2
	v_cmp_gt_u64_e32 vcc, s[60:61], v[6:7]
	v_mov_b32_e32 v8, 0
	s_and_saveexec_b64 s[6:7], vcc
	s_cbranch_execz .LBB225_131
; %bb.130:                              ;   in Loop: Header=BB225_129 Depth=2
	global_load_ushort v8, v[4:5], off
.LBB225_131:                            ;   in Loop: Header=BB225_129 Depth=2
	s_or_b64 exec, exec, s[6:7]
	s_and_saveexec_b64 s[6:7], vcc
	s_cbranch_execz .LBB225_128
; %bb.132:                              ;   in Loop: Header=BB225_129 Depth=2
	s_waitcnt vmcnt(0)
	v_cmp_lt_i16_e32 vcc, -1, v8
	v_cndmask_b32_e32 v9, v49, v50, vcc
	v_lshlrev_b32_e32 v14, 16, v8
	v_xor_b32_sdwa v9, v9, v8 dst_sel:DWORD dst_unused:UNUSED_PAD src0_sel:DWORD src1_sel:WORD_0
	v_cmp_o_f32_e32 vcc, v14, v14
	v_cndmask_b32_e32 v9, v49, v9, vcc
	v_and_b32_e32 v9, v9, v31
	v_cmp_eq_u32_e32 vcc, v9, v30
	s_and_b64 exec, exec, vcc
	s_cbranch_execz .LBB225_128
; %bb.133:                              ;   in Loop: Header=BB225_129 Depth=2
	s_movk_i32 s11, 0x3f80
	v_perm_b32 v8, v8, s11, v53
	ds_write_b32 v15, v8 offset:3072
	s_branch .LBB225_128
.LBB225_134:                            ;   in Loop: Header=BB225_31 Depth=1
	s_or_b64 exec, exec, s[20:21]
	v_lshrrev_b32_e32 v6, 16, v8
	s_and_b64 s[6:7], s[28:29], exec
.LBB225_135:                            ;   in Loop: Header=BB225_31 Depth=1
	s_or_b64 exec, exec, s[0:1]
	s_mov_b64 s[36:37], -1
	s_mov_b64 s[20:21], 0
	s_mov_b64 s[34:35], 0
.LBB225_136:                            ;   in Loop: Header=BB225_31 Depth=1
	s_orn2_b64 s[0:1], s[6:7], exec
.LBB225_137:                            ;   in Loop: Header=BB225_31 Depth=1
	s_or_b64 exec, exec, s[26:27]
	s_mov_b64 s[38:39], 0
	s_mov_b64 s[28:29], 0
	;; [unrolled: 1-line block ×3, first 2 shown]
                                        ; implicit-def: $vgpr7
                                        ; implicit-def: $vgpr2_vgpr3
	s_and_saveexec_b64 s[40:41], s[0:1]
	s_cbranch_execz .LBB225_300
; %bb.138:                              ;   in Loop: Header=BB225_31 Depth=1
	v_mov_b32_e32 v2, 1
	s_xor_b64 s[2:3], s[2:3], -1
	s_mov_b64 s[6:7], 0
	v_mov_b32_e32 v3, 0
	v_mov_b32_e32 v7, 1
	s_and_saveexec_b64 s[0:1], s[2:3]
	s_cbranch_execz .LBB225_148
; %bb.139:                              ;   in Loop: Header=BB225_31 Depth=1
	v_cmp_ge_u64_e32 vcc, s[16:17], v[28:29]
                                        ; implicit-def: $sgpr11
                                        ; implicit-def: $sgpr2_sgpr3
	s_and_saveexec_b64 s[6:7], vcc
	s_xor_b64 s[6:7], exec, s[6:7]
	s_cbranch_execz .LBB225_145
; %bb.140:                              ;   in Loop: Header=BB225_31 Depth=1
	ds_read_b64 v[2:3], v15 offset:5120
	s_waitcnt lgkmcnt(0)
	v_cmp_ne_u64_e32 vcc, 0, v[2:3]
	s_cbranch_vccnz .LBB225_144
; %bb.141:                              ;   in Loop: Header=BB225_31 Depth=1
	s_mov_b64 s[2:3], exec
	v_readlane_b32 s26, v61, 10
	v_readlane_b32 s27, v61, 11
	s_and_b64 s[26:27], s[2:3], s[26:27]
	s_mov_b64 exec, s[26:27]
	s_cbranch_execz .LBB225_143
; %bb.142:                              ;   in Loop: Header=BB225_31 Depth=1
	v_pk_mov_b32 v[2:3], s[16:17], s[16:17] op_sel:[0,1]
	ds_write_b64 v15, v[2:3] offset:5128
.LBB225_143:                            ;   in Loop: Header=BB225_31 Depth=1
	s_or_b64 exec, exec, s[2:3]
	s_waitcnt lgkmcnt(0)
	s_barrier
.LBB225_144:                            ;   in Loop: Header=BB225_31 Depth=1
	v_and_b32_e32 v30, s94, v30
	v_or_b32_e32 v31, s86, v31
	s_mov_b64 s[2:3], 0
	s_mov_b32 s11, 8
.LBB225_145:                            ;   in Loop: Header=BB225_31 Depth=1
	s_or_saveexec_b64 s[6:7], s[6:7]
	v_mov_b32_e32 v7, s11
	v_pk_mov_b32 v[2:3], v[28:29], v[28:29] op_sel:[0,1]
	s_xor_b64 exec, exec, s[6:7]
; %bb.146:                              ;   in Loop: Header=BB225_31 Depth=1
	v_mov_b32_e32 v3, s17
	v_subrev_co_u32_e32 v2, vcc, s16, v28
	v_subb_co_u32_e32 v3, vcc, v29, v3, vcc
	v_mov_b32_e32 v7, 0
	s_or_b64 s[2:3], s[2:3], exec
; %bb.147:                              ;   in Loop: Header=BB225_31 Depth=1
	s_or_b64 exec, exec, s[6:7]
	s_and_b64 s[6:7], s[2:3], exec
.LBB225_148:                            ;   in Loop: Header=BB225_31 Depth=1
	s_or_b64 exec, exec, s[0:1]
	s_mov_b64 s[42:43], -1
                                        ; implicit-def: $sgpr0_sgpr1
                                        ; implicit-def: $sgpr2_sgpr3
                                        ; implicit-def: $sgpr28_sgpr29
	s_and_saveexec_b64 s[26:27], s[6:7]
	s_xor_b64 s[26:27], exec, s[26:27]
	s_cbranch_execz .LBB225_297
; %bb.149:                              ;   in Loop: Header=BB225_31 Depth=1
	s_cmp_eq_u64 s[18:19], 1
	s_cselect_b64 s[0:1], -1, 0
	v_cmp_eq_u64_e32 vcc, 1, v[2:3]
	s_and_b64 s[2:3], s[0:1], vcc
	s_mov_b64 s[0:1], -1
                                        ; implicit-def: $sgpr28_sgpr29
                                        ; implicit-def: $sgpr44_sgpr45
                                        ; implicit-def: $sgpr42_sgpr43
	s_and_saveexec_b64 s[46:47], s[2:3]
	s_cbranch_execz .LBB225_183
; %bb.150:                              ;   in Loop: Header=BB225_31 Depth=1
	ds_read_b64 v[4:5], v15 offset:5120
	s_waitcnt lgkmcnt(0)
	s_barrier
	v_readfirstlane_b32 s0, v4
	v_readfirstlane_b32 s1, v5
	s_mov_b64 s[6:7], exec
	v_readlane_b32 s28, v61, 24
	v_readlane_b32 s29, v61, 25
	s_and_b64 s[28:29], s[6:7], s[28:29]
	s_mov_b64 exec, s[28:29]
	s_cbranch_execz .LBB225_152
; %bb.151:                              ;   in Loop: Header=BB225_31 Depth=1
	ds_write_b16 v46, v15
.LBB225_152:                            ;   in Loop: Header=BB225_31 Depth=1
	s_or_b64 exec, exec, s[6:7]
	v_and_b32_e32 v4, s94, v30
	v_lshl_or_b32 v30, 1, s95, v4
	v_or_b32_e32 v31, s86, v31
	s_cmp_eq_u64 s[0:1], 0
	s_waitcnt lgkmcnt(0)
	s_barrier
	s_cbranch_scc1 .LBB225_166
; %bb.153:                              ;   in Loop: Header=BB225_31 Depth=1
	v_readlane_b32 s6, v61, 28
	s_add_u32 s11, s6, s0
	v_readlane_b32 s6, v61, 30
	s_addc_u32 s7, s6, s1
	s_mov_b32 s6, s87
	s_cmp_lg_u64 s[6:7], 0
	s_cbranch_scc0 .LBB225_210
; %bb.154:                              ;   in Loop: Header=BB225_31 Depth=1
	v_cvt_f32_u32_e32 v4, s33
	s_sub_u32 s6, 0, s33
	s_subb_u32 s28, 0, 0
	v_mac_f32_e32 v4, 0, v51
	v_rcp_f32_e32 v4, v4
	v_mul_f32_e32 v4, 0x5f7ffffc, v4
	v_mul_f32_e32 v5, 0x2f800000, v4
	v_trunc_f32_e32 v5, v5
	v_mac_f32_e32 v4, 0xcf800000, v5
	v_cvt_u32_f32_e32 v5, v5
	v_cvt_u32_f32_e32 v4, v4
	v_readfirstlane_b32 s29, v5
	v_readfirstlane_b32 s42, v4
	s_mul_i32 s43, s6, s29
	s_mul_hi_u32 s45, s6, s42
	s_mul_i32 s44, s28, s42
	s_add_i32 s43, s45, s43
	s_mul_i32 s48, s6, s42
	s_add_i32 s43, s43, s44
	s_mul_hi_u32 s45, s42, s48
	s_mul_hi_u32 s44, s42, s43
	s_mul_i32 s42, s42, s43
	s_add_u32 s42, s45, s42
	s_addc_u32 s44, 0, s44
	s_mul_hi_u32 s49, s29, s48
	s_mul_i32 s48, s29, s48
	s_add_u32 s42, s42, s48
	s_mul_hi_u32 s45, s29, s43
	s_addc_u32 s42, s44, s49
	s_addc_u32 s44, s45, 0
	s_mul_i32 s43, s29, s43
	s_add_u32 s42, s42, s43
	s_addc_u32 s43, 0, s44
	v_add_co_u32_e32 v4, vcc, s42, v4
	s_cmp_lg_u64 vcc, 0
	s_addc_u32 s29, s29, s43
	v_readfirstlane_b32 s43, v4
	s_mul_i32 s42, s6, s29
	s_mul_hi_u32 s44, s6, s43
	s_add_i32 s42, s44, s42
	s_mul_i32 s28, s28, s43
	s_add_i32 s42, s42, s28
	s_mul_i32 s6, s6, s43
	s_mul_hi_u32 s44, s29, s6
	s_mul_i32 s45, s29, s6
	s_mul_i32 s49, s43, s42
	s_mul_hi_u32 s6, s43, s6
	s_mul_hi_u32 s48, s43, s42
	s_add_u32 s6, s6, s49
	s_addc_u32 s43, 0, s48
	s_add_u32 s6, s6, s45
	s_mul_hi_u32 s28, s29, s42
	s_addc_u32 s6, s43, s44
	s_addc_u32 s28, s28, 0
	s_mul_i32 s42, s29, s42
	s_add_u32 s6, s6, s42
	s_addc_u32 s28, 0, s28
	v_add_co_u32_e32 v4, vcc, s6, v4
	s_cmp_lg_u64 vcc, 0
	s_addc_u32 s6, s29, s28
	v_readfirstlane_b32 s42, v4
	s_mul_i32 s29, s11, s6
	s_mul_hi_u32 s43, s11, s42
	s_mul_hi_u32 s28, s11, s6
	s_add_u32 s29, s43, s29
	s_addc_u32 s28, 0, s28
	s_mul_hi_u32 s44, s7, s42
	s_mul_i32 s42, s7, s42
	s_add_u32 s29, s29, s42
	s_mul_hi_u32 s43, s7, s6
	s_addc_u32 s28, s28, s44
	s_addc_u32 s29, s43, 0
	s_mul_i32 s6, s7, s6
	s_add_u32 s6, s28, s6
	s_addc_u32 s28, 0, s29
	s_mul_hi_u32 s29, s33, s6
	s_mul_i32 s6, s33, s6
	s_mul_i32 s28, s33, s28
	v_mov_b32_e32 v4, s6
	s_add_i32 s29, s29, s28
	v_sub_co_u32_e32 v4, vcc, s11, v4
	s_cmp_lg_u64 vcc, 0
	s_subb_u32 s6, s7, s29
	v_subrev_co_u32_e32 v5, vcc, s33, v4
	s_cmp_lg_u64 vcc, 0
	s_subb_u32 s28, s6, 0
	v_subrev_co_u32_e32 v6, vcc, s33, v5
	s_cmp_lg_u64 vcc, 0
	s_subb_u32 s29, s28, 0
	v_cmp_le_u32_e32 vcc, s33, v5
	s_cmp_eq_u32 s28, 0
	v_cndmask_b32_e64 v7, 0, -1, vcc
	s_cselect_b64 vcc, -1, 0
	v_cndmask_b32_e32 v7, -1, v7, vcc
	v_mov_b32_e32 v8, s28
	v_mov_b32_e32 v9, s29
	v_cmp_ne_u32_e32 vcc, 0, v7
	v_cndmask_b32_e32 v7, v8, v9, vcc
	v_cndmask_b32_e32 v6, v5, v6, vcc
	v_cmp_le_u32_e32 vcc, s33, v4
	s_cmp_eq_u32 s6, 0
	v_cndmask_b32_e64 v5, 0, -1, vcc
	s_cselect_b64 vcc, -1, 0
	v_cndmask_b32_e32 v5, -1, v5, vcc
	v_mov_b32_e32 v8, s6
	v_cmp_ne_u32_e32 vcc, 0, v5
	v_cndmask_b32_e32 v5, v8, v7, vcc
	v_cndmask_b32_e32 v4, v4, v6, vcc
	s_cbranch_execnz .LBB225_156
.LBB225_155:                            ;   in Loop: Header=BB225_31 Depth=1
	v_cvt_f32_u32_e32 v4, s33
	s_sub_i32 s6, 0, s33
	v_rcp_iflag_f32_e32 v4, v4
	v_mul_f32_e32 v4, 0x4f7ffffe, v4
	v_cvt_u32_f32_e32 v4, v4
	v_mul_lo_u32 v5, s6, v4
	v_mul_hi_u32 v5, v4, v5
	v_add_u32_e32 v4, v4, v5
	v_mul_hi_u32 v4, s11, v4
	v_mul_lo_u32 v4, v4, s33
	v_sub_u32_e32 v4, s11, v4
	v_subrev_u32_e32 v5, s33, v4
	v_cmp_le_u32_e32 vcc, s33, v4
	v_cndmask_b32_e32 v4, v4, v5, vcc
	v_subrev_u32_e32 v5, s33, v4
	v_cmp_le_u32_e32 vcc, s33, v4
	v_cndmask_b32_e32 v14, v4, v5, vcc
	v_pk_mov_b32 v[4:5], v[14:15], v[14:15] op_sel:[0,1]
.LBB225_156:                            ;   in Loop: Header=BB225_31 Depth=1
	v_mov_b32_e32 v6, s7
	v_sub_co_u32_e32 v4, vcc, s11, v4
	v_subb_co_u32_e32 v5, vcc, v6, v5, vcc
	v_cmp_gt_u64_e32 vcc, v[4:5], v[0:1]
	s_mov_b64 s[6:7], 0
                                        ; implicit-def: $vgpr6
	s_and_saveexec_b64 s[28:29], vcc
	s_cbranch_execz .LBB225_168
; %bb.157:                              ;   in Loop: Header=BB225_31 Depth=1
	s_mov_b64 s[42:43], 0
	v_mov_b32_e32 v8, v45
	v_pk_mov_b32 v[6:7], v[0:1], v[0:1] op_sel:[0,1]
                                        ; implicit-def: $sgpr44_sgpr45
	s_branch .LBB225_159
.LBB225_158:                            ;   in Loop: Header=BB225_159 Depth=2
	s_or_b64 exec, exec, s[6:7]
	s_waitcnt lgkmcnt(0)
	s_barrier
	ds_read_b32 v9, v15 offset:3072
	v_add_co_u32_e64 v6, s[6:7], s33, v6
	v_add_u32_e32 v8, s10, v8
	s_waitcnt lgkmcnt(0)
	v_and_b32_e32 v14, 0x7fff, v9
	v_cmp_ne_u16_e32 vcc, 0, v14
	v_mov_b32_e32 v14, s92
	v_addc_co_u32_e64 v7, s[6:7], v7, v14, s[6:7]
	v_cmp_ge_u64_e64 s[6:7], v[6:7], v[4:5]
	s_or_b64 s[6:7], s[6:7], vcc
	s_and_b64 s[6:7], exec, s[6:7]
	s_or_b64 s[42:43], s[6:7], s[42:43]
	s_andn2_b64 s[6:7], s[44:45], exec
	s_and_b64 s[44:45], vcc, exec
	s_or_b64 s[44:45], s[6:7], s[44:45]
	s_barrier
	s_andn2_b64 exec, exec, s[42:43]
	s_cbranch_execz .LBB225_167
.LBB225_159:                            ;   Parent Loop BB225_31 Depth=1
                                        ; =>  This Inner Loop Header: Depth=2
	v_cmp_gt_u64_e32 vcc, s[0:1], v[6:7]
	v_mov_b32_e32 v9, 0
	s_and_saveexec_b64 s[6:7], vcc
	s_cbranch_execz .LBB225_161
; %bb.160:                              ;   in Loop: Header=BB225_159 Depth=2
	ds_read_u16 v9, v8
.LBB225_161:                            ;   in Loop: Header=BB225_159 Depth=2
	s_or_b64 exec, exec, s[6:7]
	s_and_saveexec_b64 s[6:7], vcc
	s_cbranch_execz .LBB225_158
; %bb.162:                              ;   in Loop: Header=BB225_159 Depth=2
	s_waitcnt lgkmcnt(0)
	v_cmp_lt_i16_e32 vcc, -1, v9
	v_cndmask_b32_e32 v14, v49, v50, vcc
	v_lshlrev_b32_e32 v32, 16, v9
	v_xor_b32_sdwa v14, v14, v9 dst_sel:DWORD dst_unused:UNUSED_PAD src0_sel:DWORD src1_sel:WORD_0
	v_cmp_o_f32_e32 vcc, v32, v32
	v_cndmask_b32_e32 v14, v49, v14, vcc
	v_and_b32_e32 v14, v14, v31
	v_cmp_eq_u32_e32 vcc, v14, v30
	s_and_b64 exec, exec, vcc
	s_cbranch_execz .LBB225_158
; %bb.163:                              ;   in Loop: Header=BB225_159 Depth=2
	s_movk_i32 s11, 0x3f80
	v_perm_b32 v9, v9, s11, v53
	ds_write_b32 v15, v9 offset:3072
	s_branch .LBB225_158
.LBB225_164:                            ;   in Loop: Header=BB225_31 Depth=1
                                        ; implicit-def: $vgpr2_vgpr3
	s_branch .LBB225_106
.LBB225_165:                            ;   in Loop: Header=BB225_31 Depth=1
                                        ; implicit-def: $vgpr2_vgpr3
	s_branch .LBB225_125
.LBB225_166:                            ;   in Loop: Header=BB225_31 Depth=1
	s_mov_b64 s[28:29], -1
	s_mov_b64 s[6:7], 0
                                        ; implicit-def: $sgpr42_sgpr43
                                        ; implicit-def: $vgpr6
	s_mov_b64 s[44:45], s[28:29]
	s_cbranch_execnz .LBB225_169
	s_branch .LBB225_182
.LBB225_167:                            ;   in Loop: Header=BB225_31 Depth=1
	s_or_b64 exec, exec, s[42:43]
	v_lshrrev_b32_e32 v6, 16, v9
	s_and_b64 s[6:7], s[44:45], exec
.LBB225_168:                            ;   in Loop: Header=BB225_31 Depth=1
	s_or_b64 exec, exec, s[28:29]
	s_mov_b64 s[42:43], -1
	s_mov_b64 s[28:29], 0
	s_mov_b64 s[44:45], s[28:29]
	s_branch .LBB225_182
.LBB225_169:                            ;   in Loop: Header=BB225_31 Depth=1
	v_readlane_b32 s44, v61, 31
	v_readlane_b32 s45, v61, 32
	s_mov_b32 s44, s87
	s_cmp_lg_u64 s[44:45], 0
	v_writelane_b32 v61, s44, 31
	v_writelane_b32 v61, s45, 32
	s_cbranch_scc0 .LBB225_211
; %bb.170:                              ;   in Loop: Header=BB225_31 Depth=1
	v_cvt_f32_u32_e32 v4, s33
	s_sub_u32 s0, 0, s33
	s_subb_u32 s1, 0, 0
	v_mac_f32_e32 v4, 0, v51
	v_rcp_f32_e32 v4, v4
	v_mul_f32_e32 v4, 0x5f7ffffc, v4
	v_mul_f32_e32 v5, 0x2f800000, v4
	v_trunc_f32_e32 v5, v5
	v_mac_f32_e32 v4, 0xcf800000, v5
	v_cvt_u32_f32_e32 v5, v5
	v_cvt_u32_f32_e32 v4, v4
	v_readfirstlane_b32 s6, v5
	v_readfirstlane_b32 s7, v4
	s_mul_i32 s11, s0, s6
	s_mul_hi_u32 s29, s0, s7
	s_mul_i32 s28, s1, s7
	s_add_i32 s11, s29, s11
	s_mul_i32 s42, s0, s7
	s_add_i32 s11, s11, s28
	s_mul_hi_u32 s29, s7, s42
	s_mul_hi_u32 s28, s7, s11
	s_mul_i32 s7, s7, s11
	s_add_u32 s7, s29, s7
	s_addc_u32 s28, 0, s28
	s_mul_hi_u32 s43, s6, s42
	s_mul_i32 s42, s6, s42
	s_add_u32 s7, s7, s42
	s_mul_hi_u32 s29, s6, s11
	s_addc_u32 s7, s28, s43
	s_addc_u32 s28, s29, 0
	s_mul_i32 s11, s6, s11
	s_add_u32 s7, s7, s11
	s_addc_u32 s11, 0, s28
	v_add_co_u32_e32 v4, vcc, s7, v4
	s_cmp_lg_u64 vcc, 0
	s_addc_u32 s6, s6, s11
	v_readfirstlane_b32 s11, v4
	s_mul_i32 s7, s0, s6
	s_mul_hi_u32 s28, s0, s11
	s_add_i32 s7, s28, s7
	s_mul_i32 s1, s1, s11
	s_add_i32 s7, s7, s1
	s_mul_i32 s0, s0, s11
	s_mul_hi_u32 s28, s6, s0
	s_mul_i32 s29, s6, s0
	s_mul_i32 s43, s11, s7
	s_mul_hi_u32 s0, s11, s0
	s_mul_hi_u32 s42, s11, s7
	s_add_u32 s0, s0, s43
	s_addc_u32 s11, 0, s42
	s_add_u32 s0, s0, s29
	s_mul_hi_u32 s1, s6, s7
	s_addc_u32 s0, s11, s28
	s_addc_u32 s1, s1, 0
	s_mul_i32 s7, s6, s7
	s_add_u32 s0, s0, s7
	s_addc_u32 s1, 0, s1
	v_add_co_u32_e32 v4, vcc, s0, v4
	s_cmp_lg_u64 vcc, 0
	s_addc_u32 s0, s6, s1
	v_readlane_b32 s29, v61, 29
	v_readfirstlane_b32 s7, v4
	s_mul_i32 s6, s29, s0
	s_mul_hi_u32 s11, s29, s7
	s_mul_hi_u32 s1, s29, s0
	s_add_u32 s6, s11, s6
	s_addc_u32 s1, 0, s1
	s_mul_hi_u32 s28, s45, s7
	s_mul_i32 s7, s45, s7
	s_add_u32 s6, s6, s7
	s_mul_hi_u32 s11, s45, s0
	s_addc_u32 s1, s1, s28
	s_addc_u32 s6, s11, 0
	s_mul_i32 s0, s45, s0
	s_add_u32 s0, s1, s0
	s_addc_u32 s1, 0, s6
	s_mul_hi_u32 s6, s33, s0
	s_mul_i32 s0, s33, s0
	s_mul_i32 s1, s33, s1
	v_mov_b32_e32 v4, s0
	s_add_i32 s6, s6, s1
	v_sub_co_u32_e32 v4, vcc, s29, v4
	s_cmp_lg_u64 vcc, 0
	s_subb_u32 s0, s45, s6
	v_subrev_co_u32_e32 v5, vcc, s33, v4
	s_cmp_lg_u64 vcc, 0
	s_subb_u32 s1, s0, 0
	v_subrev_co_u32_e32 v6, vcc, s33, v5
	s_cmp_lg_u64 vcc, 0
	s_subb_u32 s6, s1, 0
	v_cmp_le_u32_e32 vcc, s33, v5
	s_cmp_eq_u32 s1, 0
	v_cndmask_b32_e64 v7, 0, -1, vcc
	s_cselect_b64 vcc, -1, 0
	v_cndmask_b32_e32 v7, -1, v7, vcc
	v_mov_b32_e32 v8, s1
	v_mov_b32_e32 v9, s6
	v_cmp_ne_u32_e32 vcc, 0, v7
	v_cndmask_b32_e32 v7, v8, v9, vcc
	v_cndmask_b32_e32 v6, v5, v6, vcc
	v_cmp_le_u32_e32 vcc, s33, v4
	s_cmp_eq_u32 s0, 0
	v_cndmask_b32_e64 v5, 0, -1, vcc
	s_cselect_b64 vcc, -1, 0
	v_cndmask_b32_e32 v5, -1, v5, vcc
	v_mov_b32_e32 v8, s0
	v_cmp_ne_u32_e32 vcc, 0, v5
	v_cndmask_b32_e32 v5, v8, v7, vcc
	v_cndmask_b32_e32 v4, v4, v6, vcc
	s_cbranch_execnz .LBB225_172
.LBB225_171:                            ;   in Loop: Header=BB225_31 Depth=1
	v_cvt_f32_u32_e32 v4, s33
	s_sub_i32 s0, 0, s33
	v_rcp_iflag_f32_e32 v4, v4
	v_mul_f32_e32 v4, 0x4f7ffffe, v4
	v_cvt_u32_f32_e32 v4, v4
	v_mul_lo_u32 v5, s0, v4
	v_mul_hi_u32 v5, v4, v5
	v_add_u32_e32 v4, v4, v5
	v_readlane_b32 s0, v61, 29
	v_mul_hi_u32 v4, s0, v4
	v_mul_lo_u32 v4, v4, s33
	v_sub_u32_e32 v4, s0, v4
	v_subrev_u32_e32 v5, s33, v4
	v_cmp_le_u32_e32 vcc, s33, v4
	v_cndmask_b32_e32 v4, v4, v5, vcc
	v_subrev_u32_e32 v5, s33, v4
	v_cmp_le_u32_e32 vcc, s33, v4
	v_cndmask_b32_e32 v14, v4, v5, vcc
	v_pk_mov_b32 v[4:5], v[14:15], v[14:15] op_sel:[0,1]
.LBB225_172:                            ;   in Loop: Header=BB225_31 Depth=1
	v_readlane_b32 s0, v61, 31
	v_readlane_b32 s1, v61, 32
	;; [unrolled: 1-line block ×3, first 2 shown]
	v_mov_b32_e32 v6, s1
	v_sub_co_u32_e32 v4, vcc, s0, v4
	v_subb_co_u32_e32 v5, vcc, v6, v5, vcc
	v_cmp_gt_u64_e32 vcc, v[4:5], v[0:1]
	s_mov_b64 s[6:7], 0
                                        ; implicit-def: $vgpr6
	s_and_saveexec_b64 s[0:1], vcc
	s_cbranch_execz .LBB225_181
; %bb.173:                              ;   in Loop: Header=BB225_31 Depth=1
	s_mov_b64 s[28:29], 0
	v_pk_mov_b32 v[6:7], v[26:27], v[26:27] op_sel:[0,1]
	v_pk_mov_b32 v[8:9], v[0:1], v[0:1] op_sel:[0,1]
                                        ; implicit-def: $sgpr42_sgpr43
	s_branch .LBB225_175
.LBB225_174:                            ;   in Loop: Header=BB225_175 Depth=2
	s_or_b64 exec, exec, s[6:7]
	s_waitcnt lgkmcnt(0)
	s_barrier
	s_waitcnt vmcnt(0)
	ds_read_b32 v14, v15 offset:3072
	v_add_co_u32_e64 v8, s[6:7], s33, v8
	s_waitcnt lgkmcnt(0)
	s_barrier
	v_and_b32_e32 v32, 0x7fff, v14
	v_cmp_ne_u16_e32 vcc, 0, v32
	v_mov_b32_e32 v32, s92
	v_addc_co_u32_e64 v9, s[6:7], v9, v32, s[6:7]
	v_cmp_ge_u64_e64 s[6:7], v[8:9], v[4:5]
	s_or_b64 s[44:45], s[6:7], vcc
	v_mov_b32_e32 v32, s65
	v_add_co_u32_e64 v6, s[6:7], s64, v6
	v_addc_co_u32_e64 v7, s[6:7], v7, v32, s[6:7]
	s_and_b64 s[6:7], exec, s[44:45]
	s_or_b64 s[28:29], s[6:7], s[28:29]
	s_andn2_b64 s[6:7], s[42:43], exec
	s_and_b64 s[42:43], vcc, exec
	s_or_b64 s[42:43], s[6:7], s[42:43]
	s_andn2_b64 exec, exec, s[28:29]
	s_cbranch_execz .LBB225_180
.LBB225_175:                            ;   Parent Loop BB225_31 Depth=1
                                        ; =>  This Inner Loop Header: Depth=2
	v_cmp_gt_u64_e32 vcc, s[60:61], v[8:9]
	v_mov_b32_e32 v14, 0
	s_and_saveexec_b64 s[6:7], vcc
	s_cbranch_execz .LBB225_177
; %bb.176:                              ;   in Loop: Header=BB225_175 Depth=2
	global_load_ushort v14, v[6:7], off
.LBB225_177:                            ;   in Loop: Header=BB225_175 Depth=2
	s_or_b64 exec, exec, s[6:7]
	s_and_saveexec_b64 s[6:7], vcc
	s_cbranch_execz .LBB225_174
; %bb.178:                              ;   in Loop: Header=BB225_175 Depth=2
	s_waitcnt vmcnt(0)
	v_cmp_lt_i16_e32 vcc, -1, v14
	v_cndmask_b32_e32 v32, v49, v50, vcc
	v_lshlrev_b32_e32 v33, 16, v14
	v_xor_b32_sdwa v32, v32, v14 dst_sel:DWORD dst_unused:UNUSED_PAD src0_sel:DWORD src1_sel:WORD_0
	v_cmp_o_f32_e32 vcc, v33, v33
	v_cndmask_b32_e32 v32, v49, v32, vcc
	v_and_b32_e32 v32, v32, v31
	v_cmp_eq_u32_e32 vcc, v32, v30
	s_and_b64 exec, exec, vcc
	s_cbranch_execz .LBB225_174
; %bb.179:                              ;   in Loop: Header=BB225_175 Depth=2
	s_movk_i32 s11, 0x3f80
	v_perm_b32 v14, v14, s11, v53
	ds_write_b32 v15, v14 offset:3072
	s_branch .LBB225_174
.LBB225_180:                            ;   in Loop: Header=BB225_31 Depth=1
	s_or_b64 exec, exec, s[28:29]
	v_lshrrev_b32_e32 v6, 16, v14
	s_and_b64 s[6:7], s[42:43], exec
.LBB225_181:                            ;   in Loop: Header=BB225_31 Depth=1
	s_or_b64 exec, exec, s[0:1]
	s_mov_b64 s[44:45], -1
	s_mov_b64 s[28:29], 0
	s_mov_b64 s[42:43], 0
.LBB225_182:                            ;   in Loop: Header=BB225_31 Depth=1
	s_orn2_b64 s[0:1], s[6:7], exec
.LBB225_183:                            ;   in Loop: Header=BB225_31 Depth=1
	s_or_b64 exec, exec, s[46:47]
	s_mov_b64 s[6:7], 0
                                        ; implicit-def: $vgpr7
	s_and_saveexec_b64 s[46:47], s[0:1]
	s_cbranch_execz .LBB225_296
; %bb.184:                              ;   in Loop: Header=BB225_31 Depth=1
	v_mov_b32_e32 v4, 1
	s_xor_b64 s[2:3], s[2:3], -1
	s_mov_b64 s[52:53], 0
	v_mov_b32_e32 v5, 0
	v_mov_b32_e32 v7, 1
	s_and_saveexec_b64 s[0:1], s[2:3]
	s_cbranch_execz .LBB225_194
; %bb.185:                              ;   in Loop: Header=BB225_31 Depth=1
	v_cmp_ge_u64_e32 vcc, s[18:19], v[2:3]
                                        ; implicit-def: $sgpr11
                                        ; implicit-def: $sgpr2_sgpr3
	s_and_saveexec_b64 s[6:7], vcc
	s_xor_b64 s[6:7], exec, s[6:7]
	s_cbranch_execz .LBB225_191
; %bb.186:                              ;   in Loop: Header=BB225_31 Depth=1
	ds_read_b64 v[4:5], v15 offset:5120
	s_waitcnt lgkmcnt(0)
	v_cmp_ne_u64_e32 vcc, 0, v[4:5]
	s_cbranch_vccnz .LBB225_190
; %bb.187:                              ;   in Loop: Header=BB225_31 Depth=1
	s_mov_b64 s[2:3], exec
	v_readlane_b32 s48, v61, 10
	v_readlane_b32 s49, v61, 11
	s_and_b64 s[48:49], s[2:3], s[48:49]
	s_mov_b64 exec, s[48:49]
	s_cbranch_execz .LBB225_189
; %bb.188:                              ;   in Loop: Header=BB225_31 Depth=1
	v_pk_mov_b32 v[4:5], s[18:19], s[18:19] op_sel:[0,1]
	ds_write_b64 v15, v[4:5] offset:5128
.LBB225_189:                            ;   in Loop: Header=BB225_31 Depth=1
	s_or_b64 exec, exec, s[2:3]
	s_waitcnt lgkmcnt(0)
	s_barrier
.LBB225_190:                            ;   in Loop: Header=BB225_31 Depth=1
	v_and_b32_e32 v4, s94, v30
	v_lshl_or_b32 v30, 1, s95, v4
	v_or_b32_e32 v31, s86, v31
	s_mov_b64 s[2:3], 0
	s_mov_b32 s11, 8
.LBB225_191:                            ;   in Loop: Header=BB225_31 Depth=1
	s_or_saveexec_b64 s[6:7], s[6:7]
	v_mov_b32_e32 v7, s11
	s_xor_b64 exec, exec, s[6:7]
; %bb.192:                              ;   in Loop: Header=BB225_31 Depth=1
	v_mov_b32_e32 v4, s19
	v_subrev_co_u32_e32 v2, vcc, s18, v2
	v_subb_co_u32_e32 v3, vcc, v3, v4, vcc
	v_mov_b32_e32 v7, 0
	s_or_b64 s[2:3], s[2:3], exec
; %bb.193:                              ;   in Loop: Header=BB225_31 Depth=1
	s_or_b64 exec, exec, s[6:7]
	s_and_b64 s[52:53], s[2:3], exec
	v_pk_mov_b32 v[4:5], v[2:3], v[2:3] op_sel:[0,1]
.LBB225_194:                            ;   in Loop: Header=BB225_31 Depth=1
	s_or_b64 exec, exec, s[0:1]
	s_mov_b64 s[0:1], -1
                                        ; implicit-def: $sgpr2_sgpr3
                                        ; implicit-def: $sgpr6_sgpr7
                                        ; implicit-def: $sgpr50_sgpr51
	s_and_saveexec_b64 s[48:49], s[52:53]
	s_cbranch_execz .LBB225_295
; %bb.195:                              ;   in Loop: Header=BB225_31 Depth=1
	s_cmp_eq_u64 s[22:23], 1
	s_cselect_b64 s[0:1], -1, 0
	v_cmp_eq_u64_e32 vcc, 1, v[4:5]
	s_and_b64 s[50:51], s[0:1], vcc
	s_mov_b64 s[6:7], -1
                                        ; implicit-def: $sgpr2_sgpr3
                                        ; implicit-def: $sgpr52_sgpr53
                                        ; implicit-def: $vcc
	s_and_saveexec_b64 s[54:55], s[50:51]
	s_cbranch_execz .LBB225_229
; %bb.196:                              ;   in Loop: Header=BB225_31 Depth=1
	ds_read_b64 v[2:3], v15 offset:5120
	s_waitcnt lgkmcnt(0)
	s_barrier
	v_readfirstlane_b32 s0, v2
	v_readfirstlane_b32 s1, v3
	s_mov_b64 s[2:3], exec
	v_readlane_b32 s6, v61, 24
	v_readlane_b32 s7, v61, 25
	s_and_b64 s[6:7], s[2:3], s[6:7]
	s_mov_b64 exec, s[6:7]
	s_cbranch_execz .LBB225_198
; %bb.197:                              ;   in Loop: Header=BB225_31 Depth=1
	ds_write_b16 v46, v15
.LBB225_198:                            ;   in Loop: Header=BB225_31 Depth=1
	s_or_b64 exec, exec, s[2:3]
	v_and_b32_e32 v2, s94, v30
	v_lshl_or_b32 v30, 2, s95, v2
	v_or_b32_e32 v31, s86, v31
	s_cmp_eq_u64 s[0:1], 0
	s_waitcnt lgkmcnt(0)
	s_barrier
	s_cbranch_scc1 .LBB225_212
; %bb.199:                              ;   in Loop: Header=BB225_31 Depth=1
	v_readlane_b32 s2, v61, 28
	s_add_u32 s11, s2, s0
	v_readlane_b32 s2, v61, 30
	s_addc_u32 s3, s2, s1
	s_mov_b32 s2, s87
	s_cmp_lg_u64 s[2:3], 0
	s_cbranch_scc0 .LBB225_247
; %bb.200:                              ;   in Loop: Header=BB225_31 Depth=1
	v_cvt_f32_u32_e32 v2, s33
	s_sub_u32 s2, 0, s33
	s_subb_u32 s6, 0, 0
	v_mac_f32_e32 v2, 0, v51
	v_rcp_f32_e32 v2, v2
	v_mul_f32_e32 v2, 0x5f7ffffc, v2
	v_mul_f32_e32 v3, 0x2f800000, v2
	v_trunc_f32_e32 v3, v3
	v_mac_f32_e32 v2, 0xcf800000, v3
	v_cvt_u32_f32_e32 v3, v3
	v_cvt_u32_f32_e32 v2, v2
	v_readfirstlane_b32 s7, v3
	v_readfirstlane_b32 s52, v2
	s_mul_i32 s53, s2, s7
	s_mul_hi_u32 s67, s2, s52
	s_mul_i32 s66, s6, s52
	s_add_i32 s53, s67, s53
	s_mul_i32 s68, s2, s52
	s_add_i32 s53, s53, s66
	s_mul_hi_u32 s67, s52, s68
	s_mul_hi_u32 s66, s52, s53
	s_mul_i32 s52, s52, s53
	s_add_u32 s52, s67, s52
	s_addc_u32 s66, 0, s66
	s_mul_hi_u32 s69, s7, s68
	s_mul_i32 s68, s7, s68
	s_add_u32 s52, s52, s68
	s_mul_hi_u32 s67, s7, s53
	s_addc_u32 s52, s66, s69
	s_addc_u32 s66, s67, 0
	s_mul_i32 s53, s7, s53
	s_add_u32 s52, s52, s53
	s_addc_u32 s53, 0, s66
	v_add_co_u32_e32 v2, vcc, s52, v2
	s_cmp_lg_u64 vcc, 0
	s_addc_u32 s7, s7, s53
	v_readfirstlane_b32 s53, v2
	s_mul_i32 s52, s2, s7
	s_mul_hi_u32 s66, s2, s53
	s_add_i32 s52, s66, s52
	s_mul_i32 s6, s6, s53
	s_add_i32 s52, s52, s6
	s_mul_i32 s2, s2, s53
	s_mul_hi_u32 s66, s7, s2
	s_mul_i32 s67, s7, s2
	s_mul_i32 s69, s53, s52
	s_mul_hi_u32 s2, s53, s2
	s_mul_hi_u32 s68, s53, s52
	s_add_u32 s2, s2, s69
	s_addc_u32 s53, 0, s68
	s_add_u32 s2, s2, s67
	s_mul_hi_u32 s6, s7, s52
	s_addc_u32 s2, s53, s66
	s_addc_u32 s6, s6, 0
	s_mul_i32 s52, s7, s52
	s_add_u32 s2, s2, s52
	s_addc_u32 s6, 0, s6
	v_add_co_u32_e32 v2, vcc, s2, v2
	s_cmp_lg_u64 vcc, 0
	s_addc_u32 s2, s7, s6
	v_readfirstlane_b32 s52, v2
	s_mul_i32 s7, s11, s2
	s_mul_hi_u32 s53, s11, s52
	s_mul_hi_u32 s6, s11, s2
	s_add_u32 s7, s53, s7
	s_addc_u32 s6, 0, s6
	s_mul_hi_u32 s66, s3, s52
	s_mul_i32 s52, s3, s52
	s_add_u32 s7, s7, s52
	s_mul_hi_u32 s53, s3, s2
	s_addc_u32 s6, s6, s66
	s_addc_u32 s7, s53, 0
	s_mul_i32 s2, s3, s2
	s_add_u32 s2, s6, s2
	s_addc_u32 s6, 0, s7
	s_mul_hi_u32 s7, s33, s2
	s_mul_i32 s2, s33, s2
	s_mul_i32 s6, s33, s6
	v_mov_b32_e32 v2, s2
	s_add_i32 s7, s7, s6
	v_sub_co_u32_e32 v2, vcc, s11, v2
	s_cmp_lg_u64 vcc, 0
	s_subb_u32 s2, s3, s7
	v_subrev_co_u32_e32 v3, vcc, s33, v2
	s_cmp_lg_u64 vcc, 0
	s_subb_u32 s6, s2, 0
	v_subrev_co_u32_e32 v6, vcc, s33, v3
	s_cmp_lg_u64 vcc, 0
	s_subb_u32 s7, s6, 0
	v_cmp_le_u32_e32 vcc, s33, v3
	s_cmp_eq_u32 s6, 0
	v_cndmask_b32_e64 v7, 0, -1, vcc
	s_cselect_b64 vcc, -1, 0
	v_cndmask_b32_e32 v7, -1, v7, vcc
	v_mov_b32_e32 v8, s6
	v_mov_b32_e32 v9, s7
	v_cmp_ne_u32_e32 vcc, 0, v7
	v_cndmask_b32_e32 v7, v8, v9, vcc
	v_cndmask_b32_e32 v6, v3, v6, vcc
	v_cmp_le_u32_e32 vcc, s33, v2
	s_cmp_eq_u32 s2, 0
	v_cndmask_b32_e64 v3, 0, -1, vcc
	s_cselect_b64 vcc, -1, 0
	v_cndmask_b32_e32 v3, -1, v3, vcc
	v_mov_b32_e32 v8, s2
	v_cmp_ne_u32_e32 vcc, 0, v3
	v_cndmask_b32_e32 v3, v8, v7, vcc
	v_cndmask_b32_e32 v2, v2, v6, vcc
	s_cbranch_execnz .LBB225_202
.LBB225_201:                            ;   in Loop: Header=BB225_31 Depth=1
	v_cvt_f32_u32_e32 v2, s33
	s_sub_i32 s2, 0, s33
	v_rcp_iflag_f32_e32 v2, v2
	v_mul_f32_e32 v2, 0x4f7ffffe, v2
	v_cvt_u32_f32_e32 v2, v2
	v_mul_lo_u32 v3, s2, v2
	v_mul_hi_u32 v3, v2, v3
	v_add_u32_e32 v2, v2, v3
	v_mul_hi_u32 v2, s11, v2
	v_mul_lo_u32 v2, v2, s33
	v_sub_u32_e32 v2, s11, v2
	v_subrev_u32_e32 v3, s33, v2
	v_cmp_le_u32_e32 vcc, s33, v2
	v_cndmask_b32_e32 v2, v2, v3, vcc
	v_subrev_u32_e32 v3, s33, v2
	v_cmp_le_u32_e32 vcc, s33, v2
	v_cndmask_b32_e32 v14, v2, v3, vcc
	v_pk_mov_b32 v[2:3], v[14:15], v[14:15] op_sel:[0,1]
.LBB225_202:                            ;   in Loop: Header=BB225_31 Depth=1
	v_mov_b32_e32 v6, s3
	v_sub_co_u32_e32 v2, vcc, s11, v2
	v_subb_co_u32_e32 v3, vcc, v6, v3, vcc
	v_cmp_gt_u64_e32 vcc, v[2:3], v[0:1]
	s_mov_b64 s[6:7], 0
                                        ; implicit-def: $vgpr6
	s_and_saveexec_b64 s[2:3], vcc
	s_cbranch_execz .LBB225_214
; %bb.203:                              ;   in Loop: Header=BB225_31 Depth=1
	s_mov_b64 s[52:53], 0
	v_mov_b32_e32 v8, v45
	v_pk_mov_b32 v[6:7], v[0:1], v[0:1] op_sel:[0,1]
                                        ; implicit-def: $sgpr66_sgpr67
	s_branch .LBB225_205
.LBB225_204:                            ;   in Loop: Header=BB225_205 Depth=2
	s_or_b64 exec, exec, s[6:7]
	s_waitcnt lgkmcnt(0)
	s_barrier
	ds_read_b32 v9, v15 offset:3072
	v_add_co_u32_e64 v6, s[6:7], s33, v6
	v_add_u32_e32 v8, s10, v8
	s_waitcnt lgkmcnt(0)
	v_and_b32_e32 v14, 0x7fff, v9
	v_cmp_ne_u16_e32 vcc, 0, v14
	v_mov_b32_e32 v14, s92
	v_addc_co_u32_e64 v7, s[6:7], v7, v14, s[6:7]
	v_cmp_ge_u64_e64 s[6:7], v[6:7], v[2:3]
	s_or_b64 s[6:7], s[6:7], vcc
	s_and_b64 s[6:7], exec, s[6:7]
	s_or_b64 s[52:53], s[6:7], s[52:53]
	s_andn2_b64 s[6:7], s[66:67], exec
	s_and_b64 s[66:67], vcc, exec
	s_or_b64 s[66:67], s[6:7], s[66:67]
	s_barrier
	s_andn2_b64 exec, exec, s[52:53]
	s_cbranch_execz .LBB225_213
.LBB225_205:                            ;   Parent Loop BB225_31 Depth=1
                                        ; =>  This Inner Loop Header: Depth=2
	v_cmp_gt_u64_e32 vcc, s[0:1], v[6:7]
	v_mov_b32_e32 v9, 0
	s_and_saveexec_b64 s[6:7], vcc
	s_cbranch_execz .LBB225_207
; %bb.206:                              ;   in Loop: Header=BB225_205 Depth=2
	ds_read_u16 v9, v8
.LBB225_207:                            ;   in Loop: Header=BB225_205 Depth=2
	s_or_b64 exec, exec, s[6:7]
	s_and_saveexec_b64 s[6:7], vcc
	s_cbranch_execz .LBB225_204
; %bb.208:                              ;   in Loop: Header=BB225_205 Depth=2
	s_waitcnt lgkmcnt(0)
	v_cmp_lt_i16_e32 vcc, -1, v9
	v_cndmask_b32_e32 v14, v49, v50, vcc
	v_lshlrev_b32_e32 v32, 16, v9
	v_xor_b32_sdwa v14, v14, v9 dst_sel:DWORD dst_unused:UNUSED_PAD src0_sel:DWORD src1_sel:WORD_0
	v_cmp_o_f32_e32 vcc, v32, v32
	v_cndmask_b32_e32 v14, v49, v14, vcc
	v_and_b32_e32 v14, v14, v31
	v_cmp_eq_u32_e32 vcc, v14, v30
	s_and_b64 exec, exec, vcc
	s_cbranch_execz .LBB225_204
; %bb.209:                              ;   in Loop: Header=BB225_205 Depth=2
	s_movk_i32 s11, 0x3f80
	v_perm_b32 v9, v9, s11, v53
	ds_write_b32 v15, v9 offset:3072
	s_branch .LBB225_204
.LBB225_210:                            ;   in Loop: Header=BB225_31 Depth=1
                                        ; implicit-def: $vgpr4_vgpr5
	s_branch .LBB225_155
.LBB225_211:                            ;   in Loop: Header=BB225_31 Depth=1
                                        ; implicit-def: $vgpr4_vgpr5
	s_branch .LBB225_171
.LBB225_212:                            ;   in Loop: Header=BB225_31 Depth=1
	s_mov_b64 s[2:3], -1
	s_mov_b64 s[6:7], 0
                                        ; implicit-def: $sgpr0_sgpr1
                                        ; implicit-def: $vgpr6
	s_mov_b64 s[52:53], s[2:3]
	s_cbranch_execnz .LBB225_215
	s_branch .LBB225_228
.LBB225_213:                            ;   in Loop: Header=BB225_31 Depth=1
	s_or_b64 exec, exec, s[52:53]
	v_lshrrev_b32_e32 v6, 16, v9
	s_and_b64 s[6:7], s[66:67], exec
.LBB225_214:                            ;   in Loop: Header=BB225_31 Depth=1
	s_or_b64 exec, exec, s[2:3]
	s_mov_b64 s[0:1], -1
	s_mov_b64 s[2:3], 0
	s_mov_b64 s[52:53], s[2:3]
	s_branch .LBB225_228
.LBB225_215:                            ;   in Loop: Header=BB225_31 Depth=1
	v_readlane_b32 s66, v61, 31
	v_readlane_b32 s67, v61, 32
	s_mov_b32 s66, s87
	s_cmp_lg_u64 s[66:67], 0
	v_writelane_b32 v61, s66, 31
	v_writelane_b32 v61, s67, 32
	s_cbranch_scc0 .LBB225_248
; %bb.216:                              ;   in Loop: Header=BB225_31 Depth=1
	v_cvt_f32_u32_e32 v2, s33
	s_sub_u32 s0, 0, s33
	s_subb_u32 s1, 0, 0
	v_mac_f32_e32 v2, 0, v51
	v_rcp_f32_e32 v2, v2
	v_mul_f32_e32 v2, 0x5f7ffffc, v2
	v_mul_f32_e32 v3, 0x2f800000, v2
	v_trunc_f32_e32 v3, v3
	v_mac_f32_e32 v2, 0xcf800000, v3
	v_cvt_u32_f32_e32 v3, v3
	v_cvt_u32_f32_e32 v2, v2
	v_readfirstlane_b32 s2, v3
	v_readfirstlane_b32 s3, v2
	s_mul_i32 s6, s0, s2
	s_mul_hi_u32 s11, s0, s3
	s_mul_i32 s7, s1, s3
	s_add_i32 s6, s11, s6
	s_mul_i32 s52, s0, s3
	s_add_i32 s6, s6, s7
	s_mul_hi_u32 s11, s3, s52
	s_mul_hi_u32 s7, s3, s6
	s_mul_i32 s3, s3, s6
	s_add_u32 s3, s11, s3
	s_addc_u32 s7, 0, s7
	s_mul_hi_u32 s53, s2, s52
	s_mul_i32 s52, s2, s52
	s_add_u32 s3, s3, s52
	s_mul_hi_u32 s11, s2, s6
	s_addc_u32 s3, s7, s53
	s_addc_u32 s7, s11, 0
	s_mul_i32 s6, s2, s6
	s_add_u32 s3, s3, s6
	s_addc_u32 s6, 0, s7
	v_add_co_u32_e32 v2, vcc, s3, v2
	s_cmp_lg_u64 vcc, 0
	s_addc_u32 s2, s2, s6
	v_readfirstlane_b32 s6, v2
	s_mul_i32 s3, s0, s2
	s_mul_hi_u32 s7, s0, s6
	s_add_i32 s3, s7, s3
	s_mul_i32 s1, s1, s6
	s_add_i32 s3, s3, s1
	s_mul_i32 s0, s0, s6
	s_mul_hi_u32 s7, s2, s0
	s_mul_i32 s11, s2, s0
	s_mul_i32 s53, s6, s3
	s_mul_hi_u32 s0, s6, s0
	s_mul_hi_u32 s52, s6, s3
	s_add_u32 s0, s0, s53
	s_addc_u32 s6, 0, s52
	s_add_u32 s0, s0, s11
	s_mul_hi_u32 s1, s2, s3
	s_addc_u32 s0, s6, s7
	s_addc_u32 s1, s1, 0
	s_mul_i32 s3, s2, s3
	s_add_u32 s0, s0, s3
	s_addc_u32 s1, 0, s1
	v_add_co_u32_e32 v2, vcc, s0, v2
	s_cmp_lg_u64 vcc, 0
	s_addc_u32 s0, s2, s1
	v_readlane_b32 s11, v61, 29
	v_readfirstlane_b32 s3, v2
	s_mul_i32 s2, s11, s0
	s_mul_hi_u32 s6, s11, s3
	s_mul_hi_u32 s1, s11, s0
	s_add_u32 s2, s6, s2
	s_addc_u32 s1, 0, s1
	s_mul_hi_u32 s7, s67, s3
	s_mul_i32 s3, s67, s3
	s_add_u32 s2, s2, s3
	s_mul_hi_u32 s6, s67, s0
	s_addc_u32 s1, s1, s7
	s_addc_u32 s2, s6, 0
	s_mul_i32 s0, s67, s0
	s_add_u32 s0, s1, s0
	s_addc_u32 s1, 0, s2
	s_mul_hi_u32 s2, s33, s0
	s_mul_i32 s0, s33, s0
	s_mul_i32 s1, s33, s1
	v_mov_b32_e32 v2, s0
	s_add_i32 s2, s2, s1
	v_sub_co_u32_e32 v2, vcc, s11, v2
	s_cmp_lg_u64 vcc, 0
	s_subb_u32 s0, s67, s2
	v_subrev_co_u32_e32 v3, vcc, s33, v2
	s_cmp_lg_u64 vcc, 0
	s_subb_u32 s1, s0, 0
	v_subrev_co_u32_e32 v6, vcc, s33, v3
	s_cmp_lg_u64 vcc, 0
	s_subb_u32 s2, s1, 0
	v_cmp_le_u32_e32 vcc, s33, v3
	s_cmp_eq_u32 s1, 0
	v_cndmask_b32_e64 v7, 0, -1, vcc
	s_cselect_b64 vcc, -1, 0
	v_cndmask_b32_e32 v7, -1, v7, vcc
	v_mov_b32_e32 v8, s1
	v_mov_b32_e32 v9, s2
	v_cmp_ne_u32_e32 vcc, 0, v7
	v_cndmask_b32_e32 v7, v8, v9, vcc
	v_cndmask_b32_e32 v6, v3, v6, vcc
	v_cmp_le_u32_e32 vcc, s33, v2
	s_cmp_eq_u32 s0, 0
	v_cndmask_b32_e64 v3, 0, -1, vcc
	s_cselect_b64 vcc, -1, 0
	v_cndmask_b32_e32 v3, -1, v3, vcc
	v_mov_b32_e32 v8, s0
	v_cmp_ne_u32_e32 vcc, 0, v3
	v_cndmask_b32_e32 v3, v8, v7, vcc
	v_cndmask_b32_e32 v2, v2, v6, vcc
	s_cbranch_execnz .LBB225_218
.LBB225_217:                            ;   in Loop: Header=BB225_31 Depth=1
	v_cvt_f32_u32_e32 v2, s33
	s_sub_i32 s0, 0, s33
	v_rcp_iflag_f32_e32 v2, v2
	v_mul_f32_e32 v2, 0x4f7ffffe, v2
	v_cvt_u32_f32_e32 v2, v2
	v_mul_lo_u32 v3, s0, v2
	v_mul_hi_u32 v3, v2, v3
	v_add_u32_e32 v2, v2, v3
	v_readlane_b32 s0, v61, 29
	v_mul_hi_u32 v2, s0, v2
	v_mul_lo_u32 v2, v2, s33
	v_sub_u32_e32 v2, s0, v2
	v_subrev_u32_e32 v3, s33, v2
	v_cmp_le_u32_e32 vcc, s33, v2
	v_cndmask_b32_e32 v2, v2, v3, vcc
	v_subrev_u32_e32 v3, s33, v2
	v_cmp_le_u32_e32 vcc, s33, v2
	v_cndmask_b32_e32 v14, v2, v3, vcc
	v_pk_mov_b32 v[2:3], v[14:15], v[14:15] op_sel:[0,1]
.LBB225_218:                            ;   in Loop: Header=BB225_31 Depth=1
	v_readlane_b32 s0, v61, 31
	v_readlane_b32 s1, v61, 32
	;; [unrolled: 1-line block ×3, first 2 shown]
	v_mov_b32_e32 v6, s1
	v_sub_co_u32_e32 v2, vcc, s0, v2
	v_subb_co_u32_e32 v3, vcc, v6, v3, vcc
	v_cmp_gt_u64_e32 vcc, v[2:3], v[0:1]
	s_mov_b64 s[6:7], 0
                                        ; implicit-def: $vgpr6
	s_and_saveexec_b64 s[0:1], vcc
	s_cbranch_execz .LBB225_227
; %bb.219:                              ;   in Loop: Header=BB225_31 Depth=1
	s_mov_b64 s[2:3], 0
	v_pk_mov_b32 v[6:7], v[26:27], v[26:27] op_sel:[0,1]
	v_pk_mov_b32 v[8:9], v[0:1], v[0:1] op_sel:[0,1]
                                        ; implicit-def: $sgpr52_sgpr53
	s_branch .LBB225_221
.LBB225_220:                            ;   in Loop: Header=BB225_221 Depth=2
	s_or_b64 exec, exec, s[6:7]
	s_waitcnt lgkmcnt(0)
	s_barrier
	s_waitcnt vmcnt(0)
	ds_read_b32 v14, v15 offset:3072
	v_add_co_u32_e64 v8, s[6:7], s33, v8
	s_waitcnt lgkmcnt(0)
	s_barrier
	v_and_b32_e32 v32, 0x7fff, v14
	v_cmp_ne_u16_e32 vcc, 0, v32
	v_mov_b32_e32 v32, s92
	v_addc_co_u32_e64 v9, s[6:7], v9, v32, s[6:7]
	v_cmp_ge_u64_e64 s[6:7], v[8:9], v[2:3]
	s_or_b64 s[66:67], s[6:7], vcc
	v_mov_b32_e32 v32, s65
	v_add_co_u32_e64 v6, s[6:7], s64, v6
	v_addc_co_u32_e64 v7, s[6:7], v7, v32, s[6:7]
	s_and_b64 s[6:7], exec, s[66:67]
	s_or_b64 s[2:3], s[6:7], s[2:3]
	s_andn2_b64 s[6:7], s[52:53], exec
	s_and_b64 s[52:53], vcc, exec
	s_or_b64 s[52:53], s[6:7], s[52:53]
	s_andn2_b64 exec, exec, s[2:3]
	s_cbranch_execz .LBB225_226
.LBB225_221:                            ;   Parent Loop BB225_31 Depth=1
                                        ; =>  This Inner Loop Header: Depth=2
	v_cmp_gt_u64_e32 vcc, s[60:61], v[8:9]
	v_mov_b32_e32 v14, 0
	s_and_saveexec_b64 s[6:7], vcc
	s_cbranch_execz .LBB225_223
; %bb.222:                              ;   in Loop: Header=BB225_221 Depth=2
	global_load_ushort v14, v[6:7], off
.LBB225_223:                            ;   in Loop: Header=BB225_221 Depth=2
	s_or_b64 exec, exec, s[6:7]
	s_and_saveexec_b64 s[6:7], vcc
	s_cbranch_execz .LBB225_220
; %bb.224:                              ;   in Loop: Header=BB225_221 Depth=2
	s_waitcnt vmcnt(0)
	v_cmp_lt_i16_e32 vcc, -1, v14
	v_cndmask_b32_e32 v32, v49, v50, vcc
	v_lshlrev_b32_e32 v33, 16, v14
	v_xor_b32_sdwa v32, v32, v14 dst_sel:DWORD dst_unused:UNUSED_PAD src0_sel:DWORD src1_sel:WORD_0
	v_cmp_o_f32_e32 vcc, v33, v33
	v_cndmask_b32_e32 v32, v49, v32, vcc
	v_and_b32_e32 v32, v32, v31
	v_cmp_eq_u32_e32 vcc, v32, v30
	s_and_b64 exec, exec, vcc
	s_cbranch_execz .LBB225_220
; %bb.225:                              ;   in Loop: Header=BB225_221 Depth=2
	s_movk_i32 s11, 0x3f80
	v_perm_b32 v14, v14, s11, v53
	ds_write_b32 v15, v14 offset:3072
	s_branch .LBB225_220
.LBB225_226:                            ;   in Loop: Header=BB225_31 Depth=1
	s_or_b64 exec, exec, s[2:3]
	v_lshrrev_b32_e32 v6, 16, v14
	s_and_b64 s[6:7], s[52:53], exec
.LBB225_227:                            ;   in Loop: Header=BB225_31 Depth=1
	s_or_b64 exec, exec, s[0:1]
	s_mov_b64 s[52:53], -1
	s_mov_b64 s[2:3], 0
	s_mov_b64 s[0:1], 0
.LBB225_228:                            ;   in Loop: Header=BB225_31 Depth=1
	s_orn2_b64 s[6:7], s[6:7], exec
	s_mov_b64 vcc, s[0:1]
.LBB225_229:                            ;   in Loop: Header=BB225_31 Depth=1
	s_or_b64 exec, exec, s[54:55]
	s_mov_b64 s[0:1], 0
                                        ; implicit-def: $vgpr7
	s_and_saveexec_b64 s[54:55], s[6:7]
	s_cbranch_execz .LBB225_294
; %bb.230:                              ;   in Loop: Header=BB225_31 Depth=1
	v_mov_b32_e32 v2, 1
	s_xor_b64 s[6:7], s[50:51], -1
	s_mov_b64 s[80:81], 0
	v_mov_b32_e32 v3, 0
	v_mov_b32_e32 v7, 1
	s_and_saveexec_b64 s[0:1], s[6:7]
	s_cbranch_execz .LBB225_240
; %bb.231:                              ;   in Loop: Header=BB225_31 Depth=1
	s_mov_b64 s[68:69], vcc
	v_cmp_ge_u64_e32 vcc, s[22:23], v[4:5]
                                        ; implicit-def: $sgpr11
                                        ; implicit-def: $sgpr6_sgpr7
	s_and_saveexec_b64 s[50:51], vcc
	s_xor_b64 s[50:51], exec, s[50:51]
	s_cbranch_execz .LBB225_237
; %bb.232:                              ;   in Loop: Header=BB225_31 Depth=1
	ds_read_b64 v[2:3], v15 offset:5120
	s_waitcnt lgkmcnt(0)
	v_cmp_ne_u64_e32 vcc, 0, v[2:3]
	s_cbranch_vccnz .LBB225_236
; %bb.233:                              ;   in Loop: Header=BB225_31 Depth=1
	s_mov_b64 s[6:7], exec
	v_readlane_b32 s66, v61, 10
	v_readlane_b32 s67, v61, 11
	s_and_b64 s[66:67], s[6:7], s[66:67]
	s_mov_b64 exec, s[66:67]
	s_cbranch_execz .LBB225_235
; %bb.234:                              ;   in Loop: Header=BB225_31 Depth=1
	v_pk_mov_b32 v[2:3], s[22:23], s[22:23] op_sel:[0,1]
	ds_write_b64 v15, v[2:3] offset:5128
.LBB225_235:                            ;   in Loop: Header=BB225_31 Depth=1
	s_or_b64 exec, exec, s[6:7]
	s_waitcnt lgkmcnt(0)
	s_barrier
.LBB225_236:                            ;   in Loop: Header=BB225_31 Depth=1
	v_and_b32_e32 v2, s94, v30
	v_lshl_or_b32 v30, 2, s95, v2
	v_or_b32_e32 v31, s86, v31
	s_mov_b64 s[6:7], 0
	s_mov_b32 s11, 8
.LBB225_237:                            ;   in Loop: Header=BB225_31 Depth=1
	s_or_saveexec_b64 s[50:51], s[50:51]
	v_mov_b32_e32 v7, s11
	s_xor_b64 exec, exec, s[50:51]
; %bb.238:                              ;   in Loop: Header=BB225_31 Depth=1
	v_mov_b32_e32 v2, s23
	v_subrev_co_u32_e32 v4, vcc, s22, v4
	v_subb_co_u32_e32 v5, vcc, v5, v2, vcc
	v_mov_b32_e32 v7, 0
	s_or_b64 s[6:7], s[6:7], exec
; %bb.239:                              ;   in Loop: Header=BB225_31 Depth=1
	s_or_b64 exec, exec, s[50:51]
	s_and_b64 s[80:81], s[6:7], exec
	v_pk_mov_b32 v[2:3], v[4:5], v[4:5] op_sel:[0,1]
	s_mov_b64 vcc, s[68:69]
.LBB225_240:                            ;   in Loop: Header=BB225_31 Depth=1
	s_or_b64 exec, exec, s[0:1]
	s_mov_b64 s[50:51], -1
                                        ; implicit-def: $sgpr0_sgpr1
                                        ; implicit-def: $sgpr66_sgpr67
                                        ; implicit-def: $sgpr6_sgpr7
	s_mov_b64 s[68:69], exec
	v_writelane_b32 v61, s68, 62
	v_writelane_b32 v61, s69, 63
	s_and_b64 s[68:69], s[68:69], s[80:81]
	s_mov_b64 exec, s[68:69]
	s_cbranch_execz .LBB225_293
; %bb.241:                              ;   in Loop: Header=BB225_31 Depth=1
                                        ; implicit-def: $vgpr60 : SGPR spill to VGPR lane
	s_cmp_eq_u64 s[24:25], 1
	v_writelane_b32 v60, vcc_lo, 0
	v_writelane_b32 v60, vcc_hi, 1
	s_cselect_b64 s[0:1], -1, 0
	v_cmp_eq_u64_e32 vcc, 1, v[2:3]
	s_mov_b64 s[80:81], -1
	s_and_b64 s[68:69], s[0:1], vcc
                                        ; implicit-def: $sgpr0_sgpr1
                                        ; implicit-def: $sgpr66_sgpr67
                                        ; implicit-def: $sgpr6_sgpr7
	s_mov_b64 s[50:51], exec
	v_writelane_b32 v60, s68, 2
	v_writelane_b32 v60, s69, 3
	s_and_b64 s[68:69], s[50:51], s[68:69]
	s_mov_b64 exec, s[68:69]
	s_cbranch_execz .LBB225_280
; %bb.242:                              ;   in Loop: Header=BB225_31 Depth=1
	ds_read_b64 v[4:5], v15 offset:5120
	s_waitcnt lgkmcnt(0)
	s_barrier
	v_readfirstlane_b32 s0, v4
	v_readfirstlane_b32 s1, v5
	s_mov_b64 s[6:7], exec
	v_readlane_b32 s66, v61, 24
	v_readlane_b32 s67, v61, 25
	s_and_b64 s[66:67], s[6:7], s[66:67]
	s_mov_b64 exec, s[66:67]
	s_cbranch_execz .LBB225_244
; %bb.243:                              ;   in Loop: Header=BB225_31 Depth=1
	ds_write_b16 v46, v15
.LBB225_244:                            ;   in Loop: Header=BB225_31 Depth=1
	s_or_b64 exec, exec, s[6:7]
	v_or_b32_e32 v30, s86, v30
	v_or_b32_e32 v31, s86, v31
	s_cmp_eq_u64 s[0:1], 0
	s_waitcnt lgkmcnt(0)
	s_barrier
	s_cbranch_scc1 .LBB225_249
; %bb.245:                              ;   in Loop: Header=BB225_31 Depth=1
	v_readlane_b32 s6, v61, 28
	s_add_u32 s11, s6, s0
	v_readlane_b32 s6, v61, 30
	s_addc_u32 s7, s6, s1
	s_mov_b32 s6, s87
	s_cmp_lg_u64 s[6:7], 0
	s_cbranch_scc0 .LBB225_250
; %bb.246:                              ;   in Loop: Header=BB225_31 Depth=1
	v_cvt_f32_u32_e32 v4, s33
	s_sub_u32 s6, 0, s33
	s_subb_u32 s66, 0, 0
	v_mac_f32_e32 v4, 0, v51
	v_rcp_f32_e32 v4, v4
	v_mul_f32_e32 v4, 0x5f7ffffc, v4
	v_mul_f32_e32 v5, 0x2f800000, v4
	v_trunc_f32_e32 v5, v5
	v_mac_f32_e32 v4, 0xcf800000, v5
	v_cvt_u32_f32_e32 v5, v5
	v_cvt_u32_f32_e32 v4, v4
	v_readfirstlane_b32 s67, v5
	v_readfirstlane_b32 s68, v4
	s_mul_i32 s69, s6, s67
	s_mul_hi_u32 s81, s6, s68
	s_mul_i32 s80, s66, s68
	s_add_i32 s69, s81, s69
	s_mul_i32 s88, s6, s68
	s_add_i32 s69, s69, s80
	s_mul_hi_u32 s81, s68, s88
	s_mul_hi_u32 s80, s68, s69
	s_mul_i32 s68, s68, s69
	s_add_u32 s68, s81, s68
	s_addc_u32 s80, 0, s80
	s_mul_hi_u32 s89, s67, s88
	s_mul_i32 s88, s67, s88
	s_add_u32 s68, s68, s88
	s_mul_hi_u32 s81, s67, s69
	s_addc_u32 s68, s80, s89
	s_addc_u32 s80, s81, 0
	s_mul_i32 s69, s67, s69
	s_add_u32 s68, s68, s69
	s_addc_u32 s69, 0, s80
	v_add_co_u32_e32 v4, vcc, s68, v4
	s_cmp_lg_u64 vcc, 0
	s_addc_u32 s67, s67, s69
	v_readfirstlane_b32 s69, v4
	s_mul_i32 s68, s6, s67
	s_mul_hi_u32 s80, s6, s69
	s_add_i32 s68, s80, s68
	s_mul_i32 s66, s66, s69
	s_add_i32 s68, s68, s66
	s_mul_i32 s6, s6, s69
	s_mul_hi_u32 s80, s67, s6
	s_mul_i32 s81, s67, s6
	s_mul_i32 s89, s69, s68
	s_mul_hi_u32 s6, s69, s6
	s_mul_hi_u32 s88, s69, s68
	s_add_u32 s6, s6, s89
	s_addc_u32 s69, 0, s88
	s_add_u32 s6, s6, s81
	s_mul_hi_u32 s66, s67, s68
	s_addc_u32 s6, s69, s80
	s_addc_u32 s66, s66, 0
	s_mul_i32 s68, s67, s68
	s_add_u32 s6, s6, s68
	s_addc_u32 s66, 0, s66
	v_add_co_u32_e32 v4, vcc, s6, v4
	s_cmp_lg_u64 vcc, 0
	s_addc_u32 s6, s67, s66
	v_readfirstlane_b32 s68, v4
	s_mul_i32 s67, s11, s6
	s_mul_hi_u32 s69, s11, s68
	s_mul_hi_u32 s66, s11, s6
	s_add_u32 s67, s69, s67
	s_addc_u32 s66, 0, s66
	s_mul_hi_u32 s80, s7, s68
	s_mul_i32 s68, s7, s68
	s_add_u32 s67, s67, s68
	s_mul_hi_u32 s69, s7, s6
	s_addc_u32 s66, s66, s80
	s_addc_u32 s67, s69, 0
	s_mul_i32 s6, s7, s6
	s_add_u32 s6, s66, s6
	s_addc_u32 s66, 0, s67
	s_mul_hi_u32 s67, s33, s6
	s_mul_i32 s6, s33, s6
	s_mul_i32 s66, s33, s66
	v_mov_b32_e32 v4, s6
	s_add_i32 s67, s67, s66
	v_sub_co_u32_e32 v4, vcc, s11, v4
	s_cmp_lg_u64 vcc, 0
	s_subb_u32 s6, s7, s67
	v_subrev_co_u32_e32 v5, vcc, s33, v4
	s_cmp_lg_u64 vcc, 0
	s_subb_u32 s66, s6, 0
	v_subrev_co_u32_e32 v6, vcc, s33, v5
	s_cmp_lg_u64 vcc, 0
	s_subb_u32 s67, s66, 0
	v_cmp_le_u32_e32 vcc, s33, v5
	s_cmp_eq_u32 s66, 0
	v_cndmask_b32_e64 v7, 0, -1, vcc
	s_cselect_b64 vcc, -1, 0
	v_cndmask_b32_e32 v7, -1, v7, vcc
	v_mov_b32_e32 v8, s66
	v_mov_b32_e32 v9, s67
	v_cmp_ne_u32_e32 vcc, 0, v7
	v_cndmask_b32_e32 v7, v8, v9, vcc
	v_cndmask_b32_e32 v6, v5, v6, vcc
	v_cmp_le_u32_e32 vcc, s33, v4
	s_cmp_eq_u32 s6, 0
	v_cndmask_b32_e64 v5, 0, -1, vcc
	s_cselect_b64 vcc, -1, 0
	v_cndmask_b32_e32 v5, -1, v5, vcc
	v_mov_b32_e32 v8, s6
	v_cmp_ne_u32_e32 vcc, 0, v5
	v_cndmask_b32_e32 v5, v8, v7, vcc
	v_cndmask_b32_e32 v4, v4, v6, vcc
	s_mov_b64 s[66:67], 0
	s_branch .LBB225_251
.LBB225_247:                            ;   in Loop: Header=BB225_31 Depth=1
                                        ; implicit-def: $vgpr2_vgpr3
	s_branch .LBB225_201
.LBB225_248:                            ;   in Loop: Header=BB225_31 Depth=1
                                        ; implicit-def: $vgpr2_vgpr3
	s_branch .LBB225_217
.LBB225_249:                            ;   in Loop: Header=BB225_31 Depth=1
	s_mov_b64 s[0:1], -1
	s_mov_b64 s[80:81], 0
                                        ; implicit-def: $sgpr6_sgpr7
                                        ; implicit-def: $vgpr6
	s_branch .LBB225_263
.LBB225_250:                            ;   in Loop: Header=BB225_31 Depth=1
	s_mov_b64 s[66:67], -1
                                        ; implicit-def: $vgpr4_vgpr5
.LBB225_251:                            ;   in Loop: Header=BB225_31 Depth=1
	s_andn2_b64 vcc, exec, s[66:67]
	s_cbranch_vccnz .LBB225_253
; %bb.252:                              ;   in Loop: Header=BB225_31 Depth=1
	v_cvt_f32_u32_e32 v4, s33
	s_sub_i32 s6, 0, s33
	v_rcp_iflag_f32_e32 v4, v4
	v_mul_f32_e32 v4, 0x4f7ffffe, v4
	v_cvt_u32_f32_e32 v4, v4
	v_mul_lo_u32 v5, s6, v4
	v_mul_hi_u32 v5, v4, v5
	v_add_u32_e32 v4, v4, v5
	v_mul_hi_u32 v4, s11, v4
	v_mul_lo_u32 v4, v4, s33
	v_sub_u32_e32 v4, s11, v4
	v_subrev_u32_e32 v5, s33, v4
	v_cmp_le_u32_e32 vcc, s33, v4
	v_cndmask_b32_e32 v4, v4, v5, vcc
	v_subrev_u32_e32 v5, s33, v4
	v_cmp_le_u32_e32 vcc, s33, v4
	v_cndmask_b32_e32 v14, v4, v5, vcc
	v_pk_mov_b32 v[4:5], v[14:15], v[14:15] op_sel:[0,1]
.LBB225_253:                            ;   in Loop: Header=BB225_31 Depth=1
	v_mov_b32_e32 v6, s7
	v_sub_co_u32_e32 v4, vcc, s11, v4
	v_subb_co_u32_e32 v5, vcc, v6, v5, vcc
	v_cmp_gt_u64_e32 vcc, v[4:5], v[0:1]
	s_mov_b64 s[80:81], 0
                                        ; implicit-def: $vgpr6
	s_and_saveexec_b64 s[66:67], vcc
	s_cbranch_execz .LBB225_262
; %bb.254:                              ;   in Loop: Header=BB225_31 Depth=1
	v_mov_b32_e32 v8, v45
	v_pk_mov_b32 v[6:7], v[0:1], v[0:1] op_sel:[0,1]
                                        ; implicit-def: $sgpr88_sgpr89
	s_branch .LBB225_256
.LBB225_255:                            ;   in Loop: Header=BB225_256 Depth=2
	s_or_b64 exec, exec, s[6:7]
	s_waitcnt lgkmcnt(0)
	s_barrier
	ds_read_b32 v9, v15 offset:3072
	v_add_co_u32_e64 v6, s[6:7], s33, v6
	v_add_u32_e32 v8, s10, v8
	s_waitcnt lgkmcnt(0)
	v_and_b32_e32 v14, 0x7fff, v9
	v_cmp_ne_u16_e32 vcc, 0, v14
	v_mov_b32_e32 v14, s92
	v_addc_co_u32_e64 v7, s[6:7], v7, v14, s[6:7]
	v_cmp_ge_u64_e64 s[6:7], v[6:7], v[4:5]
	s_or_b64 s[6:7], s[6:7], vcc
	s_and_b64 s[6:7], exec, s[6:7]
	s_or_b64 s[80:81], s[6:7], s[80:81]
	s_andn2_b64 s[6:7], s[88:89], exec
	s_and_b64 s[68:69], vcc, exec
	s_or_b64 s[88:89], s[6:7], s[68:69]
	s_barrier
	s_andn2_b64 exec, exec, s[80:81]
	s_cbranch_execz .LBB225_261
.LBB225_256:                            ;   Parent Loop BB225_31 Depth=1
                                        ; =>  This Inner Loop Header: Depth=2
	v_cmp_gt_u64_e32 vcc, s[0:1], v[6:7]
	v_mov_b32_e32 v9, 0
	s_and_saveexec_b64 s[6:7], vcc
	s_cbranch_execz .LBB225_258
; %bb.257:                              ;   in Loop: Header=BB225_256 Depth=2
	ds_read_u16 v9, v8
.LBB225_258:                            ;   in Loop: Header=BB225_256 Depth=2
	s_or_b64 exec, exec, s[6:7]
	s_and_saveexec_b64 s[6:7], vcc
	s_cbranch_execz .LBB225_255
; %bb.259:                              ;   in Loop: Header=BB225_256 Depth=2
	s_waitcnt lgkmcnt(0)
	v_cmp_lt_i16_e32 vcc, -1, v9
	v_cndmask_b32_e32 v14, v49, v50, vcc
	v_lshlrev_b32_e32 v32, 16, v9
	v_xor_b32_sdwa v14, v14, v9 dst_sel:DWORD dst_unused:UNUSED_PAD src0_sel:DWORD src1_sel:WORD_0
	v_cmp_o_f32_e32 vcc, v32, v32
	v_cndmask_b32_e32 v14, v49, v14, vcc
	v_and_b32_e32 v14, v14, v31
	v_cmp_eq_u32_e32 vcc, v14, v30
	s_and_b64 exec, exec, vcc
	s_cbranch_execz .LBB225_255
; %bb.260:                              ;   in Loop: Header=BB225_256 Depth=2
	s_movk_i32 s11, 0x3f80
	v_perm_b32 v9, v9, s11, v53
	ds_write_b32 v15, v9 offset:3072
	s_branch .LBB225_255
.LBB225_261:                            ;   in Loop: Header=BB225_31 Depth=1
	s_or_b64 exec, exec, s[80:81]
	v_lshrrev_b32_e32 v6, 16, v9
	s_and_b64 s[80:81], s[88:89], exec
.LBB225_262:                            ;   in Loop: Header=BB225_31 Depth=1
	s_or_b64 exec, exec, s[66:67]
	s_mov_b64 s[6:7], -1
	s_mov_b64 s[0:1], 0
.LBB225_263:                            ;   in Loop: Header=BB225_31 Depth=1
	s_and_b64 vcc, exec, s[0:1]
	s_mov_b64 s[66:67], s[0:1]
	s_cbranch_vccz .LBB225_279
; %bb.264:                              ;   in Loop: Header=BB225_31 Depth=1
	v_readlane_b32 s80, v61, 31
	v_readlane_b32 s81, v61, 32
	s_mov_b32 s80, s87
	s_cmp_lg_u64 s[80:81], 0
	v_writelane_b32 v61, s80, 31
	v_writelane_b32 v61, s81, 32
	s_cbranch_scc0 .LBB225_266
; %bb.265:                              ;   in Loop: Header=BB225_31 Depth=1
	v_cvt_f32_u32_e32 v4, s33
	s_sub_u32 s0, 0, s33
	s_subb_u32 s1, 0, 0
	v_mac_f32_e32 v4, 0, v51
	v_rcp_f32_e32 v4, v4
	v_mul_f32_e32 v4, 0x5f7ffffc, v4
	v_mul_f32_e32 v5, 0x2f800000, v4
	v_trunc_f32_e32 v5, v5
	v_mac_f32_e32 v4, 0xcf800000, v5
	v_cvt_u32_f32_e32 v5, v5
	v_cvt_u32_f32_e32 v4, v4
	v_readfirstlane_b32 s6, v5
	v_readfirstlane_b32 s7, v4
	s_mul_i32 s11, s0, s6
	s_mul_hi_u32 s67, s0, s7
	s_mul_i32 s66, s1, s7
	s_add_i32 s11, s67, s11
	s_mul_i32 s68, s0, s7
	s_add_i32 s11, s11, s66
	s_mul_hi_u32 s67, s7, s68
	s_mul_hi_u32 s66, s7, s11
	s_mul_i32 s7, s7, s11
	s_add_u32 s7, s67, s7
	s_addc_u32 s66, 0, s66
	s_mul_hi_u32 s69, s6, s68
	s_mul_i32 s68, s6, s68
	s_add_u32 s7, s7, s68
	s_mul_hi_u32 s67, s6, s11
	s_addc_u32 s7, s66, s69
	s_addc_u32 s66, s67, 0
	s_mul_i32 s11, s6, s11
	s_add_u32 s7, s7, s11
	s_addc_u32 s11, 0, s66
	v_add_co_u32_e32 v4, vcc, s7, v4
	s_cmp_lg_u64 vcc, 0
	s_addc_u32 s6, s6, s11
	v_readfirstlane_b32 s11, v4
	s_mul_i32 s7, s0, s6
	s_mul_hi_u32 s66, s0, s11
	s_add_i32 s7, s66, s7
	s_mul_i32 s1, s1, s11
	s_add_i32 s7, s7, s1
	s_mul_i32 s0, s0, s11
	s_mul_hi_u32 s66, s6, s0
	s_mul_i32 s67, s6, s0
	s_mul_i32 s69, s11, s7
	s_mul_hi_u32 s0, s11, s0
	s_mul_hi_u32 s68, s11, s7
	s_add_u32 s0, s0, s69
	s_addc_u32 s11, 0, s68
	s_add_u32 s0, s0, s67
	s_mul_hi_u32 s1, s6, s7
	s_addc_u32 s0, s11, s66
	s_addc_u32 s1, s1, 0
	s_mul_i32 s7, s6, s7
	s_add_u32 s0, s0, s7
	s_addc_u32 s1, 0, s1
	v_add_co_u32_e32 v4, vcc, s0, v4
	s_cmp_lg_u64 vcc, 0
	s_addc_u32 s0, s6, s1
	v_readlane_b32 s67, v61, 29
	v_readfirstlane_b32 s7, v4
	s_mul_i32 s6, s67, s0
	s_mul_hi_u32 s11, s67, s7
	s_mul_hi_u32 s1, s67, s0
	s_add_u32 s6, s11, s6
	s_addc_u32 s1, 0, s1
	s_mul_hi_u32 s66, s81, s7
	s_mul_i32 s7, s81, s7
	s_add_u32 s6, s6, s7
	s_mul_hi_u32 s11, s81, s0
	s_addc_u32 s1, s1, s66
	s_addc_u32 s6, s11, 0
	s_mul_i32 s0, s81, s0
	s_add_u32 s0, s1, s0
	s_addc_u32 s1, 0, s6
	s_mul_hi_u32 s6, s33, s0
	s_mul_i32 s0, s33, s0
	s_mul_i32 s1, s33, s1
	v_mov_b32_e32 v4, s0
	s_add_i32 s6, s6, s1
	v_sub_co_u32_e32 v4, vcc, s67, v4
	s_cmp_lg_u64 vcc, 0
	s_subb_u32 s0, s81, s6
	v_subrev_co_u32_e32 v5, vcc, s33, v4
	s_cmp_lg_u64 vcc, 0
	s_subb_u32 s1, s0, 0
	v_subrev_co_u32_e32 v6, vcc, s33, v5
	s_cmp_lg_u64 vcc, 0
	s_subb_u32 s6, s1, 0
	v_cmp_le_u32_e32 vcc, s33, v5
	s_cmp_eq_u32 s1, 0
	v_cndmask_b32_e64 v7, 0, -1, vcc
	s_cselect_b64 vcc, -1, 0
	v_cndmask_b32_e32 v7, -1, v7, vcc
	v_mov_b32_e32 v8, s1
	v_mov_b32_e32 v9, s6
	v_cmp_ne_u32_e32 vcc, 0, v7
	v_cndmask_b32_e32 v7, v8, v9, vcc
	v_cndmask_b32_e32 v6, v5, v6, vcc
	v_cmp_le_u32_e32 vcc, s33, v4
	s_cmp_eq_u32 s0, 0
	v_cndmask_b32_e64 v5, 0, -1, vcc
	s_cselect_b64 vcc, -1, 0
	v_cndmask_b32_e32 v5, -1, v5, vcc
	v_mov_b32_e32 v8, s0
	v_cmp_ne_u32_e32 vcc, 0, v5
	v_cndmask_b32_e32 v5, v8, v7, vcc
	v_cndmask_b32_e32 v4, v4, v6, vcc
	s_mov_b64 s[0:1], 0
	s_branch .LBB225_267
.LBB225_266:                            ;   in Loop: Header=BB225_31 Depth=1
	s_mov_b64 s[0:1], -1
                                        ; implicit-def: $vgpr4_vgpr5
.LBB225_267:                            ;   in Loop: Header=BB225_31 Depth=1
	s_andn2_b64 vcc, exec, s[0:1]
	s_cbranch_vccnz .LBB225_269
; %bb.268:                              ;   in Loop: Header=BB225_31 Depth=1
	v_cvt_f32_u32_e32 v4, s33
	s_sub_i32 s0, 0, s33
	v_rcp_iflag_f32_e32 v4, v4
	v_mul_f32_e32 v4, 0x4f7ffffe, v4
	v_cvt_u32_f32_e32 v4, v4
	v_mul_lo_u32 v5, s0, v4
	v_mul_hi_u32 v5, v4, v5
	v_add_u32_e32 v4, v4, v5
	v_readlane_b32 s0, v61, 29
	v_mul_hi_u32 v4, s0, v4
	v_mul_lo_u32 v4, v4, s33
	v_sub_u32_e32 v4, s0, v4
	v_subrev_u32_e32 v5, s33, v4
	v_cmp_le_u32_e32 vcc, s33, v4
	v_cndmask_b32_e32 v4, v4, v5, vcc
	v_subrev_u32_e32 v5, s33, v4
	v_cmp_le_u32_e32 vcc, s33, v4
	v_cndmask_b32_e32 v14, v4, v5, vcc
	v_pk_mov_b32 v[4:5], v[14:15], v[14:15] op_sel:[0,1]
.LBB225_269:                            ;   in Loop: Header=BB225_31 Depth=1
	v_readlane_b32 s0, v61, 31
	v_readlane_b32 s1, v61, 32
	;; [unrolled: 1-line block ×3, first 2 shown]
	v_mov_b32_e32 v6, s1
	v_sub_co_u32_e32 v4, vcc, s0, v4
	v_subb_co_u32_e32 v5, vcc, v6, v5, vcc
	v_cmp_gt_u64_e32 vcc, v[4:5], v[0:1]
	s_mov_b64 s[80:81], 0
                                        ; implicit-def: $vgpr6
	s_and_saveexec_b64 s[0:1], vcc
	s_cbranch_execz .LBB225_278
; %bb.270:                              ;   in Loop: Header=BB225_31 Depth=1
	s_mov_b64 s[66:67], 0
	v_pk_mov_b32 v[6:7], v[26:27], v[26:27] op_sel:[0,1]
	v_pk_mov_b32 v[8:9], v[0:1], v[0:1] op_sel:[0,1]
                                        ; implicit-def: $sgpr80_sgpr81
	s_branch .LBB225_272
.LBB225_271:                            ;   in Loop: Header=BB225_272 Depth=2
	s_or_b64 exec, exec, s[6:7]
	s_waitcnt lgkmcnt(0)
	s_barrier
	s_waitcnt vmcnt(0)
	ds_read_b32 v14, v15 offset:3072
	v_add_co_u32_e64 v8, s[6:7], s33, v8
	s_waitcnt lgkmcnt(0)
	s_barrier
	v_and_b32_e32 v32, 0x7fff, v14
	v_cmp_ne_u16_e32 vcc, 0, v32
	v_mov_b32_e32 v32, s92
	v_addc_co_u32_e64 v9, s[6:7], v9, v32, s[6:7]
	v_cmp_ge_u64_e64 s[6:7], v[8:9], v[4:5]
	s_or_b64 s[68:69], s[6:7], vcc
	v_mov_b32_e32 v32, s65
	v_add_co_u32_e64 v6, s[6:7], s64, v6
	v_addc_co_u32_e64 v7, s[6:7], v7, v32, s[6:7]
	s_and_b64 s[6:7], exec, s[68:69]
	s_or_b64 s[66:67], s[6:7], s[66:67]
	s_andn2_b64 s[6:7], s[80:81], exec
	s_and_b64 s[68:69], vcc, exec
	s_or_b64 s[80:81], s[6:7], s[68:69]
	s_andn2_b64 exec, exec, s[66:67]
	s_cbranch_execz .LBB225_277
.LBB225_272:                            ;   Parent Loop BB225_31 Depth=1
                                        ; =>  This Inner Loop Header: Depth=2
	v_cmp_gt_u64_e32 vcc, s[60:61], v[8:9]
	v_mov_b32_e32 v14, 0
	s_and_saveexec_b64 s[6:7], vcc
	s_cbranch_execz .LBB225_274
; %bb.273:                              ;   in Loop: Header=BB225_272 Depth=2
	global_load_ushort v14, v[6:7], off
.LBB225_274:                            ;   in Loop: Header=BB225_272 Depth=2
	s_or_b64 exec, exec, s[6:7]
	s_and_saveexec_b64 s[6:7], vcc
	s_cbranch_execz .LBB225_271
; %bb.275:                              ;   in Loop: Header=BB225_272 Depth=2
	s_waitcnt vmcnt(0)
	v_cmp_lt_i16_e32 vcc, -1, v14
	v_cndmask_b32_e32 v32, v49, v50, vcc
	v_lshlrev_b32_e32 v33, 16, v14
	v_xor_b32_sdwa v32, v32, v14 dst_sel:DWORD dst_unused:UNUSED_PAD src0_sel:DWORD src1_sel:WORD_0
	v_cmp_o_f32_e32 vcc, v33, v33
	v_cndmask_b32_e32 v32, v49, v32, vcc
	v_and_b32_e32 v32, v32, v31
	v_cmp_eq_u32_e32 vcc, v32, v30
	s_and_b64 exec, exec, vcc
	s_cbranch_execz .LBB225_271
; %bb.276:                              ;   in Loop: Header=BB225_272 Depth=2
	s_movk_i32 s11, 0x3f80
	v_perm_b32 v14, v14, s11, v53
	ds_write_b32 v15, v14 offset:3072
	s_branch .LBB225_271
.LBB225_277:                            ;   in Loop: Header=BB225_31 Depth=1
	s_or_b64 exec, exec, s[66:67]
	v_lshrrev_b32_e32 v6, 16, v14
	s_and_b64 s[80:81], s[80:81], exec
.LBB225_278:                            ;   in Loop: Header=BB225_31 Depth=1
	s_or_b64 exec, exec, s[0:1]
	s_mov_b64 s[66:67], -1
	s_mov_b64 s[0:1], 0
	s_mov_b64 s[6:7], 0
.LBB225_279:                            ;   in Loop: Header=BB225_31 Depth=1
	s_orn2_b64 s[80:81], s[80:81], exec
.LBB225_280:                            ;   in Loop: Header=BB225_31 Depth=1
	s_or_b64 exec, exec, s[50:51]
	s_mov_b64 s[88:89], 0
                                        ; implicit-def: $vgpr7
                                        ; implicit-def: $vgpr4_vgpr5
	s_and_saveexec_b64 s[50:51], s[80:81]
	v_readlane_b32 vcc_lo, v60, 0
	v_readlane_b32 vcc_hi, v60, 1
	s_cbranch_execz .LBB225_292
; %bb.281:                              ;   in Loop: Header=BB225_31 Depth=1
	v_readlane_b32 s68, v60, 2
	v_readlane_b32 s69, v60, 3
	v_mov_b32_e32 v4, 1
	s_xor_b64 s[68:69], s[68:69], -1
	v_mov_b32_e32 v7, 1
	v_mov_b32_e32 v5, 0
	s_and_saveexec_b64 s[80:81], s[68:69]
	s_cbranch_execz .LBB225_291
; %bb.282:                              ;   in Loop: Header=BB225_31 Depth=1
	v_cmp_ge_u64_e32 vcc, s[24:25], v[2:3]
                                        ; implicit-def: $sgpr11
	s_and_saveexec_b64 s[68:69], vcc
	s_xor_b64 s[88:89], exec, s[68:69]
	s_cbranch_execz .LBB225_288
; %bb.283:                              ;   in Loop: Header=BB225_31 Depth=1
	ds_read_b64 v[4:5], v15 offset:5120
	s_waitcnt lgkmcnt(0)
	v_cmp_ne_u64_e32 vcc, 0, v[4:5]
	s_cbranch_vccnz .LBB225_287
; %bb.284:                              ;   in Loop: Header=BB225_31 Depth=1
	s_mov_b64 s[90:91], exec
	v_readlane_b32 s68, v61, 10
	v_readlane_b32 s69, v61, 11
	s_and_b64 s[68:69], s[90:91], s[68:69]
	s_mov_b64 exec, s[68:69]
	s_cbranch_execz .LBB225_286
; %bb.285:                              ;   in Loop: Header=BB225_31 Depth=1
	v_pk_mov_b32 v[4:5], s[24:25], s[24:25] op_sel:[0,1]
	ds_write_b64 v15, v[4:5] offset:5128
.LBB225_286:                            ;   in Loop: Header=BB225_31 Depth=1
	s_or_b64 exec, exec, s[90:91]
	s_waitcnt lgkmcnt(0)
	s_barrier
.LBB225_287:                            ;   in Loop: Header=BB225_31 Depth=1
	v_or_b32_e32 v30, s86, v30
	v_or_b32_e32 v31, s86, v31
	s_mov_b32 s11, 8
.LBB225_288:                            ;   in Loop: Header=BB225_31 Depth=1
	s_or_saveexec_b64 s[88:89], s[88:89]
	v_mov_b32_e32 v7, s11
	s_xor_b64 exec, exec, s[88:89]
; %bb.289:                              ;   in Loop: Header=BB225_31 Depth=1
	v_mov_b32_e32 v4, s25
	v_subrev_co_u32_e32 v2, vcc, s24, v2
	v_subb_co_u32_e32 v3, vcc, v3, v4, vcc
	v_mov_b32_e32 v7, 8
; %bb.290:                              ;   in Loop: Header=BB225_31 Depth=1
	s_or_b64 exec, exec, s[88:89]
	v_readlane_b32 s90, v61, 52
	v_readlane_b32 vcc_lo, v60, 0
	v_pk_mov_b32 v[4:5], v[2:3], v[2:3] op_sel:[0,1]
	v_readlane_b32 s91, v61, 53
	v_readlane_b32 vcc_hi, v60, 1
.LBB225_291:                            ;   in Loop: Header=BB225_31 Depth=1
	s_or_b64 exec, exec, s[80:81]
	s_mov_b64 s[88:89], exec
.LBB225_292:                            ;   in Loop: Header=BB225_31 Depth=1
	s_or_b64 exec, exec, s[50:51]
	s_orn2_b64 s[50:51], s[88:89], exec
	v_pk_mov_b32 v[2:3], v[4:5], v[4:5] op_sel:[0,1]
.LBB225_293:                            ;   in Loop: Header=BB225_31 Depth=1
	v_readlane_b32 s68, v61, 62
	v_readlane_b32 s69, v61, 63
	s_or_b64 exec, exec, s[68:69]
	s_andn2_b64 s[2:3], s[2:3], exec
	s_and_b64 s[0:1], s[0:1], exec
	s_or_b64 s[2:3], s[2:3], s[0:1]
	s_andn2_b64 s[0:1], s[52:53], exec
	s_and_b64 s[52:53], s[66:67], exec
	s_or_b64 s[52:53], s[0:1], s[52:53]
	s_andn2_b64 s[0:1], vcc, exec
	s_and_b64 s[6:7], s[6:7], exec
	s_or_b64 vcc, s[0:1], s[6:7]
	s_and_b64 s[0:1], s[50:51], exec
	v_pk_mov_b32 v[4:5], v[2:3], v[2:3] op_sel:[0,1]
.LBB225_294:                            ;   in Loop: Header=BB225_31 Depth=1
	s_or_b64 exec, exec, s[54:55]
	s_and_b64 s[50:51], s[2:3], exec
	s_and_b64 s[6:7], s[52:53], exec
	s_and_b64 s[2:3], vcc, exec
	s_orn2_b64 s[0:1], s[0:1], exec
.LBB225_295:                            ;   in Loop: Header=BB225_31 Depth=1
	s_or_b64 exec, exec, s[48:49]
	s_andn2_b64 s[44:45], s[44:45], exec
	s_and_b64 s[6:7], s[6:7], exec
	s_andn2_b64 s[28:29], s[28:29], exec
	s_and_b64 s[48:49], s[50:51], exec
	s_or_b64 s[44:45], s[44:45], s[6:7]
	s_andn2_b64 s[6:7], s[42:43], exec
	s_and_b64 s[2:3], s[2:3], exec
	s_or_b64 s[28:29], s[28:29], s[48:49]
	s_or_b64 s[42:43], s[6:7], s[2:3]
	s_and_b64 s[6:7], s[0:1], exec
	v_pk_mov_b32 v[2:3], v[4:5], v[4:5] op_sel:[0,1]
.LBB225_296:                            ;   in Loop: Header=BB225_31 Depth=1
	s_or_b64 exec, exec, s[46:47]
	s_and_b64 s[28:29], s[28:29], exec
	s_and_b64 s[2:3], s[44:45], exec
	;; [unrolled: 1-line block ×3, first 2 shown]
	s_orn2_b64 s[42:43], s[6:7], exec
.LBB225_297:                            ;   in Loop: Header=BB225_31 Depth=1
	s_or_b64 exec, exec, s[26:27]
	s_mov_b64 s[6:7], 0
	s_mov_b64 s[26:27], 0
	s_and_saveexec_b64 s[44:45], s[42:43]
	s_xor_b64 s[42:43], exec, s[44:45]
; %bb.298:                              ;   in Loop: Header=BB225_31 Depth=1
	v_cmp_eq_u32_e32 vcc, 8, v7
	v_cmp_ne_u32_e64 s[6:7], 8, v7
	s_andn2_b64 s[28:29], s[28:29], exec
	s_andn2_b64 s[2:3], s[2:3], exec
	;; [unrolled: 1-line block ×3, first 2 shown]
	s_and_b64 s[26:27], s[6:7], exec
	s_and_b64 s[6:7], vcc, exec
; %bb.299:                              ;   in Loop: Header=BB225_31 Depth=1
	s_or_b64 exec, exec, s[42:43]
	s_andn2_b64 s[20:21], s[20:21], exec
	s_and_b64 s[28:29], s[28:29], exec
	s_or_b64 s[20:21], s[20:21], s[28:29]
	s_andn2_b64 s[28:29], s[36:37], exec
	s_and_b64 s[2:3], s[2:3], exec
	s_or_b64 s[36:37], s[28:29], s[2:3]
	;; [unrolled: 3-line block ×3, first 2 shown]
	s_and_b64 s[26:27], s[26:27], exec
	s_and_b64 s[28:29], s[6:7], exec
.LBB225_300:                            ;   in Loop: Header=BB225_31 Depth=1
	s_or_b64 exec, exec, s[40:41]
	s_and_b64 vcc, exec, s[38:39]
	s_cbranch_vccz .LBB225_116
.LBB225_301:                            ;   in Loop: Header=BB225_31 Depth=1
	s_cmp_eq_u64 s[24:25], 1
	s_cselect_b64 s[0:1], -1, 0
	s_and_b64 s[2:3], s[0:1], s[14:15]
	s_mov_b64 s[0:1], -1
                                        ; implicit-def: $sgpr14_sgpr15
                                        ; implicit-def: $sgpr38_sgpr39
                                        ; implicit-def: $sgpr20_sgpr21
	s_and_saveexec_b64 s[34:35], s[2:3]
	s_cbranch_execz .LBB225_333
; %bb.302:                              ;   in Loop: Header=BB225_31 Depth=1
	ds_read_b64 v[2:3], v15 offset:5120
	s_waitcnt lgkmcnt(0)
	s_barrier
	v_readfirstlane_b32 s0, v2
	v_readfirstlane_b32 s1, v3
	s_mov_b64 s[6:7], exec
	v_readlane_b32 s14, v61, 24
	v_readlane_b32 s15, v61, 25
	s_and_b64 s[14:15], s[6:7], s[14:15]
	s_mov_b64 exec, s[14:15]
	s_cbranch_execz .LBB225_304
; %bb.303:                              ;   in Loop: Header=BB225_31 Depth=1
	ds_write_b16 v46, v15
.LBB225_304:                            ;   in Loop: Header=BB225_31 Depth=1
	s_or_b64 exec, exec, s[6:7]
	v_or_b32_e32 v55, s86, v55
	v_or_b32_e32 v54, s86, v54
	s_cmp_eq_u64 s[0:1], 0
	s_waitcnt lgkmcnt(0)
	s_barrier
	s_cbranch_scc1 .LBB225_316
; %bb.305:                              ;   in Loop: Header=BB225_31 Depth=1
	v_readlane_b32 s6, v61, 28
	s_add_u32 s11, s6, s0
	v_readlane_b32 s6, v61, 30
	s_addc_u32 s7, s6, s1
	s_mov_b32 s6, s87
	s_cmp_lg_u64 s[6:7], 0
	s_cbranch_scc0 .LBB225_360
; %bb.306:                              ;   in Loop: Header=BB225_31 Depth=1
	v_cvt_f32_u32_e32 v2, s33
	s_sub_u32 s6, 0, s33
	s_subb_u32 s14, 0, 0
	v_mac_f32_e32 v2, 0, v51
	v_rcp_f32_e32 v2, v2
	v_mul_f32_e32 v2, 0x5f7ffffc, v2
	v_mul_f32_e32 v3, 0x2f800000, v2
	v_trunc_f32_e32 v3, v3
	v_mac_f32_e32 v2, 0xcf800000, v3
	v_cvt_u32_f32_e32 v3, v3
	v_cvt_u32_f32_e32 v2, v2
	v_readfirstlane_b32 s15, v3
	v_readfirstlane_b32 s20, v2
	s_mul_i32 s21, s6, s15
	s_mul_hi_u32 s37, s6, s20
	s_mul_i32 s36, s14, s20
	s_add_i32 s21, s37, s21
	s_mul_i32 s38, s6, s20
	s_add_i32 s21, s21, s36
	s_mul_hi_u32 s37, s20, s38
	s_mul_hi_u32 s36, s20, s21
	s_mul_i32 s20, s20, s21
	s_add_u32 s20, s37, s20
	s_addc_u32 s36, 0, s36
	s_mul_hi_u32 s39, s15, s38
	s_mul_i32 s38, s15, s38
	s_add_u32 s20, s20, s38
	s_mul_hi_u32 s37, s15, s21
	s_addc_u32 s20, s36, s39
	s_addc_u32 s36, s37, 0
	s_mul_i32 s21, s15, s21
	s_add_u32 s20, s20, s21
	s_addc_u32 s21, 0, s36
	v_add_co_u32_e32 v2, vcc, s20, v2
	s_cmp_lg_u64 vcc, 0
	s_addc_u32 s15, s15, s21
	v_readfirstlane_b32 s21, v2
	s_mul_i32 s20, s6, s15
	s_mul_hi_u32 s36, s6, s21
	s_add_i32 s20, s36, s20
	s_mul_i32 s14, s14, s21
	s_add_i32 s20, s20, s14
	s_mul_i32 s6, s6, s21
	s_mul_hi_u32 s36, s15, s6
	s_mul_i32 s37, s15, s6
	s_mul_i32 s39, s21, s20
	s_mul_hi_u32 s6, s21, s6
	s_mul_hi_u32 s38, s21, s20
	s_add_u32 s6, s6, s39
	s_addc_u32 s21, 0, s38
	s_add_u32 s6, s6, s37
	s_mul_hi_u32 s14, s15, s20
	s_addc_u32 s6, s21, s36
	s_addc_u32 s14, s14, 0
	s_mul_i32 s20, s15, s20
	s_add_u32 s6, s6, s20
	s_addc_u32 s14, 0, s14
	v_add_co_u32_e32 v2, vcc, s6, v2
	s_cmp_lg_u64 vcc, 0
	s_addc_u32 s6, s15, s14
	v_readfirstlane_b32 s20, v2
	s_mul_i32 s15, s11, s6
	s_mul_hi_u32 s21, s11, s20
	s_mul_hi_u32 s14, s11, s6
	s_add_u32 s15, s21, s15
	s_addc_u32 s14, 0, s14
	s_mul_hi_u32 s36, s7, s20
	s_mul_i32 s20, s7, s20
	s_add_u32 s15, s15, s20
	s_mul_hi_u32 s21, s7, s6
	s_addc_u32 s14, s14, s36
	s_addc_u32 s15, s21, 0
	s_mul_i32 s6, s7, s6
	s_add_u32 s6, s14, s6
	s_addc_u32 s14, 0, s15
	s_mul_hi_u32 s15, s33, s6
	s_mul_i32 s6, s33, s6
	s_mul_i32 s14, s33, s14
	v_mov_b32_e32 v2, s6
	s_add_i32 s15, s15, s14
	v_sub_co_u32_e32 v2, vcc, s11, v2
	s_cmp_lg_u64 vcc, 0
	s_subb_u32 s6, s7, s15
	v_subrev_co_u32_e32 v3, vcc, s33, v2
	s_cmp_lg_u64 vcc, 0
	s_subb_u32 s14, s6, 0
	v_subrev_co_u32_e32 v4, vcc, s33, v3
	s_cmp_lg_u64 vcc, 0
	s_subb_u32 s15, s14, 0
	v_cmp_le_u32_e32 vcc, s33, v3
	s_cmp_eq_u32 s14, 0
	v_cndmask_b32_e64 v5, 0, -1, vcc
	s_cselect_b64 vcc, -1, 0
	v_cndmask_b32_e32 v5, -1, v5, vcc
	v_mov_b32_e32 v6, s14
	v_mov_b32_e32 v7, s15
	v_cmp_ne_u32_e32 vcc, 0, v5
	v_cndmask_b32_e32 v5, v6, v7, vcc
	v_cndmask_b32_e32 v4, v3, v4, vcc
	v_cmp_le_u32_e32 vcc, s33, v2
	s_cmp_eq_u32 s6, 0
	v_cndmask_b32_e64 v3, 0, -1, vcc
	s_cselect_b64 vcc, -1, 0
	v_cndmask_b32_e32 v3, -1, v3, vcc
	v_mov_b32_e32 v6, s6
	v_cmp_ne_u32_e32 vcc, 0, v3
	v_cndmask_b32_e32 v3, v6, v5, vcc
	v_cndmask_b32_e32 v2, v2, v4, vcc
	s_cbranch_execnz .LBB225_308
.LBB225_307:                            ;   in Loop: Header=BB225_31 Depth=1
	v_cvt_f32_u32_e32 v2, s33
	s_sub_i32 s6, 0, s33
	v_rcp_iflag_f32_e32 v2, v2
	v_mul_f32_e32 v2, 0x4f7ffffe, v2
	v_cvt_u32_f32_e32 v2, v2
	v_mul_lo_u32 v3, s6, v2
	v_mul_hi_u32 v3, v2, v3
	v_add_u32_e32 v2, v2, v3
	v_mul_hi_u32 v2, s11, v2
	v_mul_lo_u32 v2, v2, s33
	v_sub_u32_e32 v2, s11, v2
	v_subrev_u32_e32 v3, s33, v2
	v_cmp_le_u32_e32 vcc, s33, v2
	v_cndmask_b32_e32 v2, v2, v3, vcc
	v_subrev_u32_e32 v3, s33, v2
	v_cmp_le_u32_e32 vcc, s33, v2
	v_cndmask_b32_e32 v14, v2, v3, vcc
	v_pk_mov_b32 v[2:3], v[14:15], v[14:15] op_sel:[0,1]
.LBB225_308:                            ;   in Loop: Header=BB225_31 Depth=1
	v_mov_b32_e32 v4, s7
	v_sub_co_u32_e32 v2, vcc, s11, v2
	v_subb_co_u32_e32 v3, vcc, v4, v3, vcc
	v_cmp_gt_u64_e32 vcc, v[2:3], v[0:1]
	s_mov_b64 s[6:7], 0
                                        ; implicit-def: $vgpr56
	s_and_saveexec_b64 s[14:15], vcc
	s_cbranch_execz .LBB225_318
; %bb.309:                              ;   in Loop: Header=BB225_31 Depth=1
	s_mov_b64 s[20:21], 0
	v_mov_b32_e32 v6, v45
	v_pk_mov_b32 v[4:5], v[0:1], v[0:1] op_sel:[0,1]
                                        ; implicit-def: $sgpr36_sgpr37
	s_branch .LBB225_311
.LBB225_310:                            ;   in Loop: Header=BB225_311 Depth=2
	s_or_b64 exec, exec, s[6:7]
	s_waitcnt lgkmcnt(0)
	s_barrier
	ds_read_b32 v7, v15 offset:3072
	v_add_co_u32_e64 v4, s[6:7], s33, v4
	v_add_u32_e32 v6, s10, v6
	s_waitcnt lgkmcnt(0)
	v_and_b32_e32 v8, 0x7fff, v7
	v_cmp_ne_u16_e32 vcc, 0, v8
	v_mov_b32_e32 v8, s92
	v_addc_co_u32_e64 v5, s[6:7], v5, v8, s[6:7]
	v_cmp_ge_u64_e64 s[6:7], v[4:5], v[2:3]
	s_or_b64 s[6:7], s[6:7], vcc
	s_and_b64 s[6:7], exec, s[6:7]
	s_or_b64 s[20:21], s[6:7], s[20:21]
	s_andn2_b64 s[6:7], s[36:37], exec
	s_and_b64 s[36:37], vcc, exec
	s_or_b64 s[36:37], s[6:7], s[36:37]
	s_barrier
	s_andn2_b64 exec, exec, s[20:21]
	s_cbranch_execz .LBB225_317
.LBB225_311:                            ;   Parent Loop BB225_31 Depth=1
                                        ; =>  This Inner Loop Header: Depth=2
	v_cmp_gt_u64_e32 vcc, s[0:1], v[4:5]
	v_mov_b32_e32 v7, 0
	s_and_saveexec_b64 s[6:7], vcc
	s_cbranch_execz .LBB225_313
; %bb.312:                              ;   in Loop: Header=BB225_311 Depth=2
	ds_read_u16 v7, v6
.LBB225_313:                            ;   in Loop: Header=BB225_311 Depth=2
	s_or_b64 exec, exec, s[6:7]
	s_and_saveexec_b64 s[6:7], vcc
	s_cbranch_execz .LBB225_310
; %bb.314:                              ;   in Loop: Header=BB225_311 Depth=2
	s_waitcnt lgkmcnt(0)
	v_cmp_lt_i16_e32 vcc, -1, v7
	v_cndmask_b32_e32 v8, v49, v50, vcc
	v_lshlrev_b32_e32 v9, 16, v7
	v_xor_b32_sdwa v8, v8, v7 dst_sel:DWORD dst_unused:UNUSED_PAD src0_sel:DWORD src1_sel:WORD_0
	v_cmp_o_f32_e32 vcc, v9, v9
	v_cndmask_b32_e32 v8, v49, v8, vcc
	v_and_b32_e32 v8, v8, v54
	v_cmp_eq_u32_e32 vcc, v8, v55
	s_and_b64 exec, exec, vcc
	s_cbranch_execz .LBB225_310
; %bb.315:                              ;   in Loop: Header=BB225_311 Depth=2
	s_movk_i32 s11, 0x3f80
	v_perm_b32 v7, v7, s11, v53
	ds_write_b32 v15, v7 offset:3072
	s_branch .LBB225_310
.LBB225_316:                            ;   in Loop: Header=BB225_31 Depth=1
	s_mov_b64 s[14:15], -1
	s_mov_b64 s[6:7], 0
                                        ; implicit-def: $sgpr38_sgpr39
                                        ; implicit-def: $vgpr56
	s_mov_b64 s[20:21], s[14:15]
	s_cbranch_execnz .LBB225_319
	s_branch .LBB225_332
.LBB225_317:                            ;   in Loop: Header=BB225_31 Depth=1
	s_or_b64 exec, exec, s[20:21]
	v_lshrrev_b32_e32 v56, 16, v7
	s_and_b64 s[6:7], s[36:37], exec
.LBB225_318:                            ;   in Loop: Header=BB225_31 Depth=1
	s_or_b64 exec, exec, s[14:15]
	s_mov_b64 s[14:15], 0
	s_mov_b64 s[38:39], -1
	s_mov_b64 s[20:21], s[14:15]
	s_branch .LBB225_332
.LBB225_319:                            ;   in Loop: Header=BB225_31 Depth=1
	v_readlane_b32 s6, v61, 31
	v_readlane_b32 s7, v61, 32
	s_mov_b32 s6, s87
	s_mov_b32 s1, s7
	s_cmp_lg_u64 s[6:7], 0
	v_writelane_b32 v61, s0, 31
	v_writelane_b32 v61, s1, 32
	s_cbranch_scc0 .LBB225_361
; %bb.320:                              ;   in Loop: Header=BB225_31 Depth=1
	v_cvt_f32_u32_e32 v2, s33
	s_sub_u32 s0, 0, s33
	s_subb_u32 s1, 0, 0
	v_mac_f32_e32 v2, 0, v51
	v_rcp_f32_e32 v2, v2
	v_mul_f32_e32 v2, 0x5f7ffffc, v2
	v_mul_f32_e32 v3, 0x2f800000, v2
	v_trunc_f32_e32 v3, v3
	v_mac_f32_e32 v2, 0xcf800000, v3
	v_cvt_u32_f32_e32 v3, v3
	v_cvt_u32_f32_e32 v2, v2
	v_readfirstlane_b32 s6, v3
	v_readfirstlane_b32 s7, v2
	s_mul_i32 s11, s0, s6
	s_mul_hi_u32 s15, s0, s7
	s_mul_i32 s14, s1, s7
	s_add_i32 s11, s15, s11
	s_mul_i32 s20, s0, s7
	s_add_i32 s11, s11, s14
	s_mul_hi_u32 s15, s7, s20
	s_mul_hi_u32 s14, s7, s11
	s_mul_i32 s7, s7, s11
	s_add_u32 s7, s15, s7
	s_addc_u32 s14, 0, s14
	s_mul_hi_u32 s21, s6, s20
	s_mul_i32 s20, s6, s20
	s_add_u32 s7, s7, s20
	s_mul_hi_u32 s15, s6, s11
	s_addc_u32 s7, s14, s21
	s_addc_u32 s14, s15, 0
	s_mul_i32 s11, s6, s11
	s_add_u32 s7, s7, s11
	s_addc_u32 s11, 0, s14
	v_add_co_u32_e32 v2, vcc, s7, v2
	s_cmp_lg_u64 vcc, 0
	s_addc_u32 s6, s6, s11
	v_readfirstlane_b32 s11, v2
	s_mul_i32 s7, s0, s6
	s_mul_hi_u32 s14, s0, s11
	s_add_i32 s7, s14, s7
	s_mul_i32 s1, s1, s11
	s_add_i32 s7, s7, s1
	s_mul_i32 s0, s0, s11
	s_mul_hi_u32 s14, s6, s0
	s_mul_i32 s15, s6, s0
	s_mul_i32 s21, s11, s7
	s_mul_hi_u32 s0, s11, s0
	s_mul_hi_u32 s20, s11, s7
	s_add_u32 s0, s0, s21
	s_addc_u32 s11, 0, s20
	s_add_u32 s0, s0, s15
	s_mul_hi_u32 s1, s6, s7
	s_addc_u32 s0, s11, s14
	s_addc_u32 s1, s1, 0
	s_mul_i32 s7, s6, s7
	s_add_u32 s0, s0, s7
	s_addc_u32 s1, 0, s1
	v_add_co_u32_e32 v2, vcc, s0, v2
	s_cmp_lg_u64 vcc, 0
	s_addc_u32 s0, s6, s1
	v_readlane_b32 s15, v61, 29
	v_readfirstlane_b32 s7, v2
	v_readlane_b32 s20, v61, 31
	s_mul_i32 s6, s15, s0
	s_mul_hi_u32 s11, s15, s7
	v_readlane_b32 s21, v61, 32
	s_add_u32 s6, s11, s6
	s_mul_hi_u32 s11, s21, s0
	v_readlane_b32 s20, v61, 31
	v_readlane_b32 s21, v61, 32
	s_mul_hi_u32 s14, s21, s7
	v_readlane_b32 s20, v61, 31
	s_mul_hi_u32 s1, s15, s0
	v_readlane_b32 s21, v61, 32
	s_addc_u32 s1, 0, s1
	s_mul_i32 s7, s21, s7
	s_add_u32 s6, s6, s7
	v_readlane_b32 s20, v61, 31
	s_addc_u32 s1, s1, s14
	v_readlane_b32 s21, v61, 32
	s_addc_u32 s6, s11, 0
	s_mul_i32 s0, s21, s0
	s_add_u32 s0, s1, s0
	s_addc_u32 s1, 0, s6
	s_mul_hi_u32 s6, s33, s0
	s_mul_i32 s0, s33, s0
	s_mul_i32 s1, s33, s1
	v_mov_b32_e32 v2, s0
	s_add_i32 s6, s6, s1
	v_sub_co_u32_e32 v2, vcc, s15, v2
	v_readlane_b32 s0, v61, 31
	v_readlane_b32 s1, v61, 32
	s_cmp_lg_u64 vcc, 0
	s_subb_u32 s0, s1, s6
	v_subrev_co_u32_e32 v3, vcc, s33, v2
	s_cmp_lg_u64 vcc, 0
	s_mov_b32 s7, s1
	s_subb_u32 s1, s0, 0
	v_subrev_co_u32_e32 v4, vcc, s33, v3
	s_cmp_lg_u64 vcc, 0
	s_subb_u32 s6, s1, 0
	v_cmp_le_u32_e32 vcc, s33, v3
	s_cmp_eq_u32 s1, 0
	v_cndmask_b32_e64 v5, 0, -1, vcc
	s_cselect_b64 vcc, -1, 0
	v_cndmask_b32_e32 v5, -1, v5, vcc
	v_mov_b32_e32 v6, s1
	v_mov_b32_e32 v7, s6
	v_cmp_ne_u32_e32 vcc, 0, v5
	v_cndmask_b32_e32 v5, v6, v7, vcc
	v_cndmask_b32_e32 v4, v3, v4, vcc
	v_cmp_le_u32_e32 vcc, s33, v2
	s_cmp_eq_u32 s0, 0
	v_cndmask_b32_e64 v3, 0, -1, vcc
	s_cselect_b64 vcc, -1, 0
	v_cndmask_b32_e32 v3, -1, v3, vcc
	v_mov_b32_e32 v6, s0
	v_cmp_ne_u32_e32 vcc, 0, v3
	v_cndmask_b32_e32 v3, v6, v5, vcc
	v_cndmask_b32_e32 v2, v2, v4, vcc
	s_cbranch_execnz .LBB225_322
.LBB225_321:                            ;   in Loop: Header=BB225_31 Depth=1
	v_cvt_f32_u32_e32 v2, s33
	s_sub_i32 s0, 0, s33
	v_rcp_iflag_f32_e32 v2, v2
	v_mul_f32_e32 v2, 0x4f7ffffe, v2
	v_cvt_u32_f32_e32 v2, v2
	v_mul_lo_u32 v3, s0, v2
	v_mul_hi_u32 v3, v2, v3
	v_add_u32_e32 v2, v2, v3
	v_readlane_b32 s0, v61, 29
	v_mul_hi_u32 v2, s0, v2
	v_mul_lo_u32 v2, v2, s33
	v_sub_u32_e32 v2, s0, v2
	v_subrev_u32_e32 v3, s33, v2
	v_cmp_le_u32_e32 vcc, s33, v2
	v_cndmask_b32_e32 v2, v2, v3, vcc
	v_subrev_u32_e32 v3, s33, v2
	v_cmp_le_u32_e32 vcc, s33, v2
	v_cndmask_b32_e32 v14, v2, v3, vcc
	v_pk_mov_b32 v[2:3], v[14:15], v[14:15] op_sel:[0,1]
.LBB225_322:                            ;   in Loop: Header=BB225_31 Depth=1
	v_readlane_b32 s0, v61, 29
	v_mov_b32_e32 v4, s7
	v_sub_co_u32_e32 v2, vcc, s0, v2
	v_subb_co_u32_e32 v3, vcc, v4, v3, vcc
	v_cmp_gt_u64_e32 vcc, v[2:3], v[0:1]
	s_mov_b64 s[6:7], 0
                                        ; implicit-def: $vgpr56
	s_and_saveexec_b64 s[0:1], vcc
	s_cbranch_execz .LBB225_331
; %bb.323:                              ;   in Loop: Header=BB225_31 Depth=1
	s_mov_b64 s[14:15], 0
	v_pk_mov_b32 v[4:5], v[26:27], v[26:27] op_sel:[0,1]
	v_pk_mov_b32 v[6:7], v[0:1], v[0:1] op_sel:[0,1]
                                        ; implicit-def: $sgpr20_sgpr21
	s_branch .LBB225_325
.LBB225_324:                            ;   in Loop: Header=BB225_325 Depth=2
	s_or_b64 exec, exec, s[6:7]
	s_waitcnt lgkmcnt(0)
	s_barrier
	s_waitcnt vmcnt(0)
	ds_read_b32 v8, v15 offset:3072
	v_add_co_u32_e64 v6, s[6:7], s33, v6
	s_waitcnt lgkmcnt(0)
	s_barrier
	v_and_b32_e32 v9, 0x7fff, v8
	v_cmp_ne_u16_e32 vcc, 0, v9
	v_mov_b32_e32 v9, s92
	v_addc_co_u32_e64 v7, s[6:7], v7, v9, s[6:7]
	v_cmp_ge_u64_e64 s[6:7], v[6:7], v[2:3]
	s_or_b64 s[36:37], s[6:7], vcc
	v_mov_b32_e32 v9, s65
	v_add_co_u32_e64 v4, s[6:7], s64, v4
	v_addc_co_u32_e64 v5, s[6:7], v5, v9, s[6:7]
	s_and_b64 s[6:7], exec, s[36:37]
	s_or_b64 s[14:15], s[6:7], s[14:15]
	s_andn2_b64 s[6:7], s[20:21], exec
	s_and_b64 s[20:21], vcc, exec
	s_or_b64 s[20:21], s[6:7], s[20:21]
	s_andn2_b64 exec, exec, s[14:15]
	s_cbranch_execz .LBB225_330
.LBB225_325:                            ;   Parent Loop BB225_31 Depth=1
                                        ; =>  This Inner Loop Header: Depth=2
	v_cmp_gt_u64_e32 vcc, s[60:61], v[6:7]
	v_mov_b32_e32 v8, 0
	s_and_saveexec_b64 s[6:7], vcc
	s_cbranch_execz .LBB225_327
; %bb.326:                              ;   in Loop: Header=BB225_325 Depth=2
	global_load_ushort v8, v[4:5], off
.LBB225_327:                            ;   in Loop: Header=BB225_325 Depth=2
	s_or_b64 exec, exec, s[6:7]
	s_and_saveexec_b64 s[6:7], vcc
	s_cbranch_execz .LBB225_324
; %bb.328:                              ;   in Loop: Header=BB225_325 Depth=2
	s_waitcnt vmcnt(0)
	v_cmp_lt_i16_e32 vcc, -1, v8
	v_cndmask_b32_e32 v9, v49, v50, vcc
	v_lshlrev_b32_e32 v14, 16, v8
	v_xor_b32_sdwa v9, v9, v8 dst_sel:DWORD dst_unused:UNUSED_PAD src0_sel:DWORD src1_sel:WORD_0
	v_cmp_o_f32_e32 vcc, v14, v14
	v_cndmask_b32_e32 v9, v49, v9, vcc
	v_and_b32_e32 v9, v9, v54
	v_cmp_eq_u32_e32 vcc, v9, v55
	s_and_b64 exec, exec, vcc
	s_cbranch_execz .LBB225_324
; %bb.329:                              ;   in Loop: Header=BB225_325 Depth=2
	s_movk_i32 s11, 0x3f80
	v_perm_b32 v8, v8, s11, v53
	ds_write_b32 v15, v8 offset:3072
	s_branch .LBB225_324
.LBB225_330:                            ;   in Loop: Header=BB225_31 Depth=1
	s_or_b64 exec, exec, s[14:15]
	v_lshrrev_b32_e32 v56, 16, v8
	s_and_b64 s[6:7], s[20:21], exec
.LBB225_331:                            ;   in Loop: Header=BB225_31 Depth=1
	s_or_b64 exec, exec, s[0:1]
	s_mov_b64 s[38:39], 0
	s_mov_b64 s[14:15], -1
	s_mov_b64 s[20:21], 0
.LBB225_332:                            ;   in Loop: Header=BB225_31 Depth=1
	s_orn2_b64 s[0:1], s[6:7], exec
.LBB225_333:                            ;   in Loop: Header=BB225_31 Depth=1
	s_or_b64 exec, exec, s[34:35]
                                        ; implicit-def: $vgpr7
                                        ; implicit-def: $vgpr2_vgpr3
                                        ; implicit-def: $vgpr30
                                        ; implicit-def: $vgpr31
                                        ; implicit-def: $vgpr6
	s_and_saveexec_b64 s[34:35], s[0:1]
	s_cbranch_execz .LBB225_496
; %bb.334:                              ;   in Loop: Header=BB225_31 Depth=1
	v_mov_b32_e32 v2, 1
	s_xor_b64 s[2:3], s[2:3], -1
	s_mov_b64 s[6:7], 0
	v_mov_b32_e32 v3, 0
	v_mov_b32_e32 v7, 1
	s_and_saveexec_b64 s[0:1], s[2:3]
	s_cbranch_execz .LBB225_344
; %bb.335:                              ;   in Loop: Header=BB225_31 Depth=1
	v_cmp_ge_u64_e32 vcc, s[24:25], v[28:29]
                                        ; implicit-def: $sgpr11
                                        ; implicit-def: $sgpr2_sgpr3
	s_and_saveexec_b64 s[6:7], vcc
	s_xor_b64 s[6:7], exec, s[6:7]
	s_cbranch_execz .LBB225_341
; %bb.336:                              ;   in Loop: Header=BB225_31 Depth=1
	ds_read_b64 v[2:3], v15 offset:5120
	s_waitcnt lgkmcnt(0)
	v_cmp_ne_u64_e32 vcc, 0, v[2:3]
	s_cbranch_vccnz .LBB225_340
; %bb.337:                              ;   in Loop: Header=BB225_31 Depth=1
	s_mov_b64 s[2:3], exec
	v_readlane_b32 s36, v61, 10
	v_readlane_b32 s37, v61, 11
	s_and_b64 s[36:37], s[2:3], s[36:37]
	s_mov_b64 exec, s[36:37]
	s_cbranch_execz .LBB225_339
; %bb.338:                              ;   in Loop: Header=BB225_31 Depth=1
	v_pk_mov_b32 v[2:3], s[24:25], s[24:25] op_sel:[0,1]
	ds_write_b64 v15, v[2:3] offset:5128
.LBB225_339:                            ;   in Loop: Header=BB225_31 Depth=1
	s_or_b64 exec, exec, s[2:3]
	s_waitcnt lgkmcnt(0)
	s_barrier
.LBB225_340:                            ;   in Loop: Header=BB225_31 Depth=1
	v_or_b32_e32 v55, s86, v55
	v_or_b32_e32 v54, s86, v54
	s_mov_b64 s[2:3], 0
	s_mov_b32 s11, 5
.LBB225_341:                            ;   in Loop: Header=BB225_31 Depth=1
	s_or_saveexec_b64 s[6:7], s[6:7]
	v_mov_b32_e32 v7, s11
	s_xor_b64 exec, exec, s[6:7]
; %bb.342:                              ;   in Loop: Header=BB225_31 Depth=1
	v_mov_b32_e32 v2, s25
	v_subrev_co_u32_e32 v28, vcc, s24, v28
	v_subb_co_u32_e32 v29, vcc, v29, v2, vcc
	v_mov_b32_e32 v7, 0
	s_or_b64 s[2:3], s[2:3], exec
; %bb.343:                              ;   in Loop: Header=BB225_31 Depth=1
	s_or_b64 exec, exec, s[6:7]
	s_and_b64 s[6:7], s[2:3], exec
	v_pk_mov_b32 v[2:3], v[28:29], v[28:29] op_sel:[0,1]
.LBB225_344:                            ;   in Loop: Header=BB225_31 Depth=1
	s_or_b64 exec, exec, s[0:1]
	s_mov_b64 s[40:41], -1
                                        ; implicit-def: $sgpr0_sgpr1
                                        ; implicit-def: $sgpr2_sgpr3
                                        ; implicit-def: $sgpr36_sgpr37
	s_and_saveexec_b64 s[24:25], s[6:7]
	s_xor_b64 s[24:25], exec, s[24:25]
	s_cbranch_execz .LBB225_493
; %bb.345:                              ;   in Loop: Header=BB225_31 Depth=1
	s_cmp_eq_u64 s[22:23], 1
	s_cselect_b64 s[0:1], -1, 0
	v_cmp_eq_u64_e32 vcc, 1, v[2:3]
	s_and_b64 s[2:3], s[0:1], vcc
	s_mov_b64 s[0:1], -1
                                        ; implicit-def: $sgpr36_sgpr37
                                        ; implicit-def: $sgpr40_sgpr41
                                        ; implicit-def: $sgpr42_sgpr43
	s_and_saveexec_b64 s[44:45], s[2:3]
	s_cbranch_execz .LBB225_379
; %bb.346:                              ;   in Loop: Header=BB225_31 Depth=1
	ds_read_b64 v[4:5], v15 offset:5120
	s_waitcnt lgkmcnt(0)
	s_barrier
	v_readfirstlane_b32 s0, v4
	v_readfirstlane_b32 s1, v5
	s_mov_b64 s[6:7], exec
	v_readlane_b32 s36, v61, 24
	v_readlane_b32 s37, v61, 25
	s_and_b64 s[36:37], s[6:7], s[36:37]
	s_mov_b64 exec, s[36:37]
	s_cbranch_execz .LBB225_348
; %bb.347:                              ;   in Loop: Header=BB225_31 Depth=1
	ds_write_b16 v46, v15
.LBB225_348:                            ;   in Loop: Header=BB225_31 Depth=1
	s_or_b64 exec, exec, s[6:7]
	v_and_b32_e32 v4, s94, v55
	v_lshl_or_b32 v55, 2, s95, v4
	v_or_b32_e32 v54, s86, v54
	s_cmp_eq_u64 s[0:1], 0
	s_waitcnt lgkmcnt(0)
	s_barrier
	s_cbranch_scc1 .LBB225_362
; %bb.349:                              ;   in Loop: Header=BB225_31 Depth=1
	v_readlane_b32 s6, v61, 28
	s_add_u32 s11, s6, s0
	v_readlane_b32 s6, v61, 30
	s_addc_u32 s7, s6, s1
	s_mov_b32 s6, s87
	s_cmp_lg_u64 s[6:7], 0
	s_cbranch_scc0 .LBB225_406
; %bb.350:                              ;   in Loop: Header=BB225_31 Depth=1
	v_cvt_f32_u32_e32 v4, s33
	s_sub_u32 s6, 0, s33
	s_subb_u32 s36, 0, 0
	v_mac_f32_e32 v4, 0, v51
	v_rcp_f32_e32 v4, v4
	v_mul_f32_e32 v4, 0x5f7ffffc, v4
	v_mul_f32_e32 v5, 0x2f800000, v4
	v_trunc_f32_e32 v5, v5
	v_mac_f32_e32 v4, 0xcf800000, v5
	v_cvt_u32_f32_e32 v5, v5
	v_cvt_u32_f32_e32 v4, v4
	v_readfirstlane_b32 s37, v5
	v_readfirstlane_b32 s40, v4
	s_mul_i32 s41, s6, s37
	s_mul_hi_u32 s43, s6, s40
	s_mul_i32 s42, s36, s40
	s_add_i32 s41, s43, s41
	s_mul_i32 s46, s6, s40
	s_add_i32 s41, s41, s42
	s_mul_hi_u32 s43, s40, s46
	s_mul_hi_u32 s42, s40, s41
	s_mul_i32 s40, s40, s41
	s_add_u32 s40, s43, s40
	s_addc_u32 s42, 0, s42
	s_mul_hi_u32 s47, s37, s46
	s_mul_i32 s46, s37, s46
	s_add_u32 s40, s40, s46
	s_mul_hi_u32 s43, s37, s41
	s_addc_u32 s40, s42, s47
	s_addc_u32 s42, s43, 0
	s_mul_i32 s41, s37, s41
	s_add_u32 s40, s40, s41
	s_addc_u32 s41, 0, s42
	v_add_co_u32_e32 v4, vcc, s40, v4
	s_cmp_lg_u64 vcc, 0
	s_addc_u32 s37, s37, s41
	v_readfirstlane_b32 s41, v4
	s_mul_i32 s40, s6, s37
	s_mul_hi_u32 s42, s6, s41
	s_add_i32 s40, s42, s40
	s_mul_i32 s36, s36, s41
	s_add_i32 s40, s40, s36
	s_mul_i32 s6, s6, s41
	s_mul_hi_u32 s42, s37, s6
	s_mul_i32 s43, s37, s6
	s_mul_i32 s47, s41, s40
	s_mul_hi_u32 s6, s41, s6
	s_mul_hi_u32 s46, s41, s40
	s_add_u32 s6, s6, s47
	s_addc_u32 s41, 0, s46
	s_add_u32 s6, s6, s43
	s_mul_hi_u32 s36, s37, s40
	s_addc_u32 s6, s41, s42
	s_addc_u32 s36, s36, 0
	s_mul_i32 s40, s37, s40
	s_add_u32 s6, s6, s40
	s_addc_u32 s36, 0, s36
	v_add_co_u32_e32 v4, vcc, s6, v4
	s_cmp_lg_u64 vcc, 0
	s_addc_u32 s6, s37, s36
	v_readfirstlane_b32 s40, v4
	s_mul_i32 s37, s11, s6
	s_mul_hi_u32 s41, s11, s40
	s_mul_hi_u32 s36, s11, s6
	s_add_u32 s37, s41, s37
	s_addc_u32 s36, 0, s36
	s_mul_hi_u32 s42, s7, s40
	s_mul_i32 s40, s7, s40
	s_add_u32 s37, s37, s40
	s_mul_hi_u32 s41, s7, s6
	s_addc_u32 s36, s36, s42
	s_addc_u32 s37, s41, 0
	s_mul_i32 s6, s7, s6
	s_add_u32 s6, s36, s6
	s_addc_u32 s36, 0, s37
	s_mul_hi_u32 s37, s33, s6
	s_mul_i32 s6, s33, s6
	s_mul_i32 s36, s33, s36
	v_mov_b32_e32 v4, s6
	s_add_i32 s37, s37, s36
	v_sub_co_u32_e32 v4, vcc, s11, v4
	s_cmp_lg_u64 vcc, 0
	s_subb_u32 s6, s7, s37
	v_subrev_co_u32_e32 v5, vcc, s33, v4
	s_cmp_lg_u64 vcc, 0
	s_subb_u32 s36, s6, 0
	v_subrev_co_u32_e32 v6, vcc, s33, v5
	s_cmp_lg_u64 vcc, 0
	s_subb_u32 s37, s36, 0
	v_cmp_le_u32_e32 vcc, s33, v5
	s_cmp_eq_u32 s36, 0
	v_cndmask_b32_e64 v7, 0, -1, vcc
	s_cselect_b64 vcc, -1, 0
	v_cndmask_b32_e32 v7, -1, v7, vcc
	v_mov_b32_e32 v8, s36
	v_mov_b32_e32 v9, s37
	v_cmp_ne_u32_e32 vcc, 0, v7
	v_cndmask_b32_e32 v7, v8, v9, vcc
	v_cndmask_b32_e32 v6, v5, v6, vcc
	v_cmp_le_u32_e32 vcc, s33, v4
	s_cmp_eq_u32 s6, 0
	v_cndmask_b32_e64 v5, 0, -1, vcc
	s_cselect_b64 vcc, -1, 0
	v_cndmask_b32_e32 v5, -1, v5, vcc
	v_mov_b32_e32 v8, s6
	v_cmp_ne_u32_e32 vcc, 0, v5
	v_cndmask_b32_e32 v5, v8, v7, vcc
	v_cndmask_b32_e32 v4, v4, v6, vcc
	s_cbranch_execnz .LBB225_352
.LBB225_351:                            ;   in Loop: Header=BB225_31 Depth=1
	v_cvt_f32_u32_e32 v4, s33
	s_sub_i32 s6, 0, s33
	v_rcp_iflag_f32_e32 v4, v4
	v_mul_f32_e32 v4, 0x4f7ffffe, v4
	v_cvt_u32_f32_e32 v4, v4
	v_mul_lo_u32 v5, s6, v4
	v_mul_hi_u32 v5, v4, v5
	v_add_u32_e32 v4, v4, v5
	v_mul_hi_u32 v4, s11, v4
	v_mul_lo_u32 v4, v4, s33
	v_sub_u32_e32 v4, s11, v4
	v_subrev_u32_e32 v5, s33, v4
	v_cmp_le_u32_e32 vcc, s33, v4
	v_cndmask_b32_e32 v4, v4, v5, vcc
	v_subrev_u32_e32 v5, s33, v4
	v_cmp_le_u32_e32 vcc, s33, v4
	v_cndmask_b32_e32 v14, v4, v5, vcc
	v_pk_mov_b32 v[4:5], v[14:15], v[14:15] op_sel:[0,1]
.LBB225_352:                            ;   in Loop: Header=BB225_31 Depth=1
	v_mov_b32_e32 v6, s7
	v_sub_co_u32_e32 v4, vcc, s11, v4
	v_subb_co_u32_e32 v5, vcc, v6, v5, vcc
	v_cmp_gt_u64_e32 vcc, v[4:5], v[0:1]
	s_mov_b64 s[6:7], 0
                                        ; implicit-def: $vgpr56
	s_and_saveexec_b64 s[36:37], vcc
	s_cbranch_execz .LBB225_364
; %bb.353:                              ;   in Loop: Header=BB225_31 Depth=1
	s_mov_b64 s[40:41], 0
	v_mov_b32_e32 v8, v45
	v_pk_mov_b32 v[6:7], v[0:1], v[0:1] op_sel:[0,1]
                                        ; implicit-def: $sgpr42_sgpr43
	s_branch .LBB225_355
.LBB225_354:                            ;   in Loop: Header=BB225_355 Depth=2
	s_or_b64 exec, exec, s[6:7]
	s_waitcnt lgkmcnt(0)
	s_barrier
	ds_read_b32 v9, v15 offset:3072
	v_add_co_u32_e64 v6, s[6:7], s33, v6
	v_add_u32_e32 v8, s10, v8
	s_waitcnt lgkmcnt(0)
	v_and_b32_e32 v14, 0x7fff, v9
	v_cmp_ne_u16_e32 vcc, 0, v14
	v_mov_b32_e32 v14, s92
	v_addc_co_u32_e64 v7, s[6:7], v7, v14, s[6:7]
	v_cmp_ge_u64_e64 s[6:7], v[6:7], v[4:5]
	s_or_b64 s[6:7], s[6:7], vcc
	s_and_b64 s[6:7], exec, s[6:7]
	s_or_b64 s[40:41], s[6:7], s[40:41]
	s_andn2_b64 s[6:7], s[42:43], exec
	s_and_b64 s[42:43], vcc, exec
	s_or_b64 s[42:43], s[6:7], s[42:43]
	s_barrier
	s_andn2_b64 exec, exec, s[40:41]
	s_cbranch_execz .LBB225_363
.LBB225_355:                            ;   Parent Loop BB225_31 Depth=1
                                        ; =>  This Inner Loop Header: Depth=2
	v_cmp_gt_u64_e32 vcc, s[0:1], v[6:7]
	v_mov_b32_e32 v9, 0
	s_and_saveexec_b64 s[6:7], vcc
	s_cbranch_execz .LBB225_357
; %bb.356:                              ;   in Loop: Header=BB225_355 Depth=2
	ds_read_u16 v9, v8
.LBB225_357:                            ;   in Loop: Header=BB225_355 Depth=2
	s_or_b64 exec, exec, s[6:7]
	s_and_saveexec_b64 s[6:7], vcc
	s_cbranch_execz .LBB225_354
; %bb.358:                              ;   in Loop: Header=BB225_355 Depth=2
	s_waitcnt lgkmcnt(0)
	v_cmp_lt_i16_e32 vcc, -1, v9
	v_cndmask_b32_e32 v14, v49, v50, vcc
	v_lshlrev_b32_e32 v28, 16, v9
	v_xor_b32_sdwa v14, v14, v9 dst_sel:DWORD dst_unused:UNUSED_PAD src0_sel:DWORD src1_sel:WORD_0
	v_cmp_o_f32_e32 vcc, v28, v28
	v_cndmask_b32_e32 v14, v49, v14, vcc
	v_and_b32_e32 v14, v14, v54
	v_cmp_eq_u32_e32 vcc, v14, v55
	s_and_b64 exec, exec, vcc
	s_cbranch_execz .LBB225_354
; %bb.359:                              ;   in Loop: Header=BB225_355 Depth=2
	s_movk_i32 s11, 0x3f80
	v_perm_b32 v9, v9, s11, v53
	ds_write_b32 v15, v9 offset:3072
	s_branch .LBB225_354
.LBB225_360:                            ;   in Loop: Header=BB225_31 Depth=1
                                        ; implicit-def: $vgpr2_vgpr3
	s_branch .LBB225_307
.LBB225_361:                            ;   in Loop: Header=BB225_31 Depth=1
                                        ; implicit-def: $vgpr2_vgpr3
	s_branch .LBB225_321
.LBB225_362:                            ;   in Loop: Header=BB225_31 Depth=1
	s_mov_b64 s[36:37], -1
	s_mov_b64 s[6:7], 0
                                        ; implicit-def: $sgpr40_sgpr41
                                        ; implicit-def: $vgpr56
	s_mov_b64 s[42:43], s[36:37]
	s_cbranch_execnz .LBB225_365
	s_branch .LBB225_378
.LBB225_363:                            ;   in Loop: Header=BB225_31 Depth=1
	s_or_b64 exec, exec, s[40:41]
	v_lshrrev_b32_e32 v56, 16, v9
	s_and_b64 s[6:7], s[42:43], exec
.LBB225_364:                            ;   in Loop: Header=BB225_31 Depth=1
	s_or_b64 exec, exec, s[36:37]
	s_mov_b64 s[36:37], 0
	s_mov_b64 s[40:41], -1
	s_mov_b64 s[42:43], s[36:37]
	s_branch .LBB225_378
.LBB225_365:                            ;   in Loop: Header=BB225_31 Depth=1
	v_readlane_b32 s42, v61, 31
	v_readlane_b32 s43, v61, 32
	s_mov_b32 s42, s87
	s_cmp_lg_u64 s[42:43], 0
	v_writelane_b32 v61, s42, 31
	v_writelane_b32 v61, s43, 32
	s_cbranch_scc0 .LBB225_407
; %bb.366:                              ;   in Loop: Header=BB225_31 Depth=1
	v_cvt_f32_u32_e32 v4, s33
	s_sub_u32 s0, 0, s33
	s_subb_u32 s1, 0, 0
	v_mac_f32_e32 v4, 0, v51
	v_rcp_f32_e32 v4, v4
	v_mul_f32_e32 v4, 0x5f7ffffc, v4
	v_mul_f32_e32 v5, 0x2f800000, v4
	v_trunc_f32_e32 v5, v5
	v_mac_f32_e32 v4, 0xcf800000, v5
	v_cvt_u32_f32_e32 v5, v5
	v_cvt_u32_f32_e32 v4, v4
	v_readfirstlane_b32 s6, v5
	v_readfirstlane_b32 s7, v4
	s_mul_i32 s11, s0, s6
	s_mul_hi_u32 s37, s0, s7
	s_mul_i32 s36, s1, s7
	s_add_i32 s11, s37, s11
	s_mul_i32 s40, s0, s7
	s_add_i32 s11, s11, s36
	s_mul_hi_u32 s37, s7, s40
	s_mul_hi_u32 s36, s7, s11
	s_mul_i32 s7, s7, s11
	s_add_u32 s7, s37, s7
	s_addc_u32 s36, 0, s36
	s_mul_hi_u32 s41, s6, s40
	s_mul_i32 s40, s6, s40
	s_add_u32 s7, s7, s40
	s_mul_hi_u32 s37, s6, s11
	s_addc_u32 s7, s36, s41
	s_addc_u32 s36, s37, 0
	s_mul_i32 s11, s6, s11
	s_add_u32 s7, s7, s11
	s_addc_u32 s11, 0, s36
	v_add_co_u32_e32 v4, vcc, s7, v4
	s_cmp_lg_u64 vcc, 0
	s_addc_u32 s6, s6, s11
	v_readfirstlane_b32 s11, v4
	s_mul_i32 s7, s0, s6
	s_mul_hi_u32 s36, s0, s11
	s_add_i32 s7, s36, s7
	s_mul_i32 s1, s1, s11
	s_add_i32 s7, s7, s1
	s_mul_i32 s0, s0, s11
	s_mul_hi_u32 s36, s6, s0
	s_mul_i32 s37, s6, s0
	s_mul_i32 s41, s11, s7
	s_mul_hi_u32 s0, s11, s0
	s_mul_hi_u32 s40, s11, s7
	s_add_u32 s0, s0, s41
	s_addc_u32 s11, 0, s40
	s_add_u32 s0, s0, s37
	s_mul_hi_u32 s1, s6, s7
	s_addc_u32 s0, s11, s36
	s_addc_u32 s1, s1, 0
	s_mul_i32 s7, s6, s7
	s_add_u32 s0, s0, s7
	s_addc_u32 s1, 0, s1
	v_add_co_u32_e32 v4, vcc, s0, v4
	s_cmp_lg_u64 vcc, 0
	s_addc_u32 s0, s6, s1
	v_readlane_b32 s37, v61, 29
	v_readfirstlane_b32 s7, v4
	s_mul_i32 s6, s37, s0
	s_mul_hi_u32 s11, s37, s7
	s_mul_hi_u32 s1, s37, s0
	s_add_u32 s6, s11, s6
	s_addc_u32 s1, 0, s1
	s_mul_hi_u32 s36, s43, s7
	s_mul_i32 s7, s43, s7
	s_add_u32 s6, s6, s7
	s_mul_hi_u32 s11, s43, s0
	s_addc_u32 s1, s1, s36
	s_addc_u32 s6, s11, 0
	s_mul_i32 s0, s43, s0
	s_add_u32 s0, s1, s0
	s_addc_u32 s1, 0, s6
	s_mul_hi_u32 s6, s33, s0
	s_mul_i32 s0, s33, s0
	s_mul_i32 s1, s33, s1
	v_mov_b32_e32 v4, s0
	s_add_i32 s6, s6, s1
	v_sub_co_u32_e32 v4, vcc, s37, v4
	s_cmp_lg_u64 vcc, 0
	s_subb_u32 s0, s43, s6
	v_subrev_co_u32_e32 v5, vcc, s33, v4
	s_cmp_lg_u64 vcc, 0
	s_subb_u32 s1, s0, 0
	v_subrev_co_u32_e32 v6, vcc, s33, v5
	s_cmp_lg_u64 vcc, 0
	s_subb_u32 s6, s1, 0
	v_cmp_le_u32_e32 vcc, s33, v5
	s_cmp_eq_u32 s1, 0
	v_cndmask_b32_e64 v7, 0, -1, vcc
	s_cselect_b64 vcc, -1, 0
	v_cndmask_b32_e32 v7, -1, v7, vcc
	v_mov_b32_e32 v8, s1
	v_mov_b32_e32 v9, s6
	v_cmp_ne_u32_e32 vcc, 0, v7
	v_cndmask_b32_e32 v7, v8, v9, vcc
	v_cndmask_b32_e32 v6, v5, v6, vcc
	v_cmp_le_u32_e32 vcc, s33, v4
	s_cmp_eq_u32 s0, 0
	v_cndmask_b32_e64 v5, 0, -1, vcc
	s_cselect_b64 vcc, -1, 0
	v_cndmask_b32_e32 v5, -1, v5, vcc
	v_mov_b32_e32 v8, s0
	v_cmp_ne_u32_e32 vcc, 0, v5
	v_cndmask_b32_e32 v5, v8, v7, vcc
	v_cndmask_b32_e32 v4, v4, v6, vcc
	s_cbranch_execnz .LBB225_368
.LBB225_367:                            ;   in Loop: Header=BB225_31 Depth=1
	v_cvt_f32_u32_e32 v4, s33
	s_sub_i32 s0, 0, s33
	v_rcp_iflag_f32_e32 v4, v4
	v_mul_f32_e32 v4, 0x4f7ffffe, v4
	v_cvt_u32_f32_e32 v4, v4
	v_mul_lo_u32 v5, s0, v4
	v_mul_hi_u32 v5, v4, v5
	v_add_u32_e32 v4, v4, v5
	v_readlane_b32 s0, v61, 29
	v_mul_hi_u32 v4, s0, v4
	v_mul_lo_u32 v4, v4, s33
	v_sub_u32_e32 v4, s0, v4
	v_subrev_u32_e32 v5, s33, v4
	v_cmp_le_u32_e32 vcc, s33, v4
	v_cndmask_b32_e32 v4, v4, v5, vcc
	v_subrev_u32_e32 v5, s33, v4
	v_cmp_le_u32_e32 vcc, s33, v4
	v_cndmask_b32_e32 v14, v4, v5, vcc
	v_pk_mov_b32 v[4:5], v[14:15], v[14:15] op_sel:[0,1]
.LBB225_368:                            ;   in Loop: Header=BB225_31 Depth=1
	v_readlane_b32 s0, v61, 31
	v_readlane_b32 s1, v61, 32
	;; [unrolled: 1-line block ×3, first 2 shown]
	v_mov_b32_e32 v6, s1
	v_sub_co_u32_e32 v4, vcc, s0, v4
	v_subb_co_u32_e32 v5, vcc, v6, v5, vcc
	v_cmp_gt_u64_e32 vcc, v[4:5], v[0:1]
	s_mov_b64 s[6:7], 0
                                        ; implicit-def: $vgpr56
	s_and_saveexec_b64 s[0:1], vcc
	s_cbranch_execz .LBB225_377
; %bb.369:                              ;   in Loop: Header=BB225_31 Depth=1
	s_mov_b64 s[36:37], 0
	v_pk_mov_b32 v[6:7], v[26:27], v[26:27] op_sel:[0,1]
	v_pk_mov_b32 v[8:9], v[0:1], v[0:1] op_sel:[0,1]
                                        ; implicit-def: $sgpr40_sgpr41
	s_branch .LBB225_371
.LBB225_370:                            ;   in Loop: Header=BB225_371 Depth=2
	s_or_b64 exec, exec, s[6:7]
	s_waitcnt lgkmcnt(0)
	s_barrier
	s_waitcnt vmcnt(0)
	ds_read_b32 v14, v15 offset:3072
	v_add_co_u32_e64 v8, s[6:7], s33, v8
	s_waitcnt lgkmcnt(0)
	s_barrier
	v_and_b32_e32 v28, 0x7fff, v14
	v_cmp_ne_u16_e32 vcc, 0, v28
	v_mov_b32_e32 v28, s92
	v_addc_co_u32_e64 v9, s[6:7], v9, v28, s[6:7]
	v_cmp_ge_u64_e64 s[6:7], v[8:9], v[4:5]
	s_or_b64 s[42:43], s[6:7], vcc
	v_mov_b32_e32 v28, s65
	v_add_co_u32_e64 v6, s[6:7], s64, v6
	v_addc_co_u32_e64 v7, s[6:7], v7, v28, s[6:7]
	s_and_b64 s[6:7], exec, s[42:43]
	s_or_b64 s[36:37], s[6:7], s[36:37]
	s_andn2_b64 s[6:7], s[40:41], exec
	s_and_b64 s[40:41], vcc, exec
	s_or_b64 s[40:41], s[6:7], s[40:41]
	s_andn2_b64 exec, exec, s[36:37]
	s_cbranch_execz .LBB225_376
.LBB225_371:                            ;   Parent Loop BB225_31 Depth=1
                                        ; =>  This Inner Loop Header: Depth=2
	v_cmp_gt_u64_e32 vcc, s[60:61], v[8:9]
	v_mov_b32_e32 v14, 0
	s_and_saveexec_b64 s[6:7], vcc
	s_cbranch_execz .LBB225_373
; %bb.372:                              ;   in Loop: Header=BB225_371 Depth=2
	global_load_ushort v14, v[6:7], off
.LBB225_373:                            ;   in Loop: Header=BB225_371 Depth=2
	s_or_b64 exec, exec, s[6:7]
	s_and_saveexec_b64 s[6:7], vcc
	s_cbranch_execz .LBB225_370
; %bb.374:                              ;   in Loop: Header=BB225_371 Depth=2
	s_waitcnt vmcnt(0)
	v_cmp_lt_i16_e32 vcc, -1, v14
	v_cndmask_b32_e32 v28, v49, v50, vcc
	v_lshlrev_b32_e32 v29, 16, v14
	v_xor_b32_sdwa v28, v28, v14 dst_sel:DWORD dst_unused:UNUSED_PAD src0_sel:DWORD src1_sel:WORD_0
	v_cmp_o_f32_e32 vcc, v29, v29
	v_cndmask_b32_e32 v28, v49, v28, vcc
	v_and_b32_e32 v28, v28, v54
	v_cmp_eq_u32_e32 vcc, v28, v55
	s_and_b64 exec, exec, vcc
	s_cbranch_execz .LBB225_370
; %bb.375:                              ;   in Loop: Header=BB225_371 Depth=2
	s_movk_i32 s11, 0x3f80
	v_perm_b32 v14, v14, s11, v53
	ds_write_b32 v15, v14 offset:3072
	s_branch .LBB225_370
.LBB225_376:                            ;   in Loop: Header=BB225_31 Depth=1
	s_or_b64 exec, exec, s[36:37]
	v_lshrrev_b32_e32 v56, 16, v14
	s_and_b64 s[6:7], s[40:41], exec
.LBB225_377:                            ;   in Loop: Header=BB225_31 Depth=1
	s_or_b64 exec, exec, s[0:1]
	s_mov_b64 s[40:41], 0
	s_mov_b64 s[36:37], -1
	s_mov_b64 s[42:43], 0
.LBB225_378:                            ;   in Loop: Header=BB225_31 Depth=1
	s_orn2_b64 s[0:1], s[6:7], exec
.LBB225_379:                            ;   in Loop: Header=BB225_31 Depth=1
	s_or_b64 exec, exec, s[44:45]
	s_mov_b64 s[6:7], 0
                                        ; implicit-def: $vgpr7
	s_and_saveexec_b64 s[44:45], s[0:1]
	s_cbranch_execz .LBB225_492
; %bb.380:                              ;   in Loop: Header=BB225_31 Depth=1
	v_mov_b32_e32 v4, 1
	s_xor_b64 s[2:3], s[2:3], -1
	s_mov_b64 s[46:47], 0
	v_mov_b32_e32 v5, 0
	v_mov_b32_e32 v7, 1
	s_and_saveexec_b64 s[0:1], s[2:3]
	s_cbranch_execz .LBB225_390
; %bb.381:                              ;   in Loop: Header=BB225_31 Depth=1
	v_cmp_ge_u64_e32 vcc, s[22:23], v[2:3]
                                        ; implicit-def: $sgpr11
                                        ; implicit-def: $sgpr2_sgpr3
	s_and_saveexec_b64 s[6:7], vcc
	s_xor_b64 s[6:7], exec, s[6:7]
	s_cbranch_execz .LBB225_387
; %bb.382:                              ;   in Loop: Header=BB225_31 Depth=1
	ds_read_b64 v[4:5], v15 offset:5120
	s_waitcnt lgkmcnt(0)
	v_cmp_ne_u64_e32 vcc, 0, v[4:5]
	s_cbranch_vccnz .LBB225_386
; %bb.383:                              ;   in Loop: Header=BB225_31 Depth=1
	s_mov_b64 s[2:3], exec
	v_readlane_b32 s46, v61, 10
	v_readlane_b32 s47, v61, 11
	s_and_b64 s[46:47], s[2:3], s[46:47]
	s_mov_b64 exec, s[46:47]
	s_cbranch_execz .LBB225_385
; %bb.384:                              ;   in Loop: Header=BB225_31 Depth=1
	v_pk_mov_b32 v[4:5], s[22:23], s[22:23] op_sel:[0,1]
	ds_write_b64 v15, v[4:5] offset:5128
.LBB225_385:                            ;   in Loop: Header=BB225_31 Depth=1
	s_or_b64 exec, exec, s[2:3]
	s_waitcnt lgkmcnt(0)
	s_barrier
.LBB225_386:                            ;   in Loop: Header=BB225_31 Depth=1
	v_and_b32_e32 v4, s94, v55
	v_lshl_or_b32 v55, 2, s95, v4
	v_or_b32_e32 v54, s86, v54
	s_mov_b64 s[2:3], 0
	s_mov_b32 s11, 5
.LBB225_387:                            ;   in Loop: Header=BB225_31 Depth=1
	s_or_saveexec_b64 s[6:7], s[6:7]
	v_mov_b32_e32 v7, s11
	s_xor_b64 exec, exec, s[6:7]
; %bb.388:                              ;   in Loop: Header=BB225_31 Depth=1
	v_mov_b32_e32 v4, s23
	v_subrev_co_u32_e32 v2, vcc, s22, v2
	v_subb_co_u32_e32 v3, vcc, v3, v4, vcc
	v_mov_b32_e32 v7, 0
	s_or_b64 s[2:3], s[2:3], exec
; %bb.389:                              ;   in Loop: Header=BB225_31 Depth=1
	s_or_b64 exec, exec, s[6:7]
	s_and_b64 s[46:47], s[2:3], exec
	v_pk_mov_b32 v[4:5], v[2:3], v[2:3] op_sel:[0,1]
.LBB225_390:                            ;   in Loop: Header=BB225_31 Depth=1
	s_or_b64 exec, exec, s[0:1]
	s_mov_b64 s[0:1], -1
                                        ; implicit-def: $sgpr2_sgpr3
                                        ; implicit-def: $sgpr6_sgpr7
                                        ; implicit-def: $sgpr50_sgpr51
	s_and_saveexec_b64 s[22:23], s[46:47]
	s_cbranch_execz .LBB225_491
; %bb.391:                              ;   in Loop: Header=BB225_31 Depth=1
	s_cmp_eq_u64 s[18:19], 1
	s_cselect_b64 s[0:1], -1, 0
	v_cmp_eq_u64_e32 vcc, 1, v[4:5]
	s_and_b64 s[52:53], s[0:1], vcc
	s_mov_b64 s[6:7], -1
                                        ; implicit-def: $sgpr2_sgpr3
                                        ; implicit-def: $sgpr46_sgpr47
                                        ; implicit-def: $sgpr48_sgpr49
	s_and_saveexec_b64 s[50:51], s[52:53]
	s_cbranch_execz .LBB225_425
; %bb.392:                              ;   in Loop: Header=BB225_31 Depth=1
	ds_read_b64 v[2:3], v15 offset:5120
	s_waitcnt lgkmcnt(0)
	s_barrier
	v_readfirstlane_b32 s0, v2
	v_readfirstlane_b32 s1, v3
	s_mov_b64 s[2:3], exec
	v_readlane_b32 s6, v61, 24
	v_readlane_b32 s7, v61, 25
	s_and_b64 s[6:7], s[2:3], s[6:7]
	s_mov_b64 exec, s[6:7]
	s_cbranch_execz .LBB225_394
; %bb.393:                              ;   in Loop: Header=BB225_31 Depth=1
	ds_write_b16 v46, v15
.LBB225_394:                            ;   in Loop: Header=BB225_31 Depth=1
	s_or_b64 exec, exec, s[2:3]
	v_and_b32_e32 v2, s94, v55
	v_lshl_or_b32 v55, 1, s95, v2
	v_or_b32_e32 v54, s86, v54
	s_cmp_eq_u64 s[0:1], 0
	s_waitcnt lgkmcnt(0)
	s_barrier
	s_cbranch_scc1 .LBB225_408
; %bb.395:                              ;   in Loop: Header=BB225_31 Depth=1
	v_readlane_b32 s2, v61, 28
	s_add_u32 s11, s2, s0
	v_readlane_b32 s2, v61, 30
	s_addc_u32 s3, s2, s1
	s_mov_b32 s2, s87
	s_cmp_lg_u64 s[2:3], 0
	s_cbranch_scc0 .LBB225_443
; %bb.396:                              ;   in Loop: Header=BB225_31 Depth=1
	v_cvt_f32_u32_e32 v2, s33
	s_sub_u32 s2, 0, s33
	s_subb_u32 s6, 0, 0
	v_mac_f32_e32 v2, 0, v51
	v_rcp_f32_e32 v2, v2
	v_mul_f32_e32 v2, 0x5f7ffffc, v2
	v_mul_f32_e32 v3, 0x2f800000, v2
	v_trunc_f32_e32 v3, v3
	v_mac_f32_e32 v2, 0xcf800000, v3
	v_cvt_u32_f32_e32 v3, v3
	v_cvt_u32_f32_e32 v2, v2
	v_readfirstlane_b32 s7, v3
	v_readfirstlane_b32 s46, v2
	s_mul_i32 s47, s2, s7
	s_mul_hi_u32 s49, s2, s46
	s_mul_i32 s48, s6, s46
	s_add_i32 s47, s49, s47
	s_mul_i32 s54, s2, s46
	s_add_i32 s47, s47, s48
	s_mul_hi_u32 s49, s46, s54
	s_mul_hi_u32 s48, s46, s47
	s_mul_i32 s46, s46, s47
	s_add_u32 s46, s49, s46
	s_addc_u32 s48, 0, s48
	s_mul_hi_u32 s55, s7, s54
	s_mul_i32 s54, s7, s54
	s_add_u32 s46, s46, s54
	s_mul_hi_u32 s49, s7, s47
	s_addc_u32 s46, s48, s55
	s_addc_u32 s48, s49, 0
	s_mul_i32 s47, s7, s47
	s_add_u32 s46, s46, s47
	s_addc_u32 s47, 0, s48
	v_add_co_u32_e32 v2, vcc, s46, v2
	s_cmp_lg_u64 vcc, 0
	s_addc_u32 s7, s7, s47
	v_readfirstlane_b32 s47, v2
	s_mul_i32 s46, s2, s7
	s_mul_hi_u32 s48, s2, s47
	s_add_i32 s46, s48, s46
	s_mul_i32 s6, s6, s47
	s_add_i32 s46, s46, s6
	s_mul_i32 s2, s2, s47
	s_mul_hi_u32 s48, s7, s2
	s_mul_i32 s49, s7, s2
	s_mul_i32 s55, s47, s46
	s_mul_hi_u32 s2, s47, s2
	s_mul_hi_u32 s54, s47, s46
	s_add_u32 s2, s2, s55
	s_addc_u32 s47, 0, s54
	s_add_u32 s2, s2, s49
	s_mul_hi_u32 s6, s7, s46
	s_addc_u32 s2, s47, s48
	s_addc_u32 s6, s6, 0
	s_mul_i32 s46, s7, s46
	s_add_u32 s2, s2, s46
	s_addc_u32 s6, 0, s6
	v_add_co_u32_e32 v2, vcc, s2, v2
	s_cmp_lg_u64 vcc, 0
	s_addc_u32 s2, s7, s6
	v_readfirstlane_b32 s46, v2
	s_mul_i32 s7, s11, s2
	s_mul_hi_u32 s47, s11, s46
	s_mul_hi_u32 s6, s11, s2
	s_add_u32 s7, s47, s7
	s_addc_u32 s6, 0, s6
	s_mul_hi_u32 s48, s3, s46
	s_mul_i32 s46, s3, s46
	s_add_u32 s7, s7, s46
	s_mul_hi_u32 s47, s3, s2
	s_addc_u32 s6, s6, s48
	s_addc_u32 s7, s47, 0
	s_mul_i32 s2, s3, s2
	s_add_u32 s2, s6, s2
	s_addc_u32 s6, 0, s7
	s_mul_hi_u32 s7, s33, s2
	s_mul_i32 s2, s33, s2
	s_mul_i32 s6, s33, s6
	v_mov_b32_e32 v2, s2
	s_add_i32 s7, s7, s6
	v_sub_co_u32_e32 v2, vcc, s11, v2
	s_cmp_lg_u64 vcc, 0
	s_subb_u32 s2, s3, s7
	v_subrev_co_u32_e32 v3, vcc, s33, v2
	s_cmp_lg_u64 vcc, 0
	s_subb_u32 s6, s2, 0
	v_subrev_co_u32_e32 v6, vcc, s33, v3
	s_cmp_lg_u64 vcc, 0
	s_subb_u32 s7, s6, 0
	v_cmp_le_u32_e32 vcc, s33, v3
	s_cmp_eq_u32 s6, 0
	v_cndmask_b32_e64 v7, 0, -1, vcc
	s_cselect_b64 vcc, -1, 0
	v_cndmask_b32_e32 v7, -1, v7, vcc
	v_mov_b32_e32 v8, s6
	v_mov_b32_e32 v9, s7
	v_cmp_ne_u32_e32 vcc, 0, v7
	v_cndmask_b32_e32 v7, v8, v9, vcc
	v_cndmask_b32_e32 v6, v3, v6, vcc
	v_cmp_le_u32_e32 vcc, s33, v2
	s_cmp_eq_u32 s2, 0
	v_cndmask_b32_e64 v3, 0, -1, vcc
	s_cselect_b64 vcc, -1, 0
	v_cndmask_b32_e32 v3, -1, v3, vcc
	v_mov_b32_e32 v8, s2
	v_cmp_ne_u32_e32 vcc, 0, v3
	v_cndmask_b32_e32 v3, v8, v7, vcc
	v_cndmask_b32_e32 v2, v2, v6, vcc
	s_cbranch_execnz .LBB225_398
.LBB225_397:                            ;   in Loop: Header=BB225_31 Depth=1
	v_cvt_f32_u32_e32 v2, s33
	s_sub_i32 s2, 0, s33
	v_rcp_iflag_f32_e32 v2, v2
	v_mul_f32_e32 v2, 0x4f7ffffe, v2
	v_cvt_u32_f32_e32 v2, v2
	v_mul_lo_u32 v3, s2, v2
	v_mul_hi_u32 v3, v2, v3
	v_add_u32_e32 v2, v2, v3
	v_mul_hi_u32 v2, s11, v2
	v_mul_lo_u32 v2, v2, s33
	v_sub_u32_e32 v2, s11, v2
	v_subrev_u32_e32 v3, s33, v2
	v_cmp_le_u32_e32 vcc, s33, v2
	v_cndmask_b32_e32 v2, v2, v3, vcc
	v_subrev_u32_e32 v3, s33, v2
	v_cmp_le_u32_e32 vcc, s33, v2
	v_cndmask_b32_e32 v14, v2, v3, vcc
	v_pk_mov_b32 v[2:3], v[14:15], v[14:15] op_sel:[0,1]
.LBB225_398:                            ;   in Loop: Header=BB225_31 Depth=1
	v_mov_b32_e32 v6, s3
	v_sub_co_u32_e32 v2, vcc, s11, v2
	v_subb_co_u32_e32 v3, vcc, v6, v3, vcc
	v_cmp_gt_u64_e32 vcc, v[2:3], v[0:1]
	s_mov_b64 s[6:7], 0
                                        ; implicit-def: $vgpr56
	s_and_saveexec_b64 s[2:3], vcc
	s_cbranch_execz .LBB225_410
; %bb.399:                              ;   in Loop: Header=BB225_31 Depth=1
	s_mov_b64 s[46:47], 0
	v_mov_b32_e32 v8, v45
	v_pk_mov_b32 v[6:7], v[0:1], v[0:1] op_sel:[0,1]
                                        ; implicit-def: $sgpr48_sgpr49
	s_branch .LBB225_401
.LBB225_400:                            ;   in Loop: Header=BB225_401 Depth=2
	s_or_b64 exec, exec, s[6:7]
	s_waitcnt lgkmcnt(0)
	s_barrier
	ds_read_b32 v9, v15 offset:3072
	v_add_co_u32_e64 v6, s[6:7], s33, v6
	v_add_u32_e32 v8, s10, v8
	s_waitcnt lgkmcnt(0)
	v_and_b32_e32 v14, 0x7fff, v9
	v_cmp_ne_u16_e32 vcc, 0, v14
	v_mov_b32_e32 v14, s92
	v_addc_co_u32_e64 v7, s[6:7], v7, v14, s[6:7]
	v_cmp_ge_u64_e64 s[6:7], v[6:7], v[2:3]
	s_or_b64 s[6:7], s[6:7], vcc
	s_and_b64 s[6:7], exec, s[6:7]
	s_or_b64 s[46:47], s[6:7], s[46:47]
	s_andn2_b64 s[6:7], s[48:49], exec
	s_and_b64 s[48:49], vcc, exec
	s_or_b64 s[48:49], s[6:7], s[48:49]
	s_barrier
	s_andn2_b64 exec, exec, s[46:47]
	s_cbranch_execz .LBB225_409
.LBB225_401:                            ;   Parent Loop BB225_31 Depth=1
                                        ; =>  This Inner Loop Header: Depth=2
	v_cmp_gt_u64_e32 vcc, s[0:1], v[6:7]
	v_mov_b32_e32 v9, 0
	s_and_saveexec_b64 s[6:7], vcc
	s_cbranch_execz .LBB225_403
; %bb.402:                              ;   in Loop: Header=BB225_401 Depth=2
	ds_read_u16 v9, v8
.LBB225_403:                            ;   in Loop: Header=BB225_401 Depth=2
	s_or_b64 exec, exec, s[6:7]
	s_and_saveexec_b64 s[6:7], vcc
	s_cbranch_execz .LBB225_400
; %bb.404:                              ;   in Loop: Header=BB225_401 Depth=2
	s_waitcnt lgkmcnt(0)
	v_cmp_lt_i16_e32 vcc, -1, v9
	v_cndmask_b32_e32 v14, v49, v50, vcc
	v_lshlrev_b32_e32 v28, 16, v9
	v_xor_b32_sdwa v14, v14, v9 dst_sel:DWORD dst_unused:UNUSED_PAD src0_sel:DWORD src1_sel:WORD_0
	v_cmp_o_f32_e32 vcc, v28, v28
	v_cndmask_b32_e32 v14, v49, v14, vcc
	v_and_b32_e32 v14, v14, v54
	v_cmp_eq_u32_e32 vcc, v14, v55
	s_and_b64 exec, exec, vcc
	s_cbranch_execz .LBB225_400
; %bb.405:                              ;   in Loop: Header=BB225_401 Depth=2
	s_movk_i32 s11, 0x3f80
	v_perm_b32 v9, v9, s11, v53
	ds_write_b32 v15, v9 offset:3072
	s_branch .LBB225_400
.LBB225_406:                            ;   in Loop: Header=BB225_31 Depth=1
                                        ; implicit-def: $vgpr4_vgpr5
	s_branch .LBB225_351
.LBB225_407:                            ;   in Loop: Header=BB225_31 Depth=1
                                        ; implicit-def: $vgpr4_vgpr5
	s_branch .LBB225_367
.LBB225_408:                            ;   in Loop: Header=BB225_31 Depth=1
	s_mov_b64 s[2:3], -1
	s_mov_b64 s[6:7], 0
                                        ; implicit-def: $sgpr46_sgpr47
                                        ; implicit-def: $vgpr56
	s_mov_b64 s[48:49], s[2:3]
	s_cbranch_execnz .LBB225_411
	s_branch .LBB225_424
.LBB225_409:                            ;   in Loop: Header=BB225_31 Depth=1
	s_or_b64 exec, exec, s[46:47]
	v_lshrrev_b32_e32 v56, 16, v9
	s_and_b64 s[6:7], s[48:49], exec
.LBB225_410:                            ;   in Loop: Header=BB225_31 Depth=1
	s_or_b64 exec, exec, s[2:3]
	s_mov_b64 s[2:3], 0
	s_mov_b64 s[46:47], -1
	s_mov_b64 s[48:49], s[2:3]
	s_branch .LBB225_424
.LBB225_411:                            ;   in Loop: Header=BB225_31 Depth=1
	v_readlane_b32 s48, v61, 31
	v_readlane_b32 s49, v61, 32
	s_mov_b32 s48, s87
	s_cmp_lg_u64 s[48:49], 0
	v_writelane_b32 v61, s48, 31
	v_writelane_b32 v61, s49, 32
	s_cbranch_scc0 .LBB225_444
; %bb.412:                              ;   in Loop: Header=BB225_31 Depth=1
	v_cvt_f32_u32_e32 v2, s33
	s_sub_u32 s0, 0, s33
	s_subb_u32 s1, 0, 0
	v_mac_f32_e32 v2, 0, v51
	v_rcp_f32_e32 v2, v2
	v_mul_f32_e32 v2, 0x5f7ffffc, v2
	v_mul_f32_e32 v3, 0x2f800000, v2
	v_trunc_f32_e32 v3, v3
	v_mac_f32_e32 v2, 0xcf800000, v3
	v_cvt_u32_f32_e32 v3, v3
	v_cvt_u32_f32_e32 v2, v2
	v_readfirstlane_b32 s2, v3
	v_readfirstlane_b32 s3, v2
	s_mul_i32 s6, s0, s2
	s_mul_hi_u32 s11, s0, s3
	s_mul_i32 s7, s1, s3
	s_add_i32 s6, s11, s6
	s_mul_i32 s46, s0, s3
	s_add_i32 s6, s6, s7
	s_mul_hi_u32 s11, s3, s46
	s_mul_hi_u32 s7, s3, s6
	s_mul_i32 s3, s3, s6
	s_add_u32 s3, s11, s3
	s_addc_u32 s7, 0, s7
	s_mul_hi_u32 s47, s2, s46
	s_mul_i32 s46, s2, s46
	s_add_u32 s3, s3, s46
	s_mul_hi_u32 s11, s2, s6
	s_addc_u32 s3, s7, s47
	s_addc_u32 s7, s11, 0
	s_mul_i32 s6, s2, s6
	s_add_u32 s3, s3, s6
	s_addc_u32 s6, 0, s7
	v_add_co_u32_e32 v2, vcc, s3, v2
	s_cmp_lg_u64 vcc, 0
	s_addc_u32 s2, s2, s6
	v_readfirstlane_b32 s6, v2
	s_mul_i32 s3, s0, s2
	s_mul_hi_u32 s7, s0, s6
	s_add_i32 s3, s7, s3
	s_mul_i32 s1, s1, s6
	s_add_i32 s3, s3, s1
	s_mul_i32 s0, s0, s6
	s_mul_hi_u32 s7, s2, s0
	s_mul_i32 s11, s2, s0
	s_mul_i32 s47, s6, s3
	s_mul_hi_u32 s0, s6, s0
	s_mul_hi_u32 s46, s6, s3
	s_add_u32 s0, s0, s47
	s_addc_u32 s6, 0, s46
	s_add_u32 s0, s0, s11
	s_mul_hi_u32 s1, s2, s3
	s_addc_u32 s0, s6, s7
	s_addc_u32 s1, s1, 0
	s_mul_i32 s3, s2, s3
	s_add_u32 s0, s0, s3
	s_addc_u32 s1, 0, s1
	v_add_co_u32_e32 v2, vcc, s0, v2
	s_cmp_lg_u64 vcc, 0
	s_addc_u32 s0, s2, s1
	v_readlane_b32 s11, v61, 29
	v_readfirstlane_b32 s3, v2
	s_mul_i32 s2, s11, s0
	s_mul_hi_u32 s6, s11, s3
	s_mul_hi_u32 s1, s11, s0
	s_add_u32 s2, s6, s2
	s_addc_u32 s1, 0, s1
	s_mul_hi_u32 s7, s49, s3
	s_mul_i32 s3, s49, s3
	s_add_u32 s2, s2, s3
	s_mul_hi_u32 s6, s49, s0
	s_addc_u32 s1, s1, s7
	s_addc_u32 s2, s6, 0
	s_mul_i32 s0, s49, s0
	s_add_u32 s0, s1, s0
	s_addc_u32 s1, 0, s2
	s_mul_hi_u32 s2, s33, s0
	s_mul_i32 s0, s33, s0
	s_mul_i32 s1, s33, s1
	v_mov_b32_e32 v2, s0
	s_add_i32 s2, s2, s1
	v_sub_co_u32_e32 v2, vcc, s11, v2
	s_cmp_lg_u64 vcc, 0
	s_subb_u32 s0, s49, s2
	v_subrev_co_u32_e32 v3, vcc, s33, v2
	s_cmp_lg_u64 vcc, 0
	s_subb_u32 s1, s0, 0
	v_subrev_co_u32_e32 v6, vcc, s33, v3
	s_cmp_lg_u64 vcc, 0
	s_subb_u32 s2, s1, 0
	v_cmp_le_u32_e32 vcc, s33, v3
	s_cmp_eq_u32 s1, 0
	v_cndmask_b32_e64 v7, 0, -1, vcc
	s_cselect_b64 vcc, -1, 0
	v_cndmask_b32_e32 v7, -1, v7, vcc
	v_mov_b32_e32 v8, s1
	v_mov_b32_e32 v9, s2
	v_cmp_ne_u32_e32 vcc, 0, v7
	v_cndmask_b32_e32 v7, v8, v9, vcc
	v_cndmask_b32_e32 v6, v3, v6, vcc
	v_cmp_le_u32_e32 vcc, s33, v2
	s_cmp_eq_u32 s0, 0
	v_cndmask_b32_e64 v3, 0, -1, vcc
	s_cselect_b64 vcc, -1, 0
	v_cndmask_b32_e32 v3, -1, v3, vcc
	v_mov_b32_e32 v8, s0
	v_cmp_ne_u32_e32 vcc, 0, v3
	v_cndmask_b32_e32 v3, v8, v7, vcc
	v_cndmask_b32_e32 v2, v2, v6, vcc
	s_cbranch_execnz .LBB225_414
.LBB225_413:                            ;   in Loop: Header=BB225_31 Depth=1
	v_cvt_f32_u32_e32 v2, s33
	s_sub_i32 s0, 0, s33
	v_rcp_iflag_f32_e32 v2, v2
	v_mul_f32_e32 v2, 0x4f7ffffe, v2
	v_cvt_u32_f32_e32 v2, v2
	v_mul_lo_u32 v3, s0, v2
	v_mul_hi_u32 v3, v2, v3
	v_add_u32_e32 v2, v2, v3
	v_readlane_b32 s0, v61, 29
	v_mul_hi_u32 v2, s0, v2
	v_mul_lo_u32 v2, v2, s33
	v_sub_u32_e32 v2, s0, v2
	v_subrev_u32_e32 v3, s33, v2
	v_cmp_le_u32_e32 vcc, s33, v2
	v_cndmask_b32_e32 v2, v2, v3, vcc
	v_subrev_u32_e32 v3, s33, v2
	v_cmp_le_u32_e32 vcc, s33, v2
	v_cndmask_b32_e32 v14, v2, v3, vcc
	v_pk_mov_b32 v[2:3], v[14:15], v[14:15] op_sel:[0,1]
.LBB225_414:                            ;   in Loop: Header=BB225_31 Depth=1
	v_readlane_b32 s0, v61, 31
	v_readlane_b32 s1, v61, 32
	v_readlane_b32 s0, v61, 29
	v_mov_b32_e32 v6, s1
	v_sub_co_u32_e32 v2, vcc, s0, v2
	v_subb_co_u32_e32 v3, vcc, v6, v3, vcc
	v_cmp_gt_u64_e32 vcc, v[2:3], v[0:1]
	s_mov_b64 s[6:7], 0
                                        ; implicit-def: $vgpr56
	s_and_saveexec_b64 s[0:1], vcc
	s_cbranch_execz .LBB225_423
; %bb.415:                              ;   in Loop: Header=BB225_31 Depth=1
	s_mov_b64 s[2:3], 0
	v_pk_mov_b32 v[6:7], v[26:27], v[26:27] op_sel:[0,1]
	v_pk_mov_b32 v[8:9], v[0:1], v[0:1] op_sel:[0,1]
                                        ; implicit-def: $sgpr46_sgpr47
	s_branch .LBB225_417
.LBB225_416:                            ;   in Loop: Header=BB225_417 Depth=2
	s_or_b64 exec, exec, s[6:7]
	s_waitcnt lgkmcnt(0)
	s_barrier
	s_waitcnt vmcnt(0)
	ds_read_b32 v14, v15 offset:3072
	v_add_co_u32_e64 v8, s[6:7], s33, v8
	s_waitcnt lgkmcnt(0)
	s_barrier
	v_and_b32_e32 v28, 0x7fff, v14
	v_cmp_ne_u16_e32 vcc, 0, v28
	v_mov_b32_e32 v28, s92
	v_addc_co_u32_e64 v9, s[6:7], v9, v28, s[6:7]
	v_cmp_ge_u64_e64 s[6:7], v[8:9], v[2:3]
	s_or_b64 s[48:49], s[6:7], vcc
	v_mov_b32_e32 v28, s65
	v_add_co_u32_e64 v6, s[6:7], s64, v6
	v_addc_co_u32_e64 v7, s[6:7], v7, v28, s[6:7]
	s_and_b64 s[6:7], exec, s[48:49]
	s_or_b64 s[2:3], s[6:7], s[2:3]
	s_andn2_b64 s[6:7], s[46:47], exec
	s_and_b64 s[46:47], vcc, exec
	s_or_b64 s[46:47], s[6:7], s[46:47]
	s_andn2_b64 exec, exec, s[2:3]
	s_cbranch_execz .LBB225_422
.LBB225_417:                            ;   Parent Loop BB225_31 Depth=1
                                        ; =>  This Inner Loop Header: Depth=2
	v_cmp_gt_u64_e32 vcc, s[60:61], v[8:9]
	v_mov_b32_e32 v14, 0
	s_and_saveexec_b64 s[6:7], vcc
	s_cbranch_execz .LBB225_419
; %bb.418:                              ;   in Loop: Header=BB225_417 Depth=2
	global_load_ushort v14, v[6:7], off
.LBB225_419:                            ;   in Loop: Header=BB225_417 Depth=2
	s_or_b64 exec, exec, s[6:7]
	s_and_saveexec_b64 s[6:7], vcc
	s_cbranch_execz .LBB225_416
; %bb.420:                              ;   in Loop: Header=BB225_417 Depth=2
	s_waitcnt vmcnt(0)
	v_cmp_lt_i16_e32 vcc, -1, v14
	v_cndmask_b32_e32 v28, v49, v50, vcc
	v_lshlrev_b32_e32 v29, 16, v14
	v_xor_b32_sdwa v28, v28, v14 dst_sel:DWORD dst_unused:UNUSED_PAD src0_sel:DWORD src1_sel:WORD_0
	v_cmp_o_f32_e32 vcc, v29, v29
	v_cndmask_b32_e32 v28, v49, v28, vcc
	v_and_b32_e32 v28, v28, v54
	v_cmp_eq_u32_e32 vcc, v28, v55
	s_and_b64 exec, exec, vcc
	s_cbranch_execz .LBB225_416
; %bb.421:                              ;   in Loop: Header=BB225_417 Depth=2
	s_movk_i32 s11, 0x3f80
	v_perm_b32 v14, v14, s11, v53
	ds_write_b32 v15, v14 offset:3072
	s_branch .LBB225_416
.LBB225_422:                            ;   in Loop: Header=BB225_31 Depth=1
	s_or_b64 exec, exec, s[2:3]
	v_lshrrev_b32_e32 v56, 16, v14
	s_and_b64 s[6:7], s[46:47], exec
.LBB225_423:                            ;   in Loop: Header=BB225_31 Depth=1
	s_or_b64 exec, exec, s[0:1]
	s_mov_b64 s[46:47], 0
	s_mov_b64 s[2:3], -1
	s_mov_b64 s[48:49], 0
.LBB225_424:                            ;   in Loop: Header=BB225_31 Depth=1
	s_orn2_b64 s[6:7], s[6:7], exec
.LBB225_425:                            ;   in Loop: Header=BB225_31 Depth=1
	s_or_b64 exec, exec, s[50:51]
	s_mov_b64 s[0:1], 0
                                        ; implicit-def: $vgpr7
	s_and_saveexec_b64 s[50:51], s[6:7]
	s_cbranch_execz .LBB225_490
; %bb.426:                              ;   in Loop: Header=BB225_31 Depth=1
	v_mov_b32_e32 v2, 1
	s_xor_b64 s[6:7], s[52:53], -1
	s_mov_b64 s[54:55], 0
	v_mov_b32_e32 v3, 0
	v_mov_b32_e32 v7, 1
	s_and_saveexec_b64 s[0:1], s[6:7]
	s_cbranch_execz .LBB225_436
; %bb.427:                              ;   in Loop: Header=BB225_31 Depth=1
	v_cmp_ge_u64_e32 vcc, s[18:19], v[4:5]
                                        ; implicit-def: $sgpr11
                                        ; implicit-def: $sgpr6_sgpr7
	s_and_saveexec_b64 s[52:53], vcc
	s_xor_b64 s[52:53], exec, s[52:53]
	s_cbranch_execz .LBB225_433
; %bb.428:                              ;   in Loop: Header=BB225_31 Depth=1
	ds_read_b64 v[2:3], v15 offset:5120
	s_waitcnt lgkmcnt(0)
	v_cmp_ne_u64_e32 vcc, 0, v[2:3]
	s_cbranch_vccnz .LBB225_432
; %bb.429:                              ;   in Loop: Header=BB225_31 Depth=1
	s_mov_b64 s[6:7], exec
	v_readlane_b32 s54, v61, 10
	v_readlane_b32 s55, v61, 11
	s_and_b64 s[54:55], s[6:7], s[54:55]
	s_mov_b64 exec, s[54:55]
	s_cbranch_execz .LBB225_431
; %bb.430:                              ;   in Loop: Header=BB225_31 Depth=1
	v_pk_mov_b32 v[2:3], s[18:19], s[18:19] op_sel:[0,1]
	ds_write_b64 v15, v[2:3] offset:5128
.LBB225_431:                            ;   in Loop: Header=BB225_31 Depth=1
	s_or_b64 exec, exec, s[6:7]
	s_waitcnt lgkmcnt(0)
	s_barrier
.LBB225_432:                            ;   in Loop: Header=BB225_31 Depth=1
	v_and_b32_e32 v2, s94, v55
	v_lshl_or_b32 v55, 1, s95, v2
	v_or_b32_e32 v54, s86, v54
	s_mov_b64 s[6:7], 0
	s_mov_b32 s11, 5
.LBB225_433:                            ;   in Loop: Header=BB225_31 Depth=1
	s_or_saveexec_b64 s[52:53], s[52:53]
	v_mov_b32_e32 v7, s11
	s_xor_b64 exec, exec, s[52:53]
; %bb.434:                              ;   in Loop: Header=BB225_31 Depth=1
	v_mov_b32_e32 v2, s19
	v_subrev_co_u32_e32 v4, vcc, s18, v4
	v_subb_co_u32_e32 v5, vcc, v5, v2, vcc
	v_mov_b32_e32 v7, 0
	s_or_b64 s[6:7], s[6:7], exec
; %bb.435:                              ;   in Loop: Header=BB225_31 Depth=1
	s_or_b64 exec, exec, s[52:53]
	s_and_b64 s[54:55], s[6:7], exec
	v_pk_mov_b32 v[2:3], v[4:5], v[4:5] op_sel:[0,1]
.LBB225_436:                            ;   in Loop: Header=BB225_31 Depth=1
	s_or_b64 exec, exec, s[0:1]
	s_mov_b64 s[52:53], -1
                                        ; implicit-def: $sgpr0_sgpr1
                                        ; implicit-def: $sgpr6_sgpr7
                                        ; implicit-def: $sgpr66_sgpr67
	s_and_saveexec_b64 s[18:19], s[54:55]
	s_cbranch_execz .LBB225_489
; %bb.437:                              ;   in Loop: Header=BB225_31 Depth=1
	s_cmp_eq_u64 s[16:17], 1
	s_cselect_b64 s[0:1], -1, 0
	v_cmp_eq_u64_e32 vcc, 1, v[2:3]
	s_and_b64 s[52:53], s[0:1], vcc
	s_mov_b64 s[80:81], -1
                                        ; implicit-def: $sgpr0_sgpr1
                                        ; implicit-def: $sgpr6_sgpr7
                                        ; implicit-def: $sgpr66_sgpr67
	s_and_saveexec_b64 s[54:55], s[52:53]
	s_cbranch_execz .LBB225_476
; %bb.438:                              ;   in Loop: Header=BB225_31 Depth=1
	ds_read_b64 v[4:5], v15 offset:5120
	s_waitcnt lgkmcnt(0)
	s_barrier
	v_readfirstlane_b32 s0, v4
	v_readfirstlane_b32 s1, v5
	s_mov_b64 s[6:7], exec
	v_readlane_b32 s66, v61, 24
	v_readlane_b32 s67, v61, 25
	s_and_b64 s[66:67], s[6:7], s[66:67]
	s_mov_b64 exec, s[66:67]
	s_cbranch_execz .LBB225_440
; %bb.439:                              ;   in Loop: Header=BB225_31 Depth=1
	ds_write_b16 v46, v15
.LBB225_440:                            ;   in Loop: Header=BB225_31 Depth=1
	s_or_b64 exec, exec, s[6:7]
	v_and_b32_e32 v55, s94, v55
	v_or_b32_e32 v54, s86, v54
	s_cmp_eq_u64 s[0:1], 0
	s_waitcnt lgkmcnt(0)
	s_barrier
	s_cbranch_scc1 .LBB225_445
; %bb.441:                              ;   in Loop: Header=BB225_31 Depth=1
	v_readlane_b32 s6, v61, 28
	s_add_u32 s11, s6, s0
	v_readlane_b32 s6, v61, 30
	s_addc_u32 s7, s6, s1
	s_mov_b32 s6, s87
	s_cmp_lg_u64 s[6:7], 0
	s_cbranch_scc0 .LBB225_446
; %bb.442:                              ;   in Loop: Header=BB225_31 Depth=1
	v_cvt_f32_u32_e32 v4, s33
	s_sub_u32 s6, 0, s33
	s_subb_u32 s66, 0, 0
	v_mac_f32_e32 v4, 0, v51
	v_rcp_f32_e32 v4, v4
	v_mul_f32_e32 v4, 0x5f7ffffc, v4
	v_mul_f32_e32 v5, 0x2f800000, v4
	v_trunc_f32_e32 v5, v5
	v_mac_f32_e32 v4, 0xcf800000, v5
	v_cvt_u32_f32_e32 v5, v5
	v_cvt_u32_f32_e32 v4, v4
	v_readfirstlane_b32 s67, v5
	v_readfirstlane_b32 s68, v4
	s_mul_i32 s69, s6, s67
	s_mul_hi_u32 s81, s6, s68
	s_mul_i32 s80, s66, s68
	s_add_i32 s69, s81, s69
	s_mul_i32 s88, s6, s68
	s_add_i32 s69, s69, s80
	s_mul_hi_u32 s81, s68, s88
	s_mul_hi_u32 s80, s68, s69
	s_mul_i32 s68, s68, s69
	s_add_u32 s68, s81, s68
	s_addc_u32 s80, 0, s80
	s_mul_hi_u32 s89, s67, s88
	s_mul_i32 s88, s67, s88
	s_add_u32 s68, s68, s88
	s_mul_hi_u32 s81, s67, s69
	s_addc_u32 s68, s80, s89
	s_addc_u32 s80, s81, 0
	s_mul_i32 s69, s67, s69
	s_add_u32 s68, s68, s69
	s_addc_u32 s69, 0, s80
	v_add_co_u32_e32 v4, vcc, s68, v4
	s_cmp_lg_u64 vcc, 0
	s_addc_u32 s67, s67, s69
	v_readfirstlane_b32 s69, v4
	s_mul_i32 s68, s6, s67
	s_mul_hi_u32 s80, s6, s69
	s_add_i32 s68, s80, s68
	s_mul_i32 s66, s66, s69
	s_add_i32 s68, s68, s66
	s_mul_i32 s6, s6, s69
	s_mul_hi_u32 s80, s67, s6
	s_mul_i32 s81, s67, s6
	s_mul_i32 s89, s69, s68
	s_mul_hi_u32 s6, s69, s6
	s_mul_hi_u32 s88, s69, s68
	s_add_u32 s6, s6, s89
	s_addc_u32 s69, 0, s88
	s_add_u32 s6, s6, s81
	s_mul_hi_u32 s66, s67, s68
	s_addc_u32 s6, s69, s80
	s_addc_u32 s66, s66, 0
	s_mul_i32 s68, s67, s68
	s_add_u32 s6, s6, s68
	s_addc_u32 s66, 0, s66
	v_add_co_u32_e32 v4, vcc, s6, v4
	s_cmp_lg_u64 vcc, 0
	s_addc_u32 s6, s67, s66
	v_readfirstlane_b32 s68, v4
	s_mul_i32 s67, s11, s6
	s_mul_hi_u32 s69, s11, s68
	s_mul_hi_u32 s66, s11, s6
	s_add_u32 s67, s69, s67
	s_addc_u32 s66, 0, s66
	s_mul_hi_u32 s80, s7, s68
	s_mul_i32 s68, s7, s68
	s_add_u32 s67, s67, s68
	s_mul_hi_u32 s69, s7, s6
	s_addc_u32 s66, s66, s80
	s_addc_u32 s67, s69, 0
	s_mul_i32 s6, s7, s6
	s_add_u32 s6, s66, s6
	s_addc_u32 s66, 0, s67
	s_mul_hi_u32 s67, s33, s6
	s_mul_i32 s6, s33, s6
	s_mul_i32 s66, s33, s66
	v_mov_b32_e32 v4, s6
	s_add_i32 s67, s67, s66
	v_sub_co_u32_e32 v4, vcc, s11, v4
	s_cmp_lg_u64 vcc, 0
	s_subb_u32 s6, s7, s67
	v_subrev_co_u32_e32 v5, vcc, s33, v4
	s_cmp_lg_u64 vcc, 0
	s_subb_u32 s66, s6, 0
	v_subrev_co_u32_e32 v6, vcc, s33, v5
	s_cmp_lg_u64 vcc, 0
	s_subb_u32 s67, s66, 0
	v_cmp_le_u32_e32 vcc, s33, v5
	s_cmp_eq_u32 s66, 0
	v_cndmask_b32_e64 v7, 0, -1, vcc
	s_cselect_b64 vcc, -1, 0
	v_cndmask_b32_e32 v7, -1, v7, vcc
	v_mov_b32_e32 v8, s66
	v_mov_b32_e32 v9, s67
	v_cmp_ne_u32_e32 vcc, 0, v7
	v_cndmask_b32_e32 v7, v8, v9, vcc
	v_cndmask_b32_e32 v6, v5, v6, vcc
	v_cmp_le_u32_e32 vcc, s33, v4
	s_cmp_eq_u32 s6, 0
	v_cndmask_b32_e64 v5, 0, -1, vcc
	s_cselect_b64 vcc, -1, 0
	v_cndmask_b32_e32 v5, -1, v5, vcc
	v_mov_b32_e32 v8, s6
	v_cmp_ne_u32_e32 vcc, 0, v5
	v_cndmask_b32_e32 v5, v8, v7, vcc
	v_cndmask_b32_e32 v4, v4, v6, vcc
	s_mov_b64 s[66:67], 0
	s_branch .LBB225_447
.LBB225_443:                            ;   in Loop: Header=BB225_31 Depth=1
                                        ; implicit-def: $vgpr2_vgpr3
	s_branch .LBB225_397
.LBB225_444:                            ;   in Loop: Header=BB225_31 Depth=1
                                        ; implicit-def: $vgpr2_vgpr3
	s_branch .LBB225_413
.LBB225_445:                            ;   in Loop: Header=BB225_31 Depth=1
	s_mov_b64 s[0:1], -1
	s_mov_b64 s[80:81], 0
                                        ; implicit-def: $sgpr6_sgpr7
                                        ; implicit-def: $vgpr56
	s_branch .LBB225_459
.LBB225_446:                            ;   in Loop: Header=BB225_31 Depth=1
	s_mov_b64 s[66:67], -1
                                        ; implicit-def: $vgpr4_vgpr5
.LBB225_447:                            ;   in Loop: Header=BB225_31 Depth=1
	s_andn2_b64 vcc, exec, s[66:67]
	s_cbranch_vccnz .LBB225_449
; %bb.448:                              ;   in Loop: Header=BB225_31 Depth=1
	v_cvt_f32_u32_e32 v4, s33
	s_sub_i32 s6, 0, s33
	v_rcp_iflag_f32_e32 v4, v4
	v_mul_f32_e32 v4, 0x4f7ffffe, v4
	v_cvt_u32_f32_e32 v4, v4
	v_mul_lo_u32 v5, s6, v4
	v_mul_hi_u32 v5, v4, v5
	v_add_u32_e32 v4, v4, v5
	v_mul_hi_u32 v4, s11, v4
	v_mul_lo_u32 v4, v4, s33
	v_sub_u32_e32 v4, s11, v4
	v_subrev_u32_e32 v5, s33, v4
	v_cmp_le_u32_e32 vcc, s33, v4
	v_cndmask_b32_e32 v4, v4, v5, vcc
	v_subrev_u32_e32 v5, s33, v4
	v_cmp_le_u32_e32 vcc, s33, v4
	v_cndmask_b32_e32 v14, v4, v5, vcc
	v_pk_mov_b32 v[4:5], v[14:15], v[14:15] op_sel:[0,1]
.LBB225_449:                            ;   in Loop: Header=BB225_31 Depth=1
	v_mov_b32_e32 v6, s7
	v_sub_co_u32_e32 v4, vcc, s11, v4
	v_subb_co_u32_e32 v5, vcc, v6, v5, vcc
	v_cmp_gt_u64_e32 vcc, v[4:5], v[0:1]
	s_mov_b64 s[80:81], 0
                                        ; implicit-def: $vgpr56
	s_and_saveexec_b64 s[66:67], vcc
	s_cbranch_execz .LBB225_458
; %bb.450:                              ;   in Loop: Header=BB225_31 Depth=1
	v_mov_b32_e32 v8, v45
	v_pk_mov_b32 v[6:7], v[0:1], v[0:1] op_sel:[0,1]
                                        ; implicit-def: $sgpr88_sgpr89
	s_branch .LBB225_452
.LBB225_451:                            ;   in Loop: Header=BB225_452 Depth=2
	s_or_b64 exec, exec, s[6:7]
	s_waitcnt lgkmcnt(0)
	s_barrier
	ds_read_b32 v9, v15 offset:3072
	v_add_co_u32_e64 v6, s[6:7], s33, v6
	v_add_u32_e32 v8, s10, v8
	s_waitcnt lgkmcnt(0)
	v_and_b32_e32 v14, 0x7fff, v9
	v_cmp_ne_u16_e32 vcc, 0, v14
	v_mov_b32_e32 v14, s92
	v_addc_co_u32_e64 v7, s[6:7], v7, v14, s[6:7]
	v_cmp_ge_u64_e64 s[6:7], v[6:7], v[4:5]
	s_or_b64 s[6:7], s[6:7], vcc
	s_and_b64 s[6:7], exec, s[6:7]
	s_or_b64 s[80:81], s[6:7], s[80:81]
	s_andn2_b64 s[6:7], s[88:89], exec
	s_and_b64 s[68:69], vcc, exec
	s_or_b64 s[88:89], s[6:7], s[68:69]
	s_barrier
	s_andn2_b64 exec, exec, s[80:81]
	s_cbranch_execz .LBB225_457
.LBB225_452:                            ;   Parent Loop BB225_31 Depth=1
                                        ; =>  This Inner Loop Header: Depth=2
	v_cmp_gt_u64_e32 vcc, s[0:1], v[6:7]
	v_mov_b32_e32 v9, 0
	s_and_saveexec_b64 s[6:7], vcc
	s_cbranch_execz .LBB225_454
; %bb.453:                              ;   in Loop: Header=BB225_452 Depth=2
	ds_read_u16 v9, v8
.LBB225_454:                            ;   in Loop: Header=BB225_452 Depth=2
	s_or_b64 exec, exec, s[6:7]
	s_and_saveexec_b64 s[6:7], vcc
	s_cbranch_execz .LBB225_451
; %bb.455:                              ;   in Loop: Header=BB225_452 Depth=2
	s_waitcnt lgkmcnt(0)
	v_cmp_lt_i16_e32 vcc, -1, v9
	v_cndmask_b32_e32 v14, v49, v50, vcc
	v_lshlrev_b32_e32 v28, 16, v9
	v_xor_b32_sdwa v14, v14, v9 dst_sel:DWORD dst_unused:UNUSED_PAD src0_sel:DWORD src1_sel:WORD_0
	v_cmp_o_f32_e32 vcc, v28, v28
	v_cndmask_b32_e32 v14, v49, v14, vcc
	v_and_b32_e32 v14, v14, v54
	v_cmp_eq_u32_e32 vcc, v14, v55
	s_and_b64 exec, exec, vcc
	s_cbranch_execz .LBB225_451
; %bb.456:                              ;   in Loop: Header=BB225_452 Depth=2
	s_movk_i32 s11, 0x3f80
	v_perm_b32 v9, v9, s11, v53
	ds_write_b32 v15, v9 offset:3072
	s_branch .LBB225_451
.LBB225_457:                            ;   in Loop: Header=BB225_31 Depth=1
	s_or_b64 exec, exec, s[80:81]
	v_lshrrev_b32_e32 v56, 16, v9
	s_and_b64 s[80:81], s[88:89], exec
.LBB225_458:                            ;   in Loop: Header=BB225_31 Depth=1
	s_or_b64 exec, exec, s[66:67]
	s_mov_b64 s[0:1], 0
	s_mov_b64 s[6:7], -1
.LBB225_459:                            ;   in Loop: Header=BB225_31 Depth=1
	s_and_b64 vcc, exec, s[0:1]
	s_mov_b64 s[66:67], s[0:1]
	s_cbranch_vccz .LBB225_475
; %bb.460:                              ;   in Loop: Header=BB225_31 Depth=1
	v_readlane_b32 s80, v61, 31
	v_readlane_b32 s81, v61, 32
	s_mov_b32 s80, s87
	s_cmp_lg_u64 s[80:81], 0
	v_writelane_b32 v61, s80, 31
	v_writelane_b32 v61, s81, 32
	s_cbranch_scc0 .LBB225_462
; %bb.461:                              ;   in Loop: Header=BB225_31 Depth=1
	v_cvt_f32_u32_e32 v4, s33
	s_sub_u32 s0, 0, s33
	s_subb_u32 s1, 0, 0
	v_mac_f32_e32 v4, 0, v51
	v_rcp_f32_e32 v4, v4
	v_mul_f32_e32 v4, 0x5f7ffffc, v4
	v_mul_f32_e32 v5, 0x2f800000, v4
	v_trunc_f32_e32 v5, v5
	v_mac_f32_e32 v4, 0xcf800000, v5
	v_cvt_u32_f32_e32 v5, v5
	v_cvt_u32_f32_e32 v4, v4
	v_readfirstlane_b32 s6, v5
	v_readfirstlane_b32 s7, v4
	s_mul_i32 s11, s0, s6
	s_mul_hi_u32 s67, s0, s7
	s_mul_i32 s66, s1, s7
	s_add_i32 s11, s67, s11
	s_mul_i32 s68, s0, s7
	s_add_i32 s11, s11, s66
	s_mul_hi_u32 s67, s7, s68
	s_mul_hi_u32 s66, s7, s11
	s_mul_i32 s7, s7, s11
	s_add_u32 s7, s67, s7
	s_addc_u32 s66, 0, s66
	s_mul_hi_u32 s69, s6, s68
	s_mul_i32 s68, s6, s68
	s_add_u32 s7, s7, s68
	s_mul_hi_u32 s67, s6, s11
	s_addc_u32 s7, s66, s69
	s_addc_u32 s66, s67, 0
	s_mul_i32 s11, s6, s11
	s_add_u32 s7, s7, s11
	s_addc_u32 s11, 0, s66
	v_add_co_u32_e32 v4, vcc, s7, v4
	s_cmp_lg_u64 vcc, 0
	s_addc_u32 s6, s6, s11
	v_readfirstlane_b32 s11, v4
	s_mul_i32 s7, s0, s6
	s_mul_hi_u32 s66, s0, s11
	s_add_i32 s7, s66, s7
	s_mul_i32 s1, s1, s11
	s_add_i32 s7, s7, s1
	s_mul_i32 s0, s0, s11
	s_mul_hi_u32 s66, s6, s0
	s_mul_i32 s67, s6, s0
	s_mul_i32 s69, s11, s7
	s_mul_hi_u32 s0, s11, s0
	s_mul_hi_u32 s68, s11, s7
	s_add_u32 s0, s0, s69
	s_addc_u32 s11, 0, s68
	s_add_u32 s0, s0, s67
	s_mul_hi_u32 s1, s6, s7
	s_addc_u32 s0, s11, s66
	s_addc_u32 s1, s1, 0
	s_mul_i32 s7, s6, s7
	s_add_u32 s0, s0, s7
	s_addc_u32 s1, 0, s1
	v_add_co_u32_e32 v4, vcc, s0, v4
	s_cmp_lg_u64 vcc, 0
	s_addc_u32 s0, s6, s1
	v_readlane_b32 s67, v61, 29
	v_readfirstlane_b32 s7, v4
	s_mul_i32 s6, s67, s0
	s_mul_hi_u32 s11, s67, s7
	s_mul_hi_u32 s1, s67, s0
	s_add_u32 s6, s11, s6
	s_addc_u32 s1, 0, s1
	s_mul_hi_u32 s66, s81, s7
	s_mul_i32 s7, s81, s7
	s_add_u32 s6, s6, s7
	s_mul_hi_u32 s11, s81, s0
	s_addc_u32 s1, s1, s66
	s_addc_u32 s6, s11, 0
	s_mul_i32 s0, s81, s0
	s_add_u32 s0, s1, s0
	s_addc_u32 s1, 0, s6
	s_mul_hi_u32 s6, s33, s0
	s_mul_i32 s0, s33, s0
	s_mul_i32 s1, s33, s1
	v_mov_b32_e32 v4, s0
	s_add_i32 s6, s6, s1
	v_sub_co_u32_e32 v4, vcc, s67, v4
	s_cmp_lg_u64 vcc, 0
	s_subb_u32 s0, s81, s6
	v_subrev_co_u32_e32 v5, vcc, s33, v4
	s_cmp_lg_u64 vcc, 0
	s_subb_u32 s1, s0, 0
	v_subrev_co_u32_e32 v6, vcc, s33, v5
	s_cmp_lg_u64 vcc, 0
	s_subb_u32 s6, s1, 0
	v_cmp_le_u32_e32 vcc, s33, v5
	s_cmp_eq_u32 s1, 0
	v_cndmask_b32_e64 v7, 0, -1, vcc
	s_cselect_b64 vcc, -1, 0
	v_cndmask_b32_e32 v7, -1, v7, vcc
	v_mov_b32_e32 v8, s1
	v_mov_b32_e32 v9, s6
	v_cmp_ne_u32_e32 vcc, 0, v7
	v_cndmask_b32_e32 v7, v8, v9, vcc
	v_cndmask_b32_e32 v6, v5, v6, vcc
	v_cmp_le_u32_e32 vcc, s33, v4
	s_cmp_eq_u32 s0, 0
	v_cndmask_b32_e64 v5, 0, -1, vcc
	s_cselect_b64 vcc, -1, 0
	v_cndmask_b32_e32 v5, -1, v5, vcc
	v_mov_b32_e32 v8, s0
	v_cmp_ne_u32_e32 vcc, 0, v5
	v_cndmask_b32_e32 v5, v8, v7, vcc
	v_cndmask_b32_e32 v4, v4, v6, vcc
	s_mov_b64 s[0:1], 0
	s_branch .LBB225_463
.LBB225_462:                            ;   in Loop: Header=BB225_31 Depth=1
	s_mov_b64 s[0:1], -1
                                        ; implicit-def: $vgpr4_vgpr5
.LBB225_463:                            ;   in Loop: Header=BB225_31 Depth=1
	s_andn2_b64 vcc, exec, s[0:1]
	s_cbranch_vccnz .LBB225_465
; %bb.464:                              ;   in Loop: Header=BB225_31 Depth=1
	v_cvt_f32_u32_e32 v4, s33
	s_sub_i32 s0, 0, s33
	v_rcp_iflag_f32_e32 v4, v4
	v_mul_f32_e32 v4, 0x4f7ffffe, v4
	v_cvt_u32_f32_e32 v4, v4
	v_mul_lo_u32 v5, s0, v4
	v_mul_hi_u32 v5, v4, v5
	v_add_u32_e32 v4, v4, v5
	v_readlane_b32 s0, v61, 29
	v_mul_hi_u32 v4, s0, v4
	v_mul_lo_u32 v4, v4, s33
	v_sub_u32_e32 v4, s0, v4
	v_subrev_u32_e32 v5, s33, v4
	v_cmp_le_u32_e32 vcc, s33, v4
	v_cndmask_b32_e32 v4, v4, v5, vcc
	v_subrev_u32_e32 v5, s33, v4
	v_cmp_le_u32_e32 vcc, s33, v4
	v_cndmask_b32_e32 v14, v4, v5, vcc
	v_pk_mov_b32 v[4:5], v[14:15], v[14:15] op_sel:[0,1]
.LBB225_465:                            ;   in Loop: Header=BB225_31 Depth=1
	v_readlane_b32 s0, v61, 31
	v_readlane_b32 s1, v61, 32
	;; [unrolled: 1-line block ×3, first 2 shown]
	v_mov_b32_e32 v6, s1
	v_sub_co_u32_e32 v4, vcc, s0, v4
	v_subb_co_u32_e32 v5, vcc, v6, v5, vcc
	v_cmp_gt_u64_e32 vcc, v[4:5], v[0:1]
	s_mov_b64 s[80:81], 0
                                        ; implicit-def: $vgpr56
	s_and_saveexec_b64 s[0:1], vcc
	s_cbranch_execz .LBB225_474
; %bb.466:                              ;   in Loop: Header=BB225_31 Depth=1
	s_mov_b64 s[66:67], 0
	v_pk_mov_b32 v[6:7], v[26:27], v[26:27] op_sel:[0,1]
	v_pk_mov_b32 v[8:9], v[0:1], v[0:1] op_sel:[0,1]
                                        ; implicit-def: $sgpr80_sgpr81
	s_branch .LBB225_468
.LBB225_467:                            ;   in Loop: Header=BB225_468 Depth=2
	s_or_b64 exec, exec, s[6:7]
	s_waitcnt lgkmcnt(0)
	s_barrier
	s_waitcnt vmcnt(0)
	ds_read_b32 v14, v15 offset:3072
	v_add_co_u32_e64 v8, s[6:7], s33, v8
	s_waitcnt lgkmcnt(0)
	s_barrier
	v_and_b32_e32 v28, 0x7fff, v14
	v_cmp_ne_u16_e32 vcc, 0, v28
	v_mov_b32_e32 v28, s92
	v_addc_co_u32_e64 v9, s[6:7], v9, v28, s[6:7]
	v_cmp_ge_u64_e64 s[6:7], v[8:9], v[4:5]
	s_or_b64 s[68:69], s[6:7], vcc
	v_mov_b32_e32 v28, s65
	v_add_co_u32_e64 v6, s[6:7], s64, v6
	v_addc_co_u32_e64 v7, s[6:7], v7, v28, s[6:7]
	s_and_b64 s[6:7], exec, s[68:69]
	s_or_b64 s[66:67], s[6:7], s[66:67]
	s_andn2_b64 s[6:7], s[80:81], exec
	s_and_b64 s[68:69], vcc, exec
	s_or_b64 s[80:81], s[6:7], s[68:69]
	s_andn2_b64 exec, exec, s[66:67]
	s_cbranch_execz .LBB225_473
.LBB225_468:                            ;   Parent Loop BB225_31 Depth=1
                                        ; =>  This Inner Loop Header: Depth=2
	v_cmp_gt_u64_e32 vcc, s[60:61], v[8:9]
	v_mov_b32_e32 v14, 0
	s_and_saveexec_b64 s[6:7], vcc
	s_cbranch_execz .LBB225_470
; %bb.469:                              ;   in Loop: Header=BB225_468 Depth=2
	global_load_ushort v14, v[6:7], off
.LBB225_470:                            ;   in Loop: Header=BB225_468 Depth=2
	s_or_b64 exec, exec, s[6:7]
	s_and_saveexec_b64 s[6:7], vcc
	s_cbranch_execz .LBB225_467
; %bb.471:                              ;   in Loop: Header=BB225_468 Depth=2
	s_waitcnt vmcnt(0)
	v_cmp_lt_i16_e32 vcc, -1, v14
	v_cndmask_b32_e32 v28, v49, v50, vcc
	v_lshlrev_b32_e32 v29, 16, v14
	v_xor_b32_sdwa v28, v28, v14 dst_sel:DWORD dst_unused:UNUSED_PAD src0_sel:DWORD src1_sel:WORD_0
	v_cmp_o_f32_e32 vcc, v29, v29
	v_cndmask_b32_e32 v28, v49, v28, vcc
	v_and_b32_e32 v28, v28, v54
	v_cmp_eq_u32_e32 vcc, v28, v55
	s_and_b64 exec, exec, vcc
	s_cbranch_execz .LBB225_467
; %bb.472:                              ;   in Loop: Header=BB225_468 Depth=2
	s_movk_i32 s11, 0x3f80
	v_perm_b32 v14, v14, s11, v53
	ds_write_b32 v15, v14 offset:3072
	s_branch .LBB225_467
.LBB225_473:                            ;   in Loop: Header=BB225_31 Depth=1
	s_or_b64 exec, exec, s[66:67]
	v_lshrrev_b32_e32 v56, 16, v14
	s_and_b64 s[80:81], s[80:81], exec
.LBB225_474:                            ;   in Loop: Header=BB225_31 Depth=1
	s_or_b64 exec, exec, s[0:1]
	s_mov_b64 s[6:7], 0
	s_mov_b64 s[0:1], -1
	s_mov_b64 s[66:67], 0
.LBB225_475:                            ;   in Loop: Header=BB225_31 Depth=1
	s_orn2_b64 s[80:81], s[80:81], exec
.LBB225_476:                            ;   in Loop: Header=BB225_31 Depth=1
	s_or_b64 exec, exec, s[54:55]
	s_mov_b64 s[88:89], 0
                                        ; implicit-def: $vgpr7
                                        ; implicit-def: $vgpr4_vgpr5
	s_and_saveexec_b64 s[54:55], s[80:81]
	s_cbranch_execz .LBB225_488
; %bb.477:                              ;   in Loop: Header=BB225_31 Depth=1
	v_mov_b32_e32 v4, 1
	s_xor_b64 s[68:69], s[52:53], -1
	v_mov_b32_e32 v7, 1
	v_mov_b32_e32 v5, 0
	s_and_saveexec_b64 s[52:53], s[68:69]
	s_cbranch_execz .LBB225_487
; %bb.478:                              ;   in Loop: Header=BB225_31 Depth=1
	v_cmp_ge_u64_e32 vcc, s[16:17], v[2:3]
                                        ; implicit-def: $sgpr11
	s_and_saveexec_b64 s[68:69], vcc
	s_xor_b64 s[80:81], exec, s[68:69]
	s_cbranch_execz .LBB225_484
; %bb.479:                              ;   in Loop: Header=BB225_31 Depth=1
	ds_read_b64 v[4:5], v15 offset:5120
	s_waitcnt lgkmcnt(0)
	v_cmp_ne_u64_e32 vcc, 0, v[4:5]
	s_cbranch_vccnz .LBB225_483
; %bb.480:                              ;   in Loop: Header=BB225_31 Depth=1
	s_mov_b64 s[88:89], exec
	v_readlane_b32 s68, v61, 10
	v_readlane_b32 s69, v61, 11
	s_and_b64 s[68:69], s[88:89], s[68:69]
	s_mov_b64 exec, s[68:69]
	s_cbranch_execz .LBB225_482
; %bb.481:                              ;   in Loop: Header=BB225_31 Depth=1
	v_pk_mov_b32 v[4:5], s[16:17], s[16:17] op_sel:[0,1]
	ds_write_b64 v15, v[4:5] offset:5128
.LBB225_482:                            ;   in Loop: Header=BB225_31 Depth=1
	s_or_b64 exec, exec, s[88:89]
	s_waitcnt lgkmcnt(0)
	s_barrier
.LBB225_483:                            ;   in Loop: Header=BB225_31 Depth=1
	v_and_b32_e32 v55, s94, v55
	v_or_b32_e32 v54, s86, v54
	s_mov_b32 s11, 5
.LBB225_484:                            ;   in Loop: Header=BB225_31 Depth=1
	s_or_saveexec_b64 s[80:81], s[80:81]
	v_mov_b32_e32 v7, s11
	s_xor_b64 exec, exec, s[80:81]
; %bb.485:                              ;   in Loop: Header=BB225_31 Depth=1
	v_mov_b32_e32 v4, s17
	v_subrev_co_u32_e32 v2, vcc, s16, v2
	v_subb_co_u32_e32 v3, vcc, v3, v4, vcc
	v_mov_b32_e32 v7, 5
; %bb.486:                              ;   in Loop: Header=BB225_31 Depth=1
	s_or_b64 exec, exec, s[80:81]
	v_pk_mov_b32 v[4:5], v[2:3], v[2:3] op_sel:[0,1]
.LBB225_487:                            ;   in Loop: Header=BB225_31 Depth=1
	s_or_b64 exec, exec, s[52:53]
	s_mov_b64 s[88:89], exec
.LBB225_488:                            ;   in Loop: Header=BB225_31 Depth=1
	s_or_b64 exec, exec, s[54:55]
	s_orn2_b64 s[52:53], s[88:89], exec
	v_pk_mov_b32 v[2:3], v[4:5], v[4:5] op_sel:[0,1]
.LBB225_489:                            ;   in Loop: Header=BB225_31 Depth=1
	s_or_b64 exec, exec, s[18:19]
	s_andn2_b64 s[2:3], s[2:3], exec
	s_and_b64 s[0:1], s[0:1], exec
	s_or_b64 s[2:3], s[2:3], s[0:1]
	s_andn2_b64 s[0:1], s[46:47], exec
	s_and_b64 s[6:7], s[6:7], exec
	s_or_b64 s[46:47], s[0:1], s[6:7]
	;; [unrolled: 3-line block ×3, first 2 shown]
	s_and_b64 s[0:1], s[52:53], exec
	v_pk_mov_b32 v[4:5], v[2:3], v[2:3] op_sel:[0,1]
.LBB225_490:                            ;   in Loop: Header=BB225_31 Depth=1
	s_or_b64 exec, exec, s[50:51]
	s_and_b64 s[50:51], s[2:3], exec
	s_and_b64 s[6:7], s[46:47], exec
	;; [unrolled: 1-line block ×3, first 2 shown]
	s_orn2_b64 s[0:1], s[0:1], exec
.LBB225_491:                            ;   in Loop: Header=BB225_31 Depth=1
	s_or_b64 exec, exec, s[22:23]
	s_andn2_b64 s[16:17], s[36:37], exec
	s_and_b64 s[18:19], s[50:51], exec
	s_or_b64 s[36:37], s[16:17], s[18:19]
	s_andn2_b64 s[16:17], s[40:41], exec
	s_and_b64 s[6:7], s[6:7], exec
	s_or_b64 s[40:41], s[16:17], s[6:7]
	;; [unrolled: 3-line block ×3, first 2 shown]
	s_and_b64 s[6:7], s[0:1], exec
	v_pk_mov_b32 v[2:3], v[4:5], v[4:5] op_sel:[0,1]
.LBB225_492:                            ;   in Loop: Header=BB225_31 Depth=1
	s_or_b64 exec, exec, s[44:45]
	s_and_b64 s[36:37], s[36:37], exec
	s_and_b64 s[2:3], s[40:41], exec
	;; [unrolled: 1-line block ×3, first 2 shown]
	s_orn2_b64 s[40:41], s[6:7], exec
.LBB225_493:                            ;   in Loop: Header=BB225_31 Depth=1
	s_or_b64 exec, exec, s[24:25]
	s_mov_b64 s[6:7], s[28:29]
	s_mov_b64 s[16:17], s[26:27]
	s_and_saveexec_b64 s[18:19], s[40:41]
; %bb.494:                              ;   in Loop: Header=BB225_31 Depth=1
	v_cmp_ne_u32_e64 s[6:7], 5, v7
	v_cmp_eq_u32_e32 vcc, 5, v7
	s_andn2_b64 s[16:17], s[26:27], exec
	s_and_b64 s[6:7], s[6:7], exec
	s_or_b64 s[16:17], s[16:17], s[6:7]
	s_andn2_b64 s[6:7], s[28:29], exec
	s_and_b64 s[22:23], vcc, exec
	s_andn2_b64 s[36:37], s[36:37], exec
	s_andn2_b64 s[2:3], s[2:3], exec
	;; [unrolled: 1-line block ×3, first 2 shown]
	s_or_b64 s[6:7], s[6:7], s[22:23]
; %bb.495:                              ;   in Loop: Header=BB225_31 Depth=1
	s_or_b64 exec, exec, s[18:19]
	s_andn2_b64 s[14:15], s[14:15], exec
	s_and_b64 s[18:19], s[36:37], exec
	s_or_b64 s[14:15], s[14:15], s[18:19]
	s_andn2_b64 s[18:19], s[38:39], exec
	s_and_b64 s[2:3], s[2:3], exec
	s_or_b64 s[38:39], s[18:19], s[2:3]
	;; [unrolled: 3-line block ×5, first 2 shown]
	v_mov_b32_e32 v30, v55
	v_mov_b32_e32 v31, v54
	;; [unrolled: 1-line block ×3, first 2 shown]
.LBB225_496:                            ;   in Loop: Header=BB225_31 Depth=1
	s_or_b64 exec, exec, s[34:35]
	s_mov_b64 s[36:37], s[20:21]
	s_mov_b64 s[34:35], s[20:21]
	s_and_saveexec_b64 s[0:1], s[28:29]
.LBB225_497:                            ;   in Loop: Header=BB225_31 Depth=1
	v_mov_b32_e32 v7, 0
	s_andn2_b64 s[20:21], s[20:21], exec
	s_andn2_b64 s[14:15], s[14:15], exec
	;; [unrolled: 1-line block ×5, first 2 shown]
	s_or_b64 s[26:27], s[26:27], exec
.LBB225_498:                            ;   in Loop: Header=BB225_31 Depth=1
	s_or_b64 exec, exec, s[0:1]
	s_andn2_b64 s[0:1], s[4:5], exec
	s_and_b64 s[4:5], s[20:21], exec
	s_or_b64 s[4:5], s[0:1], s[4:5]
	v_readlane_b32 s0, v61, 60
	v_readlane_b32 s1, v61, 61
	s_andn2_b64 s[0:1], s[0:1], exec
	s_and_b64 s[6:7], s[14:15], exec
	s_or_b64 s[16:17], s[0:1], s[6:7]
	v_readlane_b32 s0, v61, 58
	v_readlane_b32 s1, v61, 59
	;; [unrolled: 5-line block ×4, first 2 shown]
	s_andn2_b64 s[0:1], s[0:1], exec
	s_and_b64 s[6:7], s[34:35], exec
	s_mov_b64 s[2:3], -1
	s_mov_b64 s[34:35], s[16:17]
	s_or_b64 s[24:25], s[0:1], s[6:7]
                                        ; implicit-def: $vgpr54
                                        ; implicit-def: $vgpr55
                                        ; implicit-def: $vgpr28_vgpr29
                                        ; implicit-def: $vgpr56
	s_and_saveexec_b64 s[0:1], s[26:27]
	s_mov_b64 s[26:27], s[14:15]
	s_xor_b64 s[0:1], exec, s[0:1]
	s_cbranch_execz .LBB225_30
; %bb.499:                              ;   in Loop: Header=BB225_31 Depth=1
	v_cmp_eq_u32_e32 vcc, 0, v7
	s_mov_b64 s[6:7], -1
	s_and_saveexec_b64 s[14:15], vcc
	s_cbranch_execz .LBB225_29
; %bb.500:                              ;   in Loop: Header=BB225_31 Depth=1
	v_readlane_b32 s2, v61, 51
	s_xor_b32 s2, s2, 1
	v_writelane_b32 v61, s2, 51
	v_readlane_b32 s2, v61, 50
	s_add_i32 s11, s2, -2
	s_cmp_eq_u32 s2, 0
	s_cselect_b64 s[2:3], -1, 0
	s_xor_b64 s[6:7], exec, -1
	s_orn2_b64 s[2:3], s[2:3], exec
	v_writelane_b32 v61, s11, 50
	s_branch .LBB225_29
.LBB225_501:
	s_or_b64 exec, exec, s[70:71]
	s_xor_b64 s[2:3], s[8:9], -1
	s_xor_b64 s[6:7], s[30:31], -1
	;; [unrolled: 1-line block ×5, first 2 shown]
	s_mov_b64 s[4:5], 0
	s_and_saveexec_b64 s[12:13], s[8:9]
	s_xor_b64 s[8:9], exec, s[12:13]
	s_cbranch_execnz .LBB225_506
; %bb.502:
	s_andn2_saveexec_b64 s[0:1], s[8:9]
	s_cbranch_execnz .LBB225_525
.LBB225_503:
	s_or_b64 exec, exec, s[0:1]
	s_and_saveexec_b64 s[0:1], s[4:5]
.LBB225_504:
	; divergent unreachable
.LBB225_505:
	s_endpgm
.LBB225_506:
	s_and_saveexec_b64 s[12:13], s[10:11]
	s_xor_b64 s[10:11], exec, s[12:13]
	s_cbranch_execz .LBB225_523
; %bb.507:
	s_and_saveexec_b64 s[12:13], s[6:7]
	s_xor_b64 s[12:13], exec, s[12:13]
	s_cbranch_execz .LBB225_521
; %bb.508:
	;; [unrolled: 4-line block ×3, first 2 shown]
	s_and_saveexec_b64 s[2:3], s[0:1]
	s_xor_b64 s[0:1], exec, s[2:3]
; %bb.510:
	v_and_b32_e32 v2, 0x8000, v30
	v_mov_b32_e32 v3, 0x8000
	v_mov_b32_e32 v4, 0xffff
	v_cmp_eq_u32_e32 vcc, 0, v2
	v_cndmask_b32_e32 v2, v3, v4, vcc
	v_xor_b32_e32 v6, v2, v30
; %bb.511:
	s_or_b64 exec, exec, s[0:1]
	s_mov_b64 s[0:1], exec
	v_readlane_b32 s2, v61, 10
	v_readlane_b32 s3, v61, 11
	;; [unrolled: 1-line block ×3, first 2 shown]
	s_and_b64 s[2:3], s[0:1], s[2:3]
	v_readlane_b32 s43, v61, 15
	s_mov_b64 exec, s[2:3]
	s_cbranch_execz .LBB225_513
; %bb.512:
	v_mov_b32_e32 v2, 0
	v_mov_b32_e32 v3, v2
	ds_write_b64 v2, v[2:3] offset:5136
.LBB225_513:
	s_or_b64 exec, exec, s[0:1]
	v_mov_b32_e32 v21, 0
	s_waitcnt lgkmcnt(0)
	s_barrier
	s_mov_b64 s[0:1], exec
	v_readlane_b32 s2, v61, 22
	v_readlane_b32 s3, v61, 23
	s_and_b64 s[2:3], s[0:1], s[2:3]
	s_mov_b64 exec, s[2:3]
	s_cbranch_execz .LBB225_515
; %bb.514:
	global_load_ushort v21, v[12:13], off
.LBB225_515:
	s_or_b64 exec, exec, s[0:1]
	v_readlane_b32 s2, v61, 2
	s_add_u32 s0, s60, 63
	v_readlane_b32 s3, v61, 3
	v_readlane_b32 s4, v61, 0
	s_addc_u32 s17, s61, 0
	s_and_b32 s16, s0, 0xffffffc0
	v_readlane_b32 s5, v61, 1
	s_mul_i32 s0, s4, s3
	s_mul_hi_u32 s1, s4, s2
	s_add_i32 s0, s1, s0
	s_mul_i32 s1, s5, s2
	s_add_i32 s1, s0, s1
	s_mul_i32 s0, s4, s2
	v_readlane_b32 s4, v61, 6
	v_readlane_b32 s5, v61, 7
	s_mul_i32 s2, s4, s79
	s_mul_hi_u32 s3, s4, s78
	s_add_i32 s2, s3, s2
	s_mul_i32 s3, s5, s78
	s_add_i32 s3, s2, s3
	s_mul_i32 s2, s4, s78
	s_lshl_b64 s[0:1], s[0:1], 1
	v_readlane_b32 s4, v61, 4
	v_readlane_b32 s5, v61, 5
	s_add_u32 s4, s4, s0
	s_addc_u32 s5, s5, s1
	s_lshl_b64 s[0:1], s[56:57], 1
	s_add_u32 s36, s4, s0
	s_addc_u32 s37, s5, s1
	s_lshl_b64 s[0:1], s[2:3], 3
	v_readlane_b32 s2, v61, 8
	v_readlane_b32 s3, v61, 9
	s_add_u32 s2, s2, s0
	s_addc_u32 s3, s3, s1
	s_lshl_b64 s[0:1], s[74:75], 3
	s_add_u32 s38, s2, s0
	s_addc_u32 s39, s3, s1
	v_readlane_b32 s0, v61, 12
	v_readlane_b32 s1, v61, 13
	s_load_dwordx2 s[18:19], s[0:1], 0x368
	s_load_dwordx2 s[20:21], s[0:1], 0x510
	v_mov_b32_e32 v19, 0xffff
	v_mov_b32_e32 v20, 0x8000
	v_cmp_lt_i16_e32 vcc, -1, v6
	v_cndmask_b32_e32 v2, v19, v20, vcc
	v_lshlrev_b32_e32 v3, 16, v6
	v_xor_b32_sdwa v2, v2, v6 dst_sel:DWORD dst_unused:UNUSED_PAD src0_sel:DWORD src1_sel:WORD_0
	v_cmp_o_f32_e32 vcc, v3, v3
	v_cndmask_b32_e32 v18, v19, v2, vcc
	v_cmp_gt_u64_e32 vcc, s[16:17], v[0:1]
	s_mov_b64 s[6:7], -1
	s_mov_b64 s[2:3], 0
	s_mov_b64 s[0:1], 0
	s_and_saveexec_b64 s[22:23], vcc
	s_cbranch_execnz .LBB225_526
; %bb.516:
	s_or_b64 exec, exec, s[22:23]
	s_and_saveexec_b64 s[4:5], s[6:7]
	s_cbranch_execnz .LBB225_543
.LBB225_517:
	s_or_b64 exec, exec, s[4:5]
	s_and_saveexec_b64 s[4:5], s[0:1]
	s_xor_b64 s[0:1], exec, s[4:5]
	s_cbranch_execnz .LBB225_568
.LBB225_518:
	s_or_b64 exec, exec, s[0:1]
	s_and_b64 s[4:5], s[2:3], exec
.LBB225_519:
	s_andn2_saveexec_b64 s[0:1], s[14:15]
	s_cbranch_execnz .LBB225_570
.LBB225_520:
	s_or_b64 exec, exec, s[0:1]
	s_and_b64 s[4:5], s[4:5], exec
.LBB225_521:
	s_andn2_saveexec_b64 s[0:1], s[12:13]
	s_cbranch_execnz .LBB225_569
.LBB225_522:
	s_or_b64 exec, exec, s[0:1]
	s_and_b64 s[4:5], s[4:5], exec
.LBB225_523:
	s_andn2_saveexec_b64 s[0:1], s[10:11]
	s_cbranch_execnz .LBB225_564
.LBB225_524:
	s_or_b64 exec, exec, s[0:1]
	s_and_b64 s[4:5], s[4:5], exec
	s_andn2_saveexec_b64 s[0:1], s[8:9]
	s_cbranch_execz .LBB225_503
.LBB225_525:
	s_or_b64 s[4:5], s[4:5], exec
	s_trap 2
	s_or_b64 exec, exec, s[0:1]
	s_and_saveexec_b64 s[0:1], s[4:5]
	s_cbranch_execnz .LBB225_504
	s_branch .LBB225_505
.LBB225_526:
	v_add_u32_e32 v5, s33, v0
	v_mad_u64_u32 v[2:3], s[0:1], s58, v5, 0
	v_mov_b32_e32 v4, v3
	v_mad_u64_u32 v[4:5], s[0:1], s59, v5, v[4:5]
	v_readlane_b32 s0, v61, 46
	v_readlane_b32 s1, v61, 47
	s_add_u32 s0, s0, s72
	s_addc_u32 s1, s1, s73
	v_readlane_b32 s4, v61, 48
	v_mov_b32_e32 v3, v4
	v_readlane_b32 s5, v61, 49
	s_add_u32 s0, s0, s4
	v_lshlrev_b64 v[2:3], 1, v[2:3]
	s_addc_u32 s1, s1, s5
	v_mov_b32_e32 v4, s1
	v_add_co_u32_e64 v2, s[4:5], s0, v2
	v_addc_co_u32_e64 v3, s[4:5], v4, v3, s[4:5]
	s_mov_b64 s[0:1], 0
	v_mov_b32_e32 v22, s92
	v_mov_b32_e32 v5, 0
	v_pk_mov_b32 v[14:15], v[0:1], v[0:1] op_sel:[0,1]
                                        ; implicit-def: $sgpr24_sgpr25
                                        ; implicit-def: $vgpr8_vgpr9
	s_branch .LBB225_528
.LBB225_527:                            ;   in Loop: Header=BB225_528 Depth=1
	s_or_b64 exec, exec, s[26:27]
	s_xor_b64 s[4:5], s[30:31], -1
	s_and_b64 s[6:7], exec, s[6:7]
	s_or_b64 s[0:1], s[6:7], s[0:1]
	s_andn2_b64 s[6:7], s[24:25], exec
	s_and_b64 s[4:5], s[4:5], exec
	s_or_b64 s[24:25], s[6:7], s[4:5]
	v_pk_mov_b32 v[14:15], v[6:7], v[6:7] op_sel:[0,1]
	s_waitcnt vmcnt(0)
	v_mov_b32_e32 v21, v23
	s_andn2_b64 exec, exec, s[0:1]
	s_cbranch_execz .LBB225_542
.LBB225_528:                            ; =>This Inner Loop Header: Depth=1
	v_add_co_u32_e64 v6, s[4:5], s33, v14
	v_addc_co_u32_e64 v7, s[4:5], v15, v22, s[4:5]
	v_cmp_gt_u64_e64 s[4:5], s[60:61], v[6:7]
	v_mov_b32_e32 v23, 0
	s_and_saveexec_b64 s[6:7], s[4:5]
	s_cbranch_execz .LBB225_530
; %bb.529:                              ;   in Loop: Header=BB225_528 Depth=1
	global_load_ushort v23, v[2:3], off
.LBB225_530:                            ;   in Loop: Header=BB225_528 Depth=1
	s_or_b64 exec, exec, s[6:7]
	v_cmp_gt_u64_e64 s[4:5], s[60:61], v[14:15]
	s_mov_b64 s[26:27], 0
	s_and_saveexec_b64 s[6:7], s[4:5]
	s_cbranch_execz .LBB225_532
; %bb.531:                              ;   in Loop: Header=BB225_528 Depth=1
	s_waitcnt vmcnt(0)
	v_cmp_lt_i16_e64 s[4:5], -1, v21
	v_cndmask_b32_e64 v4, v19, v20, s[4:5]
	v_lshlrev_b32_e32 v16, 16, v21
	v_xor_b32_sdwa v4, v4, v21 dst_sel:DWORD dst_unused:UNUSED_PAD src0_sel:DWORD src1_sel:WORD_0
	v_cmp_o_f32_e64 s[4:5], v16, v16
	v_cndmask_b32_e64 v4, v19, v4, s[4:5]
	v_cmp_gt_u32_e64 s[4:5], v4, v18
	v_cndmask_b32_e64 v16, 0, 1, s[4:5]
	v_cmp_lt_u32_e64 s[4:5], v4, v18
	v_cndmask_b32_e64 v4, 0, 1, s[4:5]
	v_cndmask_b32_e64 v4, v4, v16, s[42:43]
	v_and_b32_e32 v4, 1, v4
	v_cmp_eq_u32_e64 s[4:5], 1, v4
	s_and_b64 s[26:27], s[4:5], exec
.LBB225_532:                            ;   in Loop: Header=BB225_528 Depth=1
	s_or_b64 exec, exec, s[6:7]
	v_cndmask_b32_e64 v4, 0, 1, s[26:27]
	v_cmp_ne_u32_e64 s[4:5], 0, v4
	s_cmp_lg_u64 s[4:5], 0
	s_cselect_b64 s[6:7], -1, 0
	s_and_b64 s[6:7], s[90:91], s[6:7]
	s_and_saveexec_b64 s[28:29], s[6:7]
	s_cbranch_execz .LBB225_536
; %bb.533:                              ;   in Loop: Header=BB225_528 Depth=1
	s_mov_b64 s[34:35], exec
	v_mbcnt_lo_u32_b32 v4, s34, 0
	v_mbcnt_hi_u32_b32 v16, s35, v4
	s_bcnt1_i32_b64 s40, s[4:5]
	v_cmp_eq_u32_e64 s[6:7], 0, v16
                                        ; implicit-def: $vgpr8_vgpr9
	s_and_saveexec_b64 s[30:31], s[6:7]
	s_cbranch_execz .LBB225_535
; %bb.534:                              ;   in Loop: Header=BB225_528 Depth=1
	s_bcnt1_i32_b64 s6, s[34:35]
	s_mul_i32 s6, s40, s6
	v_mov_b32_e32 v4, s6
	s_waitcnt lgkmcnt(0)
	ds_add_rtn_u64 v[8:9], v5, v[4:5] offset:5136
.LBB225_535:                            ;   in Loop: Header=BB225_528 Depth=1
	s_or_b64 exec, exec, s[30:31]
	s_waitcnt lgkmcnt(0)
	v_readfirstlane_b32 s6, v9
	v_readfirstlane_b32 s7, v8
	v_mov_b32_e32 v8, s7
	v_mov_b32_e32 v9, s6
	v_mad_u64_u32 v[8:9], s[6:7], s40, v16, v[8:9]
.LBB225_536:                            ;   in Loop: Header=BB225_528 Depth=1
	s_or_b64 exec, exec, s[28:29]
	s_waitcnt lgkmcnt(0)
	ds_bpermute_b32 v8, v42, v8
	ds_bpermute_b32 v9, v42, v9
	s_mov_b64 s[6:7], -1
	s_mov_b64 s[34:35], -1
                                        ; implicit-def: $sgpr30_sgpr31
	s_and_saveexec_b64 s[28:29], s[26:27]
	s_cbranch_execz .LBB225_540
; %bb.537:                              ;   in Loop: Header=BB225_528 Depth=1
	v_and_b32_e32 v16, s4, v10
	v_and_b32_e32 v4, s5, v11
	v_bcnt_u32_b32 v16, v16, 0
	v_bcnt_u32_b32 v4, v4, v16
	s_waitcnt lgkmcnt(0)
	v_add_co_u32_e64 v16, s[4:5], v8, v4
	v_addc_co_u32_e64 v17, s[4:5], 0, v9, s[4:5]
	v_cmp_gt_u64_e64 s[4:5], s[62:63], v[16:17]
	s_mov_b64 s[26:27], 0
	s_and_saveexec_b64 s[30:31], s[4:5]
	s_cbranch_execz .LBB225_539
; %bb.538:                              ;   in Loop: Header=BB225_528 Depth=1
	v_mul_lo_u32 v4, v17, s18
	v_mul_lo_u32 v26, v16, s19
	v_mad_u64_u32 v[24:25], s[4:5], v16, s18, 0
	v_add3_u32 v25, v25, v26, v4
	v_mul_lo_u32 v4, v17, s20
	v_mul_lo_u32 v26, v16, s21
	v_mad_u64_u32 v[16:17], s[4:5], v16, s20, 0
	v_lshlrev_b64 v[24:25], 1, v[24:25]
	v_add3_u32 v17, v17, v26, v4
	v_mov_b32_e32 v4, s37
	v_add_co_u32_e64 v24, s[4:5], s36, v24
	v_addc_co_u32_e64 v25, s[4:5], v4, v25, s[4:5]
	v_lshlrev_b64 v[16:17], 3, v[16:17]
	v_mov_b32_e32 v4, s39
	v_add_co_u32_e64 v16, s[4:5], s38, v16
	s_mov_b64 s[26:27], exec
	v_addc_co_u32_e64 v17, s[4:5], v4, v17, s[4:5]
	s_waitcnt vmcnt(0)
	global_store_short v[24:25], v21, off
	global_store_dwordx2 v[16:17], v[14:15], off
.LBB225_539:                            ;   in Loop: Header=BB225_528 Depth=1
	s_or_b64 exec, exec, s[30:31]
	s_mov_b64 s[30:31], -1
	s_orn2_b64 s[34:35], s[26:27], exec
.LBB225_540:                            ;   in Loop: Header=BB225_528 Depth=1
	s_or_b64 exec, exec, s[28:29]
	s_and_saveexec_b64 s[26:27], s[34:35]
	s_cbranch_execz .LBB225_527
; %bb.541:                              ;   in Loop: Header=BB225_528 Depth=1
	v_mov_b32_e32 v4, s65
	v_add_co_u32_e64 v2, s[4:5], s64, v2
	v_addc_co_u32_e64 v3, s[4:5], v3, v4, s[4:5]
	v_cmp_le_u64_e64 s[4:5], s[16:17], v[6:7]
	s_andn2_b64 s[30:31], s[30:31], exec
	s_orn2_b64 s[6:7], s[4:5], exec
	s_branch .LBB225_527
.LBB225_542:
	s_or_b64 exec, exec, s[0:1]
	s_mov_b64 s[0:1], exec
	s_orn2_b64 s[6:7], s[24:25], exec
	s_or_b64 exec, exec, s[22:23]
	s_and_saveexec_b64 s[4:5], s[6:7]
	s_cbranch_execz .LBB225_517
.LBB225_543:
	v_mov_b32_e32 v17, 0
	s_waitcnt lgkmcnt(0)
	s_barrier
	s_mov_b64 s[2:3], exec
	v_readlane_b32 s6, v61, 22
	v_readlane_b32 s7, v61, 23
	s_and_b64 s[6:7], s[2:3], s[6:7]
	s_mov_b64 exec, s[6:7]
	s_cbranch_execz .LBB225_545
; %bb.544:
	global_load_ushort v17, v[12:13], off
.LBB225_545:
	s_or_b64 exec, exec, s[2:3]
	s_mov_b64 s[2:3], 0
	s_and_saveexec_b64 s[6:7], vcc
	s_cbranch_execz .LBB225_567
; %bb.546:
	v_add_u32_e32 v5, s33, v0
	v_mad_u64_u32 v[2:3], s[2:3], s58, v5, 0
	v_mov_b32_e32 v4, v3
	v_mad_u64_u32 v[4:5], s[2:3], s59, v5, v[4:5]
	v_readlane_b32 s2, v61, 46
	v_readlane_b32 s3, v61, 47
	s_add_u32 s2, s2, s72
	s_addc_u32 s3, s3, s73
	v_readlane_b32 s22, v61, 48
	v_mov_b32_e32 v3, v4
	v_readlane_b32 s23, v61, 49
	s_add_u32 s2, s2, s22
	v_lshlrev_b64 v[2:3], 1, v[2:3]
	s_addc_u32 s3, s3, s23
	v_mov_b32_e32 v4, s3
	v_add_co_u32_e32 v2, vcc, s2, v2
	v_addc_co_u32_e32 v3, vcc, v4, v3, vcc
	s_mov_b64 s[22:23], 0
	v_mov_b32_e32 v14, s92
	v_mov_b32_e32 v5, 0
	;; [unrolled: 1-line block ×4, first 2 shown]
                                        ; implicit-def: $sgpr24_sgpr25
                                        ; implicit-def: $vgpr6_vgpr7
	s_branch .LBB225_549
.LBB225_547:                            ;   in Loop: Header=BB225_549 Depth=1
	s_or_b64 exec, exec, s[28:29]
	s_orn2_b64 s[30:31], s[30:31], exec
	s_orn2_b64 s[28:29], s[26:27], exec
	s_waitcnt vmcnt(0)
	v_mov_b32_e32 v17, v19
	v_pk_mov_b32 v[0:1], v[8:9], v[8:9] op_sel:[0,1]
.LBB225_548:                            ;   in Loop: Header=BB225_549 Depth=1
	s_or_b64 exec, exec, s[2:3]
	s_xor_b64 s[2:3], s[30:31], -1
	s_and_b64 s[26:27], exec, s[28:29]
	s_or_b64 s[22:23], s[26:27], s[22:23]
	s_andn2_b64 s[24:25], s[24:25], exec
	s_and_b64 s[2:3], s[2:3], exec
	s_or_b64 s[24:25], s[24:25], s[2:3]
	s_andn2_b64 exec, exec, s[22:23]
	s_cbranch_execz .LBB225_565
.LBB225_549:                            ; =>This Inner Loop Header: Depth=1
	v_add_co_u32_e32 v8, vcc, s33, v0
	v_addc_co_u32_e32 v9, vcc, v1, v14, vcc
	v_cmp_gt_u64_e32 vcc, s[60:61], v[8:9]
	s_waitcnt vmcnt(0)
	v_mov_b32_e32 v19, 0
	s_and_saveexec_b64 s[2:3], vcc
	s_cbranch_execz .LBB225_551
; %bb.550:                              ;   in Loop: Header=BB225_549 Depth=1
	global_load_ushort v19, v[2:3], off
.LBB225_551:                            ;   in Loop: Header=BB225_549 Depth=1
	s_or_b64 exec, exec, s[2:3]
	v_cmp_gt_u64_e32 vcc, s[60:61], v[0:1]
	s_mov_b64 s[26:27], 0
	s_and_saveexec_b64 s[2:3], vcc
	s_cbranch_execz .LBB225_553
; %bb.552:                              ;   in Loop: Header=BB225_549 Depth=1
	s_waitcnt vmcnt(0)
	v_cmp_lt_i16_e32 vcc, -1, v17
	v_cndmask_b32_e32 v4, v15, v16, vcc
	v_lshlrev_b32_e32 v12, 16, v17
	v_xor_b32_sdwa v4, v4, v17 dst_sel:DWORD dst_unused:UNUSED_PAD src0_sel:DWORD src1_sel:WORD_0
	v_cmp_o_f32_e32 vcc, v12, v12
	v_cndmask_b32_e32 v4, v15, v4, vcc
	v_cmp_eq_u32_e32 vcc, v4, v18
	s_and_b64 s[26:27], vcc, exec
.LBB225_553:                            ;   in Loop: Header=BB225_549 Depth=1
	s_or_b64 exec, exec, s[2:3]
	v_cndmask_b32_e64 v4, 0, 1, s[26:27]
	v_cmp_ne_u32_e32 vcc, 0, v4
	s_cmp_lg_u64 vcc, 0
	s_cselect_b64 s[2:3], -1, 0
	s_and_b64 s[2:3], s[90:91], s[2:3]
	s_and_saveexec_b64 s[28:29], s[2:3]
	s_cbranch_execz .LBB225_557
; %bb.554:                              ;   in Loop: Header=BB225_549 Depth=1
	s_mov_b64 s[34:35], exec
	v_mbcnt_lo_u32_b32 v4, s34, 0
	v_mbcnt_hi_u32_b32 v12, s35, v4
	s_bcnt1_i32_b64 s40, vcc
	v_cmp_eq_u32_e64 s[2:3], 0, v12
                                        ; implicit-def: $vgpr6_vgpr7
	s_and_saveexec_b64 s[30:31], s[2:3]
	s_cbranch_execz .LBB225_556
; %bb.555:                              ;   in Loop: Header=BB225_549 Depth=1
	s_bcnt1_i32_b64 s2, s[34:35]
	s_mul_i32 s2, s40, s2
	v_mov_b32_e32 v4, s2
	ds_add_rtn_u64 v[6:7], v5, v[4:5] offset:5136
.LBB225_556:                            ;   in Loop: Header=BB225_549 Depth=1
	s_or_b64 exec, exec, s[30:31]
	s_waitcnt lgkmcnt(0)
	v_readfirstlane_b32 s2, v7
	v_readfirstlane_b32 s3, v6
	v_mov_b32_e32 v6, s3
	v_mov_b32_e32 v7, s2
	v_mad_u64_u32 v[6:7], s[2:3], s40, v12, v[6:7]
.LBB225_557:                            ;   in Loop: Header=BB225_549 Depth=1
	s_or_b64 exec, exec, s[28:29]
	ds_bpermute_b32 v6, v42, v6
	ds_bpermute_b32 v7, v42, v7
	s_cmp_eq_u64 vcc, 0
	s_cselect_b64 s[30:31], -1, 0
	s_mov_b64 s[28:29], -1
	s_waitcnt lgkmcnt(0)
	v_cmp_gt_u64_e64 s[2:3], s[62:63], v[6:7]
	s_or_b64 s[34:35], s[30:31], s[2:3]
	s_mov_b64 s[30:31], -1
	s_and_saveexec_b64 s[2:3], s[34:35]
	s_cbranch_execz .LBB225_548
; %bb.558:                              ;   in Loop: Header=BB225_549 Depth=1
	v_and_b32_e32 v12, vcc_lo, v10
	v_and_b32_e32 v4, vcc_hi, v11
	v_bcnt_u32_b32 v12, v12, 0
	v_bcnt_u32_b32 v4, v4, v12
	v_mov_b32_e32 v13, s63
	v_sub_co_u32_e32 v12, vcc, s62, v6
	v_subb_co_u32_e32 v13, vcc, v13, v7, vcc
	v_cmp_gt_u64_e32 vcc, v[12:13], v[4:5]
	s_and_b64 s[40:41], s[26:27], vcc
	s_mov_b64 s[26:27], -1
	s_mov_b64 s[34:35], -1
	s_and_saveexec_b64 s[28:29], s[40:41]
	s_cbranch_execz .LBB225_562
; %bb.559:                              ;   in Loop: Header=BB225_549 Depth=1
	v_add_co_u32_e32 v12, vcc, v6, v4
	v_addc_co_u32_e32 v13, vcc, 0, v7, vcc
	v_cmp_gt_u64_e32 vcc, s[62:63], v[12:13]
	s_mov_b64 s[34:35], 0
	s_and_saveexec_b64 s[30:31], vcc
	s_cbranch_execz .LBB225_561
; %bb.560:                              ;   in Loop: Header=BB225_549 Depth=1
	v_mul_lo_u32 v4, v13, s18
	v_mul_lo_u32 v22, v12, s19
	s_waitcnt vmcnt(0)
	v_mad_u64_u32 v[20:21], s[40:41], v12, s18, 0
	v_add3_u32 v21, v21, v22, v4
	v_mul_lo_u32 v4, v13, s20
	v_mul_lo_u32 v22, v12, s21
	v_mad_u64_u32 v[12:13], s[40:41], v12, s20, 0
	v_lshlrev_b64 v[20:21], 1, v[20:21]
	v_add3_u32 v13, v13, v22, v4
	v_mov_b32_e32 v4, s37
	v_add_co_u32_e32 v20, vcc, s36, v20
	v_addc_co_u32_e32 v21, vcc, v4, v21, vcc
	v_lshlrev_b64 v[12:13], 3, v[12:13]
	v_mov_b32_e32 v4, s39
	v_add_co_u32_e32 v12, vcc, s38, v12
	s_mov_b64 s[34:35], exec
	v_addc_co_u32_e32 v13, vcc, v4, v13, vcc
	global_store_short v[20:21], v17, off
	global_store_dwordx2 v[12:13], v[0:1], off
.LBB225_561:                            ;   in Loop: Header=BB225_549 Depth=1
	s_or_b64 exec, exec, s[30:31]
	s_xor_b64 s[30:31], exec, -1
	s_orn2_b64 s[34:35], s[34:35], exec
.LBB225_562:                            ;   in Loop: Header=BB225_549 Depth=1
	s_or_b64 exec, exec, s[28:29]
	s_and_saveexec_b64 s[28:29], s[34:35]
	s_cbranch_execz .LBB225_547
; %bb.563:                              ;   in Loop: Header=BB225_549 Depth=1
	v_mov_b32_e32 v0, s65
	v_add_co_u32_e32 v2, vcc, s64, v2
	v_addc_co_u32_e32 v3, vcc, v3, v0, vcc
	v_cmp_le_u64_e32 vcc, s[16:17], v[8:9]
	s_or_b64 s[30:31], s[30:31], exec
	s_orn2_b64 s[26:27], vcc, exec
	s_branch .LBB225_547
.LBB225_564:
	s_or_b64 s[4:5], s[4:5], exec
	s_trap 2
	s_branch .LBB225_524
.LBB225_565:
	s_or_b64 exec, exec, s[22:23]
	s_mov_b64 s[2:3], 0
	s_and_saveexec_b64 s[16:17], s[24:25]
	s_xor_b64 s[16:17], exec, s[16:17]
	s_cbranch_execnz .LBB225_571
.LBB225_566:
	s_or_b64 exec, exec, s[16:17]
	s_and_b64 s[2:3], s[2:3], exec
.LBB225_567:
	s_or_b64 exec, exec, s[6:7]
	s_and_b64 s[2:3], s[2:3], exec
	s_andn2_b64 s[0:1], s[0:1], exec
	s_or_b64 exec, exec, s[4:5]
	s_and_saveexec_b64 s[4:5], s[0:1]
	s_xor_b64 s[0:1], exec, s[4:5]
	s_cbranch_execz .LBB225_518
.LBB225_568:
	s_trap 2
	s_or_b64 s[2:3], s[2:3], exec
	s_branch .LBB225_518
.LBB225_569:
	s_or_b64 s[4:5], s[4:5], exec
	s_trap 2
	s_branch .LBB225_522
.LBB225_570:
	s_trap 2
	s_or_b64 s[4:5], s[4:5], exec
	s_branch .LBB225_520
.LBB225_571:
	s_mov_b64 s[2:3], exec
	s_trap 2
	s_branch .LBB225_566
	.section	.rodata,"a",@progbits
	.p2align	6, 0x0
	.amdhsa_kernel _ZN2at6native6sbtopk10gatherTopKIN3c108BFloat16EmLin1ELb0EEEvNS_4cuda6detail10TensorInfoIKT_T0_EESA_SA_bSA_SA_NS7_IS8_SA_EESA_NS7_IlSA_EESA_PS8_
		.amdhsa_group_segment_fixed_size 5152
		.amdhsa_private_segment_fixed_size 0
		.amdhsa_kernarg_size 1568
		.amdhsa_user_sgpr_count 6
		.amdhsa_user_sgpr_private_segment_buffer 1
		.amdhsa_user_sgpr_dispatch_ptr 0
		.amdhsa_user_sgpr_queue_ptr 0
		.amdhsa_user_sgpr_kernarg_segment_ptr 1
		.amdhsa_user_sgpr_dispatch_id 0
		.amdhsa_user_sgpr_flat_scratch_init 0
		.amdhsa_user_sgpr_kernarg_preload_length 0
		.amdhsa_user_sgpr_kernarg_preload_offset 0
		.amdhsa_user_sgpr_private_segment_size 0
		.amdhsa_uses_dynamic_stack 0
		.amdhsa_system_sgpr_private_segment_wavefront_offset 0
		.amdhsa_system_sgpr_workgroup_id_x 1
		.amdhsa_system_sgpr_workgroup_id_y 1
		.amdhsa_system_sgpr_workgroup_id_z 1
		.amdhsa_system_sgpr_workgroup_info 0
		.amdhsa_system_vgpr_workitem_id 0
		.amdhsa_next_free_vgpr 62
		.amdhsa_next_free_sgpr 96
		.amdhsa_accum_offset 64
		.amdhsa_reserve_vcc 1
		.amdhsa_reserve_flat_scratch 0
		.amdhsa_float_round_mode_32 0
		.amdhsa_float_round_mode_16_64 0
		.amdhsa_float_denorm_mode_32 3
		.amdhsa_float_denorm_mode_16_64 3
		.amdhsa_dx10_clamp 1
		.amdhsa_ieee_mode 1
		.amdhsa_fp16_overflow 0
		.amdhsa_tg_split 0
		.amdhsa_exception_fp_ieee_invalid_op 0
		.amdhsa_exception_fp_denorm_src 0
		.amdhsa_exception_fp_ieee_div_zero 0
		.amdhsa_exception_fp_ieee_overflow 0
		.amdhsa_exception_fp_ieee_underflow 0
		.amdhsa_exception_fp_ieee_inexact 0
		.amdhsa_exception_int_div_zero 0
	.end_amdhsa_kernel
	.section	.text._ZN2at6native6sbtopk10gatherTopKIN3c108BFloat16EmLin1ELb0EEEvNS_4cuda6detail10TensorInfoIKT_T0_EESA_SA_bSA_SA_NS7_IS8_SA_EESA_NS7_IlSA_EESA_PS8_,"axG",@progbits,_ZN2at6native6sbtopk10gatherTopKIN3c108BFloat16EmLin1ELb0EEEvNS_4cuda6detail10TensorInfoIKT_T0_EESA_SA_bSA_SA_NS7_IS8_SA_EESA_NS7_IlSA_EESA_PS8_,comdat
.Lfunc_end225:
	.size	_ZN2at6native6sbtopk10gatherTopKIN3c108BFloat16EmLin1ELb0EEEvNS_4cuda6detail10TensorInfoIKT_T0_EESA_SA_bSA_SA_NS7_IS8_SA_EESA_NS7_IlSA_EESA_PS8_, .Lfunc_end225-_ZN2at6native6sbtopk10gatherTopKIN3c108BFloat16EmLin1ELb0EEEvNS_4cuda6detail10TensorInfoIKT_T0_EESA_SA_bSA_SA_NS7_IS8_SA_EESA_NS7_IlSA_EESA_PS8_
                                        ; -- End function
	.section	.AMDGPU.csdata,"",@progbits
; Kernel info:
; codeLenInByte = 30748
; NumSgprs: 100
; NumVgprs: 62
; NumAgprs: 0
; TotalNumVgprs: 62
; ScratchSize: 0
; MemoryBound: 0
; FloatMode: 240
; IeeeMode: 1
; LDSByteSize: 5152 bytes/workgroup (compile time only)
; SGPRBlocks: 12
; VGPRBlocks: 7
; NumSGPRsForWavesPerEU: 100
; NumVGPRsForWavesPerEU: 62
; AccumOffset: 64
; Occupancy: 8
; WaveLimiterHint : 1
; COMPUTE_PGM_RSRC2:SCRATCH_EN: 0
; COMPUTE_PGM_RSRC2:USER_SGPR: 6
; COMPUTE_PGM_RSRC2:TRAP_HANDLER: 0
; COMPUTE_PGM_RSRC2:TGID_X_EN: 1
; COMPUTE_PGM_RSRC2:TGID_Y_EN: 1
; COMPUTE_PGM_RSRC2:TGID_Z_EN: 1
; COMPUTE_PGM_RSRC2:TIDIG_COMP_CNT: 0
; COMPUTE_PGM_RSRC3_GFX90A:ACCUM_OFFSET: 15
; COMPUTE_PGM_RSRC3_GFX90A:TG_SPLIT: 0
	.text
	.p2alignl 6, 3212836864
	.fill 256, 4, 3212836864
	.type	__hip_cuid_518ba375bab1b7ce,@object ; @__hip_cuid_518ba375bab1b7ce
	.section	.bss,"aw",@nobits
	.globl	__hip_cuid_518ba375bab1b7ce
__hip_cuid_518ba375bab1b7ce:
	.byte	0                               ; 0x0
	.size	__hip_cuid_518ba375bab1b7ce, 1

	.ident	"AMD clang version 19.0.0git (https://github.com/RadeonOpenCompute/llvm-project roc-6.4.0 25133 c7fe45cf4b819c5991fe208aaa96edf142730f1d)"
	.section	".note.GNU-stack","",@progbits
	.addrsig
	.addrsig_sym __hip_cuid_518ba375bab1b7ce
	.amdgpu_metadata
---
amdhsa.kernels:
  - .agpr_count:     0
    .args:
      - .address_space:  global
        .offset:         0
        .size:           8
        .value_kind:     global_buffer
      - .offset:         8
        .size:           4
        .value_kind:     by_value
      - .offset:         12
        .size:           4
        .value_kind:     by_value
      - .offset:         16
        .size:           4
        .value_kind:     hidden_block_count_x
      - .offset:         20
        .size:           4
        .value_kind:     hidden_block_count_y
      - .offset:         24
        .size:           4
        .value_kind:     hidden_block_count_z
      - .offset:         28
        .size:           2
        .value_kind:     hidden_group_size_x
      - .offset:         30
        .size:           2
        .value_kind:     hidden_group_size_y
      - .offset:         32
        .size:           2
        .value_kind:     hidden_group_size_z
      - .offset:         34
        .size:           2
        .value_kind:     hidden_remainder_x
      - .offset:         36
        .size:           2
        .value_kind:     hidden_remainder_y
      - .offset:         38
        .size:           2
        .value_kind:     hidden_remainder_z
      - .offset:         56
        .size:           8
        .value_kind:     hidden_global_offset_x
      - .offset:         64
        .size:           8
        .value_kind:     hidden_global_offset_y
      - .offset:         72
        .size:           8
        .value_kind:     hidden_global_offset_z
      - .offset:         80
        .size:           2
        .value_kind:     hidden_grid_dims
    .group_segment_fixed_size: 0
    .kernarg_segment_align: 8
    .kernarg_segment_size: 272
    .language:       OpenCL C
    .language_version:
      - 2
      - 0
    .max_flat_workgroup_size: 1024
    .name:           _ZN2at6native6mbtopk4fillIjjEEvPT_S3_T0_
    .private_segment_fixed_size: 0
    .sgpr_count:     14
    .sgpr_spill_count: 0
    .symbol:         _ZN2at6native6mbtopk4fillIjjEEvPT_S3_T0_.kd
    .uniform_work_group_size: 1
    .uses_dynamic_stack: false
    .vgpr_count:     6
    .vgpr_spill_count: 0
    .wavefront_size: 64
  - .agpr_count:     0
    .args:
      - .offset:         0
        .size:           216
        .value_kind:     by_value
      - .offset:         216
        .size:           4
        .value_kind:     by_value
      - .address_space:  global
        .offset:         224
        .size:           8
        .value_kind:     global_buffer
      - .offset:         232
        .size:           4
        .value_kind:     by_value
      - .offset:         236
        .size:           4
        .value_kind:     by_value
      - .offset:         240
        .size:           4
        .value_kind:     by_value
      - .offset:         244
        .size:           4
        .value_kind:     by_value
      - .offset:         248
        .size:           4
        .value_kind:     by_value
      - .offset:         252
        .size:           4
        .value_kind:     by_value
      - .address_space:  global
        .offset:         256
        .size:           8
        .value_kind:     global_buffer
      - .address_space:  global
        .offset:         264
        .size:           8
        .value_kind:     global_buffer
      - .offset:         272
        .size:           4
        .value_kind:     hidden_block_count_x
      - .offset:         276
        .size:           4
        .value_kind:     hidden_block_count_y
      - .offset:         280
        .size:           4
        .value_kind:     hidden_block_count_z
      - .offset:         284
        .size:           2
        .value_kind:     hidden_group_size_x
      - .offset:         286
        .size:           2
        .value_kind:     hidden_group_size_y
      - .offset:         288
        .size:           2
        .value_kind:     hidden_group_size_z
      - .offset:         290
        .size:           2
        .value_kind:     hidden_remainder_x
      - .offset:         292
        .size:           2
        .value_kind:     hidden_remainder_y
      - .offset:         294
        .size:           2
        .value_kind:     hidden_remainder_z
      - .offset:         312
        .size:           8
        .value_kind:     hidden_global_offset_x
      - .offset:         320
        .size:           8
        .value_kind:     hidden_global_offset_y
      - .offset:         328
        .size:           8
        .value_kind:     hidden_global_offset_z
      - .offset:         336
        .size:           2
        .value_kind:     hidden_grid_dims
    .group_segment_fixed_size: 1024
    .kernarg_segment_align: 8
    .kernarg_segment_size: 528
    .language:       OpenCL C
    .language_version:
      - 2
      - 0
    .max_flat_workgroup_size: 256
    .name:           _ZN2at6native6mbtopk23computeBlockDigitCountsIhjjLi1EEEvNS_4cuda6detail10TensorInfoIKT_T0_EEjPjjS8_iijT1_PSB_Ps
    .private_segment_fixed_size: 0
    .sgpr_count:     24
    .sgpr_spill_count: 0
    .symbol:         _ZN2at6native6mbtopk23computeBlockDigitCountsIhjjLi1EEEvNS_4cuda6detail10TensorInfoIKT_T0_EEjPjjS8_iijT1_PSB_Ps.kd
    .uniform_work_group_size: 1
    .uses_dynamic_stack: false
    .vgpr_count:     10
    .vgpr_spill_count: 0
    .wavefront_size: 64
  - .agpr_count:     0
    .args:
      - .address_space:  global
        .offset:         0
        .size:           8
        .value_kind:     global_buffer
      - .address_space:  global
        .offset:         8
        .size:           8
        .value_kind:     global_buffer
      - .address_space:  global
        .offset:         16
        .size:           8
        .value_kind:     global_buffer
      - .offset:         24
        .size:           4
        .value_kind:     by_value
      - .offset:         28
        .size:           4
        .value_kind:     by_value
      - .offset:         32
        .size:           1
        .value_kind:     by_value
      - .address_space:  global
        .offset:         40
        .size:           8
        .value_kind:     global_buffer
      - .address_space:  global
        .offset:         48
        .size:           8
        .value_kind:     global_buffer
      - .address_space:  global
        .offset:         56
        .size:           8
        .value_kind:     global_buffer
      - .address_space:  global
        .offset:         64
        .size:           8
        .value_kind:     global_buffer
      - .address_space:  global
        .offset:         72
        .size:           8
        .value_kind:     global_buffer
      - .offset:         80
        .size:           4
        .value_kind:     by_value
      - .offset:         88
        .size:           4
        .value_kind:     hidden_block_count_x
      - .offset:         92
        .size:           4
        .value_kind:     hidden_block_count_y
      - .offset:         96
        .size:           4
        .value_kind:     hidden_block_count_z
      - .offset:         100
        .size:           2
        .value_kind:     hidden_group_size_x
      - .offset:         102
        .size:           2
        .value_kind:     hidden_group_size_y
      - .offset:         104
        .size:           2
        .value_kind:     hidden_group_size_z
      - .offset:         106
        .size:           2
        .value_kind:     hidden_remainder_x
      - .offset:         108
        .size:           2
        .value_kind:     hidden_remainder_y
      - .offset:         110
        .size:           2
        .value_kind:     hidden_remainder_z
      - .offset:         128
        .size:           8
        .value_kind:     hidden_global_offset_x
      - .offset:         136
        .size:           8
        .value_kind:     hidden_global_offset_y
      - .offset:         144
        .size:           8
        .value_kind:     hidden_global_offset_z
      - .offset:         152
        .size:           2
        .value_kind:     hidden_grid_dims
    .group_segment_fixed_size: 2100
    .kernarg_segment_align: 8
    .kernarg_segment_size: 344
    .language:       OpenCL C
    .language_version:
      - 2
      - 0
    .max_flat_workgroup_size: 256
    .name:           _ZN2at6native6mbtopk29computeBlockwiseWithinKCountsIjhEEvPT_PsPjjibS6_PT0_S6_S4_S6_j
    .private_segment_fixed_size: 0
    .sgpr_count:     34
    .sgpr_spill_count: 0
    .symbol:         _ZN2at6native6mbtopk29computeBlockwiseWithinKCountsIjhEEvPT_PsPjjibS6_PT0_S6_S4_S6_j.kd
    .uniform_work_group_size: 1
    .uses_dynamic_stack: false
    .vgpr_count:     15
    .vgpr_spill_count: 0
    .wavefront_size: 64
  - .agpr_count:     0
    .args:
      - .offset:         0
        .size:           216
        .value_kind:     by_value
      - .offset:         216
        .size:           4
        .value_kind:     by_value
      - .offset:         220
        .size:           4
        .value_kind:     by_value
      - .offset:         224
        .size:           1
        .value_kind:     by_value
      - .offset:         228
        .size:           4
        .value_kind:     by_value
      - .offset:         232
        .size:           4
        .value_kind:     by_value
      - .offset:         240
        .size:           216
        .value_kind:     by_value
      - .offset:         456
        .size:           4
        .value_kind:     by_value
      - .offset:         464
        .size:           216
        .value_kind:     by_value
      - .offset:         680
        .size:           4
        .value_kind:     by_value
      - .offset:         684
        .size:           4
        .value_kind:     by_value
      - .offset:         688
        .size:           4
        .value_kind:     by_value
      - .address_space:  global
        .offset:         696
        .size:           8
        .value_kind:     global_buffer
      - .address_space:  global
        .offset:         704
        .size:           8
        .value_kind:     global_buffer
      - .address_space:  global
        .offset:         712
        .size:           8
        .value_kind:     global_buffer
      - .offset:         720
        .size:           4
        .value_kind:     by_value
      - .offset:         728
        .size:           4
        .value_kind:     hidden_block_count_x
      - .offset:         732
        .size:           4
        .value_kind:     hidden_block_count_y
      - .offset:         736
        .size:           4
        .value_kind:     hidden_block_count_z
      - .offset:         740
        .size:           2
        .value_kind:     hidden_group_size_x
      - .offset:         742
        .size:           2
        .value_kind:     hidden_group_size_y
      - .offset:         744
        .size:           2
        .value_kind:     hidden_group_size_z
      - .offset:         746
        .size:           2
        .value_kind:     hidden_remainder_x
      - .offset:         748
        .size:           2
        .value_kind:     hidden_remainder_y
      - .offset:         750
        .size:           2
        .value_kind:     hidden_remainder_z
      - .offset:         768
        .size:           8
        .value_kind:     hidden_global_offset_x
      - .offset:         776
        .size:           8
        .value_kind:     hidden_global_offset_y
      - .offset:         784
        .size:           8
        .value_kind:     hidden_global_offset_z
      - .offset:         792
        .size:           2
        .value_kind:     hidden_grid_dims
    .group_segment_fixed_size: 1068
    .kernarg_segment_align: 8
    .kernarg_segment_size: 984
    .language:       OpenCL C
    .language_version:
      - 2
      - 0
    .max_flat_workgroup_size: 256
    .name:           _ZN2at6native6mbtopk10gatherTopKIhjLi1EEEvNS_4cuda6detail10TensorInfoIKT_T0_EES8_S8_bjS8_NS5_IS6_S8_EES8_NS5_IlS8_EES8_jjPS6_PjSD_j
    .private_segment_fixed_size: 0
    .sgpr_count:     42
    .sgpr_spill_count: 0
    .symbol:         _ZN2at6native6mbtopk10gatherTopKIhjLi1EEEvNS_4cuda6detail10TensorInfoIKT_T0_EES8_S8_bjS8_NS5_IS6_S8_EES8_NS5_IlS8_EES8_jjPS6_PjSD_j.kd
    .uniform_work_group_size: 1
    .uses_dynamic_stack: false
    .vgpr_count:     22
    .vgpr_spill_count: 0
    .wavefront_size: 64
  - .agpr_count:     0
    .args:
      - .offset:         0
        .size:           216
        .value_kind:     by_value
      - .offset:         216
        .size:           4
        .value_kind:     by_value
      - .offset:         220
        .size:           4
        .value_kind:     by_value
      - .offset:         224
        .size:           1
        .value_kind:     by_value
      - .offset:         228
        .size:           4
        .value_kind:     by_value
      - .offset:         232
        .size:           4
        .value_kind:     by_value
      - .offset:         240
        .size:           216
        .value_kind:     by_value
      - .offset:         456
        .size:           4
        .value_kind:     by_value
      - .offset:         464
        .size:           216
        .value_kind:     by_value
      - .offset:         680
        .size:           4
        .value_kind:     by_value
      - .address_space:  global
        .offset:         688
        .size:           8
        .value_kind:     global_buffer
      - .offset:         696
        .size:           4
        .value_kind:     hidden_block_count_x
      - .offset:         700
        .size:           4
        .value_kind:     hidden_block_count_y
      - .offset:         704
        .size:           4
        .value_kind:     hidden_block_count_z
      - .offset:         708
        .size:           2
        .value_kind:     hidden_group_size_x
      - .offset:         710
        .size:           2
        .value_kind:     hidden_group_size_y
      - .offset:         712
        .size:           2
        .value_kind:     hidden_group_size_z
      - .offset:         714
        .size:           2
        .value_kind:     hidden_remainder_x
      - .offset:         716
        .size:           2
        .value_kind:     hidden_remainder_y
      - .offset:         718
        .size:           2
        .value_kind:     hidden_remainder_z
      - .offset:         736
        .size:           8
        .value_kind:     hidden_global_offset_x
      - .offset:         744
        .size:           8
        .value_kind:     hidden_global_offset_y
      - .offset:         752
        .size:           8
        .value_kind:     hidden_global_offset_z
      - .offset:         760
        .size:           2
        .value_kind:     hidden_grid_dims
    .group_segment_fixed_size: 4112
    .kernarg_segment_align: 8
    .kernarg_segment_size: 952
    .language:       OpenCL C
    .language_version:
      - 2
      - 0
    .max_flat_workgroup_size: 1024
    .name:           _ZN2at6native6sbtopk10gatherTopKIhjLi1ELb0EEEvNS_4cuda6detail10TensorInfoIKT_T0_EES8_S8_bS8_S8_NS5_IS6_S8_EES8_NS5_IlS8_EES8_PS6_
    .private_segment_fixed_size: 0
    .sgpr_count:     100
    .sgpr_spill_count: 64
    .symbol:         _ZN2at6native6sbtopk10gatherTopKIhjLi1ELb0EEEvNS_4cuda6detail10TensorInfoIKT_T0_EES8_S8_bS8_S8_NS5_IS6_S8_EES8_NS5_IlS8_EES8_PS6_.kd
    .uniform_work_group_size: 1
    .uses_dynamic_stack: false
    .vgpr_count:     47
    .vgpr_spill_count: 0
    .wavefront_size: 64
  - .agpr_count:     0
    .args:
      - .offset:         0
        .size:           216
        .value_kind:     by_value
      - .offset:         216
        .size:           4
        .value_kind:     by_value
      - .address_space:  global
        .offset:         224
        .size:           8
        .value_kind:     global_buffer
      - .offset:         232
        .size:           4
        .value_kind:     by_value
      - .offset:         236
        .size:           4
        .value_kind:     by_value
      - .offset:         240
        .size:           4
        .value_kind:     by_value
      - .offset:         244
        .size:           4
        .value_kind:     by_value
      - .offset:         248
        .size:           4
        .value_kind:     by_value
      - .offset:         252
        .size:           4
        .value_kind:     by_value
      - .address_space:  global
        .offset:         256
        .size:           8
        .value_kind:     global_buffer
      - .address_space:  global
        .offset:         264
        .size:           8
        .value_kind:     global_buffer
      - .offset:         272
        .size:           4
        .value_kind:     hidden_block_count_x
      - .offset:         276
        .size:           4
        .value_kind:     hidden_block_count_y
      - .offset:         280
        .size:           4
        .value_kind:     hidden_block_count_z
      - .offset:         284
        .size:           2
        .value_kind:     hidden_group_size_x
      - .offset:         286
        .size:           2
        .value_kind:     hidden_group_size_y
      - .offset:         288
        .size:           2
        .value_kind:     hidden_group_size_z
      - .offset:         290
        .size:           2
        .value_kind:     hidden_remainder_x
      - .offset:         292
        .size:           2
        .value_kind:     hidden_remainder_y
      - .offset:         294
        .size:           2
        .value_kind:     hidden_remainder_z
      - .offset:         312
        .size:           8
        .value_kind:     hidden_global_offset_x
      - .offset:         320
        .size:           8
        .value_kind:     hidden_global_offset_y
      - .offset:         328
        .size:           8
        .value_kind:     hidden_global_offset_z
      - .offset:         336
        .size:           2
        .value_kind:     hidden_grid_dims
    .group_segment_fixed_size: 1024
    .kernarg_segment_align: 8
    .kernarg_segment_size: 528
    .language:       OpenCL C
    .language_version:
      - 2
      - 0
    .max_flat_workgroup_size: 256
    .name:           _ZN2at6native6mbtopk23computeBlockDigitCountsIhjjLi2EEEvNS_4cuda6detail10TensorInfoIKT_T0_EEjPjjS8_iijT1_PSB_Ps
    .private_segment_fixed_size: 0
    .sgpr_count:     28
    .sgpr_spill_count: 0
    .symbol:         _ZN2at6native6mbtopk23computeBlockDigitCountsIhjjLi2EEEvNS_4cuda6detail10TensorInfoIKT_T0_EEjPjjS8_iijT1_PSB_Ps.kd
    .uniform_work_group_size: 1
    .uses_dynamic_stack: false
    .vgpr_count:     10
    .vgpr_spill_count: 0
    .wavefront_size: 64
  - .agpr_count:     0
    .args:
      - .offset:         0
        .size:           216
        .value_kind:     by_value
      - .offset:         216
        .size:           4
        .value_kind:     by_value
      - .offset:         220
        .size:           4
        .value_kind:     by_value
      - .offset:         224
        .size:           1
        .value_kind:     by_value
      - .offset:         228
        .size:           4
        .value_kind:     by_value
      - .offset:         232
        .size:           4
        .value_kind:     by_value
      - .offset:         240
        .size:           216
        .value_kind:     by_value
      - .offset:         456
        .size:           4
        .value_kind:     by_value
      - .offset:         464
        .size:           216
        .value_kind:     by_value
      - .offset:         680
        .size:           4
        .value_kind:     by_value
      - .offset:         684
        .size:           4
        .value_kind:     by_value
      - .offset:         688
        .size:           4
        .value_kind:     by_value
      - .address_space:  global
        .offset:         696
        .size:           8
        .value_kind:     global_buffer
      - .address_space:  global
        .offset:         704
        .size:           8
        .value_kind:     global_buffer
      - .address_space:  global
        .offset:         712
        .size:           8
        .value_kind:     global_buffer
      - .offset:         720
        .size:           4
        .value_kind:     by_value
      - .offset:         728
        .size:           4
        .value_kind:     hidden_block_count_x
      - .offset:         732
        .size:           4
        .value_kind:     hidden_block_count_y
      - .offset:         736
        .size:           4
        .value_kind:     hidden_block_count_z
      - .offset:         740
        .size:           2
        .value_kind:     hidden_group_size_x
      - .offset:         742
        .size:           2
        .value_kind:     hidden_group_size_y
      - .offset:         744
        .size:           2
        .value_kind:     hidden_group_size_z
      - .offset:         746
        .size:           2
        .value_kind:     hidden_remainder_x
      - .offset:         748
        .size:           2
        .value_kind:     hidden_remainder_y
      - .offset:         750
        .size:           2
        .value_kind:     hidden_remainder_z
      - .offset:         768
        .size:           8
        .value_kind:     hidden_global_offset_x
      - .offset:         776
        .size:           8
        .value_kind:     hidden_global_offset_y
      - .offset:         784
        .size:           8
        .value_kind:     hidden_global_offset_z
      - .offset:         792
        .size:           2
        .value_kind:     hidden_grid_dims
    .group_segment_fixed_size: 1068
    .kernarg_segment_align: 8
    .kernarg_segment_size: 984
    .language:       OpenCL C
    .language_version:
      - 2
      - 0
    .max_flat_workgroup_size: 256
    .name:           _ZN2at6native6mbtopk10gatherTopKIhjLi2EEEvNS_4cuda6detail10TensorInfoIKT_T0_EES8_S8_bjS8_NS5_IS6_S8_EES8_NS5_IlS8_EES8_jjPS6_PjSD_j
    .private_segment_fixed_size: 0
    .sgpr_count:     54
    .sgpr_spill_count: 0
    .symbol:         _ZN2at6native6mbtopk10gatherTopKIhjLi2EEEvNS_4cuda6detail10TensorInfoIKT_T0_EES8_S8_bjS8_NS5_IS6_S8_EES8_NS5_IlS8_EES8_jjPS6_PjSD_j.kd
    .uniform_work_group_size: 1
    .uses_dynamic_stack: false
    .vgpr_count:     22
    .vgpr_spill_count: 0
    .wavefront_size: 64
  - .agpr_count:     0
    .args:
      - .offset:         0
        .size:           216
        .value_kind:     by_value
      - .offset:         216
        .size:           4
        .value_kind:     by_value
      - .offset:         220
        .size:           4
        .value_kind:     by_value
      - .offset:         224
        .size:           1
        .value_kind:     by_value
      - .offset:         228
        .size:           4
        .value_kind:     by_value
      - .offset:         232
        .size:           4
        .value_kind:     by_value
      - .offset:         240
        .size:           216
        .value_kind:     by_value
      - .offset:         456
        .size:           4
        .value_kind:     by_value
      - .offset:         464
        .size:           216
        .value_kind:     by_value
      - .offset:         680
        .size:           4
        .value_kind:     by_value
      - .address_space:  global
        .offset:         688
        .size:           8
        .value_kind:     global_buffer
      - .offset:         696
        .size:           4
        .value_kind:     hidden_block_count_x
      - .offset:         700
        .size:           4
        .value_kind:     hidden_block_count_y
      - .offset:         704
        .size:           4
        .value_kind:     hidden_block_count_z
      - .offset:         708
        .size:           2
        .value_kind:     hidden_group_size_x
      - .offset:         710
        .size:           2
        .value_kind:     hidden_group_size_y
      - .offset:         712
        .size:           2
        .value_kind:     hidden_group_size_z
      - .offset:         714
        .size:           2
        .value_kind:     hidden_remainder_x
      - .offset:         716
        .size:           2
        .value_kind:     hidden_remainder_y
      - .offset:         718
        .size:           2
        .value_kind:     hidden_remainder_z
      - .offset:         736
        .size:           8
        .value_kind:     hidden_global_offset_x
      - .offset:         744
        .size:           8
        .value_kind:     hidden_global_offset_y
      - .offset:         752
        .size:           8
        .value_kind:     hidden_global_offset_z
      - .offset:         760
        .size:           2
        .value_kind:     hidden_grid_dims
    .group_segment_fixed_size: 4112
    .kernarg_segment_align: 8
    .kernarg_segment_size: 952
    .language:       OpenCL C
    .language_version:
      - 2
      - 0
    .max_flat_workgroup_size: 1024
    .name:           _ZN2at6native6sbtopk10gatherTopKIhjLi2ELb0EEEvNS_4cuda6detail10TensorInfoIKT_T0_EES8_S8_bS8_S8_NS5_IS6_S8_EES8_NS5_IlS8_EES8_PS6_
    .private_segment_fixed_size: 0
    .sgpr_count:     100
    .sgpr_spill_count: 72
    .symbol:         _ZN2at6native6sbtopk10gatherTopKIhjLi2ELb0EEEvNS_4cuda6detail10TensorInfoIKT_T0_EES8_S8_bS8_S8_NS5_IS6_S8_EES8_NS5_IlS8_EES8_PS6_.kd
    .uniform_work_group_size: 1
    .uses_dynamic_stack: false
    .vgpr_count:     48
    .vgpr_spill_count: 0
    .wavefront_size: 64
  - .agpr_count:     0
    .args:
      - .offset:         0
        .size:           216
        .value_kind:     by_value
      - .offset:         216
        .size:           4
        .value_kind:     by_value
      - .address_space:  global
        .offset:         224
        .size:           8
        .value_kind:     global_buffer
      - .offset:         232
        .size:           4
        .value_kind:     by_value
      - .offset:         236
        .size:           4
        .value_kind:     by_value
      - .offset:         240
        .size:           4
        .value_kind:     by_value
      - .offset:         244
        .size:           4
        .value_kind:     by_value
      - .offset:         248
        .size:           4
        .value_kind:     by_value
      - .offset:         252
        .size:           4
        .value_kind:     by_value
      - .address_space:  global
        .offset:         256
        .size:           8
        .value_kind:     global_buffer
      - .address_space:  global
        .offset:         264
        .size:           8
        .value_kind:     global_buffer
      - .offset:         272
        .size:           4
        .value_kind:     hidden_block_count_x
      - .offset:         276
        .size:           4
        .value_kind:     hidden_block_count_y
      - .offset:         280
        .size:           4
        .value_kind:     hidden_block_count_z
      - .offset:         284
        .size:           2
        .value_kind:     hidden_group_size_x
      - .offset:         286
        .size:           2
        .value_kind:     hidden_group_size_y
      - .offset:         288
        .size:           2
        .value_kind:     hidden_group_size_z
      - .offset:         290
        .size:           2
        .value_kind:     hidden_remainder_x
      - .offset:         292
        .size:           2
        .value_kind:     hidden_remainder_y
      - .offset:         294
        .size:           2
        .value_kind:     hidden_remainder_z
      - .offset:         312
        .size:           8
        .value_kind:     hidden_global_offset_x
      - .offset:         320
        .size:           8
        .value_kind:     hidden_global_offset_y
      - .offset:         328
        .size:           8
        .value_kind:     hidden_global_offset_z
      - .offset:         336
        .size:           2
        .value_kind:     hidden_grid_dims
    .group_segment_fixed_size: 1024
    .kernarg_segment_align: 8
    .kernarg_segment_size: 528
    .language:       OpenCL C
    .language_version:
      - 2
      - 0
    .max_flat_workgroup_size: 256
    .name:           _ZN2at6native6mbtopk23computeBlockDigitCountsIhjjLi3EEEvNS_4cuda6detail10TensorInfoIKT_T0_EEjPjjS8_iijT1_PSB_Ps
    .private_segment_fixed_size: 0
    .sgpr_count:     30
    .sgpr_spill_count: 0
    .symbol:         _ZN2at6native6mbtopk23computeBlockDigitCountsIhjjLi3EEEvNS_4cuda6detail10TensorInfoIKT_T0_EEjPjjS8_iijT1_PSB_Ps.kd
    .uniform_work_group_size: 1
    .uses_dynamic_stack: false
    .vgpr_count:     10
    .vgpr_spill_count: 0
    .wavefront_size: 64
  - .agpr_count:     0
    .args:
      - .offset:         0
        .size:           216
        .value_kind:     by_value
      - .offset:         216
        .size:           4
        .value_kind:     by_value
      - .offset:         220
        .size:           4
        .value_kind:     by_value
      - .offset:         224
        .size:           1
        .value_kind:     by_value
      - .offset:         228
        .size:           4
        .value_kind:     by_value
      - .offset:         232
        .size:           4
        .value_kind:     by_value
      - .offset:         240
        .size:           216
        .value_kind:     by_value
      - .offset:         456
        .size:           4
        .value_kind:     by_value
      - .offset:         464
        .size:           216
        .value_kind:     by_value
      - .offset:         680
        .size:           4
        .value_kind:     by_value
      - .offset:         684
        .size:           4
        .value_kind:     by_value
      - .offset:         688
        .size:           4
        .value_kind:     by_value
      - .address_space:  global
        .offset:         696
        .size:           8
        .value_kind:     global_buffer
      - .address_space:  global
        .offset:         704
        .size:           8
        .value_kind:     global_buffer
      - .address_space:  global
        .offset:         712
        .size:           8
        .value_kind:     global_buffer
      - .offset:         720
        .size:           4
        .value_kind:     by_value
      - .offset:         728
        .size:           4
        .value_kind:     hidden_block_count_x
      - .offset:         732
        .size:           4
        .value_kind:     hidden_block_count_y
      - .offset:         736
        .size:           4
        .value_kind:     hidden_block_count_z
      - .offset:         740
        .size:           2
        .value_kind:     hidden_group_size_x
      - .offset:         742
        .size:           2
        .value_kind:     hidden_group_size_y
      - .offset:         744
        .size:           2
        .value_kind:     hidden_group_size_z
      - .offset:         746
        .size:           2
        .value_kind:     hidden_remainder_x
      - .offset:         748
        .size:           2
        .value_kind:     hidden_remainder_y
      - .offset:         750
        .size:           2
        .value_kind:     hidden_remainder_z
      - .offset:         768
        .size:           8
        .value_kind:     hidden_global_offset_x
      - .offset:         776
        .size:           8
        .value_kind:     hidden_global_offset_y
      - .offset:         784
        .size:           8
        .value_kind:     hidden_global_offset_z
      - .offset:         792
        .size:           2
        .value_kind:     hidden_grid_dims
    .group_segment_fixed_size: 1068
    .kernarg_segment_align: 8
    .kernarg_segment_size: 984
    .language:       OpenCL C
    .language_version:
      - 2
      - 0
    .max_flat_workgroup_size: 256
    .name:           _ZN2at6native6mbtopk10gatherTopKIhjLi3EEEvNS_4cuda6detail10TensorInfoIKT_T0_EES8_S8_bjS8_NS5_IS6_S8_EES8_NS5_IlS8_EES8_jjPS6_PjSD_j
    .private_segment_fixed_size: 0
    .sgpr_count:     63
    .sgpr_spill_count: 0
    .symbol:         _ZN2at6native6mbtopk10gatherTopKIhjLi3EEEvNS_4cuda6detail10TensorInfoIKT_T0_EES8_S8_bjS8_NS5_IS6_S8_EES8_NS5_IlS8_EES8_jjPS6_PjSD_j.kd
    .uniform_work_group_size: 1
    .uses_dynamic_stack: false
    .vgpr_count:     22
    .vgpr_spill_count: 0
    .wavefront_size: 64
  - .agpr_count:     0
    .args:
      - .offset:         0
        .size:           216
        .value_kind:     by_value
      - .offset:         216
        .size:           4
        .value_kind:     by_value
      - .offset:         220
        .size:           4
        .value_kind:     by_value
      - .offset:         224
        .size:           1
        .value_kind:     by_value
      - .offset:         228
        .size:           4
        .value_kind:     by_value
      - .offset:         232
        .size:           4
        .value_kind:     by_value
      - .offset:         240
        .size:           216
        .value_kind:     by_value
      - .offset:         456
        .size:           4
        .value_kind:     by_value
      - .offset:         464
        .size:           216
        .value_kind:     by_value
      - .offset:         680
        .size:           4
        .value_kind:     by_value
      - .address_space:  global
        .offset:         688
        .size:           8
        .value_kind:     global_buffer
      - .offset:         696
        .size:           4
        .value_kind:     hidden_block_count_x
      - .offset:         700
        .size:           4
        .value_kind:     hidden_block_count_y
      - .offset:         704
        .size:           4
        .value_kind:     hidden_block_count_z
      - .offset:         708
        .size:           2
        .value_kind:     hidden_group_size_x
      - .offset:         710
        .size:           2
        .value_kind:     hidden_group_size_y
      - .offset:         712
        .size:           2
        .value_kind:     hidden_group_size_z
      - .offset:         714
        .size:           2
        .value_kind:     hidden_remainder_x
      - .offset:         716
        .size:           2
        .value_kind:     hidden_remainder_y
      - .offset:         718
        .size:           2
        .value_kind:     hidden_remainder_z
      - .offset:         736
        .size:           8
        .value_kind:     hidden_global_offset_x
      - .offset:         744
        .size:           8
        .value_kind:     hidden_global_offset_y
      - .offset:         752
        .size:           8
        .value_kind:     hidden_global_offset_z
      - .offset:         760
        .size:           2
        .value_kind:     hidden_grid_dims
    .group_segment_fixed_size: 4112
    .kernarg_segment_align: 8
    .kernarg_segment_size: 952
    .language:       OpenCL C
    .language_version:
      - 2
      - 0
    .max_flat_workgroup_size: 1024
    .name:           _ZN2at6native6sbtopk10gatherTopKIhjLi3ELb0EEEvNS_4cuda6detail10TensorInfoIKT_T0_EES8_S8_bS8_S8_NS5_IS6_S8_EES8_NS5_IlS8_EES8_PS6_
    .private_segment_fixed_size: 0
    .sgpr_count:     100
    .sgpr_spill_count: 80
    .symbol:         _ZN2at6native6sbtopk10gatherTopKIhjLi3ELb0EEEvNS_4cuda6detail10TensorInfoIKT_T0_EES8_S8_bS8_S8_NS5_IS6_S8_EES8_NS5_IlS8_EES8_PS6_.kd
    .uniform_work_group_size: 1
    .uses_dynamic_stack: false
    .vgpr_count:     48
    .vgpr_spill_count: 0
    .wavefront_size: 64
  - .agpr_count:     0
    .args:
      - .offset:         0
        .size:           216
        .value_kind:     by_value
      - .offset:         216
        .size:           4
        .value_kind:     by_value
      - .address_space:  global
        .offset:         224
        .size:           8
        .value_kind:     global_buffer
      - .offset:         232
        .size:           4
        .value_kind:     by_value
      - .offset:         236
        .size:           4
        .value_kind:     by_value
      - .offset:         240
        .size:           4
        .value_kind:     by_value
      - .offset:         244
        .size:           4
        .value_kind:     by_value
      - .offset:         248
        .size:           4
        .value_kind:     by_value
      - .offset:         252
        .size:           4
        .value_kind:     by_value
      - .address_space:  global
        .offset:         256
        .size:           8
        .value_kind:     global_buffer
      - .address_space:  global
        .offset:         264
        .size:           8
        .value_kind:     global_buffer
      - .offset:         272
        .size:           4
        .value_kind:     hidden_block_count_x
      - .offset:         276
        .size:           4
        .value_kind:     hidden_block_count_y
      - .offset:         280
        .size:           4
        .value_kind:     hidden_block_count_z
      - .offset:         284
        .size:           2
        .value_kind:     hidden_group_size_x
      - .offset:         286
        .size:           2
        .value_kind:     hidden_group_size_y
      - .offset:         288
        .size:           2
        .value_kind:     hidden_group_size_z
      - .offset:         290
        .size:           2
        .value_kind:     hidden_remainder_x
      - .offset:         292
        .size:           2
        .value_kind:     hidden_remainder_y
      - .offset:         294
        .size:           2
        .value_kind:     hidden_remainder_z
      - .offset:         312
        .size:           8
        .value_kind:     hidden_global_offset_x
      - .offset:         320
        .size:           8
        .value_kind:     hidden_global_offset_y
      - .offset:         328
        .size:           8
        .value_kind:     hidden_global_offset_z
      - .offset:         336
        .size:           2
        .value_kind:     hidden_grid_dims
    .group_segment_fixed_size: 1024
    .kernarg_segment_align: 8
    .kernarg_segment_size: 528
    .language:       OpenCL C
    .language_version:
      - 2
      - 0
    .max_flat_workgroup_size: 256
    .name:           _ZN2at6native6mbtopk23computeBlockDigitCountsIhjjLin1EEEvNS_4cuda6detail10TensorInfoIKT_T0_EEjPjjS8_iijT1_PSB_Ps
    .private_segment_fixed_size: 0
    .sgpr_count:     28
    .sgpr_spill_count: 0
    .symbol:         _ZN2at6native6mbtopk23computeBlockDigitCountsIhjjLin1EEEvNS_4cuda6detail10TensorInfoIKT_T0_EEjPjjS8_iijT1_PSB_Ps.kd
    .uniform_work_group_size: 1
    .uses_dynamic_stack: false
    .vgpr_count:     10
    .vgpr_spill_count: 0
    .wavefront_size: 64
  - .agpr_count:     0
    .args:
      - .offset:         0
        .size:           216
        .value_kind:     by_value
      - .offset:         216
        .size:           4
        .value_kind:     by_value
      - .offset:         220
        .size:           4
        .value_kind:     by_value
      - .offset:         224
        .size:           1
        .value_kind:     by_value
      - .offset:         228
        .size:           4
        .value_kind:     by_value
      - .offset:         232
        .size:           4
        .value_kind:     by_value
      - .offset:         240
        .size:           216
        .value_kind:     by_value
      - .offset:         456
        .size:           4
        .value_kind:     by_value
      - .offset:         464
        .size:           216
        .value_kind:     by_value
      - .offset:         680
        .size:           4
        .value_kind:     by_value
      - .offset:         684
        .size:           4
        .value_kind:     by_value
      - .offset:         688
        .size:           4
        .value_kind:     by_value
      - .address_space:  global
        .offset:         696
        .size:           8
        .value_kind:     global_buffer
      - .address_space:  global
        .offset:         704
        .size:           8
        .value_kind:     global_buffer
      - .address_space:  global
        .offset:         712
        .size:           8
        .value_kind:     global_buffer
      - .offset:         720
        .size:           4
        .value_kind:     by_value
      - .offset:         728
        .size:           4
        .value_kind:     hidden_block_count_x
      - .offset:         732
        .size:           4
        .value_kind:     hidden_block_count_y
      - .offset:         736
        .size:           4
        .value_kind:     hidden_block_count_z
      - .offset:         740
        .size:           2
        .value_kind:     hidden_group_size_x
      - .offset:         742
        .size:           2
        .value_kind:     hidden_group_size_y
      - .offset:         744
        .size:           2
        .value_kind:     hidden_group_size_z
      - .offset:         746
        .size:           2
        .value_kind:     hidden_remainder_x
      - .offset:         748
        .size:           2
        .value_kind:     hidden_remainder_y
      - .offset:         750
        .size:           2
        .value_kind:     hidden_remainder_z
      - .offset:         768
        .size:           8
        .value_kind:     hidden_global_offset_x
      - .offset:         776
        .size:           8
        .value_kind:     hidden_global_offset_y
      - .offset:         784
        .size:           8
        .value_kind:     hidden_global_offset_z
      - .offset:         792
        .size:           2
        .value_kind:     hidden_grid_dims
    .group_segment_fixed_size: 1068
    .kernarg_segment_align: 8
    .kernarg_segment_size: 984
    .language:       OpenCL C
    .language_version:
      - 2
      - 0
    .max_flat_workgroup_size: 256
    .name:           _ZN2at6native6mbtopk10gatherTopKIhjLin1EEEvNS_4cuda6detail10TensorInfoIKT_T0_EES8_S8_bjS8_NS5_IS6_S8_EES8_NS5_IlS8_EES8_jjPS6_PjSD_j
    .private_segment_fixed_size: 0
    .sgpr_count:     49
    .sgpr_spill_count: 0
    .symbol:         _ZN2at6native6mbtopk10gatherTopKIhjLin1EEEvNS_4cuda6detail10TensorInfoIKT_T0_EES8_S8_bjS8_NS5_IS6_S8_EES8_NS5_IlS8_EES8_jjPS6_PjSD_j.kd
    .uniform_work_group_size: 1
    .uses_dynamic_stack: false
    .vgpr_count:     22
    .vgpr_spill_count: 0
    .wavefront_size: 64
  - .agpr_count:     0
    .args:
      - .offset:         0
        .size:           216
        .value_kind:     by_value
      - .offset:         216
        .size:           4
        .value_kind:     by_value
      - .offset:         220
        .size:           4
        .value_kind:     by_value
      - .offset:         224
        .size:           1
        .value_kind:     by_value
      - .offset:         228
        .size:           4
        .value_kind:     by_value
      - .offset:         232
        .size:           4
        .value_kind:     by_value
      - .offset:         240
        .size:           216
        .value_kind:     by_value
      - .offset:         456
        .size:           4
        .value_kind:     by_value
      - .offset:         464
        .size:           216
        .value_kind:     by_value
      - .offset:         680
        .size:           4
        .value_kind:     by_value
      - .address_space:  global
        .offset:         688
        .size:           8
        .value_kind:     global_buffer
      - .offset:         696
        .size:           4
        .value_kind:     hidden_block_count_x
      - .offset:         700
        .size:           4
        .value_kind:     hidden_block_count_y
      - .offset:         704
        .size:           4
        .value_kind:     hidden_block_count_z
      - .offset:         708
        .size:           2
        .value_kind:     hidden_group_size_x
      - .offset:         710
        .size:           2
        .value_kind:     hidden_group_size_y
      - .offset:         712
        .size:           2
        .value_kind:     hidden_group_size_z
      - .offset:         714
        .size:           2
        .value_kind:     hidden_remainder_x
      - .offset:         716
        .size:           2
        .value_kind:     hidden_remainder_y
      - .offset:         718
        .size:           2
        .value_kind:     hidden_remainder_z
      - .offset:         736
        .size:           8
        .value_kind:     hidden_global_offset_x
      - .offset:         744
        .size:           8
        .value_kind:     hidden_global_offset_y
      - .offset:         752
        .size:           8
        .value_kind:     hidden_global_offset_z
      - .offset:         760
        .size:           2
        .value_kind:     hidden_grid_dims
    .group_segment_fixed_size: 4112
    .kernarg_segment_align: 8
    .kernarg_segment_size: 952
    .language:       OpenCL C
    .language_version:
      - 2
      - 0
    .max_flat_workgroup_size: 1024
    .name:           _ZN2at6native6sbtopk10gatherTopKIhjLin1ELb0EEEvNS_4cuda6detail10TensorInfoIKT_T0_EES8_S8_bS8_S8_NS5_IS6_S8_EES8_NS5_IlS8_EES8_PS6_
    .private_segment_fixed_size: 0
    .sgpr_count:     100
    .sgpr_spill_count: 63
    .symbol:         _ZN2at6native6sbtopk10gatherTopKIhjLin1ELb0EEEvNS_4cuda6detail10TensorInfoIKT_T0_EES8_S8_bS8_S8_NS5_IS6_S8_EES8_NS5_IlS8_EES8_PS6_.kd
    .uniform_work_group_size: 1
    .uses_dynamic_stack: false
    .vgpr_count:     47
    .vgpr_spill_count: 0
    .wavefront_size: 64
  - .agpr_count:     0
    .args:
      - .offset:         0
        .size:           216
        .value_kind:     by_value
      - .offset:         216
        .size:           4
        .value_kind:     by_value
      - .address_space:  global
        .offset:         224
        .size:           8
        .value_kind:     global_buffer
      - .offset:         232
        .size:           4
        .value_kind:     by_value
      - .offset:         236
        .size:           4
        .value_kind:     by_value
      - .offset:         240
        .size:           4
        .value_kind:     by_value
      - .offset:         244
        .size:           4
        .value_kind:     by_value
      - .offset:         248
        .size:           4
        .value_kind:     by_value
      - .offset:         252
        .size:           4
        .value_kind:     by_value
      - .address_space:  global
        .offset:         256
        .size:           8
        .value_kind:     global_buffer
      - .address_space:  global
        .offset:         264
        .size:           8
        .value_kind:     global_buffer
      - .offset:         272
        .size:           4
        .value_kind:     hidden_block_count_x
      - .offset:         276
        .size:           4
        .value_kind:     hidden_block_count_y
      - .offset:         280
        .size:           4
        .value_kind:     hidden_block_count_z
      - .offset:         284
        .size:           2
        .value_kind:     hidden_group_size_x
      - .offset:         286
        .size:           2
        .value_kind:     hidden_group_size_y
      - .offset:         288
        .size:           2
        .value_kind:     hidden_group_size_z
      - .offset:         290
        .size:           2
        .value_kind:     hidden_remainder_x
      - .offset:         292
        .size:           2
        .value_kind:     hidden_remainder_y
      - .offset:         294
        .size:           2
        .value_kind:     hidden_remainder_z
      - .offset:         312
        .size:           8
        .value_kind:     hidden_global_offset_x
      - .offset:         320
        .size:           8
        .value_kind:     hidden_global_offset_y
      - .offset:         328
        .size:           8
        .value_kind:     hidden_global_offset_z
      - .offset:         336
        .size:           2
        .value_kind:     hidden_grid_dims
    .group_segment_fixed_size: 1024
    .kernarg_segment_align: 8
    .kernarg_segment_size: 528
    .language:       OpenCL C
    .language_version:
      - 2
      - 0
    .max_flat_workgroup_size: 256
    .name:           _ZN2at6native6mbtopk23computeBlockDigitCountsIajjLi1EEEvNS_4cuda6detail10TensorInfoIKT_T0_EEjPjjS8_iijT1_PSB_Ps
    .private_segment_fixed_size: 0
    .sgpr_count:     24
    .sgpr_spill_count: 0
    .symbol:         _ZN2at6native6mbtopk23computeBlockDigitCountsIajjLi1EEEvNS_4cuda6detail10TensorInfoIKT_T0_EEjPjjS8_iijT1_PSB_Ps.kd
    .uniform_work_group_size: 1
    .uses_dynamic_stack: false
    .vgpr_count:     10
    .vgpr_spill_count: 0
    .wavefront_size: 64
  - .agpr_count:     0
    .args:
      - .address_space:  global
        .offset:         0
        .size:           8
        .value_kind:     global_buffer
      - .address_space:  global
        .offset:         8
        .size:           8
        .value_kind:     global_buffer
      - .address_space:  global
        .offset:         16
        .size:           8
        .value_kind:     global_buffer
      - .offset:         24
        .size:           4
        .value_kind:     by_value
      - .offset:         28
        .size:           4
        .value_kind:     by_value
      - .offset:         32
        .size:           1
        .value_kind:     by_value
      - .address_space:  global
        .offset:         40
        .size:           8
        .value_kind:     global_buffer
      - .address_space:  global
        .offset:         48
        .size:           8
        .value_kind:     global_buffer
      - .address_space:  global
        .offset:         56
        .size:           8
        .value_kind:     global_buffer
      - .address_space:  global
        .offset:         64
        .size:           8
        .value_kind:     global_buffer
      - .address_space:  global
        .offset:         72
        .size:           8
        .value_kind:     global_buffer
      - .offset:         80
        .size:           4
        .value_kind:     by_value
      - .offset:         88
        .size:           4
        .value_kind:     hidden_block_count_x
      - .offset:         92
        .size:           4
        .value_kind:     hidden_block_count_y
      - .offset:         96
        .size:           4
        .value_kind:     hidden_block_count_z
      - .offset:         100
        .size:           2
        .value_kind:     hidden_group_size_x
      - .offset:         102
        .size:           2
        .value_kind:     hidden_group_size_y
      - .offset:         104
        .size:           2
        .value_kind:     hidden_group_size_z
      - .offset:         106
        .size:           2
        .value_kind:     hidden_remainder_x
      - .offset:         108
        .size:           2
        .value_kind:     hidden_remainder_y
      - .offset:         110
        .size:           2
        .value_kind:     hidden_remainder_z
      - .offset:         128
        .size:           8
        .value_kind:     hidden_global_offset_x
      - .offset:         136
        .size:           8
        .value_kind:     hidden_global_offset_y
      - .offset:         144
        .size:           8
        .value_kind:     hidden_global_offset_z
      - .offset:         152
        .size:           2
        .value_kind:     hidden_grid_dims
    .group_segment_fixed_size: 2100
    .kernarg_segment_align: 8
    .kernarg_segment_size: 344
    .language:       OpenCL C
    .language_version:
      - 2
      - 0
    .max_flat_workgroup_size: 256
    .name:           _ZN2at6native6mbtopk29computeBlockwiseWithinKCountsIjaEEvPT_PsPjjibS6_PT0_S6_S4_S6_j
    .private_segment_fixed_size: 0
    .sgpr_count:     34
    .sgpr_spill_count: 0
    .symbol:         _ZN2at6native6mbtopk29computeBlockwiseWithinKCountsIjaEEvPT_PsPjjibS6_PT0_S6_S4_S6_j.kd
    .uniform_work_group_size: 1
    .uses_dynamic_stack: false
    .vgpr_count:     15
    .vgpr_spill_count: 0
    .wavefront_size: 64
  - .agpr_count:     0
    .args:
      - .offset:         0
        .size:           216
        .value_kind:     by_value
      - .offset:         216
        .size:           4
        .value_kind:     by_value
      - .offset:         220
        .size:           4
        .value_kind:     by_value
      - .offset:         224
        .size:           1
        .value_kind:     by_value
      - .offset:         228
        .size:           4
        .value_kind:     by_value
      - .offset:         232
        .size:           4
        .value_kind:     by_value
      - .offset:         240
        .size:           216
        .value_kind:     by_value
      - .offset:         456
        .size:           4
        .value_kind:     by_value
      - .offset:         464
        .size:           216
        .value_kind:     by_value
      - .offset:         680
        .size:           4
        .value_kind:     by_value
      - .offset:         684
        .size:           4
        .value_kind:     by_value
      - .offset:         688
        .size:           4
        .value_kind:     by_value
      - .address_space:  global
        .offset:         696
        .size:           8
        .value_kind:     global_buffer
      - .address_space:  global
        .offset:         704
        .size:           8
        .value_kind:     global_buffer
      - .address_space:  global
        .offset:         712
        .size:           8
        .value_kind:     global_buffer
      - .offset:         720
        .size:           4
        .value_kind:     by_value
      - .offset:         728
        .size:           4
        .value_kind:     hidden_block_count_x
      - .offset:         732
        .size:           4
        .value_kind:     hidden_block_count_y
      - .offset:         736
        .size:           4
        .value_kind:     hidden_block_count_z
      - .offset:         740
        .size:           2
        .value_kind:     hidden_group_size_x
      - .offset:         742
        .size:           2
        .value_kind:     hidden_group_size_y
      - .offset:         744
        .size:           2
        .value_kind:     hidden_group_size_z
      - .offset:         746
        .size:           2
        .value_kind:     hidden_remainder_x
      - .offset:         748
        .size:           2
        .value_kind:     hidden_remainder_y
      - .offset:         750
        .size:           2
        .value_kind:     hidden_remainder_z
      - .offset:         768
        .size:           8
        .value_kind:     hidden_global_offset_x
      - .offset:         776
        .size:           8
        .value_kind:     hidden_global_offset_y
      - .offset:         784
        .size:           8
        .value_kind:     hidden_global_offset_z
      - .offset:         792
        .size:           2
        .value_kind:     hidden_grid_dims
    .group_segment_fixed_size: 1068
    .kernarg_segment_align: 8
    .kernarg_segment_size: 984
    .language:       OpenCL C
    .language_version:
      - 2
      - 0
    .max_flat_workgroup_size: 256
    .name:           _ZN2at6native6mbtopk10gatherTopKIajLi1EEEvNS_4cuda6detail10TensorInfoIKT_T0_EES8_S8_bjS8_NS5_IS6_S8_EES8_NS5_IlS8_EES8_jjPS6_PjSD_j
    .private_segment_fixed_size: 0
    .sgpr_count:     42
    .sgpr_spill_count: 0
    .symbol:         _ZN2at6native6mbtopk10gatherTopKIajLi1EEEvNS_4cuda6detail10TensorInfoIKT_T0_EES8_S8_bjS8_NS5_IS6_S8_EES8_NS5_IlS8_EES8_jjPS6_PjSD_j.kd
    .uniform_work_group_size: 1
    .uses_dynamic_stack: false
    .vgpr_count:     24
    .vgpr_spill_count: 0
    .wavefront_size: 64
  - .agpr_count:     0
    .args:
      - .offset:         0
        .size:           216
        .value_kind:     by_value
      - .offset:         216
        .size:           4
        .value_kind:     by_value
      - .offset:         220
        .size:           4
        .value_kind:     by_value
      - .offset:         224
        .size:           1
        .value_kind:     by_value
      - .offset:         228
        .size:           4
        .value_kind:     by_value
      - .offset:         232
        .size:           4
        .value_kind:     by_value
      - .offset:         240
        .size:           216
        .value_kind:     by_value
      - .offset:         456
        .size:           4
        .value_kind:     by_value
      - .offset:         464
        .size:           216
        .value_kind:     by_value
      - .offset:         680
        .size:           4
        .value_kind:     by_value
      - .address_space:  global
        .offset:         688
        .size:           8
        .value_kind:     global_buffer
      - .offset:         696
        .size:           4
        .value_kind:     hidden_block_count_x
      - .offset:         700
        .size:           4
        .value_kind:     hidden_block_count_y
      - .offset:         704
        .size:           4
        .value_kind:     hidden_block_count_z
      - .offset:         708
        .size:           2
        .value_kind:     hidden_group_size_x
      - .offset:         710
        .size:           2
        .value_kind:     hidden_group_size_y
      - .offset:         712
        .size:           2
        .value_kind:     hidden_group_size_z
      - .offset:         714
        .size:           2
        .value_kind:     hidden_remainder_x
      - .offset:         716
        .size:           2
        .value_kind:     hidden_remainder_y
      - .offset:         718
        .size:           2
        .value_kind:     hidden_remainder_z
      - .offset:         736
        .size:           8
        .value_kind:     hidden_global_offset_x
      - .offset:         744
        .size:           8
        .value_kind:     hidden_global_offset_y
      - .offset:         752
        .size:           8
        .value_kind:     hidden_global_offset_z
      - .offset:         760
        .size:           2
        .value_kind:     hidden_grid_dims
    .group_segment_fixed_size: 4112
    .kernarg_segment_align: 8
    .kernarg_segment_size: 952
    .language:       OpenCL C
    .language_version:
      - 2
      - 0
    .max_flat_workgroup_size: 1024
    .name:           _ZN2at6native6sbtopk10gatherTopKIajLi1ELb0EEEvNS_4cuda6detail10TensorInfoIKT_T0_EES8_S8_bS8_S8_NS5_IS6_S8_EES8_NS5_IlS8_EES8_PS6_
    .private_segment_fixed_size: 0
    .sgpr_count:     100
    .sgpr_spill_count: 67
    .symbol:         _ZN2at6native6sbtopk10gatherTopKIajLi1ELb0EEEvNS_4cuda6detail10TensorInfoIKT_T0_EES8_S8_bS8_S8_NS5_IS6_S8_EES8_NS5_IlS8_EES8_PS6_.kd
    .uniform_work_group_size: 1
    .uses_dynamic_stack: false
    .vgpr_count:     47
    .vgpr_spill_count: 0
    .wavefront_size: 64
  - .agpr_count:     0
    .args:
      - .offset:         0
        .size:           216
        .value_kind:     by_value
      - .offset:         216
        .size:           4
        .value_kind:     by_value
      - .address_space:  global
        .offset:         224
        .size:           8
        .value_kind:     global_buffer
      - .offset:         232
        .size:           4
        .value_kind:     by_value
      - .offset:         236
        .size:           4
        .value_kind:     by_value
      - .offset:         240
        .size:           4
        .value_kind:     by_value
      - .offset:         244
        .size:           4
        .value_kind:     by_value
      - .offset:         248
        .size:           4
        .value_kind:     by_value
      - .offset:         252
        .size:           4
        .value_kind:     by_value
      - .address_space:  global
        .offset:         256
        .size:           8
        .value_kind:     global_buffer
      - .address_space:  global
        .offset:         264
        .size:           8
        .value_kind:     global_buffer
      - .offset:         272
        .size:           4
        .value_kind:     hidden_block_count_x
      - .offset:         276
        .size:           4
        .value_kind:     hidden_block_count_y
      - .offset:         280
        .size:           4
        .value_kind:     hidden_block_count_z
      - .offset:         284
        .size:           2
        .value_kind:     hidden_group_size_x
      - .offset:         286
        .size:           2
        .value_kind:     hidden_group_size_y
      - .offset:         288
        .size:           2
        .value_kind:     hidden_group_size_z
      - .offset:         290
        .size:           2
        .value_kind:     hidden_remainder_x
      - .offset:         292
        .size:           2
        .value_kind:     hidden_remainder_y
      - .offset:         294
        .size:           2
        .value_kind:     hidden_remainder_z
      - .offset:         312
        .size:           8
        .value_kind:     hidden_global_offset_x
      - .offset:         320
        .size:           8
        .value_kind:     hidden_global_offset_y
      - .offset:         328
        .size:           8
        .value_kind:     hidden_global_offset_z
      - .offset:         336
        .size:           2
        .value_kind:     hidden_grid_dims
    .group_segment_fixed_size: 1024
    .kernarg_segment_align: 8
    .kernarg_segment_size: 528
    .language:       OpenCL C
    .language_version:
      - 2
      - 0
    .max_flat_workgroup_size: 256
    .name:           _ZN2at6native6mbtopk23computeBlockDigitCountsIajjLi2EEEvNS_4cuda6detail10TensorInfoIKT_T0_EEjPjjS8_iijT1_PSB_Ps
    .private_segment_fixed_size: 0
    .sgpr_count:     28
    .sgpr_spill_count: 0
    .symbol:         _ZN2at6native6mbtopk23computeBlockDigitCountsIajjLi2EEEvNS_4cuda6detail10TensorInfoIKT_T0_EEjPjjS8_iijT1_PSB_Ps.kd
    .uniform_work_group_size: 1
    .uses_dynamic_stack: false
    .vgpr_count:     10
    .vgpr_spill_count: 0
    .wavefront_size: 64
  - .agpr_count:     0
    .args:
      - .offset:         0
        .size:           216
        .value_kind:     by_value
      - .offset:         216
        .size:           4
        .value_kind:     by_value
      - .offset:         220
        .size:           4
        .value_kind:     by_value
      - .offset:         224
        .size:           1
        .value_kind:     by_value
      - .offset:         228
        .size:           4
        .value_kind:     by_value
      - .offset:         232
        .size:           4
        .value_kind:     by_value
      - .offset:         240
        .size:           216
        .value_kind:     by_value
      - .offset:         456
        .size:           4
        .value_kind:     by_value
      - .offset:         464
        .size:           216
        .value_kind:     by_value
      - .offset:         680
        .size:           4
        .value_kind:     by_value
      - .offset:         684
        .size:           4
        .value_kind:     by_value
      - .offset:         688
        .size:           4
        .value_kind:     by_value
      - .address_space:  global
        .offset:         696
        .size:           8
        .value_kind:     global_buffer
      - .address_space:  global
        .offset:         704
        .size:           8
        .value_kind:     global_buffer
      - .address_space:  global
        .offset:         712
        .size:           8
        .value_kind:     global_buffer
      - .offset:         720
        .size:           4
        .value_kind:     by_value
      - .offset:         728
        .size:           4
        .value_kind:     hidden_block_count_x
      - .offset:         732
        .size:           4
        .value_kind:     hidden_block_count_y
      - .offset:         736
        .size:           4
        .value_kind:     hidden_block_count_z
      - .offset:         740
        .size:           2
        .value_kind:     hidden_group_size_x
      - .offset:         742
        .size:           2
        .value_kind:     hidden_group_size_y
      - .offset:         744
        .size:           2
        .value_kind:     hidden_group_size_z
      - .offset:         746
        .size:           2
        .value_kind:     hidden_remainder_x
      - .offset:         748
        .size:           2
        .value_kind:     hidden_remainder_y
      - .offset:         750
        .size:           2
        .value_kind:     hidden_remainder_z
      - .offset:         768
        .size:           8
        .value_kind:     hidden_global_offset_x
      - .offset:         776
        .size:           8
        .value_kind:     hidden_global_offset_y
      - .offset:         784
        .size:           8
        .value_kind:     hidden_global_offset_z
      - .offset:         792
        .size:           2
        .value_kind:     hidden_grid_dims
    .group_segment_fixed_size: 1068
    .kernarg_segment_align: 8
    .kernarg_segment_size: 984
    .language:       OpenCL C
    .language_version:
      - 2
      - 0
    .max_flat_workgroup_size: 256
    .name:           _ZN2at6native6mbtopk10gatherTopKIajLi2EEEvNS_4cuda6detail10TensorInfoIKT_T0_EES8_S8_bjS8_NS5_IS6_S8_EES8_NS5_IlS8_EES8_jjPS6_PjSD_j
    .private_segment_fixed_size: 0
    .sgpr_count:     54
    .sgpr_spill_count: 0
    .symbol:         _ZN2at6native6mbtopk10gatherTopKIajLi2EEEvNS_4cuda6detail10TensorInfoIKT_T0_EES8_S8_bjS8_NS5_IS6_S8_EES8_NS5_IlS8_EES8_jjPS6_PjSD_j.kd
    .uniform_work_group_size: 1
    .uses_dynamic_stack: false
    .vgpr_count:     24
    .vgpr_spill_count: 0
    .wavefront_size: 64
  - .agpr_count:     0
    .args:
      - .offset:         0
        .size:           216
        .value_kind:     by_value
      - .offset:         216
        .size:           4
        .value_kind:     by_value
      - .offset:         220
        .size:           4
        .value_kind:     by_value
      - .offset:         224
        .size:           1
        .value_kind:     by_value
      - .offset:         228
        .size:           4
        .value_kind:     by_value
      - .offset:         232
        .size:           4
        .value_kind:     by_value
      - .offset:         240
        .size:           216
        .value_kind:     by_value
      - .offset:         456
        .size:           4
        .value_kind:     by_value
      - .offset:         464
        .size:           216
        .value_kind:     by_value
      - .offset:         680
        .size:           4
        .value_kind:     by_value
      - .address_space:  global
        .offset:         688
        .size:           8
        .value_kind:     global_buffer
      - .offset:         696
        .size:           4
        .value_kind:     hidden_block_count_x
      - .offset:         700
        .size:           4
        .value_kind:     hidden_block_count_y
      - .offset:         704
        .size:           4
        .value_kind:     hidden_block_count_z
      - .offset:         708
        .size:           2
        .value_kind:     hidden_group_size_x
      - .offset:         710
        .size:           2
        .value_kind:     hidden_group_size_y
      - .offset:         712
        .size:           2
        .value_kind:     hidden_group_size_z
      - .offset:         714
        .size:           2
        .value_kind:     hidden_remainder_x
      - .offset:         716
        .size:           2
        .value_kind:     hidden_remainder_y
      - .offset:         718
        .size:           2
        .value_kind:     hidden_remainder_z
      - .offset:         736
        .size:           8
        .value_kind:     hidden_global_offset_x
      - .offset:         744
        .size:           8
        .value_kind:     hidden_global_offset_y
      - .offset:         752
        .size:           8
        .value_kind:     hidden_global_offset_z
      - .offset:         760
        .size:           2
        .value_kind:     hidden_grid_dims
    .group_segment_fixed_size: 4112
    .kernarg_segment_align: 8
    .kernarg_segment_size: 952
    .language:       OpenCL C
    .language_version:
      - 2
      - 0
    .max_flat_workgroup_size: 1024
    .name:           _ZN2at6native6sbtopk10gatherTopKIajLi2ELb0EEEvNS_4cuda6detail10TensorInfoIKT_T0_EES8_S8_bS8_S8_NS5_IS6_S8_EES8_NS5_IlS8_EES8_PS6_
    .private_segment_fixed_size: 0
    .sgpr_count:     100
    .sgpr_spill_count: 69
    .symbol:         _ZN2at6native6sbtopk10gatherTopKIajLi2ELb0EEEvNS_4cuda6detail10TensorInfoIKT_T0_EES8_S8_bS8_S8_NS5_IS6_S8_EES8_NS5_IlS8_EES8_PS6_.kd
    .uniform_work_group_size: 1
    .uses_dynamic_stack: false
    .vgpr_count:     48
    .vgpr_spill_count: 0
    .wavefront_size: 64
  - .agpr_count:     0
    .args:
      - .offset:         0
        .size:           216
        .value_kind:     by_value
      - .offset:         216
        .size:           4
        .value_kind:     by_value
      - .address_space:  global
        .offset:         224
        .size:           8
        .value_kind:     global_buffer
      - .offset:         232
        .size:           4
        .value_kind:     by_value
      - .offset:         236
        .size:           4
        .value_kind:     by_value
      - .offset:         240
        .size:           4
        .value_kind:     by_value
      - .offset:         244
        .size:           4
        .value_kind:     by_value
      - .offset:         248
        .size:           4
        .value_kind:     by_value
      - .offset:         252
        .size:           4
        .value_kind:     by_value
      - .address_space:  global
        .offset:         256
        .size:           8
        .value_kind:     global_buffer
      - .address_space:  global
        .offset:         264
        .size:           8
        .value_kind:     global_buffer
      - .offset:         272
        .size:           4
        .value_kind:     hidden_block_count_x
      - .offset:         276
        .size:           4
        .value_kind:     hidden_block_count_y
      - .offset:         280
        .size:           4
        .value_kind:     hidden_block_count_z
      - .offset:         284
        .size:           2
        .value_kind:     hidden_group_size_x
      - .offset:         286
        .size:           2
        .value_kind:     hidden_group_size_y
      - .offset:         288
        .size:           2
        .value_kind:     hidden_group_size_z
      - .offset:         290
        .size:           2
        .value_kind:     hidden_remainder_x
      - .offset:         292
        .size:           2
        .value_kind:     hidden_remainder_y
      - .offset:         294
        .size:           2
        .value_kind:     hidden_remainder_z
      - .offset:         312
        .size:           8
        .value_kind:     hidden_global_offset_x
      - .offset:         320
        .size:           8
        .value_kind:     hidden_global_offset_y
      - .offset:         328
        .size:           8
        .value_kind:     hidden_global_offset_z
      - .offset:         336
        .size:           2
        .value_kind:     hidden_grid_dims
    .group_segment_fixed_size: 1024
    .kernarg_segment_align: 8
    .kernarg_segment_size: 528
    .language:       OpenCL C
    .language_version:
      - 2
      - 0
    .max_flat_workgroup_size: 256
    .name:           _ZN2at6native6mbtopk23computeBlockDigitCountsIajjLi3EEEvNS_4cuda6detail10TensorInfoIKT_T0_EEjPjjS8_iijT1_PSB_Ps
    .private_segment_fixed_size: 0
    .sgpr_count:     30
    .sgpr_spill_count: 0
    .symbol:         _ZN2at6native6mbtopk23computeBlockDigitCountsIajjLi3EEEvNS_4cuda6detail10TensorInfoIKT_T0_EEjPjjS8_iijT1_PSB_Ps.kd
    .uniform_work_group_size: 1
    .uses_dynamic_stack: false
    .vgpr_count:     10
    .vgpr_spill_count: 0
    .wavefront_size: 64
  - .agpr_count:     0
    .args:
      - .offset:         0
        .size:           216
        .value_kind:     by_value
      - .offset:         216
        .size:           4
        .value_kind:     by_value
      - .offset:         220
        .size:           4
        .value_kind:     by_value
      - .offset:         224
        .size:           1
        .value_kind:     by_value
      - .offset:         228
        .size:           4
        .value_kind:     by_value
      - .offset:         232
        .size:           4
        .value_kind:     by_value
      - .offset:         240
        .size:           216
        .value_kind:     by_value
      - .offset:         456
        .size:           4
        .value_kind:     by_value
      - .offset:         464
        .size:           216
        .value_kind:     by_value
      - .offset:         680
        .size:           4
        .value_kind:     by_value
      - .offset:         684
        .size:           4
        .value_kind:     by_value
      - .offset:         688
        .size:           4
        .value_kind:     by_value
      - .address_space:  global
        .offset:         696
        .size:           8
        .value_kind:     global_buffer
      - .address_space:  global
        .offset:         704
        .size:           8
        .value_kind:     global_buffer
      - .address_space:  global
        .offset:         712
        .size:           8
        .value_kind:     global_buffer
      - .offset:         720
        .size:           4
        .value_kind:     by_value
      - .offset:         728
        .size:           4
        .value_kind:     hidden_block_count_x
      - .offset:         732
        .size:           4
        .value_kind:     hidden_block_count_y
      - .offset:         736
        .size:           4
        .value_kind:     hidden_block_count_z
      - .offset:         740
        .size:           2
        .value_kind:     hidden_group_size_x
      - .offset:         742
        .size:           2
        .value_kind:     hidden_group_size_y
      - .offset:         744
        .size:           2
        .value_kind:     hidden_group_size_z
      - .offset:         746
        .size:           2
        .value_kind:     hidden_remainder_x
      - .offset:         748
        .size:           2
        .value_kind:     hidden_remainder_y
      - .offset:         750
        .size:           2
        .value_kind:     hidden_remainder_z
      - .offset:         768
        .size:           8
        .value_kind:     hidden_global_offset_x
      - .offset:         776
        .size:           8
        .value_kind:     hidden_global_offset_y
      - .offset:         784
        .size:           8
        .value_kind:     hidden_global_offset_z
      - .offset:         792
        .size:           2
        .value_kind:     hidden_grid_dims
    .group_segment_fixed_size: 1068
    .kernarg_segment_align: 8
    .kernarg_segment_size: 984
    .language:       OpenCL C
    .language_version:
      - 2
      - 0
    .max_flat_workgroup_size: 256
    .name:           _ZN2at6native6mbtopk10gatherTopKIajLi3EEEvNS_4cuda6detail10TensorInfoIKT_T0_EES8_S8_bjS8_NS5_IS6_S8_EES8_NS5_IlS8_EES8_jjPS6_PjSD_j
    .private_segment_fixed_size: 0
    .sgpr_count:     63
    .sgpr_spill_count: 0
    .symbol:         _ZN2at6native6mbtopk10gatherTopKIajLi3EEEvNS_4cuda6detail10TensorInfoIKT_T0_EES8_S8_bjS8_NS5_IS6_S8_EES8_NS5_IlS8_EES8_jjPS6_PjSD_j.kd
    .uniform_work_group_size: 1
    .uses_dynamic_stack: false
    .vgpr_count:     24
    .vgpr_spill_count: 0
    .wavefront_size: 64
  - .agpr_count:     0
    .args:
      - .offset:         0
        .size:           216
        .value_kind:     by_value
      - .offset:         216
        .size:           4
        .value_kind:     by_value
      - .offset:         220
        .size:           4
        .value_kind:     by_value
      - .offset:         224
        .size:           1
        .value_kind:     by_value
      - .offset:         228
        .size:           4
        .value_kind:     by_value
      - .offset:         232
        .size:           4
        .value_kind:     by_value
      - .offset:         240
        .size:           216
        .value_kind:     by_value
      - .offset:         456
        .size:           4
        .value_kind:     by_value
      - .offset:         464
        .size:           216
        .value_kind:     by_value
      - .offset:         680
        .size:           4
        .value_kind:     by_value
      - .address_space:  global
        .offset:         688
        .size:           8
        .value_kind:     global_buffer
      - .offset:         696
        .size:           4
        .value_kind:     hidden_block_count_x
      - .offset:         700
        .size:           4
        .value_kind:     hidden_block_count_y
      - .offset:         704
        .size:           4
        .value_kind:     hidden_block_count_z
      - .offset:         708
        .size:           2
        .value_kind:     hidden_group_size_x
      - .offset:         710
        .size:           2
        .value_kind:     hidden_group_size_y
      - .offset:         712
        .size:           2
        .value_kind:     hidden_group_size_z
      - .offset:         714
        .size:           2
        .value_kind:     hidden_remainder_x
      - .offset:         716
        .size:           2
        .value_kind:     hidden_remainder_y
      - .offset:         718
        .size:           2
        .value_kind:     hidden_remainder_z
      - .offset:         736
        .size:           8
        .value_kind:     hidden_global_offset_x
      - .offset:         744
        .size:           8
        .value_kind:     hidden_global_offset_y
      - .offset:         752
        .size:           8
        .value_kind:     hidden_global_offset_z
      - .offset:         760
        .size:           2
        .value_kind:     hidden_grid_dims
    .group_segment_fixed_size: 4112
    .kernarg_segment_align: 8
    .kernarg_segment_size: 952
    .language:       OpenCL C
    .language_version:
      - 2
      - 0
    .max_flat_workgroup_size: 1024
    .name:           _ZN2at6native6sbtopk10gatherTopKIajLi3ELb0EEEvNS_4cuda6detail10TensorInfoIKT_T0_EES8_S8_bS8_S8_NS5_IS6_S8_EES8_NS5_IlS8_EES8_PS6_
    .private_segment_fixed_size: 0
    .sgpr_count:     100
    .sgpr_spill_count: 77
    .symbol:         _ZN2at6native6sbtopk10gatherTopKIajLi3ELb0EEEvNS_4cuda6detail10TensorInfoIKT_T0_EES8_S8_bS8_S8_NS5_IS6_S8_EES8_NS5_IlS8_EES8_PS6_.kd
    .uniform_work_group_size: 1
    .uses_dynamic_stack: false
    .vgpr_count:     48
    .vgpr_spill_count: 0
    .wavefront_size: 64
  - .agpr_count:     0
    .args:
      - .offset:         0
        .size:           216
        .value_kind:     by_value
      - .offset:         216
        .size:           4
        .value_kind:     by_value
      - .address_space:  global
        .offset:         224
        .size:           8
        .value_kind:     global_buffer
      - .offset:         232
        .size:           4
        .value_kind:     by_value
      - .offset:         236
        .size:           4
        .value_kind:     by_value
      - .offset:         240
        .size:           4
        .value_kind:     by_value
      - .offset:         244
        .size:           4
        .value_kind:     by_value
      - .offset:         248
        .size:           4
        .value_kind:     by_value
      - .offset:         252
        .size:           4
        .value_kind:     by_value
      - .address_space:  global
        .offset:         256
        .size:           8
        .value_kind:     global_buffer
      - .address_space:  global
        .offset:         264
        .size:           8
        .value_kind:     global_buffer
      - .offset:         272
        .size:           4
        .value_kind:     hidden_block_count_x
      - .offset:         276
        .size:           4
        .value_kind:     hidden_block_count_y
      - .offset:         280
        .size:           4
        .value_kind:     hidden_block_count_z
      - .offset:         284
        .size:           2
        .value_kind:     hidden_group_size_x
      - .offset:         286
        .size:           2
        .value_kind:     hidden_group_size_y
      - .offset:         288
        .size:           2
        .value_kind:     hidden_group_size_z
      - .offset:         290
        .size:           2
        .value_kind:     hidden_remainder_x
      - .offset:         292
        .size:           2
        .value_kind:     hidden_remainder_y
      - .offset:         294
        .size:           2
        .value_kind:     hidden_remainder_z
      - .offset:         312
        .size:           8
        .value_kind:     hidden_global_offset_x
      - .offset:         320
        .size:           8
        .value_kind:     hidden_global_offset_y
      - .offset:         328
        .size:           8
        .value_kind:     hidden_global_offset_z
      - .offset:         336
        .size:           2
        .value_kind:     hidden_grid_dims
    .group_segment_fixed_size: 1024
    .kernarg_segment_align: 8
    .kernarg_segment_size: 528
    .language:       OpenCL C
    .language_version:
      - 2
      - 0
    .max_flat_workgroup_size: 256
    .name:           _ZN2at6native6mbtopk23computeBlockDigitCountsIajjLin1EEEvNS_4cuda6detail10TensorInfoIKT_T0_EEjPjjS8_iijT1_PSB_Ps
    .private_segment_fixed_size: 0
    .sgpr_count:     28
    .sgpr_spill_count: 0
    .symbol:         _ZN2at6native6mbtopk23computeBlockDigitCountsIajjLin1EEEvNS_4cuda6detail10TensorInfoIKT_T0_EEjPjjS8_iijT1_PSB_Ps.kd
    .uniform_work_group_size: 1
    .uses_dynamic_stack: false
    .vgpr_count:     10
    .vgpr_spill_count: 0
    .wavefront_size: 64
  - .agpr_count:     0
    .args:
      - .offset:         0
        .size:           216
        .value_kind:     by_value
      - .offset:         216
        .size:           4
        .value_kind:     by_value
      - .offset:         220
        .size:           4
        .value_kind:     by_value
      - .offset:         224
        .size:           1
        .value_kind:     by_value
      - .offset:         228
        .size:           4
        .value_kind:     by_value
      - .offset:         232
        .size:           4
        .value_kind:     by_value
      - .offset:         240
        .size:           216
        .value_kind:     by_value
      - .offset:         456
        .size:           4
        .value_kind:     by_value
      - .offset:         464
        .size:           216
        .value_kind:     by_value
      - .offset:         680
        .size:           4
        .value_kind:     by_value
      - .offset:         684
        .size:           4
        .value_kind:     by_value
      - .offset:         688
        .size:           4
        .value_kind:     by_value
      - .address_space:  global
        .offset:         696
        .size:           8
        .value_kind:     global_buffer
      - .address_space:  global
        .offset:         704
        .size:           8
        .value_kind:     global_buffer
      - .address_space:  global
        .offset:         712
        .size:           8
        .value_kind:     global_buffer
      - .offset:         720
        .size:           4
        .value_kind:     by_value
      - .offset:         728
        .size:           4
        .value_kind:     hidden_block_count_x
      - .offset:         732
        .size:           4
        .value_kind:     hidden_block_count_y
      - .offset:         736
        .size:           4
        .value_kind:     hidden_block_count_z
      - .offset:         740
        .size:           2
        .value_kind:     hidden_group_size_x
      - .offset:         742
        .size:           2
        .value_kind:     hidden_group_size_y
      - .offset:         744
        .size:           2
        .value_kind:     hidden_group_size_z
      - .offset:         746
        .size:           2
        .value_kind:     hidden_remainder_x
      - .offset:         748
        .size:           2
        .value_kind:     hidden_remainder_y
      - .offset:         750
        .size:           2
        .value_kind:     hidden_remainder_z
      - .offset:         768
        .size:           8
        .value_kind:     hidden_global_offset_x
      - .offset:         776
        .size:           8
        .value_kind:     hidden_global_offset_y
      - .offset:         784
        .size:           8
        .value_kind:     hidden_global_offset_z
      - .offset:         792
        .size:           2
        .value_kind:     hidden_grid_dims
    .group_segment_fixed_size: 1068
    .kernarg_segment_align: 8
    .kernarg_segment_size: 984
    .language:       OpenCL C
    .language_version:
      - 2
      - 0
    .max_flat_workgroup_size: 256
    .name:           _ZN2at6native6mbtopk10gatherTopKIajLin1EEEvNS_4cuda6detail10TensorInfoIKT_T0_EES8_S8_bjS8_NS5_IS6_S8_EES8_NS5_IlS8_EES8_jjPS6_PjSD_j
    .private_segment_fixed_size: 0
    .sgpr_count:     49
    .sgpr_spill_count: 0
    .symbol:         _ZN2at6native6mbtopk10gatherTopKIajLin1EEEvNS_4cuda6detail10TensorInfoIKT_T0_EES8_S8_bjS8_NS5_IS6_S8_EES8_NS5_IlS8_EES8_jjPS6_PjSD_j.kd
    .uniform_work_group_size: 1
    .uses_dynamic_stack: false
    .vgpr_count:     24
    .vgpr_spill_count: 0
    .wavefront_size: 64
  - .agpr_count:     0
    .args:
      - .offset:         0
        .size:           216
        .value_kind:     by_value
      - .offset:         216
        .size:           4
        .value_kind:     by_value
      - .offset:         220
        .size:           4
        .value_kind:     by_value
      - .offset:         224
        .size:           1
        .value_kind:     by_value
      - .offset:         228
        .size:           4
        .value_kind:     by_value
      - .offset:         232
        .size:           4
        .value_kind:     by_value
      - .offset:         240
        .size:           216
        .value_kind:     by_value
      - .offset:         456
        .size:           4
        .value_kind:     by_value
      - .offset:         464
        .size:           216
        .value_kind:     by_value
      - .offset:         680
        .size:           4
        .value_kind:     by_value
      - .address_space:  global
        .offset:         688
        .size:           8
        .value_kind:     global_buffer
      - .offset:         696
        .size:           4
        .value_kind:     hidden_block_count_x
      - .offset:         700
        .size:           4
        .value_kind:     hidden_block_count_y
      - .offset:         704
        .size:           4
        .value_kind:     hidden_block_count_z
      - .offset:         708
        .size:           2
        .value_kind:     hidden_group_size_x
      - .offset:         710
        .size:           2
        .value_kind:     hidden_group_size_y
      - .offset:         712
        .size:           2
        .value_kind:     hidden_group_size_z
      - .offset:         714
        .size:           2
        .value_kind:     hidden_remainder_x
      - .offset:         716
        .size:           2
        .value_kind:     hidden_remainder_y
      - .offset:         718
        .size:           2
        .value_kind:     hidden_remainder_z
      - .offset:         736
        .size:           8
        .value_kind:     hidden_global_offset_x
      - .offset:         744
        .size:           8
        .value_kind:     hidden_global_offset_y
      - .offset:         752
        .size:           8
        .value_kind:     hidden_global_offset_z
      - .offset:         760
        .size:           2
        .value_kind:     hidden_grid_dims
    .group_segment_fixed_size: 4112
    .kernarg_segment_align: 8
    .kernarg_segment_size: 952
    .language:       OpenCL C
    .language_version:
      - 2
      - 0
    .max_flat_workgroup_size: 1024
    .name:           _ZN2at6native6sbtopk10gatherTopKIajLin1ELb0EEEvNS_4cuda6detail10TensorInfoIKT_T0_EES8_S8_bS8_S8_NS5_IS6_S8_EES8_NS5_IlS8_EES8_PS6_
    .private_segment_fixed_size: 0
    .sgpr_count:     100
    .sgpr_spill_count: 64
    .symbol:         _ZN2at6native6sbtopk10gatherTopKIajLin1ELb0EEEvNS_4cuda6detail10TensorInfoIKT_T0_EES8_S8_bS8_S8_NS5_IS6_S8_EES8_NS5_IlS8_EES8_PS6_.kd
    .uniform_work_group_size: 1
    .uses_dynamic_stack: false
    .vgpr_count:     47
    .vgpr_spill_count: 0
    .wavefront_size: 64
  - .agpr_count:     0
    .args:
      - .offset:         0
        .size:           216
        .value_kind:     by_value
      - .offset:         216
        .size:           4
        .value_kind:     by_value
      - .address_space:  global
        .offset:         224
        .size:           8
        .value_kind:     global_buffer
      - .offset:         232
        .size:           4
        .value_kind:     by_value
      - .offset:         236
        .size:           4
        .value_kind:     by_value
      - .offset:         240
        .size:           4
        .value_kind:     by_value
      - .offset:         244
        .size:           4
        .value_kind:     by_value
      - .offset:         248
        .size:           4
        .value_kind:     by_value
      - .offset:         252
        .size:           4
        .value_kind:     by_value
      - .address_space:  global
        .offset:         256
        .size:           8
        .value_kind:     global_buffer
      - .address_space:  global
        .offset:         264
        .size:           8
        .value_kind:     global_buffer
      - .offset:         272
        .size:           4
        .value_kind:     hidden_block_count_x
      - .offset:         276
        .size:           4
        .value_kind:     hidden_block_count_y
      - .offset:         280
        .size:           4
        .value_kind:     hidden_block_count_z
      - .offset:         284
        .size:           2
        .value_kind:     hidden_group_size_x
      - .offset:         286
        .size:           2
        .value_kind:     hidden_group_size_y
      - .offset:         288
        .size:           2
        .value_kind:     hidden_group_size_z
      - .offset:         290
        .size:           2
        .value_kind:     hidden_remainder_x
      - .offset:         292
        .size:           2
        .value_kind:     hidden_remainder_y
      - .offset:         294
        .size:           2
        .value_kind:     hidden_remainder_z
      - .offset:         312
        .size:           8
        .value_kind:     hidden_global_offset_x
      - .offset:         320
        .size:           8
        .value_kind:     hidden_global_offset_y
      - .offset:         328
        .size:           8
        .value_kind:     hidden_global_offset_z
      - .offset:         336
        .size:           2
        .value_kind:     hidden_grid_dims
    .group_segment_fixed_size: 1024
    .kernarg_segment_align: 8
    .kernarg_segment_size: 528
    .language:       OpenCL C
    .language_version:
      - 2
      - 0
    .max_flat_workgroup_size: 256
    .name:           _ZN2at6native6mbtopk23computeBlockDigitCountsIijjLi1EEEvNS_4cuda6detail10TensorInfoIKT_T0_EEjPjjS8_iijT1_PSB_Ps
    .private_segment_fixed_size: 0
    .sgpr_count:     24
    .sgpr_spill_count: 0
    .symbol:         _ZN2at6native6mbtopk23computeBlockDigitCountsIijjLi1EEEvNS_4cuda6detail10TensorInfoIKT_T0_EEjPjjS8_iijT1_PSB_Ps.kd
    .uniform_work_group_size: 1
    .uses_dynamic_stack: false
    .vgpr_count:     12
    .vgpr_spill_count: 0
    .wavefront_size: 64
  - .agpr_count:     0
    .args:
      - .address_space:  global
        .offset:         0
        .size:           8
        .value_kind:     global_buffer
      - .address_space:  global
        .offset:         8
        .size:           8
        .value_kind:     global_buffer
      - .address_space:  global
        .offset:         16
        .size:           8
        .value_kind:     global_buffer
      - .offset:         24
        .size:           4
        .value_kind:     by_value
      - .offset:         28
        .size:           4
        .value_kind:     by_value
      - .offset:         32
        .size:           1
        .value_kind:     by_value
      - .address_space:  global
        .offset:         40
        .size:           8
        .value_kind:     global_buffer
      - .address_space:  global
        .offset:         48
        .size:           8
        .value_kind:     global_buffer
      - .address_space:  global
        .offset:         56
        .size:           8
        .value_kind:     global_buffer
      - .address_space:  global
        .offset:         64
        .size:           8
        .value_kind:     global_buffer
      - .address_space:  global
        .offset:         72
        .size:           8
        .value_kind:     global_buffer
      - .offset:         80
        .size:           4
        .value_kind:     by_value
      - .offset:         88
        .size:           4
        .value_kind:     hidden_block_count_x
      - .offset:         92
        .size:           4
        .value_kind:     hidden_block_count_y
      - .offset:         96
        .size:           4
        .value_kind:     hidden_block_count_z
      - .offset:         100
        .size:           2
        .value_kind:     hidden_group_size_x
      - .offset:         102
        .size:           2
        .value_kind:     hidden_group_size_y
      - .offset:         104
        .size:           2
        .value_kind:     hidden_group_size_z
      - .offset:         106
        .size:           2
        .value_kind:     hidden_remainder_x
      - .offset:         108
        .size:           2
        .value_kind:     hidden_remainder_y
      - .offset:         110
        .size:           2
        .value_kind:     hidden_remainder_z
      - .offset:         128
        .size:           8
        .value_kind:     hidden_global_offset_x
      - .offset:         136
        .size:           8
        .value_kind:     hidden_global_offset_y
      - .offset:         144
        .size:           8
        .value_kind:     hidden_global_offset_z
      - .offset:         152
        .size:           2
        .value_kind:     hidden_grid_dims
    .group_segment_fixed_size: 2100
    .kernarg_segment_align: 8
    .kernarg_segment_size: 344
    .language:       OpenCL C
    .language_version:
      - 2
      - 0
    .max_flat_workgroup_size: 256
    .name:           _ZN2at6native6mbtopk29computeBlockwiseWithinKCountsIjiEEvPT_PsPjjibS6_PT0_S6_S4_S6_j
    .private_segment_fixed_size: 0
    .sgpr_count:     34
    .sgpr_spill_count: 0
    .symbol:         _ZN2at6native6mbtopk29computeBlockwiseWithinKCountsIjiEEvPT_PsPjjibS6_PT0_S6_S4_S6_j.kd
    .uniform_work_group_size: 1
    .uses_dynamic_stack: false
    .vgpr_count:     15
    .vgpr_spill_count: 0
    .wavefront_size: 64
  - .agpr_count:     0
    .args:
      - .offset:         0
        .size:           216
        .value_kind:     by_value
      - .offset:         216
        .size:           4
        .value_kind:     by_value
      - .offset:         220
        .size:           4
        .value_kind:     by_value
      - .offset:         224
        .size:           1
        .value_kind:     by_value
      - .offset:         228
        .size:           4
        .value_kind:     by_value
      - .offset:         232
        .size:           4
        .value_kind:     by_value
      - .offset:         240
        .size:           216
        .value_kind:     by_value
      - .offset:         456
        .size:           4
        .value_kind:     by_value
      - .offset:         464
        .size:           216
        .value_kind:     by_value
      - .offset:         680
        .size:           4
        .value_kind:     by_value
      - .offset:         684
        .size:           4
        .value_kind:     by_value
      - .offset:         688
        .size:           4
        .value_kind:     by_value
      - .address_space:  global
        .offset:         696
        .size:           8
        .value_kind:     global_buffer
      - .address_space:  global
        .offset:         704
        .size:           8
        .value_kind:     global_buffer
      - .address_space:  global
        .offset:         712
        .size:           8
        .value_kind:     global_buffer
      - .offset:         720
        .size:           4
        .value_kind:     by_value
      - .offset:         728
        .size:           4
        .value_kind:     hidden_block_count_x
      - .offset:         732
        .size:           4
        .value_kind:     hidden_block_count_y
      - .offset:         736
        .size:           4
        .value_kind:     hidden_block_count_z
      - .offset:         740
        .size:           2
        .value_kind:     hidden_group_size_x
      - .offset:         742
        .size:           2
        .value_kind:     hidden_group_size_y
      - .offset:         744
        .size:           2
        .value_kind:     hidden_group_size_z
      - .offset:         746
        .size:           2
        .value_kind:     hidden_remainder_x
      - .offset:         748
        .size:           2
        .value_kind:     hidden_remainder_y
      - .offset:         750
        .size:           2
        .value_kind:     hidden_remainder_z
      - .offset:         768
        .size:           8
        .value_kind:     hidden_global_offset_x
      - .offset:         776
        .size:           8
        .value_kind:     hidden_global_offset_y
      - .offset:         784
        .size:           8
        .value_kind:     hidden_global_offset_z
      - .offset:         792
        .size:           2
        .value_kind:     hidden_grid_dims
    .group_segment_fixed_size: 1068
    .kernarg_segment_align: 8
    .kernarg_segment_size: 984
    .language:       OpenCL C
    .language_version:
      - 2
      - 0
    .max_flat_workgroup_size: 256
    .name:           _ZN2at6native6mbtopk10gatherTopKIijLi1EEEvNS_4cuda6detail10TensorInfoIKT_T0_EES8_S8_bjS8_NS5_IS6_S8_EES8_NS5_IlS8_EES8_jjPS6_PjSD_j
    .private_segment_fixed_size: 0
    .sgpr_count:     43
    .sgpr_spill_count: 0
    .symbol:         _ZN2at6native6mbtopk10gatherTopKIijLi1EEEvNS_4cuda6detail10TensorInfoIKT_T0_EES8_S8_bjS8_NS5_IS6_S8_EES8_NS5_IlS8_EES8_jjPS6_PjSD_j.kd
    .uniform_work_group_size: 1
    .uses_dynamic_stack: false
    .vgpr_count:     22
    .vgpr_spill_count: 0
    .wavefront_size: 64
  - .agpr_count:     0
    .args:
      - .offset:         0
        .size:           216
        .value_kind:     by_value
      - .offset:         216
        .size:           4
        .value_kind:     by_value
      - .offset:         220
        .size:           4
        .value_kind:     by_value
      - .offset:         224
        .size:           1
        .value_kind:     by_value
      - .offset:         228
        .size:           4
        .value_kind:     by_value
      - .offset:         232
        .size:           4
        .value_kind:     by_value
      - .offset:         240
        .size:           216
        .value_kind:     by_value
      - .offset:         456
        .size:           4
        .value_kind:     by_value
      - .offset:         464
        .size:           216
        .value_kind:     by_value
      - .offset:         680
        .size:           4
        .value_kind:     by_value
      - .address_space:  global
        .offset:         688
        .size:           8
        .value_kind:     global_buffer
      - .offset:         696
        .size:           4
        .value_kind:     hidden_block_count_x
      - .offset:         700
        .size:           4
        .value_kind:     hidden_block_count_y
      - .offset:         704
        .size:           4
        .value_kind:     hidden_block_count_z
      - .offset:         708
        .size:           2
        .value_kind:     hidden_group_size_x
      - .offset:         710
        .size:           2
        .value_kind:     hidden_group_size_y
      - .offset:         712
        .size:           2
        .value_kind:     hidden_group_size_z
      - .offset:         714
        .size:           2
        .value_kind:     hidden_remainder_x
      - .offset:         716
        .size:           2
        .value_kind:     hidden_remainder_y
      - .offset:         718
        .size:           2
        .value_kind:     hidden_remainder_z
      - .offset:         736
        .size:           8
        .value_kind:     hidden_global_offset_x
      - .offset:         744
        .size:           8
        .value_kind:     hidden_global_offset_y
      - .offset:         752
        .size:           8
        .value_kind:     hidden_global_offset_z
      - .offset:         760
        .size:           2
        .value_kind:     hidden_grid_dims
    .group_segment_fixed_size: 4112
    .kernarg_segment_align: 8
    .kernarg_segment_size: 952
    .language:       OpenCL C
    .language_version:
      - 2
      - 0
    .max_flat_workgroup_size: 1024
    .name:           _ZN2at6native6sbtopk10gatherTopKIijLi1ELb0EEEvNS_4cuda6detail10TensorInfoIKT_T0_EES8_S8_bS8_S8_NS5_IS6_S8_EES8_NS5_IlS8_EES8_PS6_
    .private_segment_fixed_size: 0
    .sgpr_count:     100
    .sgpr_spill_count: 63
    .symbol:         _ZN2at6native6sbtopk10gatherTopKIijLi1ELb0EEEvNS_4cuda6detail10TensorInfoIKT_T0_EES8_S8_bS8_S8_NS5_IS6_S8_EES8_NS5_IlS8_EES8_PS6_.kd
    .uniform_work_group_size: 1
    .uses_dynamic_stack: false
    .vgpr_count:     53
    .vgpr_spill_count: 0
    .wavefront_size: 64
  - .agpr_count:     0
    .args:
      - .offset:         0
        .size:           216
        .value_kind:     by_value
      - .offset:         216
        .size:           4
        .value_kind:     by_value
      - .address_space:  global
        .offset:         224
        .size:           8
        .value_kind:     global_buffer
      - .offset:         232
        .size:           4
        .value_kind:     by_value
      - .offset:         236
        .size:           4
        .value_kind:     by_value
      - .offset:         240
        .size:           4
        .value_kind:     by_value
      - .offset:         244
        .size:           4
        .value_kind:     by_value
      - .offset:         248
        .size:           4
        .value_kind:     by_value
      - .offset:         252
        .size:           4
        .value_kind:     by_value
      - .address_space:  global
        .offset:         256
        .size:           8
        .value_kind:     global_buffer
      - .address_space:  global
        .offset:         264
        .size:           8
        .value_kind:     global_buffer
      - .offset:         272
        .size:           4
        .value_kind:     hidden_block_count_x
      - .offset:         276
        .size:           4
        .value_kind:     hidden_block_count_y
      - .offset:         280
        .size:           4
        .value_kind:     hidden_block_count_z
      - .offset:         284
        .size:           2
        .value_kind:     hidden_group_size_x
      - .offset:         286
        .size:           2
        .value_kind:     hidden_group_size_y
      - .offset:         288
        .size:           2
        .value_kind:     hidden_group_size_z
      - .offset:         290
        .size:           2
        .value_kind:     hidden_remainder_x
      - .offset:         292
        .size:           2
        .value_kind:     hidden_remainder_y
      - .offset:         294
        .size:           2
        .value_kind:     hidden_remainder_z
      - .offset:         312
        .size:           8
        .value_kind:     hidden_global_offset_x
      - .offset:         320
        .size:           8
        .value_kind:     hidden_global_offset_y
      - .offset:         328
        .size:           8
        .value_kind:     hidden_global_offset_z
      - .offset:         336
        .size:           2
        .value_kind:     hidden_grid_dims
    .group_segment_fixed_size: 1024
    .kernarg_segment_align: 8
    .kernarg_segment_size: 528
    .language:       OpenCL C
    .language_version:
      - 2
      - 0
    .max_flat_workgroup_size: 256
    .name:           _ZN2at6native6mbtopk23computeBlockDigitCountsIijjLi2EEEvNS_4cuda6detail10TensorInfoIKT_T0_EEjPjjS8_iijT1_PSB_Ps
    .private_segment_fixed_size: 0
    .sgpr_count:     26
    .sgpr_spill_count: 0
    .symbol:         _ZN2at6native6mbtopk23computeBlockDigitCountsIijjLi2EEEvNS_4cuda6detail10TensorInfoIKT_T0_EEjPjjS8_iijT1_PSB_Ps.kd
    .uniform_work_group_size: 1
    .uses_dynamic_stack: false
    .vgpr_count:     12
    .vgpr_spill_count: 0
    .wavefront_size: 64
  - .agpr_count:     0
    .args:
      - .offset:         0
        .size:           216
        .value_kind:     by_value
      - .offset:         216
        .size:           4
        .value_kind:     by_value
      - .offset:         220
        .size:           4
        .value_kind:     by_value
      - .offset:         224
        .size:           1
        .value_kind:     by_value
      - .offset:         228
        .size:           4
        .value_kind:     by_value
      - .offset:         232
        .size:           4
        .value_kind:     by_value
      - .offset:         240
        .size:           216
        .value_kind:     by_value
      - .offset:         456
        .size:           4
        .value_kind:     by_value
      - .offset:         464
        .size:           216
        .value_kind:     by_value
      - .offset:         680
        .size:           4
        .value_kind:     by_value
      - .offset:         684
        .size:           4
        .value_kind:     by_value
      - .offset:         688
        .size:           4
        .value_kind:     by_value
      - .address_space:  global
        .offset:         696
        .size:           8
        .value_kind:     global_buffer
      - .address_space:  global
        .offset:         704
        .size:           8
        .value_kind:     global_buffer
      - .address_space:  global
        .offset:         712
        .size:           8
        .value_kind:     global_buffer
      - .offset:         720
        .size:           4
        .value_kind:     by_value
      - .offset:         728
        .size:           4
        .value_kind:     hidden_block_count_x
      - .offset:         732
        .size:           4
        .value_kind:     hidden_block_count_y
      - .offset:         736
        .size:           4
        .value_kind:     hidden_block_count_z
      - .offset:         740
        .size:           2
        .value_kind:     hidden_group_size_x
      - .offset:         742
        .size:           2
        .value_kind:     hidden_group_size_y
      - .offset:         744
        .size:           2
        .value_kind:     hidden_group_size_z
      - .offset:         746
        .size:           2
        .value_kind:     hidden_remainder_x
      - .offset:         748
        .size:           2
        .value_kind:     hidden_remainder_y
      - .offset:         750
        .size:           2
        .value_kind:     hidden_remainder_z
      - .offset:         768
        .size:           8
        .value_kind:     hidden_global_offset_x
      - .offset:         776
        .size:           8
        .value_kind:     hidden_global_offset_y
      - .offset:         784
        .size:           8
        .value_kind:     hidden_global_offset_z
      - .offset:         792
        .size:           2
        .value_kind:     hidden_grid_dims
    .group_segment_fixed_size: 1068
    .kernarg_segment_align: 8
    .kernarg_segment_size: 984
    .language:       OpenCL C
    .language_version:
      - 2
      - 0
    .max_flat_workgroup_size: 256
    .name:           _ZN2at6native6mbtopk10gatherTopKIijLi2EEEvNS_4cuda6detail10TensorInfoIKT_T0_EES8_S8_bjS8_NS5_IS6_S8_EES8_NS5_IlS8_EES8_jjPS6_PjSD_j
    .private_segment_fixed_size: 0
    .sgpr_count:     55
    .sgpr_spill_count: 0
    .symbol:         _ZN2at6native6mbtopk10gatherTopKIijLi2EEEvNS_4cuda6detail10TensorInfoIKT_T0_EES8_S8_bjS8_NS5_IS6_S8_EES8_NS5_IlS8_EES8_jjPS6_PjSD_j.kd
    .uniform_work_group_size: 1
    .uses_dynamic_stack: false
    .vgpr_count:     22
    .vgpr_spill_count: 0
    .wavefront_size: 64
  - .agpr_count:     0
    .args:
      - .offset:         0
        .size:           216
        .value_kind:     by_value
      - .offset:         216
        .size:           4
        .value_kind:     by_value
      - .offset:         220
        .size:           4
        .value_kind:     by_value
      - .offset:         224
        .size:           1
        .value_kind:     by_value
      - .offset:         228
        .size:           4
        .value_kind:     by_value
      - .offset:         232
        .size:           4
        .value_kind:     by_value
      - .offset:         240
        .size:           216
        .value_kind:     by_value
      - .offset:         456
        .size:           4
        .value_kind:     by_value
      - .offset:         464
        .size:           216
        .value_kind:     by_value
      - .offset:         680
        .size:           4
        .value_kind:     by_value
      - .address_space:  global
        .offset:         688
        .size:           8
        .value_kind:     global_buffer
      - .offset:         696
        .size:           4
        .value_kind:     hidden_block_count_x
      - .offset:         700
        .size:           4
        .value_kind:     hidden_block_count_y
      - .offset:         704
        .size:           4
        .value_kind:     hidden_block_count_z
      - .offset:         708
        .size:           2
        .value_kind:     hidden_group_size_x
      - .offset:         710
        .size:           2
        .value_kind:     hidden_group_size_y
      - .offset:         712
        .size:           2
        .value_kind:     hidden_group_size_z
      - .offset:         714
        .size:           2
        .value_kind:     hidden_remainder_x
      - .offset:         716
        .size:           2
        .value_kind:     hidden_remainder_y
      - .offset:         718
        .size:           2
        .value_kind:     hidden_remainder_z
      - .offset:         736
        .size:           8
        .value_kind:     hidden_global_offset_x
      - .offset:         744
        .size:           8
        .value_kind:     hidden_global_offset_y
      - .offset:         752
        .size:           8
        .value_kind:     hidden_global_offset_z
      - .offset:         760
        .size:           2
        .value_kind:     hidden_grid_dims
    .group_segment_fixed_size: 4112
    .kernarg_segment_align: 8
    .kernarg_segment_size: 952
    .language:       OpenCL C
    .language_version:
      - 2
      - 0
    .max_flat_workgroup_size: 1024
    .name:           _ZN2at6native6sbtopk10gatherTopKIijLi2ELb0EEEvNS_4cuda6detail10TensorInfoIKT_T0_EES8_S8_bS8_S8_NS5_IS6_S8_EES8_NS5_IlS8_EES8_PS6_
    .private_segment_fixed_size: 0
    .sgpr_count:     100
    .sgpr_spill_count: 69
    .symbol:         _ZN2at6native6sbtopk10gatherTopKIijLi2ELb0EEEvNS_4cuda6detail10TensorInfoIKT_T0_EES8_S8_bS8_S8_NS5_IS6_S8_EES8_NS5_IlS8_EES8_PS6_.kd
    .uniform_work_group_size: 1
    .uses_dynamic_stack: false
    .vgpr_count:     54
    .vgpr_spill_count: 0
    .wavefront_size: 64
  - .agpr_count:     0
    .args:
      - .offset:         0
        .size:           216
        .value_kind:     by_value
      - .offset:         216
        .size:           4
        .value_kind:     by_value
      - .address_space:  global
        .offset:         224
        .size:           8
        .value_kind:     global_buffer
      - .offset:         232
        .size:           4
        .value_kind:     by_value
      - .offset:         236
        .size:           4
        .value_kind:     by_value
      - .offset:         240
        .size:           4
        .value_kind:     by_value
      - .offset:         244
        .size:           4
        .value_kind:     by_value
      - .offset:         248
        .size:           4
        .value_kind:     by_value
      - .offset:         252
        .size:           4
        .value_kind:     by_value
      - .address_space:  global
        .offset:         256
        .size:           8
        .value_kind:     global_buffer
      - .address_space:  global
        .offset:         264
        .size:           8
        .value_kind:     global_buffer
      - .offset:         272
        .size:           4
        .value_kind:     hidden_block_count_x
      - .offset:         276
        .size:           4
        .value_kind:     hidden_block_count_y
      - .offset:         280
        .size:           4
        .value_kind:     hidden_block_count_z
      - .offset:         284
        .size:           2
        .value_kind:     hidden_group_size_x
      - .offset:         286
        .size:           2
        .value_kind:     hidden_group_size_y
      - .offset:         288
        .size:           2
        .value_kind:     hidden_group_size_z
      - .offset:         290
        .size:           2
        .value_kind:     hidden_remainder_x
      - .offset:         292
        .size:           2
        .value_kind:     hidden_remainder_y
      - .offset:         294
        .size:           2
        .value_kind:     hidden_remainder_z
      - .offset:         312
        .size:           8
        .value_kind:     hidden_global_offset_x
      - .offset:         320
        .size:           8
        .value_kind:     hidden_global_offset_y
      - .offset:         328
        .size:           8
        .value_kind:     hidden_global_offset_z
      - .offset:         336
        .size:           2
        .value_kind:     hidden_grid_dims
    .group_segment_fixed_size: 1024
    .kernarg_segment_align: 8
    .kernarg_segment_size: 528
    .language:       OpenCL C
    .language_version:
      - 2
      - 0
    .max_flat_workgroup_size: 256
    .name:           _ZN2at6native6mbtopk23computeBlockDigitCountsIijjLi3EEEvNS_4cuda6detail10TensorInfoIKT_T0_EEjPjjS8_iijT1_PSB_Ps
    .private_segment_fixed_size: 0
    .sgpr_count:     30
    .sgpr_spill_count: 0
    .symbol:         _ZN2at6native6mbtopk23computeBlockDigitCountsIijjLi3EEEvNS_4cuda6detail10TensorInfoIKT_T0_EEjPjjS8_iijT1_PSB_Ps.kd
    .uniform_work_group_size: 1
    .uses_dynamic_stack: false
    .vgpr_count:     12
    .vgpr_spill_count: 0
    .wavefront_size: 64
  - .agpr_count:     0
    .args:
      - .offset:         0
        .size:           216
        .value_kind:     by_value
      - .offset:         216
        .size:           4
        .value_kind:     by_value
      - .offset:         220
        .size:           4
        .value_kind:     by_value
      - .offset:         224
        .size:           1
        .value_kind:     by_value
      - .offset:         228
        .size:           4
        .value_kind:     by_value
      - .offset:         232
        .size:           4
        .value_kind:     by_value
      - .offset:         240
        .size:           216
        .value_kind:     by_value
      - .offset:         456
        .size:           4
        .value_kind:     by_value
      - .offset:         464
        .size:           216
        .value_kind:     by_value
      - .offset:         680
        .size:           4
        .value_kind:     by_value
      - .offset:         684
        .size:           4
        .value_kind:     by_value
      - .offset:         688
        .size:           4
        .value_kind:     by_value
      - .address_space:  global
        .offset:         696
        .size:           8
        .value_kind:     global_buffer
      - .address_space:  global
        .offset:         704
        .size:           8
        .value_kind:     global_buffer
      - .address_space:  global
        .offset:         712
        .size:           8
        .value_kind:     global_buffer
      - .offset:         720
        .size:           4
        .value_kind:     by_value
      - .offset:         728
        .size:           4
        .value_kind:     hidden_block_count_x
      - .offset:         732
        .size:           4
        .value_kind:     hidden_block_count_y
      - .offset:         736
        .size:           4
        .value_kind:     hidden_block_count_z
      - .offset:         740
        .size:           2
        .value_kind:     hidden_group_size_x
      - .offset:         742
        .size:           2
        .value_kind:     hidden_group_size_y
      - .offset:         744
        .size:           2
        .value_kind:     hidden_group_size_z
      - .offset:         746
        .size:           2
        .value_kind:     hidden_remainder_x
      - .offset:         748
        .size:           2
        .value_kind:     hidden_remainder_y
      - .offset:         750
        .size:           2
        .value_kind:     hidden_remainder_z
      - .offset:         768
        .size:           8
        .value_kind:     hidden_global_offset_x
      - .offset:         776
        .size:           8
        .value_kind:     hidden_global_offset_y
      - .offset:         784
        .size:           8
        .value_kind:     hidden_global_offset_z
      - .offset:         792
        .size:           2
        .value_kind:     hidden_grid_dims
    .group_segment_fixed_size: 1068
    .kernarg_segment_align: 8
    .kernarg_segment_size: 984
    .language:       OpenCL C
    .language_version:
      - 2
      - 0
    .max_flat_workgroup_size: 256
    .name:           _ZN2at6native6mbtopk10gatherTopKIijLi3EEEvNS_4cuda6detail10TensorInfoIKT_T0_EES8_S8_bjS8_NS5_IS6_S8_EES8_NS5_IlS8_EES8_jjPS6_PjSD_j
    .private_segment_fixed_size: 0
    .sgpr_count:     64
    .sgpr_spill_count: 0
    .symbol:         _ZN2at6native6mbtopk10gatherTopKIijLi3EEEvNS_4cuda6detail10TensorInfoIKT_T0_EES8_S8_bjS8_NS5_IS6_S8_EES8_NS5_IlS8_EES8_jjPS6_PjSD_j.kd
    .uniform_work_group_size: 1
    .uses_dynamic_stack: false
    .vgpr_count:     22
    .vgpr_spill_count: 0
    .wavefront_size: 64
  - .agpr_count:     0
    .args:
      - .offset:         0
        .size:           216
        .value_kind:     by_value
      - .offset:         216
        .size:           4
        .value_kind:     by_value
      - .offset:         220
        .size:           4
        .value_kind:     by_value
      - .offset:         224
        .size:           1
        .value_kind:     by_value
      - .offset:         228
        .size:           4
        .value_kind:     by_value
      - .offset:         232
        .size:           4
        .value_kind:     by_value
      - .offset:         240
        .size:           216
        .value_kind:     by_value
      - .offset:         456
        .size:           4
        .value_kind:     by_value
      - .offset:         464
        .size:           216
        .value_kind:     by_value
      - .offset:         680
        .size:           4
        .value_kind:     by_value
      - .address_space:  global
        .offset:         688
        .size:           8
        .value_kind:     global_buffer
      - .offset:         696
        .size:           4
        .value_kind:     hidden_block_count_x
      - .offset:         700
        .size:           4
        .value_kind:     hidden_block_count_y
      - .offset:         704
        .size:           4
        .value_kind:     hidden_block_count_z
      - .offset:         708
        .size:           2
        .value_kind:     hidden_group_size_x
      - .offset:         710
        .size:           2
        .value_kind:     hidden_group_size_y
      - .offset:         712
        .size:           2
        .value_kind:     hidden_group_size_z
      - .offset:         714
        .size:           2
        .value_kind:     hidden_remainder_x
      - .offset:         716
        .size:           2
        .value_kind:     hidden_remainder_y
      - .offset:         718
        .size:           2
        .value_kind:     hidden_remainder_z
      - .offset:         736
        .size:           8
        .value_kind:     hidden_global_offset_x
      - .offset:         744
        .size:           8
        .value_kind:     hidden_global_offset_y
      - .offset:         752
        .size:           8
        .value_kind:     hidden_global_offset_z
      - .offset:         760
        .size:           2
        .value_kind:     hidden_grid_dims
    .group_segment_fixed_size: 4112
    .kernarg_segment_align: 8
    .kernarg_segment_size: 952
    .language:       OpenCL C
    .language_version:
      - 2
      - 0
    .max_flat_workgroup_size: 1024
    .name:           _ZN2at6native6sbtopk10gatherTopKIijLi3ELb0EEEvNS_4cuda6detail10TensorInfoIKT_T0_EES8_S8_bS8_S8_NS5_IS6_S8_EES8_NS5_IlS8_EES8_PS6_
    .private_segment_fixed_size: 0
    .sgpr_count:     100
    .sgpr_spill_count: 77
    .symbol:         _ZN2at6native6sbtopk10gatherTopKIijLi3ELb0EEEvNS_4cuda6detail10TensorInfoIKT_T0_EES8_S8_bS8_S8_NS5_IS6_S8_EES8_NS5_IlS8_EES8_PS6_.kd
    .uniform_work_group_size: 1
    .uses_dynamic_stack: false
    .vgpr_count:     54
    .vgpr_spill_count: 0
    .wavefront_size: 64
  - .agpr_count:     0
    .args:
      - .offset:         0
        .size:           216
        .value_kind:     by_value
      - .offset:         216
        .size:           4
        .value_kind:     by_value
      - .address_space:  global
        .offset:         224
        .size:           8
        .value_kind:     global_buffer
      - .offset:         232
        .size:           4
        .value_kind:     by_value
      - .offset:         236
        .size:           4
        .value_kind:     by_value
      - .offset:         240
        .size:           4
        .value_kind:     by_value
      - .offset:         244
        .size:           4
        .value_kind:     by_value
      - .offset:         248
        .size:           4
        .value_kind:     by_value
      - .offset:         252
        .size:           4
        .value_kind:     by_value
      - .address_space:  global
        .offset:         256
        .size:           8
        .value_kind:     global_buffer
      - .address_space:  global
        .offset:         264
        .size:           8
        .value_kind:     global_buffer
      - .offset:         272
        .size:           4
        .value_kind:     hidden_block_count_x
      - .offset:         276
        .size:           4
        .value_kind:     hidden_block_count_y
      - .offset:         280
        .size:           4
        .value_kind:     hidden_block_count_z
      - .offset:         284
        .size:           2
        .value_kind:     hidden_group_size_x
      - .offset:         286
        .size:           2
        .value_kind:     hidden_group_size_y
      - .offset:         288
        .size:           2
        .value_kind:     hidden_group_size_z
      - .offset:         290
        .size:           2
        .value_kind:     hidden_remainder_x
      - .offset:         292
        .size:           2
        .value_kind:     hidden_remainder_y
      - .offset:         294
        .size:           2
        .value_kind:     hidden_remainder_z
      - .offset:         312
        .size:           8
        .value_kind:     hidden_global_offset_x
      - .offset:         320
        .size:           8
        .value_kind:     hidden_global_offset_y
      - .offset:         328
        .size:           8
        .value_kind:     hidden_global_offset_z
      - .offset:         336
        .size:           2
        .value_kind:     hidden_grid_dims
    .group_segment_fixed_size: 1024
    .kernarg_segment_align: 8
    .kernarg_segment_size: 528
    .language:       OpenCL C
    .language_version:
      - 2
      - 0
    .max_flat_workgroup_size: 256
    .name:           _ZN2at6native6mbtopk23computeBlockDigitCountsIijjLin1EEEvNS_4cuda6detail10TensorInfoIKT_T0_EEjPjjS8_iijT1_PSB_Ps
    .private_segment_fixed_size: 0
    .sgpr_count:     28
    .sgpr_spill_count: 0
    .symbol:         _ZN2at6native6mbtopk23computeBlockDigitCountsIijjLin1EEEvNS_4cuda6detail10TensorInfoIKT_T0_EEjPjjS8_iijT1_PSB_Ps.kd
    .uniform_work_group_size: 1
    .uses_dynamic_stack: false
    .vgpr_count:     12
    .vgpr_spill_count: 0
    .wavefront_size: 64
  - .agpr_count:     0
    .args:
      - .offset:         0
        .size:           216
        .value_kind:     by_value
      - .offset:         216
        .size:           4
        .value_kind:     by_value
      - .offset:         220
        .size:           4
        .value_kind:     by_value
      - .offset:         224
        .size:           1
        .value_kind:     by_value
      - .offset:         228
        .size:           4
        .value_kind:     by_value
      - .offset:         232
        .size:           4
        .value_kind:     by_value
      - .offset:         240
        .size:           216
        .value_kind:     by_value
      - .offset:         456
        .size:           4
        .value_kind:     by_value
      - .offset:         464
        .size:           216
        .value_kind:     by_value
      - .offset:         680
        .size:           4
        .value_kind:     by_value
      - .offset:         684
        .size:           4
        .value_kind:     by_value
      - .offset:         688
        .size:           4
        .value_kind:     by_value
      - .address_space:  global
        .offset:         696
        .size:           8
        .value_kind:     global_buffer
      - .address_space:  global
        .offset:         704
        .size:           8
        .value_kind:     global_buffer
      - .address_space:  global
        .offset:         712
        .size:           8
        .value_kind:     global_buffer
      - .offset:         720
        .size:           4
        .value_kind:     by_value
      - .offset:         728
        .size:           4
        .value_kind:     hidden_block_count_x
      - .offset:         732
        .size:           4
        .value_kind:     hidden_block_count_y
      - .offset:         736
        .size:           4
        .value_kind:     hidden_block_count_z
      - .offset:         740
        .size:           2
        .value_kind:     hidden_group_size_x
      - .offset:         742
        .size:           2
        .value_kind:     hidden_group_size_y
      - .offset:         744
        .size:           2
        .value_kind:     hidden_group_size_z
      - .offset:         746
        .size:           2
        .value_kind:     hidden_remainder_x
      - .offset:         748
        .size:           2
        .value_kind:     hidden_remainder_y
      - .offset:         750
        .size:           2
        .value_kind:     hidden_remainder_z
      - .offset:         768
        .size:           8
        .value_kind:     hidden_global_offset_x
      - .offset:         776
        .size:           8
        .value_kind:     hidden_global_offset_y
      - .offset:         784
        .size:           8
        .value_kind:     hidden_global_offset_z
      - .offset:         792
        .size:           2
        .value_kind:     hidden_grid_dims
    .group_segment_fixed_size: 1068
    .kernarg_segment_align: 8
    .kernarg_segment_size: 984
    .language:       OpenCL C
    .language_version:
      - 2
      - 0
    .max_flat_workgroup_size: 256
    .name:           _ZN2at6native6mbtopk10gatherTopKIijLin1EEEvNS_4cuda6detail10TensorInfoIKT_T0_EES8_S8_bjS8_NS5_IS6_S8_EES8_NS5_IlS8_EES8_jjPS6_PjSD_j
    .private_segment_fixed_size: 0
    .sgpr_count:     50
    .sgpr_spill_count: 0
    .symbol:         _ZN2at6native6mbtopk10gatherTopKIijLin1EEEvNS_4cuda6detail10TensorInfoIKT_T0_EES8_S8_bjS8_NS5_IS6_S8_EES8_NS5_IlS8_EES8_jjPS6_PjSD_j.kd
    .uniform_work_group_size: 1
    .uses_dynamic_stack: false
    .vgpr_count:     22
    .vgpr_spill_count: 0
    .wavefront_size: 64
  - .agpr_count:     0
    .args:
      - .offset:         0
        .size:           216
        .value_kind:     by_value
      - .offset:         216
        .size:           4
        .value_kind:     by_value
      - .offset:         220
        .size:           4
        .value_kind:     by_value
      - .offset:         224
        .size:           1
        .value_kind:     by_value
      - .offset:         228
        .size:           4
        .value_kind:     by_value
      - .offset:         232
        .size:           4
        .value_kind:     by_value
      - .offset:         240
        .size:           216
        .value_kind:     by_value
      - .offset:         456
        .size:           4
        .value_kind:     by_value
      - .offset:         464
        .size:           216
        .value_kind:     by_value
      - .offset:         680
        .size:           4
        .value_kind:     by_value
      - .address_space:  global
        .offset:         688
        .size:           8
        .value_kind:     global_buffer
      - .offset:         696
        .size:           4
        .value_kind:     hidden_block_count_x
      - .offset:         700
        .size:           4
        .value_kind:     hidden_block_count_y
      - .offset:         704
        .size:           4
        .value_kind:     hidden_block_count_z
      - .offset:         708
        .size:           2
        .value_kind:     hidden_group_size_x
      - .offset:         710
        .size:           2
        .value_kind:     hidden_group_size_y
      - .offset:         712
        .size:           2
        .value_kind:     hidden_group_size_z
      - .offset:         714
        .size:           2
        .value_kind:     hidden_remainder_x
      - .offset:         716
        .size:           2
        .value_kind:     hidden_remainder_y
      - .offset:         718
        .size:           2
        .value_kind:     hidden_remainder_z
      - .offset:         736
        .size:           8
        .value_kind:     hidden_global_offset_x
      - .offset:         744
        .size:           8
        .value_kind:     hidden_global_offset_y
      - .offset:         752
        .size:           8
        .value_kind:     hidden_global_offset_z
      - .offset:         760
        .size:           2
        .value_kind:     hidden_grid_dims
    .group_segment_fixed_size: 4112
    .kernarg_segment_align: 8
    .kernarg_segment_size: 952
    .language:       OpenCL C
    .language_version:
      - 2
      - 0
    .max_flat_workgroup_size: 1024
    .name:           _ZN2at6native6sbtopk10gatherTopKIijLin1ELb0EEEvNS_4cuda6detail10TensorInfoIKT_T0_EES8_S8_bS8_S8_NS5_IS6_S8_EES8_NS5_IlS8_EES8_PS6_
    .private_segment_fixed_size: 0
    .sgpr_count:     100
    .sgpr_spill_count: 70
    .symbol:         _ZN2at6native6sbtopk10gatherTopKIijLin1ELb0EEEvNS_4cuda6detail10TensorInfoIKT_T0_EES8_S8_bS8_S8_NS5_IS6_S8_EES8_NS5_IlS8_EES8_PS6_.kd
    .uniform_work_group_size: 1
    .uses_dynamic_stack: false
    .vgpr_count:     53
    .vgpr_spill_count: 0
    .wavefront_size: 64
  - .agpr_count:     0
    .args:
      - .offset:         0
        .size:           216
        .value_kind:     by_value
      - .offset:         216
        .size:           4
        .value_kind:     by_value
      - .address_space:  global
        .offset:         224
        .size:           8
        .value_kind:     global_buffer
      - .offset:         232
        .size:           4
        .value_kind:     by_value
      - .offset:         236
        .size:           4
        .value_kind:     by_value
      - .offset:         240
        .size:           4
        .value_kind:     by_value
      - .offset:         244
        .size:           4
        .value_kind:     by_value
      - .offset:         248
        .size:           4
        .value_kind:     by_value
      - .offset:         256
        .size:           8
        .value_kind:     by_value
      - .address_space:  global
        .offset:         264
        .size:           8
        .value_kind:     global_buffer
      - .address_space:  global
        .offset:         272
        .size:           8
        .value_kind:     global_buffer
      - .offset:         280
        .size:           4
        .value_kind:     hidden_block_count_x
      - .offset:         284
        .size:           4
        .value_kind:     hidden_block_count_y
      - .offset:         288
        .size:           4
        .value_kind:     hidden_block_count_z
      - .offset:         292
        .size:           2
        .value_kind:     hidden_group_size_x
      - .offset:         294
        .size:           2
        .value_kind:     hidden_group_size_y
      - .offset:         296
        .size:           2
        .value_kind:     hidden_group_size_z
      - .offset:         298
        .size:           2
        .value_kind:     hidden_remainder_x
      - .offset:         300
        .size:           2
        .value_kind:     hidden_remainder_y
      - .offset:         302
        .size:           2
        .value_kind:     hidden_remainder_z
      - .offset:         320
        .size:           8
        .value_kind:     hidden_global_offset_x
      - .offset:         328
        .size:           8
        .value_kind:     hidden_global_offset_y
      - .offset:         336
        .size:           8
        .value_kind:     hidden_global_offset_z
      - .offset:         344
        .size:           2
        .value_kind:     hidden_grid_dims
    .group_segment_fixed_size: 1024
    .kernarg_segment_align: 8
    .kernarg_segment_size: 536
    .language:       OpenCL C
    .language_version:
      - 2
      - 0
    .max_flat_workgroup_size: 256
    .name:           _ZN2at6native6mbtopk23computeBlockDigitCountsIljmLi1EEEvNS_4cuda6detail10TensorInfoIKT_T0_EEjPjjS8_iijT1_PSB_Ps
    .private_segment_fixed_size: 0
    .sgpr_count:     28
    .sgpr_spill_count: 0
    .symbol:         _ZN2at6native6mbtopk23computeBlockDigitCountsIljmLi1EEEvNS_4cuda6detail10TensorInfoIKT_T0_EEjPjjS8_iijT1_PSB_Ps.kd
    .uniform_work_group_size: 1
    .uses_dynamic_stack: false
    .vgpr_count:     16
    .vgpr_spill_count: 0
    .wavefront_size: 64
  - .agpr_count:     0
    .args:
      - .address_space:  global
        .offset:         0
        .size:           8
        .value_kind:     global_buffer
      - .address_space:  global
        .offset:         8
        .size:           8
        .value_kind:     global_buffer
      - .address_space:  global
        .offset:         16
        .size:           8
        .value_kind:     global_buffer
      - .offset:         24
        .size:           4
        .value_kind:     by_value
      - .offset:         28
        .size:           4
        .value_kind:     by_value
      - .offset:         32
        .size:           1
        .value_kind:     by_value
      - .address_space:  global
        .offset:         40
        .size:           8
        .value_kind:     global_buffer
      - .address_space:  global
        .offset:         48
        .size:           8
        .value_kind:     global_buffer
      - .address_space:  global
        .offset:         56
        .size:           8
        .value_kind:     global_buffer
      - .address_space:  global
        .offset:         64
        .size:           8
        .value_kind:     global_buffer
      - .address_space:  global
        .offset:         72
        .size:           8
        .value_kind:     global_buffer
      - .offset:         80
        .size:           4
        .value_kind:     by_value
      - .offset:         88
        .size:           4
        .value_kind:     hidden_block_count_x
      - .offset:         92
        .size:           4
        .value_kind:     hidden_block_count_y
      - .offset:         96
        .size:           4
        .value_kind:     hidden_block_count_z
      - .offset:         100
        .size:           2
        .value_kind:     hidden_group_size_x
      - .offset:         102
        .size:           2
        .value_kind:     hidden_group_size_y
      - .offset:         104
        .size:           2
        .value_kind:     hidden_group_size_z
      - .offset:         106
        .size:           2
        .value_kind:     hidden_remainder_x
      - .offset:         108
        .size:           2
        .value_kind:     hidden_remainder_y
      - .offset:         110
        .size:           2
        .value_kind:     hidden_remainder_z
      - .offset:         128
        .size:           8
        .value_kind:     hidden_global_offset_x
      - .offset:         136
        .size:           8
        .value_kind:     hidden_global_offset_y
      - .offset:         144
        .size:           8
        .value_kind:     hidden_global_offset_z
      - .offset:         152
        .size:           2
        .value_kind:     hidden_grid_dims
    .group_segment_fixed_size: 2104
    .kernarg_segment_align: 8
    .kernarg_segment_size: 344
    .language:       OpenCL C
    .language_version:
      - 2
      - 0
    .max_flat_workgroup_size: 256
    .name:           _ZN2at6native6mbtopk29computeBlockwiseWithinKCountsImlEEvPT_PsPjjibS6_PT0_S6_S4_S6_j
    .private_segment_fixed_size: 0
    .sgpr_count:     34
    .sgpr_spill_count: 0
    .symbol:         _ZN2at6native6mbtopk29computeBlockwiseWithinKCountsImlEEvPT_PsPjjibS6_PT0_S6_S4_S6_j.kd
    .uniform_work_group_size: 1
    .uses_dynamic_stack: false
    .vgpr_count:     15
    .vgpr_spill_count: 0
    .wavefront_size: 64
  - .agpr_count:     0
    .args:
      - .offset:         0
        .size:           216
        .value_kind:     by_value
      - .offset:         216
        .size:           4
        .value_kind:     by_value
      - .offset:         220
        .size:           4
        .value_kind:     by_value
      - .offset:         224
        .size:           1
        .value_kind:     by_value
      - .offset:         228
        .size:           4
        .value_kind:     by_value
      - .offset:         232
        .size:           4
        .value_kind:     by_value
      - .offset:         240
        .size:           216
        .value_kind:     by_value
      - .offset:         456
        .size:           4
        .value_kind:     by_value
      - .offset:         464
        .size:           216
        .value_kind:     by_value
      - .offset:         680
        .size:           4
        .value_kind:     by_value
      - .offset:         684
        .size:           4
        .value_kind:     by_value
      - .offset:         688
        .size:           4
        .value_kind:     by_value
      - .address_space:  global
        .offset:         696
        .size:           8
        .value_kind:     global_buffer
      - .address_space:  global
        .offset:         704
        .size:           8
        .value_kind:     global_buffer
      - .address_space:  global
        .offset:         712
        .size:           8
        .value_kind:     global_buffer
      - .offset:         720
        .size:           4
        .value_kind:     by_value
      - .offset:         728
        .size:           4
        .value_kind:     hidden_block_count_x
      - .offset:         732
        .size:           4
        .value_kind:     hidden_block_count_y
      - .offset:         736
        .size:           4
        .value_kind:     hidden_block_count_z
      - .offset:         740
        .size:           2
        .value_kind:     hidden_group_size_x
      - .offset:         742
        .size:           2
        .value_kind:     hidden_group_size_y
      - .offset:         744
        .size:           2
        .value_kind:     hidden_group_size_z
      - .offset:         746
        .size:           2
        .value_kind:     hidden_remainder_x
      - .offset:         748
        .size:           2
        .value_kind:     hidden_remainder_y
      - .offset:         750
        .size:           2
        .value_kind:     hidden_remainder_z
      - .offset:         768
        .size:           8
        .value_kind:     hidden_global_offset_x
      - .offset:         776
        .size:           8
        .value_kind:     hidden_global_offset_y
      - .offset:         784
        .size:           8
        .value_kind:     hidden_global_offset_z
      - .offset:         792
        .size:           2
        .value_kind:     hidden_grid_dims
    .group_segment_fixed_size: 1068
    .kernarg_segment_align: 8
    .kernarg_segment_size: 984
    .language:       OpenCL C
    .language_version:
      - 2
      - 0
    .max_flat_workgroup_size: 256
    .name:           _ZN2at6native6mbtopk10gatherTopKIljLi1EEEvNS_4cuda6detail10TensorInfoIKT_T0_EES8_S8_bjS8_NS5_IS6_S8_EES8_NS5_IlS8_EES8_jjPS6_PjSD_j
    .private_segment_fixed_size: 0
    .sgpr_count:     44
    .sgpr_spill_count: 0
    .symbol:         _ZN2at6native6mbtopk10gatherTopKIljLi1EEEvNS_4cuda6detail10TensorInfoIKT_T0_EES8_S8_bjS8_NS5_IS6_S8_EES8_NS5_IlS8_EES8_jjPS6_PjSD_j.kd
    .uniform_work_group_size: 1
    .uses_dynamic_stack: false
    .vgpr_count:     22
    .vgpr_spill_count: 0
    .wavefront_size: 64
  - .agpr_count:     0
    .args:
      - .offset:         0
        .size:           216
        .value_kind:     by_value
      - .offset:         216
        .size:           4
        .value_kind:     by_value
      - .offset:         220
        .size:           4
        .value_kind:     by_value
      - .offset:         224
        .size:           1
        .value_kind:     by_value
      - .offset:         228
        .size:           4
        .value_kind:     by_value
      - .offset:         232
        .size:           4
        .value_kind:     by_value
      - .offset:         240
        .size:           216
        .value_kind:     by_value
      - .offset:         456
        .size:           4
        .value_kind:     by_value
      - .offset:         464
        .size:           216
        .value_kind:     by_value
      - .offset:         680
        .size:           4
        .value_kind:     by_value
      - .address_space:  global
        .offset:         688
        .size:           8
        .value_kind:     global_buffer
      - .offset:         696
        .size:           4
        .value_kind:     hidden_block_count_x
      - .offset:         700
        .size:           4
        .value_kind:     hidden_block_count_y
      - .offset:         704
        .size:           4
        .value_kind:     hidden_block_count_z
      - .offset:         708
        .size:           2
        .value_kind:     hidden_group_size_x
      - .offset:         710
        .size:           2
        .value_kind:     hidden_group_size_y
      - .offset:         712
        .size:           2
        .value_kind:     hidden_group_size_z
      - .offset:         714
        .size:           2
        .value_kind:     hidden_remainder_x
      - .offset:         716
        .size:           2
        .value_kind:     hidden_remainder_y
      - .offset:         718
        .size:           2
        .value_kind:     hidden_remainder_z
      - .offset:         736
        .size:           8
        .value_kind:     hidden_global_offset_x
      - .offset:         744
        .size:           8
        .value_kind:     hidden_global_offset_y
      - .offset:         752
        .size:           8
        .value_kind:     hidden_global_offset_z
      - .offset:         760
        .size:           2
        .value_kind:     hidden_grid_dims
    .group_segment_fixed_size: 4112
    .kernarg_segment_align: 8
    .kernarg_segment_size: 952
    .language:       OpenCL C
    .language_version:
      - 2
      - 0
    .max_flat_workgroup_size: 1024
    .name:           _ZN2at6native6sbtopk10gatherTopKIljLi1ELb0EEEvNS_4cuda6detail10TensorInfoIKT_T0_EES8_S8_bS8_S8_NS5_IS6_S8_EES8_NS5_IlS8_EES8_PS6_
    .private_segment_fixed_size: 0
    .sgpr_count:     100
    .sgpr_spill_count: 66
    .symbol:         _ZN2at6native6sbtopk10gatherTopKIljLi1ELb0EEEvNS_4cuda6detail10TensorInfoIKT_T0_EES8_S8_bS8_S8_NS5_IS6_S8_EES8_NS5_IlS8_EES8_PS6_.kd
    .uniform_work_group_size: 1
    .uses_dynamic_stack: false
    .vgpr_count:     59
    .vgpr_spill_count: 0
    .wavefront_size: 64
  - .agpr_count:     0
    .args:
      - .offset:         0
        .size:           216
        .value_kind:     by_value
      - .offset:         216
        .size:           4
        .value_kind:     by_value
      - .address_space:  global
        .offset:         224
        .size:           8
        .value_kind:     global_buffer
      - .offset:         232
        .size:           4
        .value_kind:     by_value
      - .offset:         236
        .size:           4
        .value_kind:     by_value
      - .offset:         240
        .size:           4
        .value_kind:     by_value
      - .offset:         244
        .size:           4
        .value_kind:     by_value
      - .offset:         248
        .size:           4
        .value_kind:     by_value
      - .offset:         256
        .size:           8
        .value_kind:     by_value
      - .address_space:  global
        .offset:         264
        .size:           8
        .value_kind:     global_buffer
      - .address_space:  global
        .offset:         272
        .size:           8
        .value_kind:     global_buffer
      - .offset:         280
        .size:           4
        .value_kind:     hidden_block_count_x
      - .offset:         284
        .size:           4
        .value_kind:     hidden_block_count_y
      - .offset:         288
        .size:           4
        .value_kind:     hidden_block_count_z
      - .offset:         292
        .size:           2
        .value_kind:     hidden_group_size_x
      - .offset:         294
        .size:           2
        .value_kind:     hidden_group_size_y
      - .offset:         296
        .size:           2
        .value_kind:     hidden_group_size_z
      - .offset:         298
        .size:           2
        .value_kind:     hidden_remainder_x
      - .offset:         300
        .size:           2
        .value_kind:     hidden_remainder_y
      - .offset:         302
        .size:           2
        .value_kind:     hidden_remainder_z
      - .offset:         320
        .size:           8
        .value_kind:     hidden_global_offset_x
      - .offset:         328
        .size:           8
        .value_kind:     hidden_global_offset_y
      - .offset:         336
        .size:           8
        .value_kind:     hidden_global_offset_z
      - .offset:         344
        .size:           2
        .value_kind:     hidden_grid_dims
    .group_segment_fixed_size: 1024
    .kernarg_segment_align: 8
    .kernarg_segment_size: 536
    .language:       OpenCL C
    .language_version:
      - 2
      - 0
    .max_flat_workgroup_size: 256
    .name:           _ZN2at6native6mbtopk23computeBlockDigitCountsIljmLi2EEEvNS_4cuda6detail10TensorInfoIKT_T0_EEjPjjS8_iijT1_PSB_Ps
    .private_segment_fixed_size: 0
    .sgpr_count:     30
    .sgpr_spill_count: 0
    .symbol:         _ZN2at6native6mbtopk23computeBlockDigitCountsIljmLi2EEEvNS_4cuda6detail10TensorInfoIKT_T0_EEjPjjS8_iijT1_PSB_Ps.kd
    .uniform_work_group_size: 1
    .uses_dynamic_stack: false
    .vgpr_count:     16
    .vgpr_spill_count: 0
    .wavefront_size: 64
  - .agpr_count:     0
    .args:
      - .offset:         0
        .size:           216
        .value_kind:     by_value
      - .offset:         216
        .size:           4
        .value_kind:     by_value
      - .offset:         220
        .size:           4
        .value_kind:     by_value
      - .offset:         224
        .size:           1
        .value_kind:     by_value
      - .offset:         228
        .size:           4
        .value_kind:     by_value
      - .offset:         232
        .size:           4
        .value_kind:     by_value
      - .offset:         240
        .size:           216
        .value_kind:     by_value
      - .offset:         456
        .size:           4
        .value_kind:     by_value
      - .offset:         464
        .size:           216
        .value_kind:     by_value
      - .offset:         680
        .size:           4
        .value_kind:     by_value
      - .offset:         684
        .size:           4
        .value_kind:     by_value
      - .offset:         688
        .size:           4
        .value_kind:     by_value
      - .address_space:  global
        .offset:         696
        .size:           8
        .value_kind:     global_buffer
      - .address_space:  global
        .offset:         704
        .size:           8
        .value_kind:     global_buffer
      - .address_space:  global
        .offset:         712
        .size:           8
        .value_kind:     global_buffer
      - .offset:         720
        .size:           4
        .value_kind:     by_value
      - .offset:         728
        .size:           4
        .value_kind:     hidden_block_count_x
      - .offset:         732
        .size:           4
        .value_kind:     hidden_block_count_y
      - .offset:         736
        .size:           4
        .value_kind:     hidden_block_count_z
      - .offset:         740
        .size:           2
        .value_kind:     hidden_group_size_x
      - .offset:         742
        .size:           2
        .value_kind:     hidden_group_size_y
      - .offset:         744
        .size:           2
        .value_kind:     hidden_group_size_z
      - .offset:         746
        .size:           2
        .value_kind:     hidden_remainder_x
      - .offset:         748
        .size:           2
        .value_kind:     hidden_remainder_y
      - .offset:         750
        .size:           2
        .value_kind:     hidden_remainder_z
      - .offset:         768
        .size:           8
        .value_kind:     hidden_global_offset_x
      - .offset:         776
        .size:           8
        .value_kind:     hidden_global_offset_y
      - .offset:         784
        .size:           8
        .value_kind:     hidden_global_offset_z
      - .offset:         792
        .size:           2
        .value_kind:     hidden_grid_dims
    .group_segment_fixed_size: 1068
    .kernarg_segment_align: 8
    .kernarg_segment_size: 984
    .language:       OpenCL C
    .language_version:
      - 2
      - 0
    .max_flat_workgroup_size: 256
    .name:           _ZN2at6native6mbtopk10gatherTopKIljLi2EEEvNS_4cuda6detail10TensorInfoIKT_T0_EES8_S8_bjS8_NS5_IS6_S8_EES8_NS5_IlS8_EES8_jjPS6_PjSD_j
    .private_segment_fixed_size: 0
    .sgpr_count:     56
    .sgpr_spill_count: 0
    .symbol:         _ZN2at6native6mbtopk10gatherTopKIljLi2EEEvNS_4cuda6detail10TensorInfoIKT_T0_EES8_S8_bjS8_NS5_IS6_S8_EES8_NS5_IlS8_EES8_jjPS6_PjSD_j.kd
    .uniform_work_group_size: 1
    .uses_dynamic_stack: false
    .vgpr_count:     22
    .vgpr_spill_count: 0
    .wavefront_size: 64
  - .agpr_count:     0
    .args:
      - .offset:         0
        .size:           216
        .value_kind:     by_value
      - .offset:         216
        .size:           4
        .value_kind:     by_value
      - .offset:         220
        .size:           4
        .value_kind:     by_value
      - .offset:         224
        .size:           1
        .value_kind:     by_value
      - .offset:         228
        .size:           4
        .value_kind:     by_value
      - .offset:         232
        .size:           4
        .value_kind:     by_value
      - .offset:         240
        .size:           216
        .value_kind:     by_value
      - .offset:         456
        .size:           4
        .value_kind:     by_value
      - .offset:         464
        .size:           216
        .value_kind:     by_value
      - .offset:         680
        .size:           4
        .value_kind:     by_value
      - .address_space:  global
        .offset:         688
        .size:           8
        .value_kind:     global_buffer
      - .offset:         696
        .size:           4
        .value_kind:     hidden_block_count_x
      - .offset:         700
        .size:           4
        .value_kind:     hidden_block_count_y
      - .offset:         704
        .size:           4
        .value_kind:     hidden_block_count_z
      - .offset:         708
        .size:           2
        .value_kind:     hidden_group_size_x
      - .offset:         710
        .size:           2
        .value_kind:     hidden_group_size_y
      - .offset:         712
        .size:           2
        .value_kind:     hidden_group_size_z
      - .offset:         714
        .size:           2
        .value_kind:     hidden_remainder_x
      - .offset:         716
        .size:           2
        .value_kind:     hidden_remainder_y
      - .offset:         718
        .size:           2
        .value_kind:     hidden_remainder_z
      - .offset:         736
        .size:           8
        .value_kind:     hidden_global_offset_x
      - .offset:         744
        .size:           8
        .value_kind:     hidden_global_offset_y
      - .offset:         752
        .size:           8
        .value_kind:     hidden_global_offset_z
      - .offset:         760
        .size:           2
        .value_kind:     hidden_grid_dims
    .group_segment_fixed_size: 4112
    .kernarg_segment_align: 8
    .kernarg_segment_size: 952
    .language:       OpenCL C
    .language_version:
      - 2
      - 0
    .max_flat_workgroup_size: 1024
    .name:           _ZN2at6native6sbtopk10gatherTopKIljLi2ELb0EEEvNS_4cuda6detail10TensorInfoIKT_T0_EES8_S8_bS8_S8_NS5_IS6_S8_EES8_NS5_IlS8_EES8_PS6_
    .private_segment_fixed_size: 0
    .sgpr_count:     100
    .sgpr_spill_count: 72
    .symbol:         _ZN2at6native6sbtopk10gatherTopKIljLi2ELb0EEEvNS_4cuda6detail10TensorInfoIKT_T0_EES8_S8_bS8_S8_NS5_IS6_S8_EES8_NS5_IlS8_EES8_PS6_.kd
    .uniform_work_group_size: 1
    .uses_dynamic_stack: false
    .vgpr_count:     60
    .vgpr_spill_count: 0
    .wavefront_size: 64
  - .agpr_count:     0
    .args:
      - .offset:         0
        .size:           216
        .value_kind:     by_value
      - .offset:         216
        .size:           4
        .value_kind:     by_value
      - .address_space:  global
        .offset:         224
        .size:           8
        .value_kind:     global_buffer
      - .offset:         232
        .size:           4
        .value_kind:     by_value
      - .offset:         236
        .size:           4
        .value_kind:     by_value
      - .offset:         240
        .size:           4
        .value_kind:     by_value
      - .offset:         244
        .size:           4
        .value_kind:     by_value
      - .offset:         248
        .size:           4
        .value_kind:     by_value
      - .offset:         256
        .size:           8
        .value_kind:     by_value
      - .address_space:  global
        .offset:         264
        .size:           8
        .value_kind:     global_buffer
      - .address_space:  global
        .offset:         272
        .size:           8
        .value_kind:     global_buffer
      - .offset:         280
        .size:           4
        .value_kind:     hidden_block_count_x
      - .offset:         284
        .size:           4
        .value_kind:     hidden_block_count_y
      - .offset:         288
        .size:           4
        .value_kind:     hidden_block_count_z
      - .offset:         292
        .size:           2
        .value_kind:     hidden_group_size_x
      - .offset:         294
        .size:           2
        .value_kind:     hidden_group_size_y
      - .offset:         296
        .size:           2
        .value_kind:     hidden_group_size_z
      - .offset:         298
        .size:           2
        .value_kind:     hidden_remainder_x
      - .offset:         300
        .size:           2
        .value_kind:     hidden_remainder_y
      - .offset:         302
        .size:           2
        .value_kind:     hidden_remainder_z
      - .offset:         320
        .size:           8
        .value_kind:     hidden_global_offset_x
      - .offset:         328
        .size:           8
        .value_kind:     hidden_global_offset_y
      - .offset:         336
        .size:           8
        .value_kind:     hidden_global_offset_z
      - .offset:         344
        .size:           2
        .value_kind:     hidden_grid_dims
    .group_segment_fixed_size: 1024
    .kernarg_segment_align: 8
    .kernarg_segment_size: 536
    .language:       OpenCL C
    .language_version:
      - 2
      - 0
    .max_flat_workgroup_size: 256
    .name:           _ZN2at6native6mbtopk23computeBlockDigitCountsIljmLi3EEEvNS_4cuda6detail10TensorInfoIKT_T0_EEjPjjS8_iijT1_PSB_Ps
    .private_segment_fixed_size: 0
    .sgpr_count:     32
    .sgpr_spill_count: 0
    .symbol:         _ZN2at6native6mbtopk23computeBlockDigitCountsIljmLi3EEEvNS_4cuda6detail10TensorInfoIKT_T0_EEjPjjS8_iijT1_PSB_Ps.kd
    .uniform_work_group_size: 1
    .uses_dynamic_stack: false
    .vgpr_count:     16
    .vgpr_spill_count: 0
    .wavefront_size: 64
  - .agpr_count:     0
    .args:
      - .offset:         0
        .size:           216
        .value_kind:     by_value
      - .offset:         216
        .size:           4
        .value_kind:     by_value
      - .offset:         220
        .size:           4
        .value_kind:     by_value
      - .offset:         224
        .size:           1
        .value_kind:     by_value
      - .offset:         228
        .size:           4
        .value_kind:     by_value
      - .offset:         232
        .size:           4
        .value_kind:     by_value
      - .offset:         240
        .size:           216
        .value_kind:     by_value
      - .offset:         456
        .size:           4
        .value_kind:     by_value
      - .offset:         464
        .size:           216
        .value_kind:     by_value
      - .offset:         680
        .size:           4
        .value_kind:     by_value
      - .offset:         684
        .size:           4
        .value_kind:     by_value
      - .offset:         688
        .size:           4
        .value_kind:     by_value
      - .address_space:  global
        .offset:         696
        .size:           8
        .value_kind:     global_buffer
      - .address_space:  global
        .offset:         704
        .size:           8
        .value_kind:     global_buffer
      - .address_space:  global
        .offset:         712
        .size:           8
        .value_kind:     global_buffer
      - .offset:         720
        .size:           4
        .value_kind:     by_value
      - .offset:         728
        .size:           4
        .value_kind:     hidden_block_count_x
      - .offset:         732
        .size:           4
        .value_kind:     hidden_block_count_y
      - .offset:         736
        .size:           4
        .value_kind:     hidden_block_count_z
      - .offset:         740
        .size:           2
        .value_kind:     hidden_group_size_x
      - .offset:         742
        .size:           2
        .value_kind:     hidden_group_size_y
      - .offset:         744
        .size:           2
        .value_kind:     hidden_group_size_z
      - .offset:         746
        .size:           2
        .value_kind:     hidden_remainder_x
      - .offset:         748
        .size:           2
        .value_kind:     hidden_remainder_y
      - .offset:         750
        .size:           2
        .value_kind:     hidden_remainder_z
      - .offset:         768
        .size:           8
        .value_kind:     hidden_global_offset_x
      - .offset:         776
        .size:           8
        .value_kind:     hidden_global_offset_y
      - .offset:         784
        .size:           8
        .value_kind:     hidden_global_offset_z
      - .offset:         792
        .size:           2
        .value_kind:     hidden_grid_dims
    .group_segment_fixed_size: 1068
    .kernarg_segment_align: 8
    .kernarg_segment_size: 984
    .language:       OpenCL C
    .language_version:
      - 2
      - 0
    .max_flat_workgroup_size: 256
    .name:           _ZN2at6native6mbtopk10gatherTopKIljLi3EEEvNS_4cuda6detail10TensorInfoIKT_T0_EES8_S8_bjS8_NS5_IS6_S8_EES8_NS5_IlS8_EES8_jjPS6_PjSD_j
    .private_segment_fixed_size: 0
    .sgpr_count:     65
    .sgpr_spill_count: 0
    .symbol:         _ZN2at6native6mbtopk10gatherTopKIljLi3EEEvNS_4cuda6detail10TensorInfoIKT_T0_EES8_S8_bjS8_NS5_IS6_S8_EES8_NS5_IlS8_EES8_jjPS6_PjSD_j.kd
    .uniform_work_group_size: 1
    .uses_dynamic_stack: false
    .vgpr_count:     22
    .vgpr_spill_count: 0
    .wavefront_size: 64
  - .agpr_count:     0
    .args:
      - .offset:         0
        .size:           216
        .value_kind:     by_value
      - .offset:         216
        .size:           4
        .value_kind:     by_value
      - .offset:         220
        .size:           4
        .value_kind:     by_value
      - .offset:         224
        .size:           1
        .value_kind:     by_value
      - .offset:         228
        .size:           4
        .value_kind:     by_value
      - .offset:         232
        .size:           4
        .value_kind:     by_value
      - .offset:         240
        .size:           216
        .value_kind:     by_value
      - .offset:         456
        .size:           4
        .value_kind:     by_value
      - .offset:         464
        .size:           216
        .value_kind:     by_value
      - .offset:         680
        .size:           4
        .value_kind:     by_value
      - .address_space:  global
        .offset:         688
        .size:           8
        .value_kind:     global_buffer
      - .offset:         696
        .size:           4
        .value_kind:     hidden_block_count_x
      - .offset:         700
        .size:           4
        .value_kind:     hidden_block_count_y
      - .offset:         704
        .size:           4
        .value_kind:     hidden_block_count_z
      - .offset:         708
        .size:           2
        .value_kind:     hidden_group_size_x
      - .offset:         710
        .size:           2
        .value_kind:     hidden_group_size_y
      - .offset:         712
        .size:           2
        .value_kind:     hidden_group_size_z
      - .offset:         714
        .size:           2
        .value_kind:     hidden_remainder_x
      - .offset:         716
        .size:           2
        .value_kind:     hidden_remainder_y
      - .offset:         718
        .size:           2
        .value_kind:     hidden_remainder_z
      - .offset:         736
        .size:           8
        .value_kind:     hidden_global_offset_x
      - .offset:         744
        .size:           8
        .value_kind:     hidden_global_offset_y
      - .offset:         752
        .size:           8
        .value_kind:     hidden_global_offset_z
      - .offset:         760
        .size:           2
        .value_kind:     hidden_grid_dims
    .group_segment_fixed_size: 4112
    .kernarg_segment_align: 8
    .kernarg_segment_size: 952
    .language:       OpenCL C
    .language_version:
      - 2
      - 0
    .max_flat_workgroup_size: 1024
    .name:           _ZN2at6native6sbtopk10gatherTopKIljLi3ELb0EEEvNS_4cuda6detail10TensorInfoIKT_T0_EES8_S8_bS8_S8_NS5_IS6_S8_EES8_NS5_IlS8_EES8_PS6_
    .private_segment_fixed_size: 0
    .sgpr_count:     100
    .sgpr_spill_count: 80
    .symbol:         _ZN2at6native6sbtopk10gatherTopKIljLi3ELb0EEEvNS_4cuda6detail10TensorInfoIKT_T0_EES8_S8_bS8_S8_NS5_IS6_S8_EES8_NS5_IlS8_EES8_PS6_.kd
    .uniform_work_group_size: 1
    .uses_dynamic_stack: false
    .vgpr_count:     60
    .vgpr_spill_count: 0
    .wavefront_size: 64
  - .agpr_count:     0
    .args:
      - .offset:         0
        .size:           216
        .value_kind:     by_value
      - .offset:         216
        .size:           4
        .value_kind:     by_value
      - .address_space:  global
        .offset:         224
        .size:           8
        .value_kind:     global_buffer
      - .offset:         232
        .size:           4
        .value_kind:     by_value
      - .offset:         236
        .size:           4
        .value_kind:     by_value
      - .offset:         240
        .size:           4
        .value_kind:     by_value
      - .offset:         244
        .size:           4
        .value_kind:     by_value
      - .offset:         248
        .size:           4
        .value_kind:     by_value
      - .offset:         256
        .size:           8
        .value_kind:     by_value
      - .address_space:  global
        .offset:         264
        .size:           8
        .value_kind:     global_buffer
      - .address_space:  global
        .offset:         272
        .size:           8
        .value_kind:     global_buffer
      - .offset:         280
        .size:           4
        .value_kind:     hidden_block_count_x
      - .offset:         284
        .size:           4
        .value_kind:     hidden_block_count_y
      - .offset:         288
        .size:           4
        .value_kind:     hidden_block_count_z
      - .offset:         292
        .size:           2
        .value_kind:     hidden_group_size_x
      - .offset:         294
        .size:           2
        .value_kind:     hidden_group_size_y
      - .offset:         296
        .size:           2
        .value_kind:     hidden_group_size_z
      - .offset:         298
        .size:           2
        .value_kind:     hidden_remainder_x
      - .offset:         300
        .size:           2
        .value_kind:     hidden_remainder_y
      - .offset:         302
        .size:           2
        .value_kind:     hidden_remainder_z
      - .offset:         320
        .size:           8
        .value_kind:     hidden_global_offset_x
      - .offset:         328
        .size:           8
        .value_kind:     hidden_global_offset_y
      - .offset:         336
        .size:           8
        .value_kind:     hidden_global_offset_z
      - .offset:         344
        .size:           2
        .value_kind:     hidden_grid_dims
    .group_segment_fixed_size: 1024
    .kernarg_segment_align: 8
    .kernarg_segment_size: 536
    .language:       OpenCL C
    .language_version:
      - 2
      - 0
    .max_flat_workgroup_size: 256
    .name:           _ZN2at6native6mbtopk23computeBlockDigitCountsIljmLin1EEEvNS_4cuda6detail10TensorInfoIKT_T0_EEjPjjS8_iijT1_PSB_Ps
    .private_segment_fixed_size: 0
    .sgpr_count:     29
    .sgpr_spill_count: 0
    .symbol:         _ZN2at6native6mbtopk23computeBlockDigitCountsIljmLin1EEEvNS_4cuda6detail10TensorInfoIKT_T0_EEjPjjS8_iijT1_PSB_Ps.kd
    .uniform_work_group_size: 1
    .uses_dynamic_stack: false
    .vgpr_count:     16
    .vgpr_spill_count: 0
    .wavefront_size: 64
  - .agpr_count:     0
    .args:
      - .offset:         0
        .size:           216
        .value_kind:     by_value
      - .offset:         216
        .size:           4
        .value_kind:     by_value
      - .offset:         220
        .size:           4
        .value_kind:     by_value
      - .offset:         224
        .size:           1
        .value_kind:     by_value
      - .offset:         228
        .size:           4
        .value_kind:     by_value
      - .offset:         232
        .size:           4
        .value_kind:     by_value
      - .offset:         240
        .size:           216
        .value_kind:     by_value
      - .offset:         456
        .size:           4
        .value_kind:     by_value
      - .offset:         464
        .size:           216
        .value_kind:     by_value
      - .offset:         680
        .size:           4
        .value_kind:     by_value
      - .offset:         684
        .size:           4
        .value_kind:     by_value
      - .offset:         688
        .size:           4
        .value_kind:     by_value
      - .address_space:  global
        .offset:         696
        .size:           8
        .value_kind:     global_buffer
      - .address_space:  global
        .offset:         704
        .size:           8
        .value_kind:     global_buffer
      - .address_space:  global
        .offset:         712
        .size:           8
        .value_kind:     global_buffer
      - .offset:         720
        .size:           4
        .value_kind:     by_value
      - .offset:         728
        .size:           4
        .value_kind:     hidden_block_count_x
      - .offset:         732
        .size:           4
        .value_kind:     hidden_block_count_y
      - .offset:         736
        .size:           4
        .value_kind:     hidden_block_count_z
      - .offset:         740
        .size:           2
        .value_kind:     hidden_group_size_x
      - .offset:         742
        .size:           2
        .value_kind:     hidden_group_size_y
      - .offset:         744
        .size:           2
        .value_kind:     hidden_group_size_z
      - .offset:         746
        .size:           2
        .value_kind:     hidden_remainder_x
      - .offset:         748
        .size:           2
        .value_kind:     hidden_remainder_y
      - .offset:         750
        .size:           2
        .value_kind:     hidden_remainder_z
      - .offset:         768
        .size:           8
        .value_kind:     hidden_global_offset_x
      - .offset:         776
        .size:           8
        .value_kind:     hidden_global_offset_y
      - .offset:         784
        .size:           8
        .value_kind:     hidden_global_offset_z
      - .offset:         792
        .size:           2
        .value_kind:     hidden_grid_dims
    .group_segment_fixed_size: 1068
    .kernarg_segment_align: 8
    .kernarg_segment_size: 984
    .language:       OpenCL C
    .language_version:
      - 2
      - 0
    .max_flat_workgroup_size: 256
    .name:           _ZN2at6native6mbtopk10gatherTopKIljLin1EEEvNS_4cuda6detail10TensorInfoIKT_T0_EES8_S8_bjS8_NS5_IS6_S8_EES8_NS5_IlS8_EES8_jjPS6_PjSD_j
    .private_segment_fixed_size: 0
    .sgpr_count:     51
    .sgpr_spill_count: 0
    .symbol:         _ZN2at6native6mbtopk10gatherTopKIljLin1EEEvNS_4cuda6detail10TensorInfoIKT_T0_EES8_S8_bjS8_NS5_IS6_S8_EES8_NS5_IlS8_EES8_jjPS6_PjSD_j.kd
    .uniform_work_group_size: 1
    .uses_dynamic_stack: false
    .vgpr_count:     22
    .vgpr_spill_count: 0
    .wavefront_size: 64
  - .agpr_count:     0
    .args:
      - .offset:         0
        .size:           216
        .value_kind:     by_value
      - .offset:         216
        .size:           4
        .value_kind:     by_value
      - .offset:         220
        .size:           4
        .value_kind:     by_value
      - .offset:         224
        .size:           1
        .value_kind:     by_value
      - .offset:         228
        .size:           4
        .value_kind:     by_value
      - .offset:         232
        .size:           4
        .value_kind:     by_value
      - .offset:         240
        .size:           216
        .value_kind:     by_value
      - .offset:         456
        .size:           4
        .value_kind:     by_value
      - .offset:         464
        .size:           216
        .value_kind:     by_value
      - .offset:         680
        .size:           4
        .value_kind:     by_value
      - .address_space:  global
        .offset:         688
        .size:           8
        .value_kind:     global_buffer
      - .offset:         696
        .size:           4
        .value_kind:     hidden_block_count_x
      - .offset:         700
        .size:           4
        .value_kind:     hidden_block_count_y
      - .offset:         704
        .size:           4
        .value_kind:     hidden_block_count_z
      - .offset:         708
        .size:           2
        .value_kind:     hidden_group_size_x
      - .offset:         710
        .size:           2
        .value_kind:     hidden_group_size_y
      - .offset:         712
        .size:           2
        .value_kind:     hidden_group_size_z
      - .offset:         714
        .size:           2
        .value_kind:     hidden_remainder_x
      - .offset:         716
        .size:           2
        .value_kind:     hidden_remainder_y
      - .offset:         718
        .size:           2
        .value_kind:     hidden_remainder_z
      - .offset:         736
        .size:           8
        .value_kind:     hidden_global_offset_x
      - .offset:         744
        .size:           8
        .value_kind:     hidden_global_offset_y
      - .offset:         752
        .size:           8
        .value_kind:     hidden_global_offset_z
      - .offset:         760
        .size:           2
        .value_kind:     hidden_grid_dims
    .group_segment_fixed_size: 4112
    .kernarg_segment_align: 8
    .kernarg_segment_size: 952
    .language:       OpenCL C
    .language_version:
      - 2
      - 0
    .max_flat_workgroup_size: 1024
    .name:           _ZN2at6native6sbtopk10gatherTopKIljLin1ELb0EEEvNS_4cuda6detail10TensorInfoIKT_T0_EES8_S8_bS8_S8_NS5_IS6_S8_EES8_NS5_IlS8_EES8_PS6_
    .private_segment_fixed_size: 0
    .sgpr_count:     100
    .sgpr_spill_count: 75
    .symbol:         _ZN2at6native6sbtopk10gatherTopKIljLin1ELb0EEEvNS_4cuda6detail10TensorInfoIKT_T0_EES8_S8_bS8_S8_NS5_IS6_S8_EES8_NS5_IlS8_EES8_PS6_.kd
    .uniform_work_group_size: 1
    .uses_dynamic_stack: false
    .vgpr_count:     60
    .vgpr_spill_count: 0
    .wavefront_size: 64
  - .agpr_count:     0
    .args:
      - .offset:         0
        .size:           216
        .value_kind:     by_value
      - .offset:         216
        .size:           4
        .value_kind:     by_value
      - .address_space:  global
        .offset:         224
        .size:           8
        .value_kind:     global_buffer
      - .offset:         232
        .size:           4
        .value_kind:     by_value
      - .offset:         236
        .size:           4
        .value_kind:     by_value
      - .offset:         240
        .size:           4
        .value_kind:     by_value
      - .offset:         244
        .size:           4
        .value_kind:     by_value
      - .offset:         248
        .size:           4
        .value_kind:     by_value
      - .offset:         252
        .size:           4
        .value_kind:     by_value
      - .address_space:  global
        .offset:         256
        .size:           8
        .value_kind:     global_buffer
      - .address_space:  global
        .offset:         264
        .size:           8
        .value_kind:     global_buffer
      - .offset:         272
        .size:           4
        .value_kind:     hidden_block_count_x
      - .offset:         276
        .size:           4
        .value_kind:     hidden_block_count_y
      - .offset:         280
        .size:           4
        .value_kind:     hidden_block_count_z
      - .offset:         284
        .size:           2
        .value_kind:     hidden_group_size_x
      - .offset:         286
        .size:           2
        .value_kind:     hidden_group_size_y
      - .offset:         288
        .size:           2
        .value_kind:     hidden_group_size_z
      - .offset:         290
        .size:           2
        .value_kind:     hidden_remainder_x
      - .offset:         292
        .size:           2
        .value_kind:     hidden_remainder_y
      - .offset:         294
        .size:           2
        .value_kind:     hidden_remainder_z
      - .offset:         312
        .size:           8
        .value_kind:     hidden_global_offset_x
      - .offset:         320
        .size:           8
        .value_kind:     hidden_global_offset_y
      - .offset:         328
        .size:           8
        .value_kind:     hidden_global_offset_z
      - .offset:         336
        .size:           2
        .value_kind:     hidden_grid_dims
    .group_segment_fixed_size: 1024
    .kernarg_segment_align: 8
    .kernarg_segment_size: 528
    .language:       OpenCL C
    .language_version:
      - 2
      - 0
    .max_flat_workgroup_size: 256
    .name:           _ZN2at6native6mbtopk23computeBlockDigitCountsIsjjLi1EEEvNS_4cuda6detail10TensorInfoIKT_T0_EEjPjjS8_iijT1_PSB_Ps
    .private_segment_fixed_size: 0
    .sgpr_count:     24
    .sgpr_spill_count: 0
    .symbol:         _ZN2at6native6mbtopk23computeBlockDigitCountsIsjjLi1EEEvNS_4cuda6detail10TensorInfoIKT_T0_EEjPjjS8_iijT1_PSB_Ps.kd
    .uniform_work_group_size: 1
    .uses_dynamic_stack: false
    .vgpr_count:     12
    .vgpr_spill_count: 0
    .wavefront_size: 64
  - .agpr_count:     0
    .args:
      - .address_space:  global
        .offset:         0
        .size:           8
        .value_kind:     global_buffer
      - .address_space:  global
        .offset:         8
        .size:           8
        .value_kind:     global_buffer
      - .address_space:  global
        .offset:         16
        .size:           8
        .value_kind:     global_buffer
      - .offset:         24
        .size:           4
        .value_kind:     by_value
      - .offset:         28
        .size:           4
        .value_kind:     by_value
      - .offset:         32
        .size:           1
        .value_kind:     by_value
      - .address_space:  global
        .offset:         40
        .size:           8
        .value_kind:     global_buffer
      - .address_space:  global
        .offset:         48
        .size:           8
        .value_kind:     global_buffer
      - .address_space:  global
        .offset:         56
        .size:           8
        .value_kind:     global_buffer
      - .address_space:  global
        .offset:         64
        .size:           8
        .value_kind:     global_buffer
      - .address_space:  global
        .offset:         72
        .size:           8
        .value_kind:     global_buffer
      - .offset:         80
        .size:           4
        .value_kind:     by_value
      - .offset:         88
        .size:           4
        .value_kind:     hidden_block_count_x
      - .offset:         92
        .size:           4
        .value_kind:     hidden_block_count_y
      - .offset:         96
        .size:           4
        .value_kind:     hidden_block_count_z
      - .offset:         100
        .size:           2
        .value_kind:     hidden_group_size_x
      - .offset:         102
        .size:           2
        .value_kind:     hidden_group_size_y
      - .offset:         104
        .size:           2
        .value_kind:     hidden_group_size_z
      - .offset:         106
        .size:           2
        .value_kind:     hidden_remainder_x
      - .offset:         108
        .size:           2
        .value_kind:     hidden_remainder_y
      - .offset:         110
        .size:           2
        .value_kind:     hidden_remainder_z
      - .offset:         128
        .size:           8
        .value_kind:     hidden_global_offset_x
      - .offset:         136
        .size:           8
        .value_kind:     hidden_global_offset_y
      - .offset:         144
        .size:           8
        .value_kind:     hidden_global_offset_z
      - .offset:         152
        .size:           2
        .value_kind:     hidden_grid_dims
    .group_segment_fixed_size: 2100
    .kernarg_segment_align: 8
    .kernarg_segment_size: 344
    .language:       OpenCL C
    .language_version:
      - 2
      - 0
    .max_flat_workgroup_size: 256
    .name:           _ZN2at6native6mbtopk29computeBlockwiseWithinKCountsIjsEEvPT_PsPjjibS6_PT0_S6_S4_S6_j
    .private_segment_fixed_size: 0
    .sgpr_count:     34
    .sgpr_spill_count: 0
    .symbol:         _ZN2at6native6mbtopk29computeBlockwiseWithinKCountsIjsEEvPT_PsPjjibS6_PT0_S6_S4_S6_j.kd
    .uniform_work_group_size: 1
    .uses_dynamic_stack: false
    .vgpr_count:     15
    .vgpr_spill_count: 0
    .wavefront_size: 64
  - .agpr_count:     0
    .args:
      - .offset:         0
        .size:           216
        .value_kind:     by_value
      - .offset:         216
        .size:           4
        .value_kind:     by_value
      - .offset:         220
        .size:           4
        .value_kind:     by_value
      - .offset:         224
        .size:           1
        .value_kind:     by_value
      - .offset:         228
        .size:           4
        .value_kind:     by_value
      - .offset:         232
        .size:           4
        .value_kind:     by_value
      - .offset:         240
        .size:           216
        .value_kind:     by_value
      - .offset:         456
        .size:           4
        .value_kind:     by_value
      - .offset:         464
        .size:           216
        .value_kind:     by_value
      - .offset:         680
        .size:           4
        .value_kind:     by_value
      - .offset:         684
        .size:           4
        .value_kind:     by_value
      - .offset:         688
        .size:           4
        .value_kind:     by_value
      - .address_space:  global
        .offset:         696
        .size:           8
        .value_kind:     global_buffer
      - .address_space:  global
        .offset:         704
        .size:           8
        .value_kind:     global_buffer
      - .address_space:  global
        .offset:         712
        .size:           8
        .value_kind:     global_buffer
      - .offset:         720
        .size:           4
        .value_kind:     by_value
      - .offset:         728
        .size:           4
        .value_kind:     hidden_block_count_x
      - .offset:         732
        .size:           4
        .value_kind:     hidden_block_count_y
      - .offset:         736
        .size:           4
        .value_kind:     hidden_block_count_z
      - .offset:         740
        .size:           2
        .value_kind:     hidden_group_size_x
      - .offset:         742
        .size:           2
        .value_kind:     hidden_group_size_y
      - .offset:         744
        .size:           2
        .value_kind:     hidden_group_size_z
      - .offset:         746
        .size:           2
        .value_kind:     hidden_remainder_x
      - .offset:         748
        .size:           2
        .value_kind:     hidden_remainder_y
      - .offset:         750
        .size:           2
        .value_kind:     hidden_remainder_z
      - .offset:         768
        .size:           8
        .value_kind:     hidden_global_offset_x
      - .offset:         776
        .size:           8
        .value_kind:     hidden_global_offset_y
      - .offset:         784
        .size:           8
        .value_kind:     hidden_global_offset_z
      - .offset:         792
        .size:           2
        .value_kind:     hidden_grid_dims
    .group_segment_fixed_size: 1068
    .kernarg_segment_align: 8
    .kernarg_segment_size: 984
    .language:       OpenCL C
    .language_version:
      - 2
      - 0
    .max_flat_workgroup_size: 256
    .name:           _ZN2at6native6mbtopk10gatherTopKIsjLi1EEEvNS_4cuda6detail10TensorInfoIKT_T0_EES8_S8_bjS8_NS5_IS6_S8_EES8_NS5_IlS8_EES8_jjPS6_PjSD_j
    .private_segment_fixed_size: 0
    .sgpr_count:     42
    .sgpr_spill_count: 0
    .symbol:         _ZN2at6native6mbtopk10gatherTopKIsjLi1EEEvNS_4cuda6detail10TensorInfoIKT_T0_EES8_S8_bjS8_NS5_IS6_S8_EES8_NS5_IlS8_EES8_jjPS6_PjSD_j.kd
    .uniform_work_group_size: 1
    .uses_dynamic_stack: false
    .vgpr_count:     24
    .vgpr_spill_count: 0
    .wavefront_size: 64
  - .agpr_count:     0
    .args:
      - .offset:         0
        .size:           216
        .value_kind:     by_value
      - .offset:         216
        .size:           4
        .value_kind:     by_value
      - .offset:         220
        .size:           4
        .value_kind:     by_value
      - .offset:         224
        .size:           1
        .value_kind:     by_value
      - .offset:         228
        .size:           4
        .value_kind:     by_value
      - .offset:         232
        .size:           4
        .value_kind:     by_value
      - .offset:         240
        .size:           216
        .value_kind:     by_value
      - .offset:         456
        .size:           4
        .value_kind:     by_value
      - .offset:         464
        .size:           216
        .value_kind:     by_value
      - .offset:         680
        .size:           4
        .value_kind:     by_value
      - .address_space:  global
        .offset:         688
        .size:           8
        .value_kind:     global_buffer
      - .offset:         696
        .size:           4
        .value_kind:     hidden_block_count_x
      - .offset:         700
        .size:           4
        .value_kind:     hidden_block_count_y
      - .offset:         704
        .size:           4
        .value_kind:     hidden_block_count_z
      - .offset:         708
        .size:           2
        .value_kind:     hidden_group_size_x
      - .offset:         710
        .size:           2
        .value_kind:     hidden_group_size_y
      - .offset:         712
        .size:           2
        .value_kind:     hidden_group_size_z
      - .offset:         714
        .size:           2
        .value_kind:     hidden_remainder_x
      - .offset:         716
        .size:           2
        .value_kind:     hidden_remainder_y
      - .offset:         718
        .size:           2
        .value_kind:     hidden_remainder_z
      - .offset:         736
        .size:           8
        .value_kind:     hidden_global_offset_x
      - .offset:         744
        .size:           8
        .value_kind:     hidden_global_offset_y
      - .offset:         752
        .size:           8
        .value_kind:     hidden_global_offset_z
      - .offset:         760
        .size:           2
        .value_kind:     hidden_grid_dims
    .group_segment_fixed_size: 4112
    .kernarg_segment_align: 8
    .kernarg_segment_size: 952
    .language:       OpenCL C
    .language_version:
      - 2
      - 0
    .max_flat_workgroup_size: 1024
    .name:           _ZN2at6native6sbtopk10gatherTopKIsjLi1ELb0EEEvNS_4cuda6detail10TensorInfoIKT_T0_EES8_S8_bS8_S8_NS5_IS6_S8_EES8_NS5_IlS8_EES8_PS6_
    .private_segment_fixed_size: 0
    .sgpr_count:     100
    .sgpr_spill_count: 61
    .symbol:         _ZN2at6native6sbtopk10gatherTopKIsjLi1ELb0EEEvNS_4cuda6detail10TensorInfoIKT_T0_EES8_S8_bS8_S8_NS5_IS6_S8_EES8_NS5_IlS8_EES8_PS6_.kd
    .uniform_work_group_size: 1
    .uses_dynamic_stack: false
    .vgpr_count:     53
    .vgpr_spill_count: 0
    .wavefront_size: 64
  - .agpr_count:     0
    .args:
      - .offset:         0
        .size:           216
        .value_kind:     by_value
      - .offset:         216
        .size:           4
        .value_kind:     by_value
      - .address_space:  global
        .offset:         224
        .size:           8
        .value_kind:     global_buffer
      - .offset:         232
        .size:           4
        .value_kind:     by_value
      - .offset:         236
        .size:           4
        .value_kind:     by_value
      - .offset:         240
        .size:           4
        .value_kind:     by_value
      - .offset:         244
        .size:           4
        .value_kind:     by_value
      - .offset:         248
        .size:           4
        .value_kind:     by_value
      - .offset:         252
        .size:           4
        .value_kind:     by_value
      - .address_space:  global
        .offset:         256
        .size:           8
        .value_kind:     global_buffer
      - .address_space:  global
        .offset:         264
        .size:           8
        .value_kind:     global_buffer
      - .offset:         272
        .size:           4
        .value_kind:     hidden_block_count_x
      - .offset:         276
        .size:           4
        .value_kind:     hidden_block_count_y
      - .offset:         280
        .size:           4
        .value_kind:     hidden_block_count_z
      - .offset:         284
        .size:           2
        .value_kind:     hidden_group_size_x
      - .offset:         286
        .size:           2
        .value_kind:     hidden_group_size_y
      - .offset:         288
        .size:           2
        .value_kind:     hidden_group_size_z
      - .offset:         290
        .size:           2
        .value_kind:     hidden_remainder_x
      - .offset:         292
        .size:           2
        .value_kind:     hidden_remainder_y
      - .offset:         294
        .size:           2
        .value_kind:     hidden_remainder_z
      - .offset:         312
        .size:           8
        .value_kind:     hidden_global_offset_x
      - .offset:         320
        .size:           8
        .value_kind:     hidden_global_offset_y
      - .offset:         328
        .size:           8
        .value_kind:     hidden_global_offset_z
      - .offset:         336
        .size:           2
        .value_kind:     hidden_grid_dims
    .group_segment_fixed_size: 1024
    .kernarg_segment_align: 8
    .kernarg_segment_size: 528
    .language:       OpenCL C
    .language_version:
      - 2
      - 0
    .max_flat_workgroup_size: 256
    .name:           _ZN2at6native6mbtopk23computeBlockDigitCountsIsjjLi2EEEvNS_4cuda6detail10TensorInfoIKT_T0_EEjPjjS8_iijT1_PSB_Ps
    .private_segment_fixed_size: 0
    .sgpr_count:     26
    .sgpr_spill_count: 0
    .symbol:         _ZN2at6native6mbtopk23computeBlockDigitCountsIsjjLi2EEEvNS_4cuda6detail10TensorInfoIKT_T0_EEjPjjS8_iijT1_PSB_Ps.kd
    .uniform_work_group_size: 1
    .uses_dynamic_stack: false
    .vgpr_count:     12
    .vgpr_spill_count: 0
    .wavefront_size: 64
  - .agpr_count:     0
    .args:
      - .offset:         0
        .size:           216
        .value_kind:     by_value
      - .offset:         216
        .size:           4
        .value_kind:     by_value
      - .offset:         220
        .size:           4
        .value_kind:     by_value
      - .offset:         224
        .size:           1
        .value_kind:     by_value
      - .offset:         228
        .size:           4
        .value_kind:     by_value
      - .offset:         232
        .size:           4
        .value_kind:     by_value
      - .offset:         240
        .size:           216
        .value_kind:     by_value
      - .offset:         456
        .size:           4
        .value_kind:     by_value
      - .offset:         464
        .size:           216
        .value_kind:     by_value
      - .offset:         680
        .size:           4
        .value_kind:     by_value
      - .offset:         684
        .size:           4
        .value_kind:     by_value
      - .offset:         688
        .size:           4
        .value_kind:     by_value
      - .address_space:  global
        .offset:         696
        .size:           8
        .value_kind:     global_buffer
      - .address_space:  global
        .offset:         704
        .size:           8
        .value_kind:     global_buffer
      - .address_space:  global
        .offset:         712
        .size:           8
        .value_kind:     global_buffer
      - .offset:         720
        .size:           4
        .value_kind:     by_value
      - .offset:         728
        .size:           4
        .value_kind:     hidden_block_count_x
      - .offset:         732
        .size:           4
        .value_kind:     hidden_block_count_y
      - .offset:         736
        .size:           4
        .value_kind:     hidden_block_count_z
      - .offset:         740
        .size:           2
        .value_kind:     hidden_group_size_x
      - .offset:         742
        .size:           2
        .value_kind:     hidden_group_size_y
      - .offset:         744
        .size:           2
        .value_kind:     hidden_group_size_z
      - .offset:         746
        .size:           2
        .value_kind:     hidden_remainder_x
      - .offset:         748
        .size:           2
        .value_kind:     hidden_remainder_y
      - .offset:         750
        .size:           2
        .value_kind:     hidden_remainder_z
      - .offset:         768
        .size:           8
        .value_kind:     hidden_global_offset_x
      - .offset:         776
        .size:           8
        .value_kind:     hidden_global_offset_y
      - .offset:         784
        .size:           8
        .value_kind:     hidden_global_offset_z
      - .offset:         792
        .size:           2
        .value_kind:     hidden_grid_dims
    .group_segment_fixed_size: 1068
    .kernarg_segment_align: 8
    .kernarg_segment_size: 984
    .language:       OpenCL C
    .language_version:
      - 2
      - 0
    .max_flat_workgroup_size: 256
    .name:           _ZN2at6native6mbtopk10gatherTopKIsjLi2EEEvNS_4cuda6detail10TensorInfoIKT_T0_EES8_S8_bjS8_NS5_IS6_S8_EES8_NS5_IlS8_EES8_jjPS6_PjSD_j
    .private_segment_fixed_size: 0
    .sgpr_count:     54
    .sgpr_spill_count: 0
    .symbol:         _ZN2at6native6mbtopk10gatherTopKIsjLi2EEEvNS_4cuda6detail10TensorInfoIKT_T0_EES8_S8_bjS8_NS5_IS6_S8_EES8_NS5_IlS8_EES8_jjPS6_PjSD_j.kd
    .uniform_work_group_size: 1
    .uses_dynamic_stack: false
    .vgpr_count:     24
    .vgpr_spill_count: 0
    .wavefront_size: 64
  - .agpr_count:     0
    .args:
      - .offset:         0
        .size:           216
        .value_kind:     by_value
      - .offset:         216
        .size:           4
        .value_kind:     by_value
      - .offset:         220
        .size:           4
        .value_kind:     by_value
      - .offset:         224
        .size:           1
        .value_kind:     by_value
      - .offset:         228
        .size:           4
        .value_kind:     by_value
      - .offset:         232
        .size:           4
        .value_kind:     by_value
      - .offset:         240
        .size:           216
        .value_kind:     by_value
      - .offset:         456
        .size:           4
        .value_kind:     by_value
      - .offset:         464
        .size:           216
        .value_kind:     by_value
      - .offset:         680
        .size:           4
        .value_kind:     by_value
      - .address_space:  global
        .offset:         688
        .size:           8
        .value_kind:     global_buffer
      - .offset:         696
        .size:           4
        .value_kind:     hidden_block_count_x
      - .offset:         700
        .size:           4
        .value_kind:     hidden_block_count_y
      - .offset:         704
        .size:           4
        .value_kind:     hidden_block_count_z
      - .offset:         708
        .size:           2
        .value_kind:     hidden_group_size_x
      - .offset:         710
        .size:           2
        .value_kind:     hidden_group_size_y
      - .offset:         712
        .size:           2
        .value_kind:     hidden_group_size_z
      - .offset:         714
        .size:           2
        .value_kind:     hidden_remainder_x
      - .offset:         716
        .size:           2
        .value_kind:     hidden_remainder_y
      - .offset:         718
        .size:           2
        .value_kind:     hidden_remainder_z
      - .offset:         736
        .size:           8
        .value_kind:     hidden_global_offset_x
      - .offset:         744
        .size:           8
        .value_kind:     hidden_global_offset_y
      - .offset:         752
        .size:           8
        .value_kind:     hidden_global_offset_z
      - .offset:         760
        .size:           2
        .value_kind:     hidden_grid_dims
    .group_segment_fixed_size: 4112
    .kernarg_segment_align: 8
    .kernarg_segment_size: 952
    .language:       OpenCL C
    .language_version:
      - 2
      - 0
    .max_flat_workgroup_size: 1024
    .name:           _ZN2at6native6sbtopk10gatherTopKIsjLi2ELb0EEEvNS_4cuda6detail10TensorInfoIKT_T0_EES8_S8_bS8_S8_NS5_IS6_S8_EES8_NS5_IlS8_EES8_PS6_
    .private_segment_fixed_size: 0
    .sgpr_count:     100
    .sgpr_spill_count: 67
    .symbol:         _ZN2at6native6sbtopk10gatherTopKIsjLi2ELb0EEEvNS_4cuda6detail10TensorInfoIKT_T0_EES8_S8_bS8_S8_NS5_IS6_S8_EES8_NS5_IlS8_EES8_PS6_.kd
    .uniform_work_group_size: 1
    .uses_dynamic_stack: false
    .vgpr_count:     53
    .vgpr_spill_count: 0
    .wavefront_size: 64
  - .agpr_count:     0
    .args:
      - .offset:         0
        .size:           216
        .value_kind:     by_value
      - .offset:         216
        .size:           4
        .value_kind:     by_value
      - .address_space:  global
        .offset:         224
        .size:           8
        .value_kind:     global_buffer
      - .offset:         232
        .size:           4
        .value_kind:     by_value
      - .offset:         236
        .size:           4
        .value_kind:     by_value
      - .offset:         240
        .size:           4
        .value_kind:     by_value
      - .offset:         244
        .size:           4
        .value_kind:     by_value
      - .offset:         248
        .size:           4
        .value_kind:     by_value
      - .offset:         252
        .size:           4
        .value_kind:     by_value
      - .address_space:  global
        .offset:         256
        .size:           8
        .value_kind:     global_buffer
      - .address_space:  global
        .offset:         264
        .size:           8
        .value_kind:     global_buffer
      - .offset:         272
        .size:           4
        .value_kind:     hidden_block_count_x
      - .offset:         276
        .size:           4
        .value_kind:     hidden_block_count_y
      - .offset:         280
        .size:           4
        .value_kind:     hidden_block_count_z
      - .offset:         284
        .size:           2
        .value_kind:     hidden_group_size_x
      - .offset:         286
        .size:           2
        .value_kind:     hidden_group_size_y
      - .offset:         288
        .size:           2
        .value_kind:     hidden_group_size_z
      - .offset:         290
        .size:           2
        .value_kind:     hidden_remainder_x
      - .offset:         292
        .size:           2
        .value_kind:     hidden_remainder_y
      - .offset:         294
        .size:           2
        .value_kind:     hidden_remainder_z
      - .offset:         312
        .size:           8
        .value_kind:     hidden_global_offset_x
      - .offset:         320
        .size:           8
        .value_kind:     hidden_global_offset_y
      - .offset:         328
        .size:           8
        .value_kind:     hidden_global_offset_z
      - .offset:         336
        .size:           2
        .value_kind:     hidden_grid_dims
    .group_segment_fixed_size: 1024
    .kernarg_segment_align: 8
    .kernarg_segment_size: 528
    .language:       OpenCL C
    .language_version:
      - 2
      - 0
    .max_flat_workgroup_size: 256
    .name:           _ZN2at6native6mbtopk23computeBlockDigitCountsIsjjLi3EEEvNS_4cuda6detail10TensorInfoIKT_T0_EEjPjjS8_iijT1_PSB_Ps
    .private_segment_fixed_size: 0
    .sgpr_count:     30
    .sgpr_spill_count: 0
    .symbol:         _ZN2at6native6mbtopk23computeBlockDigitCountsIsjjLi3EEEvNS_4cuda6detail10TensorInfoIKT_T0_EEjPjjS8_iijT1_PSB_Ps.kd
    .uniform_work_group_size: 1
    .uses_dynamic_stack: false
    .vgpr_count:     12
    .vgpr_spill_count: 0
    .wavefront_size: 64
  - .agpr_count:     0
    .args:
      - .offset:         0
        .size:           216
        .value_kind:     by_value
      - .offset:         216
        .size:           4
        .value_kind:     by_value
      - .offset:         220
        .size:           4
        .value_kind:     by_value
      - .offset:         224
        .size:           1
        .value_kind:     by_value
      - .offset:         228
        .size:           4
        .value_kind:     by_value
      - .offset:         232
        .size:           4
        .value_kind:     by_value
      - .offset:         240
        .size:           216
        .value_kind:     by_value
      - .offset:         456
        .size:           4
        .value_kind:     by_value
      - .offset:         464
        .size:           216
        .value_kind:     by_value
      - .offset:         680
        .size:           4
        .value_kind:     by_value
      - .offset:         684
        .size:           4
        .value_kind:     by_value
      - .offset:         688
        .size:           4
        .value_kind:     by_value
      - .address_space:  global
        .offset:         696
        .size:           8
        .value_kind:     global_buffer
      - .address_space:  global
        .offset:         704
        .size:           8
        .value_kind:     global_buffer
      - .address_space:  global
        .offset:         712
        .size:           8
        .value_kind:     global_buffer
      - .offset:         720
        .size:           4
        .value_kind:     by_value
      - .offset:         728
        .size:           4
        .value_kind:     hidden_block_count_x
      - .offset:         732
        .size:           4
        .value_kind:     hidden_block_count_y
      - .offset:         736
        .size:           4
        .value_kind:     hidden_block_count_z
      - .offset:         740
        .size:           2
        .value_kind:     hidden_group_size_x
      - .offset:         742
        .size:           2
        .value_kind:     hidden_group_size_y
      - .offset:         744
        .size:           2
        .value_kind:     hidden_group_size_z
      - .offset:         746
        .size:           2
        .value_kind:     hidden_remainder_x
      - .offset:         748
        .size:           2
        .value_kind:     hidden_remainder_y
      - .offset:         750
        .size:           2
        .value_kind:     hidden_remainder_z
      - .offset:         768
        .size:           8
        .value_kind:     hidden_global_offset_x
      - .offset:         776
        .size:           8
        .value_kind:     hidden_global_offset_y
      - .offset:         784
        .size:           8
        .value_kind:     hidden_global_offset_z
      - .offset:         792
        .size:           2
        .value_kind:     hidden_grid_dims
    .group_segment_fixed_size: 1068
    .kernarg_segment_align: 8
    .kernarg_segment_size: 984
    .language:       OpenCL C
    .language_version:
      - 2
      - 0
    .max_flat_workgroup_size: 256
    .name:           _ZN2at6native6mbtopk10gatherTopKIsjLi3EEEvNS_4cuda6detail10TensorInfoIKT_T0_EES8_S8_bjS8_NS5_IS6_S8_EES8_NS5_IlS8_EES8_jjPS6_PjSD_j
    .private_segment_fixed_size: 0
    .sgpr_count:     63
    .sgpr_spill_count: 0
    .symbol:         _ZN2at6native6mbtopk10gatherTopKIsjLi3EEEvNS_4cuda6detail10TensorInfoIKT_T0_EES8_S8_bjS8_NS5_IS6_S8_EES8_NS5_IlS8_EES8_jjPS6_PjSD_j.kd
    .uniform_work_group_size: 1
    .uses_dynamic_stack: false
    .vgpr_count:     24
    .vgpr_spill_count: 0
    .wavefront_size: 64
  - .agpr_count:     0
    .args:
      - .offset:         0
        .size:           216
        .value_kind:     by_value
      - .offset:         216
        .size:           4
        .value_kind:     by_value
      - .offset:         220
        .size:           4
        .value_kind:     by_value
      - .offset:         224
        .size:           1
        .value_kind:     by_value
      - .offset:         228
        .size:           4
        .value_kind:     by_value
      - .offset:         232
        .size:           4
        .value_kind:     by_value
      - .offset:         240
        .size:           216
        .value_kind:     by_value
      - .offset:         456
        .size:           4
        .value_kind:     by_value
      - .offset:         464
        .size:           216
        .value_kind:     by_value
      - .offset:         680
        .size:           4
        .value_kind:     by_value
      - .address_space:  global
        .offset:         688
        .size:           8
        .value_kind:     global_buffer
      - .offset:         696
        .size:           4
        .value_kind:     hidden_block_count_x
      - .offset:         700
        .size:           4
        .value_kind:     hidden_block_count_y
      - .offset:         704
        .size:           4
        .value_kind:     hidden_block_count_z
      - .offset:         708
        .size:           2
        .value_kind:     hidden_group_size_x
      - .offset:         710
        .size:           2
        .value_kind:     hidden_group_size_y
      - .offset:         712
        .size:           2
        .value_kind:     hidden_group_size_z
      - .offset:         714
        .size:           2
        .value_kind:     hidden_remainder_x
      - .offset:         716
        .size:           2
        .value_kind:     hidden_remainder_y
      - .offset:         718
        .size:           2
        .value_kind:     hidden_remainder_z
      - .offset:         736
        .size:           8
        .value_kind:     hidden_global_offset_x
      - .offset:         744
        .size:           8
        .value_kind:     hidden_global_offset_y
      - .offset:         752
        .size:           8
        .value_kind:     hidden_global_offset_z
      - .offset:         760
        .size:           2
        .value_kind:     hidden_grid_dims
    .group_segment_fixed_size: 4112
    .kernarg_segment_align: 8
    .kernarg_segment_size: 952
    .language:       OpenCL C
    .language_version:
      - 2
      - 0
    .max_flat_workgroup_size: 1024
    .name:           _ZN2at6native6sbtopk10gatherTopKIsjLi3ELb0EEEvNS_4cuda6detail10TensorInfoIKT_T0_EES8_S8_bS8_S8_NS5_IS6_S8_EES8_NS5_IlS8_EES8_PS6_
    .private_segment_fixed_size: 0
    .sgpr_count:     100
    .sgpr_spill_count: 75
    .symbol:         _ZN2at6native6sbtopk10gatherTopKIsjLi3ELb0EEEvNS_4cuda6detail10TensorInfoIKT_T0_EES8_S8_bS8_S8_NS5_IS6_S8_EES8_NS5_IlS8_EES8_PS6_.kd
    .uniform_work_group_size: 1
    .uses_dynamic_stack: false
    .vgpr_count:     54
    .vgpr_spill_count: 0
    .wavefront_size: 64
  - .agpr_count:     0
    .args:
      - .offset:         0
        .size:           216
        .value_kind:     by_value
      - .offset:         216
        .size:           4
        .value_kind:     by_value
      - .address_space:  global
        .offset:         224
        .size:           8
        .value_kind:     global_buffer
      - .offset:         232
        .size:           4
        .value_kind:     by_value
      - .offset:         236
        .size:           4
        .value_kind:     by_value
      - .offset:         240
        .size:           4
        .value_kind:     by_value
      - .offset:         244
        .size:           4
        .value_kind:     by_value
      - .offset:         248
        .size:           4
        .value_kind:     by_value
      - .offset:         252
        .size:           4
        .value_kind:     by_value
      - .address_space:  global
        .offset:         256
        .size:           8
        .value_kind:     global_buffer
      - .address_space:  global
        .offset:         264
        .size:           8
        .value_kind:     global_buffer
      - .offset:         272
        .size:           4
        .value_kind:     hidden_block_count_x
      - .offset:         276
        .size:           4
        .value_kind:     hidden_block_count_y
      - .offset:         280
        .size:           4
        .value_kind:     hidden_block_count_z
      - .offset:         284
        .size:           2
        .value_kind:     hidden_group_size_x
      - .offset:         286
        .size:           2
        .value_kind:     hidden_group_size_y
      - .offset:         288
        .size:           2
        .value_kind:     hidden_group_size_z
      - .offset:         290
        .size:           2
        .value_kind:     hidden_remainder_x
      - .offset:         292
        .size:           2
        .value_kind:     hidden_remainder_y
      - .offset:         294
        .size:           2
        .value_kind:     hidden_remainder_z
      - .offset:         312
        .size:           8
        .value_kind:     hidden_global_offset_x
      - .offset:         320
        .size:           8
        .value_kind:     hidden_global_offset_y
      - .offset:         328
        .size:           8
        .value_kind:     hidden_global_offset_z
      - .offset:         336
        .size:           2
        .value_kind:     hidden_grid_dims
    .group_segment_fixed_size: 1024
    .kernarg_segment_align: 8
    .kernarg_segment_size: 528
    .language:       OpenCL C
    .language_version:
      - 2
      - 0
    .max_flat_workgroup_size: 256
    .name:           _ZN2at6native6mbtopk23computeBlockDigitCountsIsjjLin1EEEvNS_4cuda6detail10TensorInfoIKT_T0_EEjPjjS8_iijT1_PSB_Ps
    .private_segment_fixed_size: 0
    .sgpr_count:     28
    .sgpr_spill_count: 0
    .symbol:         _ZN2at6native6mbtopk23computeBlockDigitCountsIsjjLin1EEEvNS_4cuda6detail10TensorInfoIKT_T0_EEjPjjS8_iijT1_PSB_Ps.kd
    .uniform_work_group_size: 1
    .uses_dynamic_stack: false
    .vgpr_count:     12
    .vgpr_spill_count: 0
    .wavefront_size: 64
  - .agpr_count:     0
    .args:
      - .offset:         0
        .size:           216
        .value_kind:     by_value
      - .offset:         216
        .size:           4
        .value_kind:     by_value
      - .offset:         220
        .size:           4
        .value_kind:     by_value
      - .offset:         224
        .size:           1
        .value_kind:     by_value
      - .offset:         228
        .size:           4
        .value_kind:     by_value
      - .offset:         232
        .size:           4
        .value_kind:     by_value
      - .offset:         240
        .size:           216
        .value_kind:     by_value
      - .offset:         456
        .size:           4
        .value_kind:     by_value
      - .offset:         464
        .size:           216
        .value_kind:     by_value
      - .offset:         680
        .size:           4
        .value_kind:     by_value
      - .offset:         684
        .size:           4
        .value_kind:     by_value
      - .offset:         688
        .size:           4
        .value_kind:     by_value
      - .address_space:  global
        .offset:         696
        .size:           8
        .value_kind:     global_buffer
      - .address_space:  global
        .offset:         704
        .size:           8
        .value_kind:     global_buffer
      - .address_space:  global
        .offset:         712
        .size:           8
        .value_kind:     global_buffer
      - .offset:         720
        .size:           4
        .value_kind:     by_value
      - .offset:         728
        .size:           4
        .value_kind:     hidden_block_count_x
      - .offset:         732
        .size:           4
        .value_kind:     hidden_block_count_y
      - .offset:         736
        .size:           4
        .value_kind:     hidden_block_count_z
      - .offset:         740
        .size:           2
        .value_kind:     hidden_group_size_x
      - .offset:         742
        .size:           2
        .value_kind:     hidden_group_size_y
      - .offset:         744
        .size:           2
        .value_kind:     hidden_group_size_z
      - .offset:         746
        .size:           2
        .value_kind:     hidden_remainder_x
      - .offset:         748
        .size:           2
        .value_kind:     hidden_remainder_y
      - .offset:         750
        .size:           2
        .value_kind:     hidden_remainder_z
      - .offset:         768
        .size:           8
        .value_kind:     hidden_global_offset_x
      - .offset:         776
        .size:           8
        .value_kind:     hidden_global_offset_y
      - .offset:         784
        .size:           8
        .value_kind:     hidden_global_offset_z
      - .offset:         792
        .size:           2
        .value_kind:     hidden_grid_dims
    .group_segment_fixed_size: 1068
    .kernarg_segment_align: 8
    .kernarg_segment_size: 984
    .language:       OpenCL C
    .language_version:
      - 2
      - 0
    .max_flat_workgroup_size: 256
    .name:           _ZN2at6native6mbtopk10gatherTopKIsjLin1EEEvNS_4cuda6detail10TensorInfoIKT_T0_EES8_S8_bjS8_NS5_IS6_S8_EES8_NS5_IlS8_EES8_jjPS6_PjSD_j
    .private_segment_fixed_size: 0
    .sgpr_count:     49
    .sgpr_spill_count: 0
    .symbol:         _ZN2at6native6mbtopk10gatherTopKIsjLin1EEEvNS_4cuda6detail10TensorInfoIKT_T0_EES8_S8_bjS8_NS5_IS6_S8_EES8_NS5_IlS8_EES8_jjPS6_PjSD_j.kd
    .uniform_work_group_size: 1
    .uses_dynamic_stack: false
    .vgpr_count:     24
    .vgpr_spill_count: 0
    .wavefront_size: 64
  - .agpr_count:     0
    .args:
      - .offset:         0
        .size:           216
        .value_kind:     by_value
      - .offset:         216
        .size:           4
        .value_kind:     by_value
      - .offset:         220
        .size:           4
        .value_kind:     by_value
      - .offset:         224
        .size:           1
        .value_kind:     by_value
      - .offset:         228
        .size:           4
        .value_kind:     by_value
      - .offset:         232
        .size:           4
        .value_kind:     by_value
      - .offset:         240
        .size:           216
        .value_kind:     by_value
      - .offset:         456
        .size:           4
        .value_kind:     by_value
      - .offset:         464
        .size:           216
        .value_kind:     by_value
      - .offset:         680
        .size:           4
        .value_kind:     by_value
      - .address_space:  global
        .offset:         688
        .size:           8
        .value_kind:     global_buffer
      - .offset:         696
        .size:           4
        .value_kind:     hidden_block_count_x
      - .offset:         700
        .size:           4
        .value_kind:     hidden_block_count_y
      - .offset:         704
        .size:           4
        .value_kind:     hidden_block_count_z
      - .offset:         708
        .size:           2
        .value_kind:     hidden_group_size_x
      - .offset:         710
        .size:           2
        .value_kind:     hidden_group_size_y
      - .offset:         712
        .size:           2
        .value_kind:     hidden_group_size_z
      - .offset:         714
        .size:           2
        .value_kind:     hidden_remainder_x
      - .offset:         716
        .size:           2
        .value_kind:     hidden_remainder_y
      - .offset:         718
        .size:           2
        .value_kind:     hidden_remainder_z
      - .offset:         736
        .size:           8
        .value_kind:     hidden_global_offset_x
      - .offset:         744
        .size:           8
        .value_kind:     hidden_global_offset_y
      - .offset:         752
        .size:           8
        .value_kind:     hidden_global_offset_z
      - .offset:         760
        .size:           2
        .value_kind:     hidden_grid_dims
    .group_segment_fixed_size: 4112
    .kernarg_segment_align: 8
    .kernarg_segment_size: 952
    .language:       OpenCL C
    .language_version:
      - 2
      - 0
    .max_flat_workgroup_size: 1024
    .name:           _ZN2at6native6sbtopk10gatherTopKIsjLin1ELb0EEEvNS_4cuda6detail10TensorInfoIKT_T0_EES8_S8_bS8_S8_NS5_IS6_S8_EES8_NS5_IlS8_EES8_PS6_
    .private_segment_fixed_size: 0
    .sgpr_count:     100
    .sgpr_spill_count: 72
    .symbol:         _ZN2at6native6sbtopk10gatherTopKIsjLin1ELb0EEEvNS_4cuda6detail10TensorInfoIKT_T0_EES8_S8_bS8_S8_NS5_IS6_S8_EES8_NS5_IlS8_EES8_PS6_.kd
    .uniform_work_group_size: 1
    .uses_dynamic_stack: false
    .vgpr_count:     53
    .vgpr_spill_count: 0
    .wavefront_size: 64
  - .agpr_count:     0
    .args:
      - .offset:         0
        .size:           216
        .value_kind:     by_value
      - .offset:         216
        .size:           4
        .value_kind:     by_value
      - .address_space:  global
        .offset:         224
        .size:           8
        .value_kind:     global_buffer
      - .offset:         232
        .size:           4
        .value_kind:     by_value
      - .offset:         236
        .size:           4
        .value_kind:     by_value
      - .offset:         240
        .size:           4
        .value_kind:     by_value
      - .offset:         244
        .size:           4
        .value_kind:     by_value
      - .offset:         248
        .size:           4
        .value_kind:     by_value
      - .offset:         256
        .size:           8
        .value_kind:     by_value
      - .address_space:  global
        .offset:         264
        .size:           8
        .value_kind:     global_buffer
      - .address_space:  global
        .offset:         272
        .size:           8
        .value_kind:     global_buffer
      - .offset:         280
        .size:           4
        .value_kind:     hidden_block_count_x
      - .offset:         284
        .size:           4
        .value_kind:     hidden_block_count_y
      - .offset:         288
        .size:           4
        .value_kind:     hidden_block_count_z
      - .offset:         292
        .size:           2
        .value_kind:     hidden_group_size_x
      - .offset:         294
        .size:           2
        .value_kind:     hidden_group_size_y
      - .offset:         296
        .size:           2
        .value_kind:     hidden_group_size_z
      - .offset:         298
        .size:           2
        .value_kind:     hidden_remainder_x
      - .offset:         300
        .size:           2
        .value_kind:     hidden_remainder_y
      - .offset:         302
        .size:           2
        .value_kind:     hidden_remainder_z
      - .offset:         320
        .size:           8
        .value_kind:     hidden_global_offset_x
      - .offset:         328
        .size:           8
        .value_kind:     hidden_global_offset_y
      - .offset:         336
        .size:           8
        .value_kind:     hidden_global_offset_z
      - .offset:         344
        .size:           2
        .value_kind:     hidden_grid_dims
    .group_segment_fixed_size: 1024
    .kernarg_segment_align: 8
    .kernarg_segment_size: 536
    .language:       OpenCL C
    .language_version:
      - 2
      - 0
    .max_flat_workgroup_size: 256
    .name:           _ZN2at6native6mbtopk23computeBlockDigitCountsIdjmLi1EEEvNS_4cuda6detail10TensorInfoIKT_T0_EEjPjjS8_iijT1_PSB_Ps
    .private_segment_fixed_size: 0
    .sgpr_count:     26
    .sgpr_spill_count: 0
    .symbol:         _ZN2at6native6mbtopk23computeBlockDigitCountsIdjmLi1EEEvNS_4cuda6detail10TensorInfoIKT_T0_EEjPjjS8_iijT1_PSB_Ps.kd
    .uniform_work_group_size: 1
    .uses_dynamic_stack: false
    .vgpr_count:     14
    .vgpr_spill_count: 0
    .wavefront_size: 64
  - .agpr_count:     0
    .args:
      - .address_space:  global
        .offset:         0
        .size:           8
        .value_kind:     global_buffer
      - .address_space:  global
        .offset:         8
        .size:           8
        .value_kind:     global_buffer
      - .address_space:  global
        .offset:         16
        .size:           8
        .value_kind:     global_buffer
      - .offset:         24
        .size:           4
        .value_kind:     by_value
      - .offset:         28
        .size:           4
        .value_kind:     by_value
      - .offset:         32
        .size:           1
        .value_kind:     by_value
      - .address_space:  global
        .offset:         40
        .size:           8
        .value_kind:     global_buffer
      - .address_space:  global
        .offset:         48
        .size:           8
        .value_kind:     global_buffer
      - .address_space:  global
        .offset:         56
        .size:           8
        .value_kind:     global_buffer
      - .address_space:  global
        .offset:         64
        .size:           8
        .value_kind:     global_buffer
      - .address_space:  global
        .offset:         72
        .size:           8
        .value_kind:     global_buffer
      - .offset:         80
        .size:           4
        .value_kind:     by_value
      - .offset:         88
        .size:           4
        .value_kind:     hidden_block_count_x
      - .offset:         92
        .size:           4
        .value_kind:     hidden_block_count_y
      - .offset:         96
        .size:           4
        .value_kind:     hidden_block_count_z
      - .offset:         100
        .size:           2
        .value_kind:     hidden_group_size_x
      - .offset:         102
        .size:           2
        .value_kind:     hidden_group_size_y
      - .offset:         104
        .size:           2
        .value_kind:     hidden_group_size_z
      - .offset:         106
        .size:           2
        .value_kind:     hidden_remainder_x
      - .offset:         108
        .size:           2
        .value_kind:     hidden_remainder_y
      - .offset:         110
        .size:           2
        .value_kind:     hidden_remainder_z
      - .offset:         128
        .size:           8
        .value_kind:     hidden_global_offset_x
      - .offset:         136
        .size:           8
        .value_kind:     hidden_global_offset_y
      - .offset:         144
        .size:           8
        .value_kind:     hidden_global_offset_z
      - .offset:         152
        .size:           2
        .value_kind:     hidden_grid_dims
    .group_segment_fixed_size: 2104
    .kernarg_segment_align: 8
    .kernarg_segment_size: 344
    .language:       OpenCL C
    .language_version:
      - 2
      - 0
    .max_flat_workgroup_size: 256
    .name:           _ZN2at6native6mbtopk29computeBlockwiseWithinKCountsImdEEvPT_PsPjjibS6_PT0_S6_S4_S6_j
    .private_segment_fixed_size: 0
    .sgpr_count:     34
    .sgpr_spill_count: 0
    .symbol:         _ZN2at6native6mbtopk29computeBlockwiseWithinKCountsImdEEvPT_PsPjjibS6_PT0_S6_S4_S6_j.kd
    .uniform_work_group_size: 1
    .uses_dynamic_stack: false
    .vgpr_count:     15
    .vgpr_spill_count: 0
    .wavefront_size: 64
  - .agpr_count:     0
    .args:
      - .offset:         0
        .size:           216
        .value_kind:     by_value
      - .offset:         216
        .size:           4
        .value_kind:     by_value
      - .offset:         220
        .size:           4
        .value_kind:     by_value
      - .offset:         224
        .size:           1
        .value_kind:     by_value
      - .offset:         228
        .size:           4
        .value_kind:     by_value
      - .offset:         232
        .size:           4
        .value_kind:     by_value
      - .offset:         240
        .size:           216
        .value_kind:     by_value
      - .offset:         456
        .size:           4
        .value_kind:     by_value
      - .offset:         464
        .size:           216
        .value_kind:     by_value
      - .offset:         680
        .size:           4
        .value_kind:     by_value
      - .offset:         684
        .size:           4
        .value_kind:     by_value
      - .offset:         688
        .size:           4
        .value_kind:     by_value
      - .address_space:  global
        .offset:         696
        .size:           8
        .value_kind:     global_buffer
      - .address_space:  global
        .offset:         704
        .size:           8
        .value_kind:     global_buffer
      - .address_space:  global
        .offset:         712
        .size:           8
        .value_kind:     global_buffer
      - .offset:         720
        .size:           4
        .value_kind:     by_value
      - .offset:         728
        .size:           4
        .value_kind:     hidden_block_count_x
      - .offset:         732
        .size:           4
        .value_kind:     hidden_block_count_y
      - .offset:         736
        .size:           4
        .value_kind:     hidden_block_count_z
      - .offset:         740
        .size:           2
        .value_kind:     hidden_group_size_x
      - .offset:         742
        .size:           2
        .value_kind:     hidden_group_size_y
      - .offset:         744
        .size:           2
        .value_kind:     hidden_group_size_z
      - .offset:         746
        .size:           2
        .value_kind:     hidden_remainder_x
      - .offset:         748
        .size:           2
        .value_kind:     hidden_remainder_y
      - .offset:         750
        .size:           2
        .value_kind:     hidden_remainder_z
      - .offset:         768
        .size:           8
        .value_kind:     hidden_global_offset_x
      - .offset:         776
        .size:           8
        .value_kind:     hidden_global_offset_y
      - .offset:         784
        .size:           8
        .value_kind:     hidden_global_offset_z
      - .offset:         792
        .size:           2
        .value_kind:     hidden_grid_dims
    .group_segment_fixed_size: 1068
    .kernarg_segment_align: 8
    .kernarg_segment_size: 984
    .language:       OpenCL C
    .language_version:
      - 2
      - 0
    .max_flat_workgroup_size: 256
    .name:           _ZN2at6native6mbtopk10gatherTopKIdjLi1EEEvNS_4cuda6detail10TensorInfoIKT_T0_EES8_S8_bjS8_NS5_IS6_S8_EES8_NS5_IlS8_EES8_jjPS6_PjSD_j
    .private_segment_fixed_size: 0
    .sgpr_count:     44
    .sgpr_spill_count: 0
    .symbol:         _ZN2at6native6mbtopk10gatherTopKIdjLi1EEEvNS_4cuda6detail10TensorInfoIKT_T0_EES8_S8_bjS8_NS5_IS6_S8_EES8_NS5_IlS8_EES8_jjPS6_PjSD_j.kd
    .uniform_work_group_size: 1
    .uses_dynamic_stack: false
    .vgpr_count:     22
    .vgpr_spill_count: 0
    .wavefront_size: 64
  - .agpr_count:     0
    .args:
      - .offset:         0
        .size:           216
        .value_kind:     by_value
      - .offset:         216
        .size:           4
        .value_kind:     by_value
      - .offset:         220
        .size:           4
        .value_kind:     by_value
      - .offset:         224
        .size:           1
        .value_kind:     by_value
      - .offset:         228
        .size:           4
        .value_kind:     by_value
      - .offset:         232
        .size:           4
        .value_kind:     by_value
      - .offset:         240
        .size:           216
        .value_kind:     by_value
      - .offset:         456
        .size:           4
        .value_kind:     by_value
      - .offset:         464
        .size:           216
        .value_kind:     by_value
      - .offset:         680
        .size:           4
        .value_kind:     by_value
      - .address_space:  global
        .offset:         688
        .size:           8
        .value_kind:     global_buffer
      - .offset:         696
        .size:           4
        .value_kind:     hidden_block_count_x
      - .offset:         700
        .size:           4
        .value_kind:     hidden_block_count_y
      - .offset:         704
        .size:           4
        .value_kind:     hidden_block_count_z
      - .offset:         708
        .size:           2
        .value_kind:     hidden_group_size_x
      - .offset:         710
        .size:           2
        .value_kind:     hidden_group_size_y
      - .offset:         712
        .size:           2
        .value_kind:     hidden_group_size_z
      - .offset:         714
        .size:           2
        .value_kind:     hidden_remainder_x
      - .offset:         716
        .size:           2
        .value_kind:     hidden_remainder_y
      - .offset:         718
        .size:           2
        .value_kind:     hidden_remainder_z
      - .offset:         736
        .size:           8
        .value_kind:     hidden_global_offset_x
      - .offset:         744
        .size:           8
        .value_kind:     hidden_global_offset_y
      - .offset:         752
        .size:           8
        .value_kind:     hidden_global_offset_z
      - .offset:         760
        .size:           2
        .value_kind:     hidden_grid_dims
    .group_segment_fixed_size: 4112
    .kernarg_segment_align: 8
    .kernarg_segment_size: 952
    .language:       OpenCL C
    .language_version:
      - 2
      - 0
    .max_flat_workgroup_size: 1024
    .name:           _ZN2at6native6sbtopk10gatherTopKIdjLi1ELb0EEEvNS_4cuda6detail10TensorInfoIKT_T0_EES8_S8_bS8_S8_NS5_IS6_S8_EES8_NS5_IlS8_EES8_PS6_
    .private_segment_fixed_size: 0
    .sgpr_count:     100
    .sgpr_spill_count: 62
    .symbol:         _ZN2at6native6sbtopk10gatherTopKIdjLi1ELb0EEEvNS_4cuda6detail10TensorInfoIKT_T0_EES8_S8_bS8_S8_NS5_IS6_S8_EES8_NS5_IlS8_EES8_PS6_.kd
    .uniform_work_group_size: 1
    .uses_dynamic_stack: false
    .vgpr_count:     59
    .vgpr_spill_count: 0
    .wavefront_size: 64
  - .agpr_count:     0
    .args:
      - .offset:         0
        .size:           216
        .value_kind:     by_value
      - .offset:         216
        .size:           4
        .value_kind:     by_value
      - .address_space:  global
        .offset:         224
        .size:           8
        .value_kind:     global_buffer
      - .offset:         232
        .size:           4
        .value_kind:     by_value
      - .offset:         236
        .size:           4
        .value_kind:     by_value
      - .offset:         240
        .size:           4
        .value_kind:     by_value
      - .offset:         244
        .size:           4
        .value_kind:     by_value
      - .offset:         248
        .size:           4
        .value_kind:     by_value
      - .offset:         256
        .size:           8
        .value_kind:     by_value
      - .address_space:  global
        .offset:         264
        .size:           8
        .value_kind:     global_buffer
      - .address_space:  global
        .offset:         272
        .size:           8
        .value_kind:     global_buffer
      - .offset:         280
        .size:           4
        .value_kind:     hidden_block_count_x
      - .offset:         284
        .size:           4
        .value_kind:     hidden_block_count_y
      - .offset:         288
        .size:           4
        .value_kind:     hidden_block_count_z
      - .offset:         292
        .size:           2
        .value_kind:     hidden_group_size_x
      - .offset:         294
        .size:           2
        .value_kind:     hidden_group_size_y
      - .offset:         296
        .size:           2
        .value_kind:     hidden_group_size_z
      - .offset:         298
        .size:           2
        .value_kind:     hidden_remainder_x
      - .offset:         300
        .size:           2
        .value_kind:     hidden_remainder_y
      - .offset:         302
        .size:           2
        .value_kind:     hidden_remainder_z
      - .offset:         320
        .size:           8
        .value_kind:     hidden_global_offset_x
      - .offset:         328
        .size:           8
        .value_kind:     hidden_global_offset_y
      - .offset:         336
        .size:           8
        .value_kind:     hidden_global_offset_z
      - .offset:         344
        .size:           2
        .value_kind:     hidden_grid_dims
    .group_segment_fixed_size: 1024
    .kernarg_segment_align: 8
    .kernarg_segment_size: 536
    .language:       OpenCL C
    .language_version:
      - 2
      - 0
    .max_flat_workgroup_size: 256
    .name:           _ZN2at6native6mbtopk23computeBlockDigitCountsIdjmLi2EEEvNS_4cuda6detail10TensorInfoIKT_T0_EEjPjjS8_iijT1_PSB_Ps
    .private_segment_fixed_size: 0
    .sgpr_count:     28
    .sgpr_spill_count: 0
    .symbol:         _ZN2at6native6mbtopk23computeBlockDigitCountsIdjmLi2EEEvNS_4cuda6detail10TensorInfoIKT_T0_EEjPjjS8_iijT1_PSB_Ps.kd
    .uniform_work_group_size: 1
    .uses_dynamic_stack: false
    .vgpr_count:     14
    .vgpr_spill_count: 0
    .wavefront_size: 64
  - .agpr_count:     0
    .args:
      - .offset:         0
        .size:           216
        .value_kind:     by_value
      - .offset:         216
        .size:           4
        .value_kind:     by_value
      - .offset:         220
        .size:           4
        .value_kind:     by_value
      - .offset:         224
        .size:           1
        .value_kind:     by_value
      - .offset:         228
        .size:           4
        .value_kind:     by_value
      - .offset:         232
        .size:           4
        .value_kind:     by_value
      - .offset:         240
        .size:           216
        .value_kind:     by_value
      - .offset:         456
        .size:           4
        .value_kind:     by_value
      - .offset:         464
        .size:           216
        .value_kind:     by_value
      - .offset:         680
        .size:           4
        .value_kind:     by_value
      - .offset:         684
        .size:           4
        .value_kind:     by_value
      - .offset:         688
        .size:           4
        .value_kind:     by_value
      - .address_space:  global
        .offset:         696
        .size:           8
        .value_kind:     global_buffer
      - .address_space:  global
        .offset:         704
        .size:           8
        .value_kind:     global_buffer
      - .address_space:  global
        .offset:         712
        .size:           8
        .value_kind:     global_buffer
      - .offset:         720
        .size:           4
        .value_kind:     by_value
      - .offset:         728
        .size:           4
        .value_kind:     hidden_block_count_x
      - .offset:         732
        .size:           4
        .value_kind:     hidden_block_count_y
      - .offset:         736
        .size:           4
        .value_kind:     hidden_block_count_z
      - .offset:         740
        .size:           2
        .value_kind:     hidden_group_size_x
      - .offset:         742
        .size:           2
        .value_kind:     hidden_group_size_y
      - .offset:         744
        .size:           2
        .value_kind:     hidden_group_size_z
      - .offset:         746
        .size:           2
        .value_kind:     hidden_remainder_x
      - .offset:         748
        .size:           2
        .value_kind:     hidden_remainder_y
      - .offset:         750
        .size:           2
        .value_kind:     hidden_remainder_z
      - .offset:         768
        .size:           8
        .value_kind:     hidden_global_offset_x
      - .offset:         776
        .size:           8
        .value_kind:     hidden_global_offset_y
      - .offset:         784
        .size:           8
        .value_kind:     hidden_global_offset_z
      - .offset:         792
        .size:           2
        .value_kind:     hidden_grid_dims
    .group_segment_fixed_size: 1068
    .kernarg_segment_align: 8
    .kernarg_segment_size: 984
    .language:       OpenCL C
    .language_version:
      - 2
      - 0
    .max_flat_workgroup_size: 256
    .name:           _ZN2at6native6mbtopk10gatherTopKIdjLi2EEEvNS_4cuda6detail10TensorInfoIKT_T0_EES8_S8_bjS8_NS5_IS6_S8_EES8_NS5_IlS8_EES8_jjPS6_PjSD_j
    .private_segment_fixed_size: 0
    .sgpr_count:     56
    .sgpr_spill_count: 0
    .symbol:         _ZN2at6native6mbtopk10gatherTopKIdjLi2EEEvNS_4cuda6detail10TensorInfoIKT_T0_EES8_S8_bjS8_NS5_IS6_S8_EES8_NS5_IlS8_EES8_jjPS6_PjSD_j.kd
    .uniform_work_group_size: 1
    .uses_dynamic_stack: false
    .vgpr_count:     22
    .vgpr_spill_count: 0
    .wavefront_size: 64
  - .agpr_count:     0
    .args:
      - .offset:         0
        .size:           216
        .value_kind:     by_value
      - .offset:         216
        .size:           4
        .value_kind:     by_value
      - .offset:         220
        .size:           4
        .value_kind:     by_value
      - .offset:         224
        .size:           1
        .value_kind:     by_value
      - .offset:         228
        .size:           4
        .value_kind:     by_value
      - .offset:         232
        .size:           4
        .value_kind:     by_value
      - .offset:         240
        .size:           216
        .value_kind:     by_value
      - .offset:         456
        .size:           4
        .value_kind:     by_value
      - .offset:         464
        .size:           216
        .value_kind:     by_value
      - .offset:         680
        .size:           4
        .value_kind:     by_value
      - .address_space:  global
        .offset:         688
        .size:           8
        .value_kind:     global_buffer
      - .offset:         696
        .size:           4
        .value_kind:     hidden_block_count_x
      - .offset:         700
        .size:           4
        .value_kind:     hidden_block_count_y
      - .offset:         704
        .size:           4
        .value_kind:     hidden_block_count_z
      - .offset:         708
        .size:           2
        .value_kind:     hidden_group_size_x
      - .offset:         710
        .size:           2
        .value_kind:     hidden_group_size_y
      - .offset:         712
        .size:           2
        .value_kind:     hidden_group_size_z
      - .offset:         714
        .size:           2
        .value_kind:     hidden_remainder_x
      - .offset:         716
        .size:           2
        .value_kind:     hidden_remainder_y
      - .offset:         718
        .size:           2
        .value_kind:     hidden_remainder_z
      - .offset:         736
        .size:           8
        .value_kind:     hidden_global_offset_x
      - .offset:         744
        .size:           8
        .value_kind:     hidden_global_offset_y
      - .offset:         752
        .size:           8
        .value_kind:     hidden_global_offset_z
      - .offset:         760
        .size:           2
        .value_kind:     hidden_grid_dims
    .group_segment_fixed_size: 4112
    .kernarg_segment_align: 8
    .kernarg_segment_size: 952
    .language:       OpenCL C
    .language_version:
      - 2
      - 0
    .max_flat_workgroup_size: 1024
    .name:           _ZN2at6native6sbtopk10gatherTopKIdjLi2ELb0EEEvNS_4cuda6detail10TensorInfoIKT_T0_EES8_S8_bS8_S8_NS5_IS6_S8_EES8_NS5_IlS8_EES8_PS6_
    .private_segment_fixed_size: 0
    .sgpr_count:     100
    .sgpr_spill_count: 66
    .symbol:         _ZN2at6native6sbtopk10gatherTopKIdjLi2ELb0EEEvNS_4cuda6detail10TensorInfoIKT_T0_EES8_S8_bS8_S8_NS5_IS6_S8_EES8_NS5_IlS8_EES8_PS6_.kd
    .uniform_work_group_size: 1
    .uses_dynamic_stack: false
    .vgpr_count:     59
    .vgpr_spill_count: 0
    .wavefront_size: 64
  - .agpr_count:     0
    .args:
      - .offset:         0
        .size:           216
        .value_kind:     by_value
      - .offset:         216
        .size:           4
        .value_kind:     by_value
      - .address_space:  global
        .offset:         224
        .size:           8
        .value_kind:     global_buffer
      - .offset:         232
        .size:           4
        .value_kind:     by_value
      - .offset:         236
        .size:           4
        .value_kind:     by_value
      - .offset:         240
        .size:           4
        .value_kind:     by_value
      - .offset:         244
        .size:           4
        .value_kind:     by_value
      - .offset:         248
        .size:           4
        .value_kind:     by_value
      - .offset:         256
        .size:           8
        .value_kind:     by_value
      - .address_space:  global
        .offset:         264
        .size:           8
        .value_kind:     global_buffer
      - .address_space:  global
        .offset:         272
        .size:           8
        .value_kind:     global_buffer
      - .offset:         280
        .size:           4
        .value_kind:     hidden_block_count_x
      - .offset:         284
        .size:           4
        .value_kind:     hidden_block_count_y
      - .offset:         288
        .size:           4
        .value_kind:     hidden_block_count_z
      - .offset:         292
        .size:           2
        .value_kind:     hidden_group_size_x
      - .offset:         294
        .size:           2
        .value_kind:     hidden_group_size_y
      - .offset:         296
        .size:           2
        .value_kind:     hidden_group_size_z
      - .offset:         298
        .size:           2
        .value_kind:     hidden_remainder_x
      - .offset:         300
        .size:           2
        .value_kind:     hidden_remainder_y
      - .offset:         302
        .size:           2
        .value_kind:     hidden_remainder_z
      - .offset:         320
        .size:           8
        .value_kind:     hidden_global_offset_x
      - .offset:         328
        .size:           8
        .value_kind:     hidden_global_offset_y
      - .offset:         336
        .size:           8
        .value_kind:     hidden_global_offset_z
      - .offset:         344
        .size:           2
        .value_kind:     hidden_grid_dims
    .group_segment_fixed_size: 1024
    .kernarg_segment_align: 8
    .kernarg_segment_size: 536
    .language:       OpenCL C
    .language_version:
      - 2
      - 0
    .max_flat_workgroup_size: 256
    .name:           _ZN2at6native6mbtopk23computeBlockDigitCountsIdjmLi3EEEvNS_4cuda6detail10TensorInfoIKT_T0_EEjPjjS8_iijT1_PSB_Ps
    .private_segment_fixed_size: 0
    .sgpr_count:     34
    .sgpr_spill_count: 0
    .symbol:         _ZN2at6native6mbtopk23computeBlockDigitCountsIdjmLi3EEEvNS_4cuda6detail10TensorInfoIKT_T0_EEjPjjS8_iijT1_PSB_Ps.kd
    .uniform_work_group_size: 1
    .uses_dynamic_stack: false
    .vgpr_count:     14
    .vgpr_spill_count: 0
    .wavefront_size: 64
  - .agpr_count:     0
    .args:
      - .offset:         0
        .size:           216
        .value_kind:     by_value
      - .offset:         216
        .size:           4
        .value_kind:     by_value
      - .offset:         220
        .size:           4
        .value_kind:     by_value
      - .offset:         224
        .size:           1
        .value_kind:     by_value
      - .offset:         228
        .size:           4
        .value_kind:     by_value
      - .offset:         232
        .size:           4
        .value_kind:     by_value
      - .offset:         240
        .size:           216
        .value_kind:     by_value
      - .offset:         456
        .size:           4
        .value_kind:     by_value
      - .offset:         464
        .size:           216
        .value_kind:     by_value
      - .offset:         680
        .size:           4
        .value_kind:     by_value
      - .offset:         684
        .size:           4
        .value_kind:     by_value
      - .offset:         688
        .size:           4
        .value_kind:     by_value
      - .address_space:  global
        .offset:         696
        .size:           8
        .value_kind:     global_buffer
      - .address_space:  global
        .offset:         704
        .size:           8
        .value_kind:     global_buffer
      - .address_space:  global
        .offset:         712
        .size:           8
        .value_kind:     global_buffer
      - .offset:         720
        .size:           4
        .value_kind:     by_value
      - .offset:         728
        .size:           4
        .value_kind:     hidden_block_count_x
      - .offset:         732
        .size:           4
        .value_kind:     hidden_block_count_y
      - .offset:         736
        .size:           4
        .value_kind:     hidden_block_count_z
      - .offset:         740
        .size:           2
        .value_kind:     hidden_group_size_x
      - .offset:         742
        .size:           2
        .value_kind:     hidden_group_size_y
      - .offset:         744
        .size:           2
        .value_kind:     hidden_group_size_z
      - .offset:         746
        .size:           2
        .value_kind:     hidden_remainder_x
      - .offset:         748
        .size:           2
        .value_kind:     hidden_remainder_y
      - .offset:         750
        .size:           2
        .value_kind:     hidden_remainder_z
      - .offset:         768
        .size:           8
        .value_kind:     hidden_global_offset_x
      - .offset:         776
        .size:           8
        .value_kind:     hidden_global_offset_y
      - .offset:         784
        .size:           8
        .value_kind:     hidden_global_offset_z
      - .offset:         792
        .size:           2
        .value_kind:     hidden_grid_dims
    .group_segment_fixed_size: 1068
    .kernarg_segment_align: 8
    .kernarg_segment_size: 984
    .language:       OpenCL C
    .language_version:
      - 2
      - 0
    .max_flat_workgroup_size: 256
    .name:           _ZN2at6native6mbtopk10gatherTopKIdjLi3EEEvNS_4cuda6detail10TensorInfoIKT_T0_EES8_S8_bjS8_NS5_IS6_S8_EES8_NS5_IlS8_EES8_jjPS6_PjSD_j
    .private_segment_fixed_size: 0
    .sgpr_count:     65
    .sgpr_spill_count: 0
    .symbol:         _ZN2at6native6mbtopk10gatherTopKIdjLi3EEEvNS_4cuda6detail10TensorInfoIKT_T0_EES8_S8_bjS8_NS5_IS6_S8_EES8_NS5_IlS8_EES8_jjPS6_PjSD_j.kd
    .uniform_work_group_size: 1
    .uses_dynamic_stack: false
    .vgpr_count:     22
    .vgpr_spill_count: 0
    .wavefront_size: 64
  - .agpr_count:     0
    .args:
      - .offset:         0
        .size:           216
        .value_kind:     by_value
      - .offset:         216
        .size:           4
        .value_kind:     by_value
      - .offset:         220
        .size:           4
        .value_kind:     by_value
      - .offset:         224
        .size:           1
        .value_kind:     by_value
      - .offset:         228
        .size:           4
        .value_kind:     by_value
      - .offset:         232
        .size:           4
        .value_kind:     by_value
      - .offset:         240
        .size:           216
        .value_kind:     by_value
      - .offset:         456
        .size:           4
        .value_kind:     by_value
      - .offset:         464
        .size:           216
        .value_kind:     by_value
      - .offset:         680
        .size:           4
        .value_kind:     by_value
      - .address_space:  global
        .offset:         688
        .size:           8
        .value_kind:     global_buffer
      - .offset:         696
        .size:           4
        .value_kind:     hidden_block_count_x
      - .offset:         700
        .size:           4
        .value_kind:     hidden_block_count_y
      - .offset:         704
        .size:           4
        .value_kind:     hidden_block_count_z
      - .offset:         708
        .size:           2
        .value_kind:     hidden_group_size_x
      - .offset:         710
        .size:           2
        .value_kind:     hidden_group_size_y
      - .offset:         712
        .size:           2
        .value_kind:     hidden_group_size_z
      - .offset:         714
        .size:           2
        .value_kind:     hidden_remainder_x
      - .offset:         716
        .size:           2
        .value_kind:     hidden_remainder_y
      - .offset:         718
        .size:           2
        .value_kind:     hidden_remainder_z
      - .offset:         736
        .size:           8
        .value_kind:     hidden_global_offset_x
      - .offset:         744
        .size:           8
        .value_kind:     hidden_global_offset_y
      - .offset:         752
        .size:           8
        .value_kind:     hidden_global_offset_z
      - .offset:         760
        .size:           2
        .value_kind:     hidden_grid_dims
    .group_segment_fixed_size: 4112
    .kernarg_segment_align: 8
    .kernarg_segment_size: 952
    .language:       OpenCL C
    .language_version:
      - 2
      - 0
    .max_flat_workgroup_size: 1024
    .name:           _ZN2at6native6sbtopk10gatherTopKIdjLi3ELb0EEEvNS_4cuda6detail10TensorInfoIKT_T0_EES8_S8_bS8_S8_NS5_IS6_S8_EES8_NS5_IlS8_EES8_PS6_
    .private_segment_fixed_size: 0
    .sgpr_count:     100
    .sgpr_spill_count: 74
    .symbol:         _ZN2at6native6sbtopk10gatherTopKIdjLi3ELb0EEEvNS_4cuda6detail10TensorInfoIKT_T0_EES8_S8_bS8_S8_NS5_IS6_S8_EES8_NS5_IlS8_EES8_PS6_.kd
    .uniform_work_group_size: 1
    .uses_dynamic_stack: false
    .vgpr_count:     60
    .vgpr_spill_count: 0
    .wavefront_size: 64
  - .agpr_count:     0
    .args:
      - .offset:         0
        .size:           216
        .value_kind:     by_value
      - .offset:         216
        .size:           4
        .value_kind:     by_value
      - .address_space:  global
        .offset:         224
        .size:           8
        .value_kind:     global_buffer
      - .offset:         232
        .size:           4
        .value_kind:     by_value
      - .offset:         236
        .size:           4
        .value_kind:     by_value
      - .offset:         240
        .size:           4
        .value_kind:     by_value
      - .offset:         244
        .size:           4
        .value_kind:     by_value
      - .offset:         248
        .size:           4
        .value_kind:     by_value
      - .offset:         256
        .size:           8
        .value_kind:     by_value
      - .address_space:  global
        .offset:         264
        .size:           8
        .value_kind:     global_buffer
      - .address_space:  global
        .offset:         272
        .size:           8
        .value_kind:     global_buffer
      - .offset:         280
        .size:           4
        .value_kind:     hidden_block_count_x
      - .offset:         284
        .size:           4
        .value_kind:     hidden_block_count_y
      - .offset:         288
        .size:           4
        .value_kind:     hidden_block_count_z
      - .offset:         292
        .size:           2
        .value_kind:     hidden_group_size_x
      - .offset:         294
        .size:           2
        .value_kind:     hidden_group_size_y
      - .offset:         296
        .size:           2
        .value_kind:     hidden_group_size_z
      - .offset:         298
        .size:           2
        .value_kind:     hidden_remainder_x
      - .offset:         300
        .size:           2
        .value_kind:     hidden_remainder_y
      - .offset:         302
        .size:           2
        .value_kind:     hidden_remainder_z
      - .offset:         320
        .size:           8
        .value_kind:     hidden_global_offset_x
      - .offset:         328
        .size:           8
        .value_kind:     hidden_global_offset_y
      - .offset:         336
        .size:           8
        .value_kind:     hidden_global_offset_z
      - .offset:         344
        .size:           2
        .value_kind:     hidden_grid_dims
    .group_segment_fixed_size: 1024
    .kernarg_segment_align: 8
    .kernarg_segment_size: 536
    .language:       OpenCL C
    .language_version:
      - 2
      - 0
    .max_flat_workgroup_size: 256
    .name:           _ZN2at6native6mbtopk23computeBlockDigitCountsIdjmLin1EEEvNS_4cuda6detail10TensorInfoIKT_T0_EEjPjjS8_iijT1_PSB_Ps
    .private_segment_fixed_size: 0
    .sgpr_count:     29
    .sgpr_spill_count: 0
    .symbol:         _ZN2at6native6mbtopk23computeBlockDigitCountsIdjmLin1EEEvNS_4cuda6detail10TensorInfoIKT_T0_EEjPjjS8_iijT1_PSB_Ps.kd
    .uniform_work_group_size: 1
    .uses_dynamic_stack: false
    .vgpr_count:     14
    .vgpr_spill_count: 0
    .wavefront_size: 64
  - .agpr_count:     0
    .args:
      - .offset:         0
        .size:           216
        .value_kind:     by_value
      - .offset:         216
        .size:           4
        .value_kind:     by_value
      - .offset:         220
        .size:           4
        .value_kind:     by_value
      - .offset:         224
        .size:           1
        .value_kind:     by_value
      - .offset:         228
        .size:           4
        .value_kind:     by_value
      - .offset:         232
        .size:           4
        .value_kind:     by_value
      - .offset:         240
        .size:           216
        .value_kind:     by_value
      - .offset:         456
        .size:           4
        .value_kind:     by_value
      - .offset:         464
        .size:           216
        .value_kind:     by_value
      - .offset:         680
        .size:           4
        .value_kind:     by_value
      - .offset:         684
        .size:           4
        .value_kind:     by_value
      - .offset:         688
        .size:           4
        .value_kind:     by_value
      - .address_space:  global
        .offset:         696
        .size:           8
        .value_kind:     global_buffer
      - .address_space:  global
        .offset:         704
        .size:           8
        .value_kind:     global_buffer
      - .address_space:  global
        .offset:         712
        .size:           8
        .value_kind:     global_buffer
      - .offset:         720
        .size:           4
        .value_kind:     by_value
      - .offset:         728
        .size:           4
        .value_kind:     hidden_block_count_x
      - .offset:         732
        .size:           4
        .value_kind:     hidden_block_count_y
      - .offset:         736
        .size:           4
        .value_kind:     hidden_block_count_z
      - .offset:         740
        .size:           2
        .value_kind:     hidden_group_size_x
      - .offset:         742
        .size:           2
        .value_kind:     hidden_group_size_y
      - .offset:         744
        .size:           2
        .value_kind:     hidden_group_size_z
      - .offset:         746
        .size:           2
        .value_kind:     hidden_remainder_x
      - .offset:         748
        .size:           2
        .value_kind:     hidden_remainder_y
      - .offset:         750
        .size:           2
        .value_kind:     hidden_remainder_z
      - .offset:         768
        .size:           8
        .value_kind:     hidden_global_offset_x
      - .offset:         776
        .size:           8
        .value_kind:     hidden_global_offset_y
      - .offset:         784
        .size:           8
        .value_kind:     hidden_global_offset_z
      - .offset:         792
        .size:           2
        .value_kind:     hidden_grid_dims
    .group_segment_fixed_size: 1068
    .kernarg_segment_align: 8
    .kernarg_segment_size: 984
    .language:       OpenCL C
    .language_version:
      - 2
      - 0
    .max_flat_workgroup_size: 256
    .name:           _ZN2at6native6mbtopk10gatherTopKIdjLin1EEEvNS_4cuda6detail10TensorInfoIKT_T0_EES8_S8_bjS8_NS5_IS6_S8_EES8_NS5_IlS8_EES8_jjPS6_PjSD_j
    .private_segment_fixed_size: 0
    .sgpr_count:     51
    .sgpr_spill_count: 0
    .symbol:         _ZN2at6native6mbtopk10gatherTopKIdjLin1EEEvNS_4cuda6detail10TensorInfoIKT_T0_EES8_S8_bjS8_NS5_IS6_S8_EES8_NS5_IlS8_EES8_jjPS6_PjSD_j.kd
    .uniform_work_group_size: 1
    .uses_dynamic_stack: false
    .vgpr_count:     22
    .vgpr_spill_count: 0
    .wavefront_size: 64
  - .agpr_count:     0
    .args:
      - .offset:         0
        .size:           216
        .value_kind:     by_value
      - .offset:         216
        .size:           4
        .value_kind:     by_value
      - .offset:         220
        .size:           4
        .value_kind:     by_value
      - .offset:         224
        .size:           1
        .value_kind:     by_value
      - .offset:         228
        .size:           4
        .value_kind:     by_value
      - .offset:         232
        .size:           4
        .value_kind:     by_value
      - .offset:         240
        .size:           216
        .value_kind:     by_value
      - .offset:         456
        .size:           4
        .value_kind:     by_value
      - .offset:         464
        .size:           216
        .value_kind:     by_value
      - .offset:         680
        .size:           4
        .value_kind:     by_value
      - .address_space:  global
        .offset:         688
        .size:           8
        .value_kind:     global_buffer
      - .offset:         696
        .size:           4
        .value_kind:     hidden_block_count_x
      - .offset:         700
        .size:           4
        .value_kind:     hidden_block_count_y
      - .offset:         704
        .size:           4
        .value_kind:     hidden_block_count_z
      - .offset:         708
        .size:           2
        .value_kind:     hidden_group_size_x
      - .offset:         710
        .size:           2
        .value_kind:     hidden_group_size_y
      - .offset:         712
        .size:           2
        .value_kind:     hidden_group_size_z
      - .offset:         714
        .size:           2
        .value_kind:     hidden_remainder_x
      - .offset:         716
        .size:           2
        .value_kind:     hidden_remainder_y
      - .offset:         718
        .size:           2
        .value_kind:     hidden_remainder_z
      - .offset:         736
        .size:           8
        .value_kind:     hidden_global_offset_x
      - .offset:         744
        .size:           8
        .value_kind:     hidden_global_offset_y
      - .offset:         752
        .size:           8
        .value_kind:     hidden_global_offset_z
      - .offset:         760
        .size:           2
        .value_kind:     hidden_grid_dims
    .group_segment_fixed_size: 4112
    .kernarg_segment_align: 8
    .kernarg_segment_size: 952
    .language:       OpenCL C
    .language_version:
      - 2
      - 0
    .max_flat_workgroup_size: 1024
    .name:           _ZN2at6native6sbtopk10gatherTopKIdjLin1ELb0EEEvNS_4cuda6detail10TensorInfoIKT_T0_EES8_S8_bS8_S8_NS5_IS6_S8_EES8_NS5_IlS8_EES8_PS6_
    .private_segment_fixed_size: 0
    .sgpr_count:     100
    .sgpr_spill_count: 73
    .symbol:         _ZN2at6native6sbtopk10gatherTopKIdjLin1ELb0EEEvNS_4cuda6detail10TensorInfoIKT_T0_EES8_S8_bS8_S8_NS5_IS6_S8_EES8_NS5_IlS8_EES8_PS6_.kd
    .uniform_work_group_size: 1
    .uses_dynamic_stack: false
    .vgpr_count:     60
    .vgpr_spill_count: 0
    .wavefront_size: 64
  - .agpr_count:     0
    .args:
      - .offset:         0
        .size:           216
        .value_kind:     by_value
      - .offset:         216
        .size:           4
        .value_kind:     by_value
      - .address_space:  global
        .offset:         224
        .size:           8
        .value_kind:     global_buffer
      - .offset:         232
        .size:           4
        .value_kind:     by_value
      - .offset:         236
        .size:           4
        .value_kind:     by_value
      - .offset:         240
        .size:           4
        .value_kind:     by_value
      - .offset:         244
        .size:           4
        .value_kind:     by_value
      - .offset:         248
        .size:           4
        .value_kind:     by_value
      - .offset:         252
        .size:           4
        .value_kind:     by_value
      - .address_space:  global
        .offset:         256
        .size:           8
        .value_kind:     global_buffer
      - .address_space:  global
        .offset:         264
        .size:           8
        .value_kind:     global_buffer
      - .offset:         272
        .size:           4
        .value_kind:     hidden_block_count_x
      - .offset:         276
        .size:           4
        .value_kind:     hidden_block_count_y
      - .offset:         280
        .size:           4
        .value_kind:     hidden_block_count_z
      - .offset:         284
        .size:           2
        .value_kind:     hidden_group_size_x
      - .offset:         286
        .size:           2
        .value_kind:     hidden_group_size_y
      - .offset:         288
        .size:           2
        .value_kind:     hidden_group_size_z
      - .offset:         290
        .size:           2
        .value_kind:     hidden_remainder_x
      - .offset:         292
        .size:           2
        .value_kind:     hidden_remainder_y
      - .offset:         294
        .size:           2
        .value_kind:     hidden_remainder_z
      - .offset:         312
        .size:           8
        .value_kind:     hidden_global_offset_x
      - .offset:         320
        .size:           8
        .value_kind:     hidden_global_offset_y
      - .offset:         328
        .size:           8
        .value_kind:     hidden_global_offset_z
      - .offset:         336
        .size:           2
        .value_kind:     hidden_grid_dims
    .group_segment_fixed_size: 1024
    .kernarg_segment_align: 8
    .kernarg_segment_size: 528
    .language:       OpenCL C
    .language_version:
      - 2
      - 0
    .max_flat_workgroup_size: 256
    .name:           _ZN2at6native6mbtopk23computeBlockDigitCountsIfjjLi1EEEvNS_4cuda6detail10TensorInfoIKT_T0_EEjPjjS8_iijT1_PSB_Ps
    .private_segment_fixed_size: 0
    .sgpr_count:     24
    .sgpr_spill_count: 0
    .symbol:         _ZN2at6native6mbtopk23computeBlockDigitCountsIfjjLi1EEEvNS_4cuda6detail10TensorInfoIKT_T0_EEjPjjS8_iijT1_PSB_Ps.kd
    .uniform_work_group_size: 1
    .uses_dynamic_stack: false
    .vgpr_count:     14
    .vgpr_spill_count: 0
    .wavefront_size: 64
  - .agpr_count:     0
    .args:
      - .address_space:  global
        .offset:         0
        .size:           8
        .value_kind:     global_buffer
      - .address_space:  global
        .offset:         8
        .size:           8
        .value_kind:     global_buffer
      - .address_space:  global
        .offset:         16
        .size:           8
        .value_kind:     global_buffer
      - .offset:         24
        .size:           4
        .value_kind:     by_value
      - .offset:         28
        .size:           4
        .value_kind:     by_value
      - .offset:         32
        .size:           1
        .value_kind:     by_value
      - .address_space:  global
        .offset:         40
        .size:           8
        .value_kind:     global_buffer
      - .address_space:  global
        .offset:         48
        .size:           8
        .value_kind:     global_buffer
      - .address_space:  global
        .offset:         56
        .size:           8
        .value_kind:     global_buffer
      - .address_space:  global
        .offset:         64
        .size:           8
        .value_kind:     global_buffer
      - .address_space:  global
        .offset:         72
        .size:           8
        .value_kind:     global_buffer
      - .offset:         80
        .size:           4
        .value_kind:     by_value
      - .offset:         88
        .size:           4
        .value_kind:     hidden_block_count_x
      - .offset:         92
        .size:           4
        .value_kind:     hidden_block_count_y
      - .offset:         96
        .size:           4
        .value_kind:     hidden_block_count_z
      - .offset:         100
        .size:           2
        .value_kind:     hidden_group_size_x
      - .offset:         102
        .size:           2
        .value_kind:     hidden_group_size_y
      - .offset:         104
        .size:           2
        .value_kind:     hidden_group_size_z
      - .offset:         106
        .size:           2
        .value_kind:     hidden_remainder_x
      - .offset:         108
        .size:           2
        .value_kind:     hidden_remainder_y
      - .offset:         110
        .size:           2
        .value_kind:     hidden_remainder_z
      - .offset:         128
        .size:           8
        .value_kind:     hidden_global_offset_x
      - .offset:         136
        .size:           8
        .value_kind:     hidden_global_offset_y
      - .offset:         144
        .size:           8
        .value_kind:     hidden_global_offset_z
      - .offset:         152
        .size:           2
        .value_kind:     hidden_grid_dims
    .group_segment_fixed_size: 2100
    .kernarg_segment_align: 8
    .kernarg_segment_size: 344
    .language:       OpenCL C
    .language_version:
      - 2
      - 0
    .max_flat_workgroup_size: 256
    .name:           _ZN2at6native6mbtopk29computeBlockwiseWithinKCountsIjfEEvPT_PsPjjibS6_PT0_S6_S4_S6_j
    .private_segment_fixed_size: 0
    .sgpr_count:     34
    .sgpr_spill_count: 0
    .symbol:         _ZN2at6native6mbtopk29computeBlockwiseWithinKCountsIjfEEvPT_PsPjjibS6_PT0_S6_S4_S6_j.kd
    .uniform_work_group_size: 1
    .uses_dynamic_stack: false
    .vgpr_count:     15
    .vgpr_spill_count: 0
    .wavefront_size: 64
  - .agpr_count:     0
    .args:
      - .offset:         0
        .size:           216
        .value_kind:     by_value
      - .offset:         216
        .size:           4
        .value_kind:     by_value
      - .offset:         220
        .size:           4
        .value_kind:     by_value
      - .offset:         224
        .size:           1
        .value_kind:     by_value
      - .offset:         228
        .size:           4
        .value_kind:     by_value
      - .offset:         232
        .size:           4
        .value_kind:     by_value
      - .offset:         240
        .size:           216
        .value_kind:     by_value
      - .offset:         456
        .size:           4
        .value_kind:     by_value
      - .offset:         464
        .size:           216
        .value_kind:     by_value
      - .offset:         680
        .size:           4
        .value_kind:     by_value
      - .offset:         684
        .size:           4
        .value_kind:     by_value
      - .offset:         688
        .size:           4
        .value_kind:     by_value
      - .address_space:  global
        .offset:         696
        .size:           8
        .value_kind:     global_buffer
      - .address_space:  global
        .offset:         704
        .size:           8
        .value_kind:     global_buffer
      - .address_space:  global
        .offset:         712
        .size:           8
        .value_kind:     global_buffer
      - .offset:         720
        .size:           4
        .value_kind:     by_value
      - .offset:         728
        .size:           4
        .value_kind:     hidden_block_count_x
      - .offset:         732
        .size:           4
        .value_kind:     hidden_block_count_y
      - .offset:         736
        .size:           4
        .value_kind:     hidden_block_count_z
      - .offset:         740
        .size:           2
        .value_kind:     hidden_group_size_x
      - .offset:         742
        .size:           2
        .value_kind:     hidden_group_size_y
      - .offset:         744
        .size:           2
        .value_kind:     hidden_group_size_z
      - .offset:         746
        .size:           2
        .value_kind:     hidden_remainder_x
      - .offset:         748
        .size:           2
        .value_kind:     hidden_remainder_y
      - .offset:         750
        .size:           2
        .value_kind:     hidden_remainder_z
      - .offset:         768
        .size:           8
        .value_kind:     hidden_global_offset_x
      - .offset:         776
        .size:           8
        .value_kind:     hidden_global_offset_y
      - .offset:         784
        .size:           8
        .value_kind:     hidden_global_offset_z
      - .offset:         792
        .size:           2
        .value_kind:     hidden_grid_dims
    .group_segment_fixed_size: 1068
    .kernarg_segment_align: 8
    .kernarg_segment_size: 984
    .language:       OpenCL C
    .language_version:
      - 2
      - 0
    .max_flat_workgroup_size: 256
    .name:           _ZN2at6native6mbtopk10gatherTopKIfjLi1EEEvNS_4cuda6detail10TensorInfoIKT_T0_EES8_S8_bjS8_NS5_IS6_S8_EES8_NS5_IlS8_EES8_jjPS6_PjSD_j
    .private_segment_fixed_size: 0
    .sgpr_count:     43
    .sgpr_spill_count: 0
    .symbol:         _ZN2at6native6mbtopk10gatherTopKIfjLi1EEEvNS_4cuda6detail10TensorInfoIKT_T0_EES8_S8_bjS8_NS5_IS6_S8_EES8_NS5_IlS8_EES8_jjPS6_PjSD_j.kd
    .uniform_work_group_size: 1
    .uses_dynamic_stack: false
    .vgpr_count:     22
    .vgpr_spill_count: 0
    .wavefront_size: 64
  - .agpr_count:     0
    .args:
      - .offset:         0
        .size:           216
        .value_kind:     by_value
      - .offset:         216
        .size:           4
        .value_kind:     by_value
      - .offset:         220
        .size:           4
        .value_kind:     by_value
      - .offset:         224
        .size:           1
        .value_kind:     by_value
      - .offset:         228
        .size:           4
        .value_kind:     by_value
      - .offset:         232
        .size:           4
        .value_kind:     by_value
      - .offset:         240
        .size:           216
        .value_kind:     by_value
      - .offset:         456
        .size:           4
        .value_kind:     by_value
      - .offset:         464
        .size:           216
        .value_kind:     by_value
      - .offset:         680
        .size:           4
        .value_kind:     by_value
      - .address_space:  global
        .offset:         688
        .size:           8
        .value_kind:     global_buffer
      - .offset:         696
        .size:           4
        .value_kind:     hidden_block_count_x
      - .offset:         700
        .size:           4
        .value_kind:     hidden_block_count_y
      - .offset:         704
        .size:           4
        .value_kind:     hidden_block_count_z
      - .offset:         708
        .size:           2
        .value_kind:     hidden_group_size_x
      - .offset:         710
        .size:           2
        .value_kind:     hidden_group_size_y
      - .offset:         712
        .size:           2
        .value_kind:     hidden_group_size_z
      - .offset:         714
        .size:           2
        .value_kind:     hidden_remainder_x
      - .offset:         716
        .size:           2
        .value_kind:     hidden_remainder_y
      - .offset:         718
        .size:           2
        .value_kind:     hidden_remainder_z
      - .offset:         736
        .size:           8
        .value_kind:     hidden_global_offset_x
      - .offset:         744
        .size:           8
        .value_kind:     hidden_global_offset_y
      - .offset:         752
        .size:           8
        .value_kind:     hidden_global_offset_z
      - .offset:         760
        .size:           2
        .value_kind:     hidden_grid_dims
    .group_segment_fixed_size: 4112
    .kernarg_segment_align: 8
    .kernarg_segment_size: 952
    .language:       OpenCL C
    .language_version:
      - 2
      - 0
    .max_flat_workgroup_size: 1024
    .name:           _ZN2at6native6sbtopk10gatherTopKIfjLi1ELb0EEEvNS_4cuda6detail10TensorInfoIKT_T0_EES8_S8_bS8_S8_NS5_IS6_S8_EES8_NS5_IlS8_EES8_PS6_
    .private_segment_fixed_size: 0
    .sgpr_count:     100
    .sgpr_spill_count: 61
    .symbol:         _ZN2at6native6sbtopk10gatherTopKIfjLi1ELb0EEEvNS_4cuda6detail10TensorInfoIKT_T0_EES8_S8_bS8_S8_NS5_IS6_S8_EES8_NS5_IlS8_EES8_PS6_.kd
    .uniform_work_group_size: 1
    .uses_dynamic_stack: false
    .vgpr_count:     55
    .vgpr_spill_count: 0
    .wavefront_size: 64
  - .agpr_count:     0
    .args:
      - .offset:         0
        .size:           216
        .value_kind:     by_value
      - .offset:         216
        .size:           4
        .value_kind:     by_value
      - .address_space:  global
        .offset:         224
        .size:           8
        .value_kind:     global_buffer
      - .offset:         232
        .size:           4
        .value_kind:     by_value
      - .offset:         236
        .size:           4
        .value_kind:     by_value
      - .offset:         240
        .size:           4
        .value_kind:     by_value
      - .offset:         244
        .size:           4
        .value_kind:     by_value
      - .offset:         248
        .size:           4
        .value_kind:     by_value
      - .offset:         252
        .size:           4
        .value_kind:     by_value
      - .address_space:  global
        .offset:         256
        .size:           8
        .value_kind:     global_buffer
      - .address_space:  global
        .offset:         264
        .size:           8
        .value_kind:     global_buffer
      - .offset:         272
        .size:           4
        .value_kind:     hidden_block_count_x
      - .offset:         276
        .size:           4
        .value_kind:     hidden_block_count_y
      - .offset:         280
        .size:           4
        .value_kind:     hidden_block_count_z
      - .offset:         284
        .size:           2
        .value_kind:     hidden_group_size_x
      - .offset:         286
        .size:           2
        .value_kind:     hidden_group_size_y
      - .offset:         288
        .size:           2
        .value_kind:     hidden_group_size_z
      - .offset:         290
        .size:           2
        .value_kind:     hidden_remainder_x
      - .offset:         292
        .size:           2
        .value_kind:     hidden_remainder_y
      - .offset:         294
        .size:           2
        .value_kind:     hidden_remainder_z
      - .offset:         312
        .size:           8
        .value_kind:     hidden_global_offset_x
      - .offset:         320
        .size:           8
        .value_kind:     hidden_global_offset_y
      - .offset:         328
        .size:           8
        .value_kind:     hidden_global_offset_z
      - .offset:         336
        .size:           2
        .value_kind:     hidden_grid_dims
    .group_segment_fixed_size: 1024
    .kernarg_segment_align: 8
    .kernarg_segment_size: 528
    .language:       OpenCL C
    .language_version:
      - 2
      - 0
    .max_flat_workgroup_size: 256
    .name:           _ZN2at6native6mbtopk23computeBlockDigitCountsIfjjLi2EEEvNS_4cuda6detail10TensorInfoIKT_T0_EEjPjjS8_iijT1_PSB_Ps
    .private_segment_fixed_size: 0
    .sgpr_count:     26
    .sgpr_spill_count: 0
    .symbol:         _ZN2at6native6mbtopk23computeBlockDigitCountsIfjjLi2EEEvNS_4cuda6detail10TensorInfoIKT_T0_EEjPjjS8_iijT1_PSB_Ps.kd
    .uniform_work_group_size: 1
    .uses_dynamic_stack: false
    .vgpr_count:     14
    .vgpr_spill_count: 0
    .wavefront_size: 64
  - .agpr_count:     0
    .args:
      - .offset:         0
        .size:           216
        .value_kind:     by_value
      - .offset:         216
        .size:           4
        .value_kind:     by_value
      - .offset:         220
        .size:           4
        .value_kind:     by_value
      - .offset:         224
        .size:           1
        .value_kind:     by_value
      - .offset:         228
        .size:           4
        .value_kind:     by_value
      - .offset:         232
        .size:           4
        .value_kind:     by_value
      - .offset:         240
        .size:           216
        .value_kind:     by_value
      - .offset:         456
        .size:           4
        .value_kind:     by_value
      - .offset:         464
        .size:           216
        .value_kind:     by_value
      - .offset:         680
        .size:           4
        .value_kind:     by_value
      - .offset:         684
        .size:           4
        .value_kind:     by_value
      - .offset:         688
        .size:           4
        .value_kind:     by_value
      - .address_space:  global
        .offset:         696
        .size:           8
        .value_kind:     global_buffer
      - .address_space:  global
        .offset:         704
        .size:           8
        .value_kind:     global_buffer
      - .address_space:  global
        .offset:         712
        .size:           8
        .value_kind:     global_buffer
      - .offset:         720
        .size:           4
        .value_kind:     by_value
      - .offset:         728
        .size:           4
        .value_kind:     hidden_block_count_x
      - .offset:         732
        .size:           4
        .value_kind:     hidden_block_count_y
      - .offset:         736
        .size:           4
        .value_kind:     hidden_block_count_z
      - .offset:         740
        .size:           2
        .value_kind:     hidden_group_size_x
      - .offset:         742
        .size:           2
        .value_kind:     hidden_group_size_y
      - .offset:         744
        .size:           2
        .value_kind:     hidden_group_size_z
      - .offset:         746
        .size:           2
        .value_kind:     hidden_remainder_x
      - .offset:         748
        .size:           2
        .value_kind:     hidden_remainder_y
      - .offset:         750
        .size:           2
        .value_kind:     hidden_remainder_z
      - .offset:         768
        .size:           8
        .value_kind:     hidden_global_offset_x
      - .offset:         776
        .size:           8
        .value_kind:     hidden_global_offset_y
      - .offset:         784
        .size:           8
        .value_kind:     hidden_global_offset_z
      - .offset:         792
        .size:           2
        .value_kind:     hidden_grid_dims
    .group_segment_fixed_size: 1068
    .kernarg_segment_align: 8
    .kernarg_segment_size: 984
    .language:       OpenCL C
    .language_version:
      - 2
      - 0
    .max_flat_workgroup_size: 256
    .name:           _ZN2at6native6mbtopk10gatherTopKIfjLi2EEEvNS_4cuda6detail10TensorInfoIKT_T0_EES8_S8_bjS8_NS5_IS6_S8_EES8_NS5_IlS8_EES8_jjPS6_PjSD_j
    .private_segment_fixed_size: 0
    .sgpr_count:     55
    .sgpr_spill_count: 0
    .symbol:         _ZN2at6native6mbtopk10gatherTopKIfjLi2EEEvNS_4cuda6detail10TensorInfoIKT_T0_EES8_S8_bjS8_NS5_IS6_S8_EES8_NS5_IlS8_EES8_jjPS6_PjSD_j.kd
    .uniform_work_group_size: 1
    .uses_dynamic_stack: false
    .vgpr_count:     22
    .vgpr_spill_count: 0
    .wavefront_size: 64
  - .agpr_count:     0
    .args:
      - .offset:         0
        .size:           216
        .value_kind:     by_value
      - .offset:         216
        .size:           4
        .value_kind:     by_value
      - .offset:         220
        .size:           4
        .value_kind:     by_value
      - .offset:         224
        .size:           1
        .value_kind:     by_value
      - .offset:         228
        .size:           4
        .value_kind:     by_value
      - .offset:         232
        .size:           4
        .value_kind:     by_value
      - .offset:         240
        .size:           216
        .value_kind:     by_value
      - .offset:         456
        .size:           4
        .value_kind:     by_value
      - .offset:         464
        .size:           216
        .value_kind:     by_value
      - .offset:         680
        .size:           4
        .value_kind:     by_value
      - .address_space:  global
        .offset:         688
        .size:           8
        .value_kind:     global_buffer
      - .offset:         696
        .size:           4
        .value_kind:     hidden_block_count_x
      - .offset:         700
        .size:           4
        .value_kind:     hidden_block_count_y
      - .offset:         704
        .size:           4
        .value_kind:     hidden_block_count_z
      - .offset:         708
        .size:           2
        .value_kind:     hidden_group_size_x
      - .offset:         710
        .size:           2
        .value_kind:     hidden_group_size_y
      - .offset:         712
        .size:           2
        .value_kind:     hidden_group_size_z
      - .offset:         714
        .size:           2
        .value_kind:     hidden_remainder_x
      - .offset:         716
        .size:           2
        .value_kind:     hidden_remainder_y
      - .offset:         718
        .size:           2
        .value_kind:     hidden_remainder_z
      - .offset:         736
        .size:           8
        .value_kind:     hidden_global_offset_x
      - .offset:         744
        .size:           8
        .value_kind:     hidden_global_offset_y
      - .offset:         752
        .size:           8
        .value_kind:     hidden_global_offset_z
      - .offset:         760
        .size:           2
        .value_kind:     hidden_grid_dims
    .group_segment_fixed_size: 4112
    .kernarg_segment_align: 8
    .kernarg_segment_size: 952
    .language:       OpenCL C
    .language_version:
      - 2
      - 0
    .max_flat_workgroup_size: 1024
    .name:           _ZN2at6native6sbtopk10gatherTopKIfjLi2ELb0EEEvNS_4cuda6detail10TensorInfoIKT_T0_EES8_S8_bS8_S8_NS5_IS6_S8_EES8_NS5_IlS8_EES8_PS6_
    .private_segment_fixed_size: 0
    .sgpr_count:     100
    .sgpr_spill_count: 67
    .symbol:         _ZN2at6native6sbtopk10gatherTopKIfjLi2ELb0EEEvNS_4cuda6detail10TensorInfoIKT_T0_EES8_S8_bS8_S8_NS5_IS6_S8_EES8_NS5_IlS8_EES8_PS6_.kd
    .uniform_work_group_size: 1
    .uses_dynamic_stack: false
    .vgpr_count:     55
    .vgpr_spill_count: 0
    .wavefront_size: 64
  - .agpr_count:     0
    .args:
      - .offset:         0
        .size:           216
        .value_kind:     by_value
      - .offset:         216
        .size:           4
        .value_kind:     by_value
      - .address_space:  global
        .offset:         224
        .size:           8
        .value_kind:     global_buffer
      - .offset:         232
        .size:           4
        .value_kind:     by_value
      - .offset:         236
        .size:           4
        .value_kind:     by_value
      - .offset:         240
        .size:           4
        .value_kind:     by_value
      - .offset:         244
        .size:           4
        .value_kind:     by_value
      - .offset:         248
        .size:           4
        .value_kind:     by_value
      - .offset:         252
        .size:           4
        .value_kind:     by_value
      - .address_space:  global
        .offset:         256
        .size:           8
        .value_kind:     global_buffer
      - .address_space:  global
        .offset:         264
        .size:           8
        .value_kind:     global_buffer
      - .offset:         272
        .size:           4
        .value_kind:     hidden_block_count_x
      - .offset:         276
        .size:           4
        .value_kind:     hidden_block_count_y
      - .offset:         280
        .size:           4
        .value_kind:     hidden_block_count_z
      - .offset:         284
        .size:           2
        .value_kind:     hidden_group_size_x
      - .offset:         286
        .size:           2
        .value_kind:     hidden_group_size_y
      - .offset:         288
        .size:           2
        .value_kind:     hidden_group_size_z
      - .offset:         290
        .size:           2
        .value_kind:     hidden_remainder_x
      - .offset:         292
        .size:           2
        .value_kind:     hidden_remainder_y
      - .offset:         294
        .size:           2
        .value_kind:     hidden_remainder_z
      - .offset:         312
        .size:           8
        .value_kind:     hidden_global_offset_x
      - .offset:         320
        .size:           8
        .value_kind:     hidden_global_offset_y
      - .offset:         328
        .size:           8
        .value_kind:     hidden_global_offset_z
      - .offset:         336
        .size:           2
        .value_kind:     hidden_grid_dims
    .group_segment_fixed_size: 1024
    .kernarg_segment_align: 8
    .kernarg_segment_size: 528
    .language:       OpenCL C
    .language_version:
      - 2
      - 0
    .max_flat_workgroup_size: 256
    .name:           _ZN2at6native6mbtopk23computeBlockDigitCountsIfjjLi3EEEvNS_4cuda6detail10TensorInfoIKT_T0_EEjPjjS8_iijT1_PSB_Ps
    .private_segment_fixed_size: 0
    .sgpr_count:     30
    .sgpr_spill_count: 0
    .symbol:         _ZN2at6native6mbtopk23computeBlockDigitCountsIfjjLi3EEEvNS_4cuda6detail10TensorInfoIKT_T0_EEjPjjS8_iijT1_PSB_Ps.kd
    .uniform_work_group_size: 1
    .uses_dynamic_stack: false
    .vgpr_count:     14
    .vgpr_spill_count: 0
    .wavefront_size: 64
  - .agpr_count:     0
    .args:
      - .offset:         0
        .size:           216
        .value_kind:     by_value
      - .offset:         216
        .size:           4
        .value_kind:     by_value
      - .offset:         220
        .size:           4
        .value_kind:     by_value
      - .offset:         224
        .size:           1
        .value_kind:     by_value
      - .offset:         228
        .size:           4
        .value_kind:     by_value
      - .offset:         232
        .size:           4
        .value_kind:     by_value
      - .offset:         240
        .size:           216
        .value_kind:     by_value
      - .offset:         456
        .size:           4
        .value_kind:     by_value
      - .offset:         464
        .size:           216
        .value_kind:     by_value
      - .offset:         680
        .size:           4
        .value_kind:     by_value
      - .offset:         684
        .size:           4
        .value_kind:     by_value
      - .offset:         688
        .size:           4
        .value_kind:     by_value
      - .address_space:  global
        .offset:         696
        .size:           8
        .value_kind:     global_buffer
      - .address_space:  global
        .offset:         704
        .size:           8
        .value_kind:     global_buffer
      - .address_space:  global
        .offset:         712
        .size:           8
        .value_kind:     global_buffer
      - .offset:         720
        .size:           4
        .value_kind:     by_value
      - .offset:         728
        .size:           4
        .value_kind:     hidden_block_count_x
      - .offset:         732
        .size:           4
        .value_kind:     hidden_block_count_y
      - .offset:         736
        .size:           4
        .value_kind:     hidden_block_count_z
      - .offset:         740
        .size:           2
        .value_kind:     hidden_group_size_x
      - .offset:         742
        .size:           2
        .value_kind:     hidden_group_size_y
      - .offset:         744
        .size:           2
        .value_kind:     hidden_group_size_z
      - .offset:         746
        .size:           2
        .value_kind:     hidden_remainder_x
      - .offset:         748
        .size:           2
        .value_kind:     hidden_remainder_y
      - .offset:         750
        .size:           2
        .value_kind:     hidden_remainder_z
      - .offset:         768
        .size:           8
        .value_kind:     hidden_global_offset_x
      - .offset:         776
        .size:           8
        .value_kind:     hidden_global_offset_y
      - .offset:         784
        .size:           8
        .value_kind:     hidden_global_offset_z
      - .offset:         792
        .size:           2
        .value_kind:     hidden_grid_dims
    .group_segment_fixed_size: 1068
    .kernarg_segment_align: 8
    .kernarg_segment_size: 984
    .language:       OpenCL C
    .language_version:
      - 2
      - 0
    .max_flat_workgroup_size: 256
    .name:           _ZN2at6native6mbtopk10gatherTopKIfjLi3EEEvNS_4cuda6detail10TensorInfoIKT_T0_EES8_S8_bjS8_NS5_IS6_S8_EES8_NS5_IlS8_EES8_jjPS6_PjSD_j
    .private_segment_fixed_size: 0
    .sgpr_count:     64
    .sgpr_spill_count: 0
    .symbol:         _ZN2at6native6mbtopk10gatherTopKIfjLi3EEEvNS_4cuda6detail10TensorInfoIKT_T0_EES8_S8_bjS8_NS5_IS6_S8_EES8_NS5_IlS8_EES8_jjPS6_PjSD_j.kd
    .uniform_work_group_size: 1
    .uses_dynamic_stack: false
    .vgpr_count:     22
    .vgpr_spill_count: 0
    .wavefront_size: 64
  - .agpr_count:     0
    .args:
      - .offset:         0
        .size:           216
        .value_kind:     by_value
      - .offset:         216
        .size:           4
        .value_kind:     by_value
      - .offset:         220
        .size:           4
        .value_kind:     by_value
      - .offset:         224
        .size:           1
        .value_kind:     by_value
      - .offset:         228
        .size:           4
        .value_kind:     by_value
      - .offset:         232
        .size:           4
        .value_kind:     by_value
      - .offset:         240
        .size:           216
        .value_kind:     by_value
      - .offset:         456
        .size:           4
        .value_kind:     by_value
      - .offset:         464
        .size:           216
        .value_kind:     by_value
      - .offset:         680
        .size:           4
        .value_kind:     by_value
      - .address_space:  global
        .offset:         688
        .size:           8
        .value_kind:     global_buffer
      - .offset:         696
        .size:           4
        .value_kind:     hidden_block_count_x
      - .offset:         700
        .size:           4
        .value_kind:     hidden_block_count_y
      - .offset:         704
        .size:           4
        .value_kind:     hidden_block_count_z
      - .offset:         708
        .size:           2
        .value_kind:     hidden_group_size_x
      - .offset:         710
        .size:           2
        .value_kind:     hidden_group_size_y
      - .offset:         712
        .size:           2
        .value_kind:     hidden_group_size_z
      - .offset:         714
        .size:           2
        .value_kind:     hidden_remainder_x
      - .offset:         716
        .size:           2
        .value_kind:     hidden_remainder_y
      - .offset:         718
        .size:           2
        .value_kind:     hidden_remainder_z
      - .offset:         736
        .size:           8
        .value_kind:     hidden_global_offset_x
      - .offset:         744
        .size:           8
        .value_kind:     hidden_global_offset_y
      - .offset:         752
        .size:           8
        .value_kind:     hidden_global_offset_z
      - .offset:         760
        .size:           2
        .value_kind:     hidden_grid_dims
    .group_segment_fixed_size: 4112
    .kernarg_segment_align: 8
    .kernarg_segment_size: 952
    .language:       OpenCL C
    .language_version:
      - 2
      - 0
    .max_flat_workgroup_size: 1024
    .name:           _ZN2at6native6sbtopk10gatherTopKIfjLi3ELb0EEEvNS_4cuda6detail10TensorInfoIKT_T0_EES8_S8_bS8_S8_NS5_IS6_S8_EES8_NS5_IlS8_EES8_PS6_
    .private_segment_fixed_size: 0
    .sgpr_count:     100
    .sgpr_spill_count: 75
    .symbol:         _ZN2at6native6sbtopk10gatherTopKIfjLi3ELb0EEEvNS_4cuda6detail10TensorInfoIKT_T0_EES8_S8_bS8_S8_NS5_IS6_S8_EES8_NS5_IlS8_EES8_PS6_.kd
    .uniform_work_group_size: 1
    .uses_dynamic_stack: false
    .vgpr_count:     56
    .vgpr_spill_count: 0
    .wavefront_size: 64
  - .agpr_count:     0
    .args:
      - .offset:         0
        .size:           216
        .value_kind:     by_value
      - .offset:         216
        .size:           4
        .value_kind:     by_value
      - .address_space:  global
        .offset:         224
        .size:           8
        .value_kind:     global_buffer
      - .offset:         232
        .size:           4
        .value_kind:     by_value
      - .offset:         236
        .size:           4
        .value_kind:     by_value
      - .offset:         240
        .size:           4
        .value_kind:     by_value
      - .offset:         244
        .size:           4
        .value_kind:     by_value
      - .offset:         248
        .size:           4
        .value_kind:     by_value
      - .offset:         252
        .size:           4
        .value_kind:     by_value
      - .address_space:  global
        .offset:         256
        .size:           8
        .value_kind:     global_buffer
      - .address_space:  global
        .offset:         264
        .size:           8
        .value_kind:     global_buffer
      - .offset:         272
        .size:           4
        .value_kind:     hidden_block_count_x
      - .offset:         276
        .size:           4
        .value_kind:     hidden_block_count_y
      - .offset:         280
        .size:           4
        .value_kind:     hidden_block_count_z
      - .offset:         284
        .size:           2
        .value_kind:     hidden_group_size_x
      - .offset:         286
        .size:           2
        .value_kind:     hidden_group_size_y
      - .offset:         288
        .size:           2
        .value_kind:     hidden_group_size_z
      - .offset:         290
        .size:           2
        .value_kind:     hidden_remainder_x
      - .offset:         292
        .size:           2
        .value_kind:     hidden_remainder_y
      - .offset:         294
        .size:           2
        .value_kind:     hidden_remainder_z
      - .offset:         312
        .size:           8
        .value_kind:     hidden_global_offset_x
      - .offset:         320
        .size:           8
        .value_kind:     hidden_global_offset_y
      - .offset:         328
        .size:           8
        .value_kind:     hidden_global_offset_z
      - .offset:         336
        .size:           2
        .value_kind:     hidden_grid_dims
    .group_segment_fixed_size: 1024
    .kernarg_segment_align: 8
    .kernarg_segment_size: 528
    .language:       OpenCL C
    .language_version:
      - 2
      - 0
    .max_flat_workgroup_size: 256
    .name:           _ZN2at6native6mbtopk23computeBlockDigitCountsIfjjLin1EEEvNS_4cuda6detail10TensorInfoIKT_T0_EEjPjjS8_iijT1_PSB_Ps
    .private_segment_fixed_size: 0
    .sgpr_count:     28
    .sgpr_spill_count: 0
    .symbol:         _ZN2at6native6mbtopk23computeBlockDigitCountsIfjjLin1EEEvNS_4cuda6detail10TensorInfoIKT_T0_EEjPjjS8_iijT1_PSB_Ps.kd
    .uniform_work_group_size: 1
    .uses_dynamic_stack: false
    .vgpr_count:     14
    .vgpr_spill_count: 0
    .wavefront_size: 64
  - .agpr_count:     0
    .args:
      - .offset:         0
        .size:           216
        .value_kind:     by_value
      - .offset:         216
        .size:           4
        .value_kind:     by_value
      - .offset:         220
        .size:           4
        .value_kind:     by_value
      - .offset:         224
        .size:           1
        .value_kind:     by_value
      - .offset:         228
        .size:           4
        .value_kind:     by_value
      - .offset:         232
        .size:           4
        .value_kind:     by_value
      - .offset:         240
        .size:           216
        .value_kind:     by_value
      - .offset:         456
        .size:           4
        .value_kind:     by_value
      - .offset:         464
        .size:           216
        .value_kind:     by_value
      - .offset:         680
        .size:           4
        .value_kind:     by_value
      - .offset:         684
        .size:           4
        .value_kind:     by_value
      - .offset:         688
        .size:           4
        .value_kind:     by_value
      - .address_space:  global
        .offset:         696
        .size:           8
        .value_kind:     global_buffer
      - .address_space:  global
        .offset:         704
        .size:           8
        .value_kind:     global_buffer
      - .address_space:  global
        .offset:         712
        .size:           8
        .value_kind:     global_buffer
      - .offset:         720
        .size:           4
        .value_kind:     by_value
      - .offset:         728
        .size:           4
        .value_kind:     hidden_block_count_x
      - .offset:         732
        .size:           4
        .value_kind:     hidden_block_count_y
      - .offset:         736
        .size:           4
        .value_kind:     hidden_block_count_z
      - .offset:         740
        .size:           2
        .value_kind:     hidden_group_size_x
      - .offset:         742
        .size:           2
        .value_kind:     hidden_group_size_y
      - .offset:         744
        .size:           2
        .value_kind:     hidden_group_size_z
      - .offset:         746
        .size:           2
        .value_kind:     hidden_remainder_x
      - .offset:         748
        .size:           2
        .value_kind:     hidden_remainder_y
      - .offset:         750
        .size:           2
        .value_kind:     hidden_remainder_z
      - .offset:         768
        .size:           8
        .value_kind:     hidden_global_offset_x
      - .offset:         776
        .size:           8
        .value_kind:     hidden_global_offset_y
      - .offset:         784
        .size:           8
        .value_kind:     hidden_global_offset_z
      - .offset:         792
        .size:           2
        .value_kind:     hidden_grid_dims
    .group_segment_fixed_size: 1068
    .kernarg_segment_align: 8
    .kernarg_segment_size: 984
    .language:       OpenCL C
    .language_version:
      - 2
      - 0
    .max_flat_workgroup_size: 256
    .name:           _ZN2at6native6mbtopk10gatherTopKIfjLin1EEEvNS_4cuda6detail10TensorInfoIKT_T0_EES8_S8_bjS8_NS5_IS6_S8_EES8_NS5_IlS8_EES8_jjPS6_PjSD_j
    .private_segment_fixed_size: 0
    .sgpr_count:     50
    .sgpr_spill_count: 0
    .symbol:         _ZN2at6native6mbtopk10gatherTopKIfjLin1EEEvNS_4cuda6detail10TensorInfoIKT_T0_EES8_S8_bjS8_NS5_IS6_S8_EES8_NS5_IlS8_EES8_jjPS6_PjSD_j.kd
    .uniform_work_group_size: 1
    .uses_dynamic_stack: false
    .vgpr_count:     22
    .vgpr_spill_count: 0
    .wavefront_size: 64
  - .agpr_count:     0
    .args:
      - .offset:         0
        .size:           216
        .value_kind:     by_value
      - .offset:         216
        .size:           4
        .value_kind:     by_value
      - .offset:         220
        .size:           4
        .value_kind:     by_value
      - .offset:         224
        .size:           1
        .value_kind:     by_value
      - .offset:         228
        .size:           4
        .value_kind:     by_value
      - .offset:         232
        .size:           4
        .value_kind:     by_value
      - .offset:         240
        .size:           216
        .value_kind:     by_value
      - .offset:         456
        .size:           4
        .value_kind:     by_value
      - .offset:         464
        .size:           216
        .value_kind:     by_value
      - .offset:         680
        .size:           4
        .value_kind:     by_value
      - .address_space:  global
        .offset:         688
        .size:           8
        .value_kind:     global_buffer
      - .offset:         696
        .size:           4
        .value_kind:     hidden_block_count_x
      - .offset:         700
        .size:           4
        .value_kind:     hidden_block_count_y
      - .offset:         704
        .size:           4
        .value_kind:     hidden_block_count_z
      - .offset:         708
        .size:           2
        .value_kind:     hidden_group_size_x
      - .offset:         710
        .size:           2
        .value_kind:     hidden_group_size_y
      - .offset:         712
        .size:           2
        .value_kind:     hidden_group_size_z
      - .offset:         714
        .size:           2
        .value_kind:     hidden_remainder_x
      - .offset:         716
        .size:           2
        .value_kind:     hidden_remainder_y
      - .offset:         718
        .size:           2
        .value_kind:     hidden_remainder_z
      - .offset:         736
        .size:           8
        .value_kind:     hidden_global_offset_x
      - .offset:         744
        .size:           8
        .value_kind:     hidden_global_offset_y
      - .offset:         752
        .size:           8
        .value_kind:     hidden_global_offset_z
      - .offset:         760
        .size:           2
        .value_kind:     hidden_grid_dims
    .group_segment_fixed_size: 4112
    .kernarg_segment_align: 8
    .kernarg_segment_size: 952
    .language:       OpenCL C
    .language_version:
      - 2
      - 0
    .max_flat_workgroup_size: 1024
    .name:           _ZN2at6native6sbtopk10gatherTopKIfjLin1ELb0EEEvNS_4cuda6detail10TensorInfoIKT_T0_EES8_S8_bS8_S8_NS5_IS6_S8_EES8_NS5_IlS8_EES8_PS6_
    .private_segment_fixed_size: 0
    .sgpr_count:     100
    .sgpr_spill_count: 64
    .symbol:         _ZN2at6native6sbtopk10gatherTopKIfjLin1ELb0EEEvNS_4cuda6detail10TensorInfoIKT_T0_EES8_S8_bS8_S8_NS5_IS6_S8_EES8_NS5_IlS8_EES8_PS6_.kd
    .uniform_work_group_size: 1
    .uses_dynamic_stack: false
    .vgpr_count:     55
    .vgpr_spill_count: 0
    .wavefront_size: 64
  - .agpr_count:     0
    .args:
      - .offset:         0
        .size:           216
        .value_kind:     by_value
      - .offset:         216
        .size:           4
        .value_kind:     by_value
      - .address_space:  global
        .offset:         224
        .size:           8
        .value_kind:     global_buffer
      - .offset:         232
        .size:           4
        .value_kind:     by_value
      - .offset:         236
        .size:           4
        .value_kind:     by_value
      - .offset:         240
        .size:           4
        .value_kind:     by_value
      - .offset:         244
        .size:           4
        .value_kind:     by_value
      - .offset:         248
        .size:           4
        .value_kind:     by_value
      - .offset:         252
        .size:           4
        .value_kind:     by_value
      - .address_space:  global
        .offset:         256
        .size:           8
        .value_kind:     global_buffer
      - .address_space:  global
        .offset:         264
        .size:           8
        .value_kind:     global_buffer
      - .offset:         272
        .size:           4
        .value_kind:     hidden_block_count_x
      - .offset:         276
        .size:           4
        .value_kind:     hidden_block_count_y
      - .offset:         280
        .size:           4
        .value_kind:     hidden_block_count_z
      - .offset:         284
        .size:           2
        .value_kind:     hidden_group_size_x
      - .offset:         286
        .size:           2
        .value_kind:     hidden_group_size_y
      - .offset:         288
        .size:           2
        .value_kind:     hidden_group_size_z
      - .offset:         290
        .size:           2
        .value_kind:     hidden_remainder_x
      - .offset:         292
        .size:           2
        .value_kind:     hidden_remainder_y
      - .offset:         294
        .size:           2
        .value_kind:     hidden_remainder_z
      - .offset:         312
        .size:           8
        .value_kind:     hidden_global_offset_x
      - .offset:         320
        .size:           8
        .value_kind:     hidden_global_offset_y
      - .offset:         328
        .size:           8
        .value_kind:     hidden_global_offset_z
      - .offset:         336
        .size:           2
        .value_kind:     hidden_grid_dims
    .group_segment_fixed_size: 1024
    .kernarg_segment_align: 8
    .kernarg_segment_size: 528
    .language:       OpenCL C
    .language_version:
      - 2
      - 0
    .max_flat_workgroup_size: 256
    .name:           _ZN2at6native6mbtopk23computeBlockDigitCountsIN3c104HalfEjjLi1EEEvNS_4cuda6detail10TensorInfoIKT_T0_EEjPjjSA_iijT1_PSD_Ps
    .private_segment_fixed_size: 0
    .sgpr_count:     24
    .sgpr_spill_count: 0
    .symbol:         _ZN2at6native6mbtopk23computeBlockDigitCountsIN3c104HalfEjjLi1EEEvNS_4cuda6detail10TensorInfoIKT_T0_EEjPjjSA_iijT1_PSD_Ps.kd
    .uniform_work_group_size: 1
    .uses_dynamic_stack: false
    .vgpr_count:     14
    .vgpr_spill_count: 0
    .wavefront_size: 64
  - .agpr_count:     0
    .args:
      - .address_space:  global
        .offset:         0
        .size:           8
        .value_kind:     global_buffer
      - .address_space:  global
        .offset:         8
        .size:           8
        .value_kind:     global_buffer
      - .address_space:  global
        .offset:         16
        .size:           8
        .value_kind:     global_buffer
      - .offset:         24
        .size:           4
        .value_kind:     by_value
      - .offset:         28
        .size:           4
        .value_kind:     by_value
      - .offset:         32
        .size:           1
        .value_kind:     by_value
      - .address_space:  global
        .offset:         40
        .size:           8
        .value_kind:     global_buffer
      - .address_space:  global
        .offset:         48
        .size:           8
        .value_kind:     global_buffer
      - .address_space:  global
        .offset:         56
        .size:           8
        .value_kind:     global_buffer
      - .address_space:  global
        .offset:         64
        .size:           8
        .value_kind:     global_buffer
      - .address_space:  global
        .offset:         72
        .size:           8
        .value_kind:     global_buffer
      - .offset:         80
        .size:           4
        .value_kind:     by_value
      - .offset:         88
        .size:           4
        .value_kind:     hidden_block_count_x
      - .offset:         92
        .size:           4
        .value_kind:     hidden_block_count_y
      - .offset:         96
        .size:           4
        .value_kind:     hidden_block_count_z
      - .offset:         100
        .size:           2
        .value_kind:     hidden_group_size_x
      - .offset:         102
        .size:           2
        .value_kind:     hidden_group_size_y
      - .offset:         104
        .size:           2
        .value_kind:     hidden_group_size_z
      - .offset:         106
        .size:           2
        .value_kind:     hidden_remainder_x
      - .offset:         108
        .size:           2
        .value_kind:     hidden_remainder_y
      - .offset:         110
        .size:           2
        .value_kind:     hidden_remainder_z
      - .offset:         128
        .size:           8
        .value_kind:     hidden_global_offset_x
      - .offset:         136
        .size:           8
        .value_kind:     hidden_global_offset_y
      - .offset:         144
        .size:           8
        .value_kind:     hidden_global_offset_z
      - .offset:         152
        .size:           2
        .value_kind:     hidden_grid_dims
    .group_segment_fixed_size: 2100
    .kernarg_segment_align: 8
    .kernarg_segment_size: 344
    .language:       OpenCL C
    .language_version:
      - 2
      - 0
    .max_flat_workgroup_size: 256
    .name:           _ZN2at6native6mbtopk29computeBlockwiseWithinKCountsIjN3c104HalfEEEvPT_PsPjjibS8_PT0_S8_S6_S8_j
    .private_segment_fixed_size: 0
    .sgpr_count:     34
    .sgpr_spill_count: 0
    .symbol:         _ZN2at6native6mbtopk29computeBlockwiseWithinKCountsIjN3c104HalfEEEvPT_PsPjjibS8_PT0_S8_S6_S8_j.kd
    .uniform_work_group_size: 1
    .uses_dynamic_stack: false
    .vgpr_count:     15
    .vgpr_spill_count: 0
    .wavefront_size: 64
  - .agpr_count:     0
    .args:
      - .offset:         0
        .size:           216
        .value_kind:     by_value
      - .offset:         216
        .size:           4
        .value_kind:     by_value
      - .offset:         220
        .size:           4
        .value_kind:     by_value
      - .offset:         224
        .size:           1
        .value_kind:     by_value
      - .offset:         228
        .size:           4
        .value_kind:     by_value
      - .offset:         232
        .size:           4
        .value_kind:     by_value
      - .offset:         240
        .size:           216
        .value_kind:     by_value
      - .offset:         456
        .size:           4
        .value_kind:     by_value
      - .offset:         464
        .size:           216
        .value_kind:     by_value
      - .offset:         680
        .size:           4
        .value_kind:     by_value
      - .offset:         684
        .size:           4
        .value_kind:     by_value
      - .offset:         688
        .size:           4
        .value_kind:     by_value
      - .address_space:  global
        .offset:         696
        .size:           8
        .value_kind:     global_buffer
      - .address_space:  global
        .offset:         704
        .size:           8
        .value_kind:     global_buffer
      - .address_space:  global
        .offset:         712
        .size:           8
        .value_kind:     global_buffer
      - .offset:         720
        .size:           4
        .value_kind:     by_value
      - .offset:         728
        .size:           4
        .value_kind:     hidden_block_count_x
      - .offset:         732
        .size:           4
        .value_kind:     hidden_block_count_y
      - .offset:         736
        .size:           4
        .value_kind:     hidden_block_count_z
      - .offset:         740
        .size:           2
        .value_kind:     hidden_group_size_x
      - .offset:         742
        .size:           2
        .value_kind:     hidden_group_size_y
      - .offset:         744
        .size:           2
        .value_kind:     hidden_group_size_z
      - .offset:         746
        .size:           2
        .value_kind:     hidden_remainder_x
      - .offset:         748
        .size:           2
        .value_kind:     hidden_remainder_y
      - .offset:         750
        .size:           2
        .value_kind:     hidden_remainder_z
      - .offset:         768
        .size:           8
        .value_kind:     hidden_global_offset_x
      - .offset:         776
        .size:           8
        .value_kind:     hidden_global_offset_y
      - .offset:         784
        .size:           8
        .value_kind:     hidden_global_offset_z
      - .offset:         792
        .size:           2
        .value_kind:     hidden_grid_dims
    .group_segment_fixed_size: 1068
    .kernarg_segment_align: 8
    .kernarg_segment_size: 984
    .language:       OpenCL C
    .language_version:
      - 2
      - 0
    .max_flat_workgroup_size: 256
    .name:           _ZN2at6native6mbtopk10gatherTopKIN3c104HalfEjLi1EEEvNS_4cuda6detail10TensorInfoIKT_T0_EESA_SA_bjSA_NS7_IS8_SA_EESA_NS7_IlSA_EESA_jjPS8_PjSF_j
    .private_segment_fixed_size: 0
    .sgpr_count:     43
    .sgpr_spill_count: 0
    .symbol:         _ZN2at6native6mbtopk10gatherTopKIN3c104HalfEjLi1EEEvNS_4cuda6detail10TensorInfoIKT_T0_EESA_SA_bjSA_NS7_IS8_SA_EESA_NS7_IlSA_EESA_jjPS8_PjSF_j.kd
    .uniform_work_group_size: 1
    .uses_dynamic_stack: false
    .vgpr_count:     24
    .vgpr_spill_count: 0
    .wavefront_size: 64
  - .agpr_count:     0
    .args:
      - .offset:         0
        .size:           216
        .value_kind:     by_value
      - .offset:         216
        .size:           4
        .value_kind:     by_value
      - .offset:         220
        .size:           4
        .value_kind:     by_value
      - .offset:         224
        .size:           1
        .value_kind:     by_value
      - .offset:         228
        .size:           4
        .value_kind:     by_value
      - .offset:         232
        .size:           4
        .value_kind:     by_value
      - .offset:         240
        .size:           216
        .value_kind:     by_value
      - .offset:         456
        .size:           4
        .value_kind:     by_value
      - .offset:         464
        .size:           216
        .value_kind:     by_value
      - .offset:         680
        .size:           4
        .value_kind:     by_value
      - .address_space:  global
        .offset:         688
        .size:           8
        .value_kind:     global_buffer
      - .offset:         696
        .size:           4
        .value_kind:     hidden_block_count_x
      - .offset:         700
        .size:           4
        .value_kind:     hidden_block_count_y
      - .offset:         704
        .size:           4
        .value_kind:     hidden_block_count_z
      - .offset:         708
        .size:           2
        .value_kind:     hidden_group_size_x
      - .offset:         710
        .size:           2
        .value_kind:     hidden_group_size_y
      - .offset:         712
        .size:           2
        .value_kind:     hidden_group_size_z
      - .offset:         714
        .size:           2
        .value_kind:     hidden_remainder_x
      - .offset:         716
        .size:           2
        .value_kind:     hidden_remainder_y
      - .offset:         718
        .size:           2
        .value_kind:     hidden_remainder_z
      - .offset:         736
        .size:           8
        .value_kind:     hidden_global_offset_x
      - .offset:         744
        .size:           8
        .value_kind:     hidden_global_offset_y
      - .offset:         752
        .size:           8
        .value_kind:     hidden_global_offset_z
      - .offset:         760
        .size:           2
        .value_kind:     hidden_grid_dims
    .group_segment_fixed_size: 4112
    .kernarg_segment_align: 8
    .kernarg_segment_size: 952
    .language:       OpenCL C
    .language_version:
      - 2
      - 0
    .max_flat_workgroup_size: 1024
    .name:           _ZN2at6native6sbtopk10gatherTopKIN3c104HalfEjLi1ELb0EEEvNS_4cuda6detail10TensorInfoIKT_T0_EESA_SA_bSA_SA_NS7_IS8_SA_EESA_NS7_IlSA_EESA_PS8_
    .private_segment_fixed_size: 0
    .sgpr_count:     100
    .sgpr_spill_count: 63
    .symbol:         _ZN2at6native6sbtopk10gatherTopKIN3c104HalfEjLi1ELb0EEEvNS_4cuda6detail10TensorInfoIKT_T0_EESA_SA_bSA_SA_NS7_IS8_SA_EESA_NS7_IlSA_EESA_PS8_.kd
    .uniform_work_group_size: 1
    .uses_dynamic_stack: false
    .vgpr_count:     55
    .vgpr_spill_count: 0
    .wavefront_size: 64
  - .agpr_count:     0
    .args:
      - .offset:         0
        .size:           216
        .value_kind:     by_value
      - .offset:         216
        .size:           4
        .value_kind:     by_value
      - .address_space:  global
        .offset:         224
        .size:           8
        .value_kind:     global_buffer
      - .offset:         232
        .size:           4
        .value_kind:     by_value
      - .offset:         236
        .size:           4
        .value_kind:     by_value
      - .offset:         240
        .size:           4
        .value_kind:     by_value
      - .offset:         244
        .size:           4
        .value_kind:     by_value
      - .offset:         248
        .size:           4
        .value_kind:     by_value
      - .offset:         252
        .size:           4
        .value_kind:     by_value
      - .address_space:  global
        .offset:         256
        .size:           8
        .value_kind:     global_buffer
      - .address_space:  global
        .offset:         264
        .size:           8
        .value_kind:     global_buffer
      - .offset:         272
        .size:           4
        .value_kind:     hidden_block_count_x
      - .offset:         276
        .size:           4
        .value_kind:     hidden_block_count_y
      - .offset:         280
        .size:           4
        .value_kind:     hidden_block_count_z
      - .offset:         284
        .size:           2
        .value_kind:     hidden_group_size_x
      - .offset:         286
        .size:           2
        .value_kind:     hidden_group_size_y
      - .offset:         288
        .size:           2
        .value_kind:     hidden_group_size_z
      - .offset:         290
        .size:           2
        .value_kind:     hidden_remainder_x
      - .offset:         292
        .size:           2
        .value_kind:     hidden_remainder_y
      - .offset:         294
        .size:           2
        .value_kind:     hidden_remainder_z
      - .offset:         312
        .size:           8
        .value_kind:     hidden_global_offset_x
      - .offset:         320
        .size:           8
        .value_kind:     hidden_global_offset_y
      - .offset:         328
        .size:           8
        .value_kind:     hidden_global_offset_z
      - .offset:         336
        .size:           2
        .value_kind:     hidden_grid_dims
    .group_segment_fixed_size: 1024
    .kernarg_segment_align: 8
    .kernarg_segment_size: 528
    .language:       OpenCL C
    .language_version:
      - 2
      - 0
    .max_flat_workgroup_size: 256
    .name:           _ZN2at6native6mbtopk23computeBlockDigitCountsIN3c104HalfEjjLi2EEEvNS_4cuda6detail10TensorInfoIKT_T0_EEjPjjSA_iijT1_PSD_Ps
    .private_segment_fixed_size: 0
    .sgpr_count:     26
    .sgpr_spill_count: 0
    .symbol:         _ZN2at6native6mbtopk23computeBlockDigitCountsIN3c104HalfEjjLi2EEEvNS_4cuda6detail10TensorInfoIKT_T0_EEjPjjSA_iijT1_PSD_Ps.kd
    .uniform_work_group_size: 1
    .uses_dynamic_stack: false
    .vgpr_count:     14
    .vgpr_spill_count: 0
    .wavefront_size: 64
  - .agpr_count:     0
    .args:
      - .offset:         0
        .size:           216
        .value_kind:     by_value
      - .offset:         216
        .size:           4
        .value_kind:     by_value
      - .offset:         220
        .size:           4
        .value_kind:     by_value
      - .offset:         224
        .size:           1
        .value_kind:     by_value
      - .offset:         228
        .size:           4
        .value_kind:     by_value
      - .offset:         232
        .size:           4
        .value_kind:     by_value
      - .offset:         240
        .size:           216
        .value_kind:     by_value
      - .offset:         456
        .size:           4
        .value_kind:     by_value
      - .offset:         464
        .size:           216
        .value_kind:     by_value
      - .offset:         680
        .size:           4
        .value_kind:     by_value
      - .offset:         684
        .size:           4
        .value_kind:     by_value
      - .offset:         688
        .size:           4
        .value_kind:     by_value
      - .address_space:  global
        .offset:         696
        .size:           8
        .value_kind:     global_buffer
      - .address_space:  global
        .offset:         704
        .size:           8
        .value_kind:     global_buffer
      - .address_space:  global
        .offset:         712
        .size:           8
        .value_kind:     global_buffer
      - .offset:         720
        .size:           4
        .value_kind:     by_value
      - .offset:         728
        .size:           4
        .value_kind:     hidden_block_count_x
      - .offset:         732
        .size:           4
        .value_kind:     hidden_block_count_y
      - .offset:         736
        .size:           4
        .value_kind:     hidden_block_count_z
      - .offset:         740
        .size:           2
        .value_kind:     hidden_group_size_x
      - .offset:         742
        .size:           2
        .value_kind:     hidden_group_size_y
      - .offset:         744
        .size:           2
        .value_kind:     hidden_group_size_z
      - .offset:         746
        .size:           2
        .value_kind:     hidden_remainder_x
      - .offset:         748
        .size:           2
        .value_kind:     hidden_remainder_y
      - .offset:         750
        .size:           2
        .value_kind:     hidden_remainder_z
      - .offset:         768
        .size:           8
        .value_kind:     hidden_global_offset_x
      - .offset:         776
        .size:           8
        .value_kind:     hidden_global_offset_y
      - .offset:         784
        .size:           8
        .value_kind:     hidden_global_offset_z
      - .offset:         792
        .size:           2
        .value_kind:     hidden_grid_dims
    .group_segment_fixed_size: 1068
    .kernarg_segment_align: 8
    .kernarg_segment_size: 984
    .language:       OpenCL C
    .language_version:
      - 2
      - 0
    .max_flat_workgroup_size: 256
    .name:           _ZN2at6native6mbtopk10gatherTopKIN3c104HalfEjLi2EEEvNS_4cuda6detail10TensorInfoIKT_T0_EESA_SA_bjSA_NS7_IS8_SA_EESA_NS7_IlSA_EESA_jjPS8_PjSF_j
    .private_segment_fixed_size: 0
    .sgpr_count:     55
    .sgpr_spill_count: 0
    .symbol:         _ZN2at6native6mbtopk10gatherTopKIN3c104HalfEjLi2EEEvNS_4cuda6detail10TensorInfoIKT_T0_EESA_SA_bjSA_NS7_IS8_SA_EESA_NS7_IlSA_EESA_jjPS8_PjSF_j.kd
    .uniform_work_group_size: 1
    .uses_dynamic_stack: false
    .vgpr_count:     24
    .vgpr_spill_count: 0
    .wavefront_size: 64
  - .agpr_count:     0
    .args:
      - .offset:         0
        .size:           216
        .value_kind:     by_value
      - .offset:         216
        .size:           4
        .value_kind:     by_value
      - .offset:         220
        .size:           4
        .value_kind:     by_value
      - .offset:         224
        .size:           1
        .value_kind:     by_value
      - .offset:         228
        .size:           4
        .value_kind:     by_value
      - .offset:         232
        .size:           4
        .value_kind:     by_value
      - .offset:         240
        .size:           216
        .value_kind:     by_value
      - .offset:         456
        .size:           4
        .value_kind:     by_value
      - .offset:         464
        .size:           216
        .value_kind:     by_value
      - .offset:         680
        .size:           4
        .value_kind:     by_value
      - .address_space:  global
        .offset:         688
        .size:           8
        .value_kind:     global_buffer
      - .offset:         696
        .size:           4
        .value_kind:     hidden_block_count_x
      - .offset:         700
        .size:           4
        .value_kind:     hidden_block_count_y
      - .offset:         704
        .size:           4
        .value_kind:     hidden_block_count_z
      - .offset:         708
        .size:           2
        .value_kind:     hidden_group_size_x
      - .offset:         710
        .size:           2
        .value_kind:     hidden_group_size_y
      - .offset:         712
        .size:           2
        .value_kind:     hidden_group_size_z
      - .offset:         714
        .size:           2
        .value_kind:     hidden_remainder_x
      - .offset:         716
        .size:           2
        .value_kind:     hidden_remainder_y
      - .offset:         718
        .size:           2
        .value_kind:     hidden_remainder_z
      - .offset:         736
        .size:           8
        .value_kind:     hidden_global_offset_x
      - .offset:         744
        .size:           8
        .value_kind:     hidden_global_offset_y
      - .offset:         752
        .size:           8
        .value_kind:     hidden_global_offset_z
      - .offset:         760
        .size:           2
        .value_kind:     hidden_grid_dims
    .group_segment_fixed_size: 4112
    .kernarg_segment_align: 8
    .kernarg_segment_size: 952
    .language:       OpenCL C
    .language_version:
      - 2
      - 0
    .max_flat_workgroup_size: 1024
    .name:           _ZN2at6native6sbtopk10gatherTopKIN3c104HalfEjLi2ELb0EEEvNS_4cuda6detail10TensorInfoIKT_T0_EESA_SA_bSA_SA_NS7_IS8_SA_EESA_NS7_IlSA_EESA_PS8_
    .private_segment_fixed_size: 0
    .sgpr_count:     100
    .sgpr_spill_count: 69
    .symbol:         _ZN2at6native6sbtopk10gatherTopKIN3c104HalfEjLi2ELb0EEEvNS_4cuda6detail10TensorInfoIKT_T0_EESA_SA_bSA_SA_NS7_IS8_SA_EESA_NS7_IlSA_EESA_PS8_.kd
    .uniform_work_group_size: 1
    .uses_dynamic_stack: false
    .vgpr_count:     56
    .vgpr_spill_count: 0
    .wavefront_size: 64
  - .agpr_count:     0
    .args:
      - .offset:         0
        .size:           216
        .value_kind:     by_value
      - .offset:         216
        .size:           4
        .value_kind:     by_value
      - .address_space:  global
        .offset:         224
        .size:           8
        .value_kind:     global_buffer
      - .offset:         232
        .size:           4
        .value_kind:     by_value
      - .offset:         236
        .size:           4
        .value_kind:     by_value
      - .offset:         240
        .size:           4
        .value_kind:     by_value
      - .offset:         244
        .size:           4
        .value_kind:     by_value
      - .offset:         248
        .size:           4
        .value_kind:     by_value
      - .offset:         252
        .size:           4
        .value_kind:     by_value
      - .address_space:  global
        .offset:         256
        .size:           8
        .value_kind:     global_buffer
      - .address_space:  global
        .offset:         264
        .size:           8
        .value_kind:     global_buffer
      - .offset:         272
        .size:           4
        .value_kind:     hidden_block_count_x
      - .offset:         276
        .size:           4
        .value_kind:     hidden_block_count_y
      - .offset:         280
        .size:           4
        .value_kind:     hidden_block_count_z
      - .offset:         284
        .size:           2
        .value_kind:     hidden_group_size_x
      - .offset:         286
        .size:           2
        .value_kind:     hidden_group_size_y
      - .offset:         288
        .size:           2
        .value_kind:     hidden_group_size_z
      - .offset:         290
        .size:           2
        .value_kind:     hidden_remainder_x
      - .offset:         292
        .size:           2
        .value_kind:     hidden_remainder_y
      - .offset:         294
        .size:           2
        .value_kind:     hidden_remainder_z
      - .offset:         312
        .size:           8
        .value_kind:     hidden_global_offset_x
      - .offset:         320
        .size:           8
        .value_kind:     hidden_global_offset_y
      - .offset:         328
        .size:           8
        .value_kind:     hidden_global_offset_z
      - .offset:         336
        .size:           2
        .value_kind:     hidden_grid_dims
    .group_segment_fixed_size: 1024
    .kernarg_segment_align: 8
    .kernarg_segment_size: 528
    .language:       OpenCL C
    .language_version:
      - 2
      - 0
    .max_flat_workgroup_size: 256
    .name:           _ZN2at6native6mbtopk23computeBlockDigitCountsIN3c104HalfEjjLi3EEEvNS_4cuda6detail10TensorInfoIKT_T0_EEjPjjSA_iijT1_PSD_Ps
    .private_segment_fixed_size: 0
    .sgpr_count:     30
    .sgpr_spill_count: 0
    .symbol:         _ZN2at6native6mbtopk23computeBlockDigitCountsIN3c104HalfEjjLi3EEEvNS_4cuda6detail10TensorInfoIKT_T0_EEjPjjSA_iijT1_PSD_Ps.kd
    .uniform_work_group_size: 1
    .uses_dynamic_stack: false
    .vgpr_count:     14
    .vgpr_spill_count: 0
    .wavefront_size: 64
  - .agpr_count:     0
    .args:
      - .offset:         0
        .size:           216
        .value_kind:     by_value
      - .offset:         216
        .size:           4
        .value_kind:     by_value
      - .offset:         220
        .size:           4
        .value_kind:     by_value
      - .offset:         224
        .size:           1
        .value_kind:     by_value
      - .offset:         228
        .size:           4
        .value_kind:     by_value
      - .offset:         232
        .size:           4
        .value_kind:     by_value
      - .offset:         240
        .size:           216
        .value_kind:     by_value
      - .offset:         456
        .size:           4
        .value_kind:     by_value
      - .offset:         464
        .size:           216
        .value_kind:     by_value
      - .offset:         680
        .size:           4
        .value_kind:     by_value
      - .offset:         684
        .size:           4
        .value_kind:     by_value
      - .offset:         688
        .size:           4
        .value_kind:     by_value
      - .address_space:  global
        .offset:         696
        .size:           8
        .value_kind:     global_buffer
      - .address_space:  global
        .offset:         704
        .size:           8
        .value_kind:     global_buffer
      - .address_space:  global
        .offset:         712
        .size:           8
        .value_kind:     global_buffer
      - .offset:         720
        .size:           4
        .value_kind:     by_value
      - .offset:         728
        .size:           4
        .value_kind:     hidden_block_count_x
      - .offset:         732
        .size:           4
        .value_kind:     hidden_block_count_y
      - .offset:         736
        .size:           4
        .value_kind:     hidden_block_count_z
      - .offset:         740
        .size:           2
        .value_kind:     hidden_group_size_x
      - .offset:         742
        .size:           2
        .value_kind:     hidden_group_size_y
      - .offset:         744
        .size:           2
        .value_kind:     hidden_group_size_z
      - .offset:         746
        .size:           2
        .value_kind:     hidden_remainder_x
      - .offset:         748
        .size:           2
        .value_kind:     hidden_remainder_y
      - .offset:         750
        .size:           2
        .value_kind:     hidden_remainder_z
      - .offset:         768
        .size:           8
        .value_kind:     hidden_global_offset_x
      - .offset:         776
        .size:           8
        .value_kind:     hidden_global_offset_y
      - .offset:         784
        .size:           8
        .value_kind:     hidden_global_offset_z
      - .offset:         792
        .size:           2
        .value_kind:     hidden_grid_dims
    .group_segment_fixed_size: 1068
    .kernarg_segment_align: 8
    .kernarg_segment_size: 984
    .language:       OpenCL C
    .language_version:
      - 2
      - 0
    .max_flat_workgroup_size: 256
    .name:           _ZN2at6native6mbtopk10gatherTopKIN3c104HalfEjLi3EEEvNS_4cuda6detail10TensorInfoIKT_T0_EESA_SA_bjSA_NS7_IS8_SA_EESA_NS7_IlSA_EESA_jjPS8_PjSF_j
    .private_segment_fixed_size: 0
    .sgpr_count:     64
    .sgpr_spill_count: 0
    .symbol:         _ZN2at6native6mbtopk10gatherTopKIN3c104HalfEjLi3EEEvNS_4cuda6detail10TensorInfoIKT_T0_EESA_SA_bjSA_NS7_IS8_SA_EESA_NS7_IlSA_EESA_jjPS8_PjSF_j.kd
    .uniform_work_group_size: 1
    .uses_dynamic_stack: false
    .vgpr_count:     24
    .vgpr_spill_count: 0
    .wavefront_size: 64
  - .agpr_count:     0
    .args:
      - .offset:         0
        .size:           216
        .value_kind:     by_value
      - .offset:         216
        .size:           4
        .value_kind:     by_value
      - .offset:         220
        .size:           4
        .value_kind:     by_value
      - .offset:         224
        .size:           1
        .value_kind:     by_value
      - .offset:         228
        .size:           4
        .value_kind:     by_value
      - .offset:         232
        .size:           4
        .value_kind:     by_value
      - .offset:         240
        .size:           216
        .value_kind:     by_value
      - .offset:         456
        .size:           4
        .value_kind:     by_value
      - .offset:         464
        .size:           216
        .value_kind:     by_value
      - .offset:         680
        .size:           4
        .value_kind:     by_value
      - .address_space:  global
        .offset:         688
        .size:           8
        .value_kind:     global_buffer
      - .offset:         696
        .size:           4
        .value_kind:     hidden_block_count_x
      - .offset:         700
        .size:           4
        .value_kind:     hidden_block_count_y
      - .offset:         704
        .size:           4
        .value_kind:     hidden_block_count_z
      - .offset:         708
        .size:           2
        .value_kind:     hidden_group_size_x
      - .offset:         710
        .size:           2
        .value_kind:     hidden_group_size_y
      - .offset:         712
        .size:           2
        .value_kind:     hidden_group_size_z
      - .offset:         714
        .size:           2
        .value_kind:     hidden_remainder_x
      - .offset:         716
        .size:           2
        .value_kind:     hidden_remainder_y
      - .offset:         718
        .size:           2
        .value_kind:     hidden_remainder_z
      - .offset:         736
        .size:           8
        .value_kind:     hidden_global_offset_x
      - .offset:         744
        .size:           8
        .value_kind:     hidden_global_offset_y
      - .offset:         752
        .size:           8
        .value_kind:     hidden_global_offset_z
      - .offset:         760
        .size:           2
        .value_kind:     hidden_grid_dims
    .group_segment_fixed_size: 4112
    .kernarg_segment_align: 8
    .kernarg_segment_size: 952
    .language:       OpenCL C
    .language_version:
      - 2
      - 0
    .max_flat_workgroup_size: 1024
    .name:           _ZN2at6native6sbtopk10gatherTopKIN3c104HalfEjLi3ELb0EEEvNS_4cuda6detail10TensorInfoIKT_T0_EESA_SA_bSA_SA_NS7_IS8_SA_EESA_NS7_IlSA_EESA_PS8_
    .private_segment_fixed_size: 0
    .sgpr_count:     100
    .sgpr_spill_count: 77
    .symbol:         _ZN2at6native6sbtopk10gatherTopKIN3c104HalfEjLi3ELb0EEEvNS_4cuda6detail10TensorInfoIKT_T0_EESA_SA_bSA_SA_NS7_IS8_SA_EESA_NS7_IlSA_EESA_PS8_.kd
    .uniform_work_group_size: 1
    .uses_dynamic_stack: false
    .vgpr_count:     56
    .vgpr_spill_count: 0
    .wavefront_size: 64
  - .agpr_count:     0
    .args:
      - .offset:         0
        .size:           216
        .value_kind:     by_value
      - .offset:         216
        .size:           4
        .value_kind:     by_value
      - .address_space:  global
        .offset:         224
        .size:           8
        .value_kind:     global_buffer
      - .offset:         232
        .size:           4
        .value_kind:     by_value
      - .offset:         236
        .size:           4
        .value_kind:     by_value
      - .offset:         240
        .size:           4
        .value_kind:     by_value
      - .offset:         244
        .size:           4
        .value_kind:     by_value
      - .offset:         248
        .size:           4
        .value_kind:     by_value
      - .offset:         252
        .size:           4
        .value_kind:     by_value
      - .address_space:  global
        .offset:         256
        .size:           8
        .value_kind:     global_buffer
      - .address_space:  global
        .offset:         264
        .size:           8
        .value_kind:     global_buffer
      - .offset:         272
        .size:           4
        .value_kind:     hidden_block_count_x
      - .offset:         276
        .size:           4
        .value_kind:     hidden_block_count_y
      - .offset:         280
        .size:           4
        .value_kind:     hidden_block_count_z
      - .offset:         284
        .size:           2
        .value_kind:     hidden_group_size_x
      - .offset:         286
        .size:           2
        .value_kind:     hidden_group_size_y
      - .offset:         288
        .size:           2
        .value_kind:     hidden_group_size_z
      - .offset:         290
        .size:           2
        .value_kind:     hidden_remainder_x
      - .offset:         292
        .size:           2
        .value_kind:     hidden_remainder_y
      - .offset:         294
        .size:           2
        .value_kind:     hidden_remainder_z
      - .offset:         312
        .size:           8
        .value_kind:     hidden_global_offset_x
      - .offset:         320
        .size:           8
        .value_kind:     hidden_global_offset_y
      - .offset:         328
        .size:           8
        .value_kind:     hidden_global_offset_z
      - .offset:         336
        .size:           2
        .value_kind:     hidden_grid_dims
    .group_segment_fixed_size: 1024
    .kernarg_segment_align: 8
    .kernarg_segment_size: 528
    .language:       OpenCL C
    .language_version:
      - 2
      - 0
    .max_flat_workgroup_size: 256
    .name:           _ZN2at6native6mbtopk23computeBlockDigitCountsIN3c104HalfEjjLin1EEEvNS_4cuda6detail10TensorInfoIKT_T0_EEjPjjSA_iijT1_PSD_Ps
    .private_segment_fixed_size: 0
    .sgpr_count:     28
    .sgpr_spill_count: 0
    .symbol:         _ZN2at6native6mbtopk23computeBlockDigitCountsIN3c104HalfEjjLin1EEEvNS_4cuda6detail10TensorInfoIKT_T0_EEjPjjSA_iijT1_PSD_Ps.kd
    .uniform_work_group_size: 1
    .uses_dynamic_stack: false
    .vgpr_count:     14
    .vgpr_spill_count: 0
    .wavefront_size: 64
  - .agpr_count:     0
    .args:
      - .offset:         0
        .size:           216
        .value_kind:     by_value
      - .offset:         216
        .size:           4
        .value_kind:     by_value
      - .offset:         220
        .size:           4
        .value_kind:     by_value
      - .offset:         224
        .size:           1
        .value_kind:     by_value
      - .offset:         228
        .size:           4
        .value_kind:     by_value
      - .offset:         232
        .size:           4
        .value_kind:     by_value
      - .offset:         240
        .size:           216
        .value_kind:     by_value
      - .offset:         456
        .size:           4
        .value_kind:     by_value
      - .offset:         464
        .size:           216
        .value_kind:     by_value
      - .offset:         680
        .size:           4
        .value_kind:     by_value
      - .offset:         684
        .size:           4
        .value_kind:     by_value
      - .offset:         688
        .size:           4
        .value_kind:     by_value
      - .address_space:  global
        .offset:         696
        .size:           8
        .value_kind:     global_buffer
      - .address_space:  global
        .offset:         704
        .size:           8
        .value_kind:     global_buffer
      - .address_space:  global
        .offset:         712
        .size:           8
        .value_kind:     global_buffer
      - .offset:         720
        .size:           4
        .value_kind:     by_value
      - .offset:         728
        .size:           4
        .value_kind:     hidden_block_count_x
      - .offset:         732
        .size:           4
        .value_kind:     hidden_block_count_y
      - .offset:         736
        .size:           4
        .value_kind:     hidden_block_count_z
      - .offset:         740
        .size:           2
        .value_kind:     hidden_group_size_x
      - .offset:         742
        .size:           2
        .value_kind:     hidden_group_size_y
      - .offset:         744
        .size:           2
        .value_kind:     hidden_group_size_z
      - .offset:         746
        .size:           2
        .value_kind:     hidden_remainder_x
      - .offset:         748
        .size:           2
        .value_kind:     hidden_remainder_y
      - .offset:         750
        .size:           2
        .value_kind:     hidden_remainder_z
      - .offset:         768
        .size:           8
        .value_kind:     hidden_global_offset_x
      - .offset:         776
        .size:           8
        .value_kind:     hidden_global_offset_y
      - .offset:         784
        .size:           8
        .value_kind:     hidden_global_offset_z
      - .offset:         792
        .size:           2
        .value_kind:     hidden_grid_dims
    .group_segment_fixed_size: 1068
    .kernarg_segment_align: 8
    .kernarg_segment_size: 984
    .language:       OpenCL C
    .language_version:
      - 2
      - 0
    .max_flat_workgroup_size: 256
    .name:           _ZN2at6native6mbtopk10gatherTopKIN3c104HalfEjLin1EEEvNS_4cuda6detail10TensorInfoIKT_T0_EESA_SA_bjSA_NS7_IS8_SA_EESA_NS7_IlSA_EESA_jjPS8_PjSF_j
    .private_segment_fixed_size: 0
    .sgpr_count:     50
    .sgpr_spill_count: 0
    .symbol:         _ZN2at6native6mbtopk10gatherTopKIN3c104HalfEjLin1EEEvNS_4cuda6detail10TensorInfoIKT_T0_EESA_SA_bjSA_NS7_IS8_SA_EESA_NS7_IlSA_EESA_jjPS8_PjSF_j.kd
    .uniform_work_group_size: 1
    .uses_dynamic_stack: false
    .vgpr_count:     24
    .vgpr_spill_count: 0
    .wavefront_size: 64
  - .agpr_count:     0
    .args:
      - .offset:         0
        .size:           216
        .value_kind:     by_value
      - .offset:         216
        .size:           4
        .value_kind:     by_value
      - .offset:         220
        .size:           4
        .value_kind:     by_value
      - .offset:         224
        .size:           1
        .value_kind:     by_value
      - .offset:         228
        .size:           4
        .value_kind:     by_value
      - .offset:         232
        .size:           4
        .value_kind:     by_value
      - .offset:         240
        .size:           216
        .value_kind:     by_value
      - .offset:         456
        .size:           4
        .value_kind:     by_value
      - .offset:         464
        .size:           216
        .value_kind:     by_value
      - .offset:         680
        .size:           4
        .value_kind:     by_value
      - .address_space:  global
        .offset:         688
        .size:           8
        .value_kind:     global_buffer
      - .offset:         696
        .size:           4
        .value_kind:     hidden_block_count_x
      - .offset:         700
        .size:           4
        .value_kind:     hidden_block_count_y
      - .offset:         704
        .size:           4
        .value_kind:     hidden_block_count_z
      - .offset:         708
        .size:           2
        .value_kind:     hidden_group_size_x
      - .offset:         710
        .size:           2
        .value_kind:     hidden_group_size_y
      - .offset:         712
        .size:           2
        .value_kind:     hidden_group_size_z
      - .offset:         714
        .size:           2
        .value_kind:     hidden_remainder_x
      - .offset:         716
        .size:           2
        .value_kind:     hidden_remainder_y
      - .offset:         718
        .size:           2
        .value_kind:     hidden_remainder_z
      - .offset:         736
        .size:           8
        .value_kind:     hidden_global_offset_x
      - .offset:         744
        .size:           8
        .value_kind:     hidden_global_offset_y
      - .offset:         752
        .size:           8
        .value_kind:     hidden_global_offset_z
      - .offset:         760
        .size:           2
        .value_kind:     hidden_grid_dims
    .group_segment_fixed_size: 4112
    .kernarg_segment_align: 8
    .kernarg_segment_size: 952
    .language:       OpenCL C
    .language_version:
      - 2
      - 0
    .max_flat_workgroup_size: 1024
    .name:           _ZN2at6native6sbtopk10gatherTopKIN3c104HalfEjLin1ELb0EEEvNS_4cuda6detail10TensorInfoIKT_T0_EESA_SA_bSA_SA_NS7_IS8_SA_EESA_NS7_IlSA_EESA_PS8_
    .private_segment_fixed_size: 0
    .sgpr_count:     100
    .sgpr_spill_count: 72
    .symbol:         _ZN2at6native6sbtopk10gatherTopKIN3c104HalfEjLin1ELb0EEEvNS_4cuda6detail10TensorInfoIKT_T0_EESA_SA_bSA_SA_NS7_IS8_SA_EESA_NS7_IlSA_EESA_PS8_.kd
    .uniform_work_group_size: 1
    .uses_dynamic_stack: false
    .vgpr_count:     55
    .vgpr_spill_count: 0
    .wavefront_size: 64
  - .agpr_count:     0
    .args:
      - .offset:         0
        .size:           216
        .value_kind:     by_value
      - .offset:         216
        .size:           4
        .value_kind:     by_value
      - .address_space:  global
        .offset:         224
        .size:           8
        .value_kind:     global_buffer
      - .offset:         232
        .size:           4
        .value_kind:     by_value
      - .offset:         236
        .size:           4
        .value_kind:     by_value
      - .offset:         240
        .size:           4
        .value_kind:     by_value
      - .offset:         244
        .size:           4
        .value_kind:     by_value
      - .offset:         248
        .size:           4
        .value_kind:     by_value
      - .offset:         252
        .size:           4
        .value_kind:     by_value
      - .address_space:  global
        .offset:         256
        .size:           8
        .value_kind:     global_buffer
      - .address_space:  global
        .offset:         264
        .size:           8
        .value_kind:     global_buffer
      - .offset:         272
        .size:           4
        .value_kind:     hidden_block_count_x
      - .offset:         276
        .size:           4
        .value_kind:     hidden_block_count_y
      - .offset:         280
        .size:           4
        .value_kind:     hidden_block_count_z
      - .offset:         284
        .size:           2
        .value_kind:     hidden_group_size_x
      - .offset:         286
        .size:           2
        .value_kind:     hidden_group_size_y
      - .offset:         288
        .size:           2
        .value_kind:     hidden_group_size_z
      - .offset:         290
        .size:           2
        .value_kind:     hidden_remainder_x
      - .offset:         292
        .size:           2
        .value_kind:     hidden_remainder_y
      - .offset:         294
        .size:           2
        .value_kind:     hidden_remainder_z
      - .offset:         312
        .size:           8
        .value_kind:     hidden_global_offset_x
      - .offset:         320
        .size:           8
        .value_kind:     hidden_global_offset_y
      - .offset:         328
        .size:           8
        .value_kind:     hidden_global_offset_z
      - .offset:         336
        .size:           2
        .value_kind:     hidden_grid_dims
    .group_segment_fixed_size: 1024
    .kernarg_segment_align: 8
    .kernarg_segment_size: 528
    .language:       OpenCL C
    .language_version:
      - 2
      - 0
    .max_flat_workgroup_size: 256
    .name:           _ZN2at6native6mbtopk23computeBlockDigitCountsIN3c108BFloat16EjjLi1EEEvNS_4cuda6detail10TensorInfoIKT_T0_EEjPjjSA_iijT1_PSD_Ps
    .private_segment_fixed_size: 0
    .sgpr_count:     24
    .sgpr_spill_count: 0
    .symbol:         _ZN2at6native6mbtopk23computeBlockDigitCountsIN3c108BFloat16EjjLi1EEEvNS_4cuda6detail10TensorInfoIKT_T0_EEjPjjSA_iijT1_PSD_Ps.kd
    .uniform_work_group_size: 1
    .uses_dynamic_stack: false
    .vgpr_count:     14
    .vgpr_spill_count: 0
    .wavefront_size: 64
  - .agpr_count:     0
    .args:
      - .address_space:  global
        .offset:         0
        .size:           8
        .value_kind:     global_buffer
      - .address_space:  global
        .offset:         8
        .size:           8
        .value_kind:     global_buffer
      - .address_space:  global
        .offset:         16
        .size:           8
        .value_kind:     global_buffer
      - .offset:         24
        .size:           4
        .value_kind:     by_value
      - .offset:         28
        .size:           4
        .value_kind:     by_value
      - .offset:         32
        .size:           1
        .value_kind:     by_value
      - .address_space:  global
        .offset:         40
        .size:           8
        .value_kind:     global_buffer
      - .address_space:  global
        .offset:         48
        .size:           8
        .value_kind:     global_buffer
      - .address_space:  global
        .offset:         56
        .size:           8
        .value_kind:     global_buffer
      - .address_space:  global
        .offset:         64
        .size:           8
        .value_kind:     global_buffer
      - .address_space:  global
        .offset:         72
        .size:           8
        .value_kind:     global_buffer
      - .offset:         80
        .size:           4
        .value_kind:     by_value
      - .offset:         88
        .size:           4
        .value_kind:     hidden_block_count_x
      - .offset:         92
        .size:           4
        .value_kind:     hidden_block_count_y
      - .offset:         96
        .size:           4
        .value_kind:     hidden_block_count_z
      - .offset:         100
        .size:           2
        .value_kind:     hidden_group_size_x
      - .offset:         102
        .size:           2
        .value_kind:     hidden_group_size_y
      - .offset:         104
        .size:           2
        .value_kind:     hidden_group_size_z
      - .offset:         106
        .size:           2
        .value_kind:     hidden_remainder_x
      - .offset:         108
        .size:           2
        .value_kind:     hidden_remainder_y
      - .offset:         110
        .size:           2
        .value_kind:     hidden_remainder_z
      - .offset:         128
        .size:           8
        .value_kind:     hidden_global_offset_x
      - .offset:         136
        .size:           8
        .value_kind:     hidden_global_offset_y
      - .offset:         144
        .size:           8
        .value_kind:     hidden_global_offset_z
      - .offset:         152
        .size:           2
        .value_kind:     hidden_grid_dims
    .group_segment_fixed_size: 2100
    .kernarg_segment_align: 8
    .kernarg_segment_size: 344
    .language:       OpenCL C
    .language_version:
      - 2
      - 0
    .max_flat_workgroup_size: 256
    .name:           _ZN2at6native6mbtopk29computeBlockwiseWithinKCountsIjN3c108BFloat16EEEvPT_PsPjjibS8_PT0_S8_S6_S8_j
    .private_segment_fixed_size: 0
    .sgpr_count:     34
    .sgpr_spill_count: 0
    .symbol:         _ZN2at6native6mbtopk29computeBlockwiseWithinKCountsIjN3c108BFloat16EEEvPT_PsPjjibS8_PT0_S8_S6_S8_j.kd
    .uniform_work_group_size: 1
    .uses_dynamic_stack: false
    .vgpr_count:     15
    .vgpr_spill_count: 0
    .wavefront_size: 64
  - .agpr_count:     0
    .args:
      - .offset:         0
        .size:           216
        .value_kind:     by_value
      - .offset:         216
        .size:           4
        .value_kind:     by_value
      - .offset:         220
        .size:           4
        .value_kind:     by_value
      - .offset:         224
        .size:           1
        .value_kind:     by_value
      - .offset:         228
        .size:           4
        .value_kind:     by_value
      - .offset:         232
        .size:           4
        .value_kind:     by_value
      - .offset:         240
        .size:           216
        .value_kind:     by_value
      - .offset:         456
        .size:           4
        .value_kind:     by_value
      - .offset:         464
        .size:           216
        .value_kind:     by_value
      - .offset:         680
        .size:           4
        .value_kind:     by_value
      - .offset:         684
        .size:           4
        .value_kind:     by_value
      - .offset:         688
        .size:           4
        .value_kind:     by_value
      - .address_space:  global
        .offset:         696
        .size:           8
        .value_kind:     global_buffer
      - .address_space:  global
        .offset:         704
        .size:           8
        .value_kind:     global_buffer
      - .address_space:  global
        .offset:         712
        .size:           8
        .value_kind:     global_buffer
      - .offset:         720
        .size:           4
        .value_kind:     by_value
      - .offset:         728
        .size:           4
        .value_kind:     hidden_block_count_x
      - .offset:         732
        .size:           4
        .value_kind:     hidden_block_count_y
      - .offset:         736
        .size:           4
        .value_kind:     hidden_block_count_z
      - .offset:         740
        .size:           2
        .value_kind:     hidden_group_size_x
      - .offset:         742
        .size:           2
        .value_kind:     hidden_group_size_y
      - .offset:         744
        .size:           2
        .value_kind:     hidden_group_size_z
      - .offset:         746
        .size:           2
        .value_kind:     hidden_remainder_x
      - .offset:         748
        .size:           2
        .value_kind:     hidden_remainder_y
      - .offset:         750
        .size:           2
        .value_kind:     hidden_remainder_z
      - .offset:         768
        .size:           8
        .value_kind:     hidden_global_offset_x
      - .offset:         776
        .size:           8
        .value_kind:     hidden_global_offset_y
      - .offset:         784
        .size:           8
        .value_kind:     hidden_global_offset_z
      - .offset:         792
        .size:           2
        .value_kind:     hidden_grid_dims
    .group_segment_fixed_size: 1068
    .kernarg_segment_align: 8
    .kernarg_segment_size: 984
    .language:       OpenCL C
    .language_version:
      - 2
      - 0
    .max_flat_workgroup_size: 256
    .name:           _ZN2at6native6mbtopk10gatherTopKIN3c108BFloat16EjLi1EEEvNS_4cuda6detail10TensorInfoIKT_T0_EESA_SA_bjSA_NS7_IS8_SA_EESA_NS7_IlSA_EESA_jjPS8_PjSF_j
    .private_segment_fixed_size: 0
    .sgpr_count:     43
    .sgpr_spill_count: 0
    .symbol:         _ZN2at6native6mbtopk10gatherTopKIN3c108BFloat16EjLi1EEEvNS_4cuda6detail10TensorInfoIKT_T0_EESA_SA_bjSA_NS7_IS8_SA_EESA_NS7_IlSA_EESA_jjPS8_PjSF_j.kd
    .uniform_work_group_size: 1
    .uses_dynamic_stack: false
    .vgpr_count:     24
    .vgpr_spill_count: 0
    .wavefront_size: 64
  - .agpr_count:     0
    .args:
      - .offset:         0
        .size:           216
        .value_kind:     by_value
      - .offset:         216
        .size:           4
        .value_kind:     by_value
      - .offset:         220
        .size:           4
        .value_kind:     by_value
      - .offset:         224
        .size:           1
        .value_kind:     by_value
      - .offset:         228
        .size:           4
        .value_kind:     by_value
      - .offset:         232
        .size:           4
        .value_kind:     by_value
      - .offset:         240
        .size:           216
        .value_kind:     by_value
      - .offset:         456
        .size:           4
        .value_kind:     by_value
      - .offset:         464
        .size:           216
        .value_kind:     by_value
      - .offset:         680
        .size:           4
        .value_kind:     by_value
      - .address_space:  global
        .offset:         688
        .size:           8
        .value_kind:     global_buffer
      - .offset:         696
        .size:           4
        .value_kind:     hidden_block_count_x
      - .offset:         700
        .size:           4
        .value_kind:     hidden_block_count_y
      - .offset:         704
        .size:           4
        .value_kind:     hidden_block_count_z
      - .offset:         708
        .size:           2
        .value_kind:     hidden_group_size_x
      - .offset:         710
        .size:           2
        .value_kind:     hidden_group_size_y
      - .offset:         712
        .size:           2
        .value_kind:     hidden_group_size_z
      - .offset:         714
        .size:           2
        .value_kind:     hidden_remainder_x
      - .offset:         716
        .size:           2
        .value_kind:     hidden_remainder_y
      - .offset:         718
        .size:           2
        .value_kind:     hidden_remainder_z
      - .offset:         736
        .size:           8
        .value_kind:     hidden_global_offset_x
      - .offset:         744
        .size:           8
        .value_kind:     hidden_global_offset_y
      - .offset:         752
        .size:           8
        .value_kind:     hidden_global_offset_z
      - .offset:         760
        .size:           2
        .value_kind:     hidden_grid_dims
    .group_segment_fixed_size: 4112
    .kernarg_segment_align: 8
    .kernarg_segment_size: 952
    .language:       OpenCL C
    .language_version:
      - 2
      - 0
    .max_flat_workgroup_size: 1024
    .name:           _ZN2at6native6sbtopk10gatherTopKIN3c108BFloat16EjLi1ELb0EEEvNS_4cuda6detail10TensorInfoIKT_T0_EESA_SA_bSA_SA_NS7_IS8_SA_EESA_NS7_IlSA_EESA_PS8_
    .private_segment_fixed_size: 0
    .sgpr_count:     100
    .sgpr_spill_count: 63
    .symbol:         _ZN2at6native6sbtopk10gatherTopKIN3c108BFloat16EjLi1ELb0EEEvNS_4cuda6detail10TensorInfoIKT_T0_EESA_SA_bSA_SA_NS7_IS8_SA_EESA_NS7_IlSA_EESA_PS8_.kd
    .uniform_work_group_size: 1
    .uses_dynamic_stack: false
    .vgpr_count:     55
    .vgpr_spill_count: 0
    .wavefront_size: 64
  - .agpr_count:     0
    .args:
      - .offset:         0
        .size:           216
        .value_kind:     by_value
      - .offset:         216
        .size:           4
        .value_kind:     by_value
      - .address_space:  global
        .offset:         224
        .size:           8
        .value_kind:     global_buffer
      - .offset:         232
        .size:           4
        .value_kind:     by_value
      - .offset:         236
        .size:           4
        .value_kind:     by_value
      - .offset:         240
        .size:           4
        .value_kind:     by_value
      - .offset:         244
        .size:           4
        .value_kind:     by_value
      - .offset:         248
        .size:           4
        .value_kind:     by_value
      - .offset:         252
        .size:           4
        .value_kind:     by_value
      - .address_space:  global
        .offset:         256
        .size:           8
        .value_kind:     global_buffer
      - .address_space:  global
        .offset:         264
        .size:           8
        .value_kind:     global_buffer
      - .offset:         272
        .size:           4
        .value_kind:     hidden_block_count_x
      - .offset:         276
        .size:           4
        .value_kind:     hidden_block_count_y
      - .offset:         280
        .size:           4
        .value_kind:     hidden_block_count_z
      - .offset:         284
        .size:           2
        .value_kind:     hidden_group_size_x
      - .offset:         286
        .size:           2
        .value_kind:     hidden_group_size_y
      - .offset:         288
        .size:           2
        .value_kind:     hidden_group_size_z
      - .offset:         290
        .size:           2
        .value_kind:     hidden_remainder_x
      - .offset:         292
        .size:           2
        .value_kind:     hidden_remainder_y
      - .offset:         294
        .size:           2
        .value_kind:     hidden_remainder_z
      - .offset:         312
        .size:           8
        .value_kind:     hidden_global_offset_x
      - .offset:         320
        .size:           8
        .value_kind:     hidden_global_offset_y
      - .offset:         328
        .size:           8
        .value_kind:     hidden_global_offset_z
      - .offset:         336
        .size:           2
        .value_kind:     hidden_grid_dims
    .group_segment_fixed_size: 1024
    .kernarg_segment_align: 8
    .kernarg_segment_size: 528
    .language:       OpenCL C
    .language_version:
      - 2
      - 0
    .max_flat_workgroup_size: 256
    .name:           _ZN2at6native6mbtopk23computeBlockDigitCountsIN3c108BFloat16EjjLi2EEEvNS_4cuda6detail10TensorInfoIKT_T0_EEjPjjSA_iijT1_PSD_Ps
    .private_segment_fixed_size: 0
    .sgpr_count:     26
    .sgpr_spill_count: 0
    .symbol:         _ZN2at6native6mbtopk23computeBlockDigitCountsIN3c108BFloat16EjjLi2EEEvNS_4cuda6detail10TensorInfoIKT_T0_EEjPjjSA_iijT1_PSD_Ps.kd
    .uniform_work_group_size: 1
    .uses_dynamic_stack: false
    .vgpr_count:     14
    .vgpr_spill_count: 0
    .wavefront_size: 64
  - .agpr_count:     0
    .args:
      - .offset:         0
        .size:           216
        .value_kind:     by_value
      - .offset:         216
        .size:           4
        .value_kind:     by_value
      - .offset:         220
        .size:           4
        .value_kind:     by_value
      - .offset:         224
        .size:           1
        .value_kind:     by_value
      - .offset:         228
        .size:           4
        .value_kind:     by_value
      - .offset:         232
        .size:           4
        .value_kind:     by_value
      - .offset:         240
        .size:           216
        .value_kind:     by_value
      - .offset:         456
        .size:           4
        .value_kind:     by_value
      - .offset:         464
        .size:           216
        .value_kind:     by_value
      - .offset:         680
        .size:           4
        .value_kind:     by_value
      - .offset:         684
        .size:           4
        .value_kind:     by_value
      - .offset:         688
        .size:           4
        .value_kind:     by_value
      - .address_space:  global
        .offset:         696
        .size:           8
        .value_kind:     global_buffer
      - .address_space:  global
        .offset:         704
        .size:           8
        .value_kind:     global_buffer
      - .address_space:  global
        .offset:         712
        .size:           8
        .value_kind:     global_buffer
      - .offset:         720
        .size:           4
        .value_kind:     by_value
      - .offset:         728
        .size:           4
        .value_kind:     hidden_block_count_x
      - .offset:         732
        .size:           4
        .value_kind:     hidden_block_count_y
      - .offset:         736
        .size:           4
        .value_kind:     hidden_block_count_z
      - .offset:         740
        .size:           2
        .value_kind:     hidden_group_size_x
      - .offset:         742
        .size:           2
        .value_kind:     hidden_group_size_y
      - .offset:         744
        .size:           2
        .value_kind:     hidden_group_size_z
      - .offset:         746
        .size:           2
        .value_kind:     hidden_remainder_x
      - .offset:         748
        .size:           2
        .value_kind:     hidden_remainder_y
      - .offset:         750
        .size:           2
        .value_kind:     hidden_remainder_z
      - .offset:         768
        .size:           8
        .value_kind:     hidden_global_offset_x
      - .offset:         776
        .size:           8
        .value_kind:     hidden_global_offset_y
      - .offset:         784
        .size:           8
        .value_kind:     hidden_global_offset_z
      - .offset:         792
        .size:           2
        .value_kind:     hidden_grid_dims
    .group_segment_fixed_size: 1068
    .kernarg_segment_align: 8
    .kernarg_segment_size: 984
    .language:       OpenCL C
    .language_version:
      - 2
      - 0
    .max_flat_workgroup_size: 256
    .name:           _ZN2at6native6mbtopk10gatherTopKIN3c108BFloat16EjLi2EEEvNS_4cuda6detail10TensorInfoIKT_T0_EESA_SA_bjSA_NS7_IS8_SA_EESA_NS7_IlSA_EESA_jjPS8_PjSF_j
    .private_segment_fixed_size: 0
    .sgpr_count:     55
    .sgpr_spill_count: 0
    .symbol:         _ZN2at6native6mbtopk10gatherTopKIN3c108BFloat16EjLi2EEEvNS_4cuda6detail10TensorInfoIKT_T0_EESA_SA_bjSA_NS7_IS8_SA_EESA_NS7_IlSA_EESA_jjPS8_PjSF_j.kd
    .uniform_work_group_size: 1
    .uses_dynamic_stack: false
    .vgpr_count:     24
    .vgpr_spill_count: 0
    .wavefront_size: 64
  - .agpr_count:     0
    .args:
      - .offset:         0
        .size:           216
        .value_kind:     by_value
      - .offset:         216
        .size:           4
        .value_kind:     by_value
      - .offset:         220
        .size:           4
        .value_kind:     by_value
      - .offset:         224
        .size:           1
        .value_kind:     by_value
      - .offset:         228
        .size:           4
        .value_kind:     by_value
      - .offset:         232
        .size:           4
        .value_kind:     by_value
      - .offset:         240
        .size:           216
        .value_kind:     by_value
      - .offset:         456
        .size:           4
        .value_kind:     by_value
      - .offset:         464
        .size:           216
        .value_kind:     by_value
      - .offset:         680
        .size:           4
        .value_kind:     by_value
      - .address_space:  global
        .offset:         688
        .size:           8
        .value_kind:     global_buffer
      - .offset:         696
        .size:           4
        .value_kind:     hidden_block_count_x
      - .offset:         700
        .size:           4
        .value_kind:     hidden_block_count_y
      - .offset:         704
        .size:           4
        .value_kind:     hidden_block_count_z
      - .offset:         708
        .size:           2
        .value_kind:     hidden_group_size_x
      - .offset:         710
        .size:           2
        .value_kind:     hidden_group_size_y
      - .offset:         712
        .size:           2
        .value_kind:     hidden_group_size_z
      - .offset:         714
        .size:           2
        .value_kind:     hidden_remainder_x
      - .offset:         716
        .size:           2
        .value_kind:     hidden_remainder_y
      - .offset:         718
        .size:           2
        .value_kind:     hidden_remainder_z
      - .offset:         736
        .size:           8
        .value_kind:     hidden_global_offset_x
      - .offset:         744
        .size:           8
        .value_kind:     hidden_global_offset_y
      - .offset:         752
        .size:           8
        .value_kind:     hidden_global_offset_z
      - .offset:         760
        .size:           2
        .value_kind:     hidden_grid_dims
    .group_segment_fixed_size: 4112
    .kernarg_segment_align: 8
    .kernarg_segment_size: 952
    .language:       OpenCL C
    .language_version:
      - 2
      - 0
    .max_flat_workgroup_size: 1024
    .name:           _ZN2at6native6sbtopk10gatherTopKIN3c108BFloat16EjLi2ELb0EEEvNS_4cuda6detail10TensorInfoIKT_T0_EESA_SA_bSA_SA_NS7_IS8_SA_EESA_NS7_IlSA_EESA_PS8_
    .private_segment_fixed_size: 0
    .sgpr_count:     100
    .sgpr_spill_count: 69
    .symbol:         _ZN2at6native6sbtopk10gatherTopKIN3c108BFloat16EjLi2ELb0EEEvNS_4cuda6detail10TensorInfoIKT_T0_EESA_SA_bSA_SA_NS7_IS8_SA_EESA_NS7_IlSA_EESA_PS8_.kd
    .uniform_work_group_size: 1
    .uses_dynamic_stack: false
    .vgpr_count:     56
    .vgpr_spill_count: 0
    .wavefront_size: 64
  - .agpr_count:     0
    .args:
      - .offset:         0
        .size:           216
        .value_kind:     by_value
      - .offset:         216
        .size:           4
        .value_kind:     by_value
      - .address_space:  global
        .offset:         224
        .size:           8
        .value_kind:     global_buffer
      - .offset:         232
        .size:           4
        .value_kind:     by_value
      - .offset:         236
        .size:           4
        .value_kind:     by_value
      - .offset:         240
        .size:           4
        .value_kind:     by_value
      - .offset:         244
        .size:           4
        .value_kind:     by_value
      - .offset:         248
        .size:           4
        .value_kind:     by_value
      - .offset:         252
        .size:           4
        .value_kind:     by_value
      - .address_space:  global
        .offset:         256
        .size:           8
        .value_kind:     global_buffer
      - .address_space:  global
        .offset:         264
        .size:           8
        .value_kind:     global_buffer
      - .offset:         272
        .size:           4
        .value_kind:     hidden_block_count_x
      - .offset:         276
        .size:           4
        .value_kind:     hidden_block_count_y
      - .offset:         280
        .size:           4
        .value_kind:     hidden_block_count_z
      - .offset:         284
        .size:           2
        .value_kind:     hidden_group_size_x
      - .offset:         286
        .size:           2
        .value_kind:     hidden_group_size_y
      - .offset:         288
        .size:           2
        .value_kind:     hidden_group_size_z
      - .offset:         290
        .size:           2
        .value_kind:     hidden_remainder_x
      - .offset:         292
        .size:           2
        .value_kind:     hidden_remainder_y
      - .offset:         294
        .size:           2
        .value_kind:     hidden_remainder_z
      - .offset:         312
        .size:           8
        .value_kind:     hidden_global_offset_x
      - .offset:         320
        .size:           8
        .value_kind:     hidden_global_offset_y
      - .offset:         328
        .size:           8
        .value_kind:     hidden_global_offset_z
      - .offset:         336
        .size:           2
        .value_kind:     hidden_grid_dims
    .group_segment_fixed_size: 1024
    .kernarg_segment_align: 8
    .kernarg_segment_size: 528
    .language:       OpenCL C
    .language_version:
      - 2
      - 0
    .max_flat_workgroup_size: 256
    .name:           _ZN2at6native6mbtopk23computeBlockDigitCountsIN3c108BFloat16EjjLi3EEEvNS_4cuda6detail10TensorInfoIKT_T0_EEjPjjSA_iijT1_PSD_Ps
    .private_segment_fixed_size: 0
    .sgpr_count:     30
    .sgpr_spill_count: 0
    .symbol:         _ZN2at6native6mbtopk23computeBlockDigitCountsIN3c108BFloat16EjjLi3EEEvNS_4cuda6detail10TensorInfoIKT_T0_EEjPjjSA_iijT1_PSD_Ps.kd
    .uniform_work_group_size: 1
    .uses_dynamic_stack: false
    .vgpr_count:     14
    .vgpr_spill_count: 0
    .wavefront_size: 64
  - .agpr_count:     0
    .args:
      - .offset:         0
        .size:           216
        .value_kind:     by_value
      - .offset:         216
        .size:           4
        .value_kind:     by_value
      - .offset:         220
        .size:           4
        .value_kind:     by_value
      - .offset:         224
        .size:           1
        .value_kind:     by_value
      - .offset:         228
        .size:           4
        .value_kind:     by_value
      - .offset:         232
        .size:           4
        .value_kind:     by_value
      - .offset:         240
        .size:           216
        .value_kind:     by_value
      - .offset:         456
        .size:           4
        .value_kind:     by_value
      - .offset:         464
        .size:           216
        .value_kind:     by_value
      - .offset:         680
        .size:           4
        .value_kind:     by_value
      - .offset:         684
        .size:           4
        .value_kind:     by_value
      - .offset:         688
        .size:           4
        .value_kind:     by_value
      - .address_space:  global
        .offset:         696
        .size:           8
        .value_kind:     global_buffer
      - .address_space:  global
        .offset:         704
        .size:           8
        .value_kind:     global_buffer
      - .address_space:  global
        .offset:         712
        .size:           8
        .value_kind:     global_buffer
      - .offset:         720
        .size:           4
        .value_kind:     by_value
      - .offset:         728
        .size:           4
        .value_kind:     hidden_block_count_x
      - .offset:         732
        .size:           4
        .value_kind:     hidden_block_count_y
      - .offset:         736
        .size:           4
        .value_kind:     hidden_block_count_z
      - .offset:         740
        .size:           2
        .value_kind:     hidden_group_size_x
      - .offset:         742
        .size:           2
        .value_kind:     hidden_group_size_y
      - .offset:         744
        .size:           2
        .value_kind:     hidden_group_size_z
      - .offset:         746
        .size:           2
        .value_kind:     hidden_remainder_x
      - .offset:         748
        .size:           2
        .value_kind:     hidden_remainder_y
      - .offset:         750
        .size:           2
        .value_kind:     hidden_remainder_z
      - .offset:         768
        .size:           8
        .value_kind:     hidden_global_offset_x
      - .offset:         776
        .size:           8
        .value_kind:     hidden_global_offset_y
      - .offset:         784
        .size:           8
        .value_kind:     hidden_global_offset_z
      - .offset:         792
        .size:           2
        .value_kind:     hidden_grid_dims
    .group_segment_fixed_size: 1068
    .kernarg_segment_align: 8
    .kernarg_segment_size: 984
    .language:       OpenCL C
    .language_version:
      - 2
      - 0
    .max_flat_workgroup_size: 256
    .name:           _ZN2at6native6mbtopk10gatherTopKIN3c108BFloat16EjLi3EEEvNS_4cuda6detail10TensorInfoIKT_T0_EESA_SA_bjSA_NS7_IS8_SA_EESA_NS7_IlSA_EESA_jjPS8_PjSF_j
    .private_segment_fixed_size: 0
    .sgpr_count:     64
    .sgpr_spill_count: 0
    .symbol:         _ZN2at6native6mbtopk10gatherTopKIN3c108BFloat16EjLi3EEEvNS_4cuda6detail10TensorInfoIKT_T0_EESA_SA_bjSA_NS7_IS8_SA_EESA_NS7_IlSA_EESA_jjPS8_PjSF_j.kd
    .uniform_work_group_size: 1
    .uses_dynamic_stack: false
    .vgpr_count:     24
    .vgpr_spill_count: 0
    .wavefront_size: 64
  - .agpr_count:     0
    .args:
      - .offset:         0
        .size:           216
        .value_kind:     by_value
      - .offset:         216
        .size:           4
        .value_kind:     by_value
      - .offset:         220
        .size:           4
        .value_kind:     by_value
      - .offset:         224
        .size:           1
        .value_kind:     by_value
      - .offset:         228
        .size:           4
        .value_kind:     by_value
      - .offset:         232
        .size:           4
        .value_kind:     by_value
      - .offset:         240
        .size:           216
        .value_kind:     by_value
      - .offset:         456
        .size:           4
        .value_kind:     by_value
      - .offset:         464
        .size:           216
        .value_kind:     by_value
      - .offset:         680
        .size:           4
        .value_kind:     by_value
      - .address_space:  global
        .offset:         688
        .size:           8
        .value_kind:     global_buffer
      - .offset:         696
        .size:           4
        .value_kind:     hidden_block_count_x
      - .offset:         700
        .size:           4
        .value_kind:     hidden_block_count_y
      - .offset:         704
        .size:           4
        .value_kind:     hidden_block_count_z
      - .offset:         708
        .size:           2
        .value_kind:     hidden_group_size_x
      - .offset:         710
        .size:           2
        .value_kind:     hidden_group_size_y
      - .offset:         712
        .size:           2
        .value_kind:     hidden_group_size_z
      - .offset:         714
        .size:           2
        .value_kind:     hidden_remainder_x
      - .offset:         716
        .size:           2
        .value_kind:     hidden_remainder_y
      - .offset:         718
        .size:           2
        .value_kind:     hidden_remainder_z
      - .offset:         736
        .size:           8
        .value_kind:     hidden_global_offset_x
      - .offset:         744
        .size:           8
        .value_kind:     hidden_global_offset_y
      - .offset:         752
        .size:           8
        .value_kind:     hidden_global_offset_z
      - .offset:         760
        .size:           2
        .value_kind:     hidden_grid_dims
    .group_segment_fixed_size: 4112
    .kernarg_segment_align: 8
    .kernarg_segment_size: 952
    .language:       OpenCL C
    .language_version:
      - 2
      - 0
    .max_flat_workgroup_size: 1024
    .name:           _ZN2at6native6sbtopk10gatherTopKIN3c108BFloat16EjLi3ELb0EEEvNS_4cuda6detail10TensorInfoIKT_T0_EESA_SA_bSA_SA_NS7_IS8_SA_EESA_NS7_IlSA_EESA_PS8_
    .private_segment_fixed_size: 0
    .sgpr_count:     100
    .sgpr_spill_count: 77
    .symbol:         _ZN2at6native6sbtopk10gatherTopKIN3c108BFloat16EjLi3ELb0EEEvNS_4cuda6detail10TensorInfoIKT_T0_EESA_SA_bSA_SA_NS7_IS8_SA_EESA_NS7_IlSA_EESA_PS8_.kd
    .uniform_work_group_size: 1
    .uses_dynamic_stack: false
    .vgpr_count:     56
    .vgpr_spill_count: 0
    .wavefront_size: 64
  - .agpr_count:     0
    .args:
      - .offset:         0
        .size:           216
        .value_kind:     by_value
      - .offset:         216
        .size:           4
        .value_kind:     by_value
      - .address_space:  global
        .offset:         224
        .size:           8
        .value_kind:     global_buffer
      - .offset:         232
        .size:           4
        .value_kind:     by_value
      - .offset:         236
        .size:           4
        .value_kind:     by_value
      - .offset:         240
        .size:           4
        .value_kind:     by_value
      - .offset:         244
        .size:           4
        .value_kind:     by_value
      - .offset:         248
        .size:           4
        .value_kind:     by_value
      - .offset:         252
        .size:           4
        .value_kind:     by_value
      - .address_space:  global
        .offset:         256
        .size:           8
        .value_kind:     global_buffer
      - .address_space:  global
        .offset:         264
        .size:           8
        .value_kind:     global_buffer
      - .offset:         272
        .size:           4
        .value_kind:     hidden_block_count_x
      - .offset:         276
        .size:           4
        .value_kind:     hidden_block_count_y
      - .offset:         280
        .size:           4
        .value_kind:     hidden_block_count_z
      - .offset:         284
        .size:           2
        .value_kind:     hidden_group_size_x
      - .offset:         286
        .size:           2
        .value_kind:     hidden_group_size_y
      - .offset:         288
        .size:           2
        .value_kind:     hidden_group_size_z
      - .offset:         290
        .size:           2
        .value_kind:     hidden_remainder_x
      - .offset:         292
        .size:           2
        .value_kind:     hidden_remainder_y
      - .offset:         294
        .size:           2
        .value_kind:     hidden_remainder_z
      - .offset:         312
        .size:           8
        .value_kind:     hidden_global_offset_x
      - .offset:         320
        .size:           8
        .value_kind:     hidden_global_offset_y
      - .offset:         328
        .size:           8
        .value_kind:     hidden_global_offset_z
      - .offset:         336
        .size:           2
        .value_kind:     hidden_grid_dims
    .group_segment_fixed_size: 1024
    .kernarg_segment_align: 8
    .kernarg_segment_size: 528
    .language:       OpenCL C
    .language_version:
      - 2
      - 0
    .max_flat_workgroup_size: 256
    .name:           _ZN2at6native6mbtopk23computeBlockDigitCountsIN3c108BFloat16EjjLin1EEEvNS_4cuda6detail10TensorInfoIKT_T0_EEjPjjSA_iijT1_PSD_Ps
    .private_segment_fixed_size: 0
    .sgpr_count:     28
    .sgpr_spill_count: 0
    .symbol:         _ZN2at6native6mbtopk23computeBlockDigitCountsIN3c108BFloat16EjjLin1EEEvNS_4cuda6detail10TensorInfoIKT_T0_EEjPjjSA_iijT1_PSD_Ps.kd
    .uniform_work_group_size: 1
    .uses_dynamic_stack: false
    .vgpr_count:     14
    .vgpr_spill_count: 0
    .wavefront_size: 64
  - .agpr_count:     0
    .args:
      - .offset:         0
        .size:           216
        .value_kind:     by_value
      - .offset:         216
        .size:           4
        .value_kind:     by_value
      - .offset:         220
        .size:           4
        .value_kind:     by_value
      - .offset:         224
        .size:           1
        .value_kind:     by_value
      - .offset:         228
        .size:           4
        .value_kind:     by_value
      - .offset:         232
        .size:           4
        .value_kind:     by_value
      - .offset:         240
        .size:           216
        .value_kind:     by_value
      - .offset:         456
        .size:           4
        .value_kind:     by_value
      - .offset:         464
        .size:           216
        .value_kind:     by_value
      - .offset:         680
        .size:           4
        .value_kind:     by_value
      - .offset:         684
        .size:           4
        .value_kind:     by_value
      - .offset:         688
        .size:           4
        .value_kind:     by_value
      - .address_space:  global
        .offset:         696
        .size:           8
        .value_kind:     global_buffer
      - .address_space:  global
        .offset:         704
        .size:           8
        .value_kind:     global_buffer
      - .address_space:  global
        .offset:         712
        .size:           8
        .value_kind:     global_buffer
      - .offset:         720
        .size:           4
        .value_kind:     by_value
      - .offset:         728
        .size:           4
        .value_kind:     hidden_block_count_x
      - .offset:         732
        .size:           4
        .value_kind:     hidden_block_count_y
      - .offset:         736
        .size:           4
        .value_kind:     hidden_block_count_z
      - .offset:         740
        .size:           2
        .value_kind:     hidden_group_size_x
      - .offset:         742
        .size:           2
        .value_kind:     hidden_group_size_y
      - .offset:         744
        .size:           2
        .value_kind:     hidden_group_size_z
      - .offset:         746
        .size:           2
        .value_kind:     hidden_remainder_x
      - .offset:         748
        .size:           2
        .value_kind:     hidden_remainder_y
      - .offset:         750
        .size:           2
        .value_kind:     hidden_remainder_z
      - .offset:         768
        .size:           8
        .value_kind:     hidden_global_offset_x
      - .offset:         776
        .size:           8
        .value_kind:     hidden_global_offset_y
      - .offset:         784
        .size:           8
        .value_kind:     hidden_global_offset_z
      - .offset:         792
        .size:           2
        .value_kind:     hidden_grid_dims
    .group_segment_fixed_size: 1068
    .kernarg_segment_align: 8
    .kernarg_segment_size: 984
    .language:       OpenCL C
    .language_version:
      - 2
      - 0
    .max_flat_workgroup_size: 256
    .name:           _ZN2at6native6mbtopk10gatherTopKIN3c108BFloat16EjLin1EEEvNS_4cuda6detail10TensorInfoIKT_T0_EESA_SA_bjSA_NS7_IS8_SA_EESA_NS7_IlSA_EESA_jjPS8_PjSF_j
    .private_segment_fixed_size: 0
    .sgpr_count:     50
    .sgpr_spill_count: 0
    .symbol:         _ZN2at6native6mbtopk10gatherTopKIN3c108BFloat16EjLin1EEEvNS_4cuda6detail10TensorInfoIKT_T0_EESA_SA_bjSA_NS7_IS8_SA_EESA_NS7_IlSA_EESA_jjPS8_PjSF_j.kd
    .uniform_work_group_size: 1
    .uses_dynamic_stack: false
    .vgpr_count:     24
    .vgpr_spill_count: 0
    .wavefront_size: 64
  - .agpr_count:     0
    .args:
      - .offset:         0
        .size:           216
        .value_kind:     by_value
      - .offset:         216
        .size:           4
        .value_kind:     by_value
      - .offset:         220
        .size:           4
        .value_kind:     by_value
      - .offset:         224
        .size:           1
        .value_kind:     by_value
      - .offset:         228
        .size:           4
        .value_kind:     by_value
      - .offset:         232
        .size:           4
        .value_kind:     by_value
      - .offset:         240
        .size:           216
        .value_kind:     by_value
      - .offset:         456
        .size:           4
        .value_kind:     by_value
      - .offset:         464
        .size:           216
        .value_kind:     by_value
      - .offset:         680
        .size:           4
        .value_kind:     by_value
      - .address_space:  global
        .offset:         688
        .size:           8
        .value_kind:     global_buffer
      - .offset:         696
        .size:           4
        .value_kind:     hidden_block_count_x
      - .offset:         700
        .size:           4
        .value_kind:     hidden_block_count_y
      - .offset:         704
        .size:           4
        .value_kind:     hidden_block_count_z
      - .offset:         708
        .size:           2
        .value_kind:     hidden_group_size_x
      - .offset:         710
        .size:           2
        .value_kind:     hidden_group_size_y
      - .offset:         712
        .size:           2
        .value_kind:     hidden_group_size_z
      - .offset:         714
        .size:           2
        .value_kind:     hidden_remainder_x
      - .offset:         716
        .size:           2
        .value_kind:     hidden_remainder_y
      - .offset:         718
        .size:           2
        .value_kind:     hidden_remainder_z
      - .offset:         736
        .size:           8
        .value_kind:     hidden_global_offset_x
      - .offset:         744
        .size:           8
        .value_kind:     hidden_global_offset_y
      - .offset:         752
        .size:           8
        .value_kind:     hidden_global_offset_z
      - .offset:         760
        .size:           2
        .value_kind:     hidden_grid_dims
    .group_segment_fixed_size: 4112
    .kernarg_segment_align: 8
    .kernarg_segment_size: 952
    .language:       OpenCL C
    .language_version:
      - 2
      - 0
    .max_flat_workgroup_size: 1024
    .name:           _ZN2at6native6sbtopk10gatherTopKIN3c108BFloat16EjLin1ELb0EEEvNS_4cuda6detail10TensorInfoIKT_T0_EESA_SA_bSA_SA_NS7_IS8_SA_EESA_NS7_IlSA_EESA_PS8_
    .private_segment_fixed_size: 0
    .sgpr_count:     100
    .sgpr_spill_count: 72
    .symbol:         _ZN2at6native6sbtopk10gatherTopKIN3c108BFloat16EjLin1ELb0EEEvNS_4cuda6detail10TensorInfoIKT_T0_EESA_SA_bSA_SA_NS7_IS8_SA_EESA_NS7_IlSA_EESA_PS8_.kd
    .uniform_work_group_size: 1
    .uses_dynamic_stack: false
    .vgpr_count:     55
    .vgpr_spill_count: 0
    .wavefront_size: 64
  - .agpr_count:     0
    .args:
      - .offset:         0
        .size:           416
        .value_kind:     by_value
      - .offset:         416
        .size:           4
        .value_kind:     by_value
      - .address_space:  global
        .offset:         424
        .size:           8
        .value_kind:     global_buffer
      - .offset:         432
        .size:           4
        .value_kind:     by_value
      - .offset:         440
        .size:           8
        .value_kind:     by_value
      - .offset:         448
        .size:           4
        .value_kind:     by_value
      - .offset:         452
        .size:           4
        .value_kind:     by_value
      - .offset:         456
        .size:           4
        .value_kind:     by_value
      - .offset:         460
        .size:           4
        .value_kind:     by_value
      - .address_space:  global
        .offset:         464
        .size:           8
        .value_kind:     global_buffer
      - .address_space:  global
        .offset:         472
        .size:           8
        .value_kind:     global_buffer
      - .offset:         480
        .size:           4
        .value_kind:     hidden_block_count_x
      - .offset:         484
        .size:           4
        .value_kind:     hidden_block_count_y
      - .offset:         488
        .size:           4
        .value_kind:     hidden_block_count_z
      - .offset:         492
        .size:           2
        .value_kind:     hidden_group_size_x
      - .offset:         494
        .size:           2
        .value_kind:     hidden_group_size_y
      - .offset:         496
        .size:           2
        .value_kind:     hidden_group_size_z
      - .offset:         498
        .size:           2
        .value_kind:     hidden_remainder_x
      - .offset:         500
        .size:           2
        .value_kind:     hidden_remainder_y
      - .offset:         502
        .size:           2
        .value_kind:     hidden_remainder_z
      - .offset:         520
        .size:           8
        .value_kind:     hidden_global_offset_x
      - .offset:         528
        .size:           8
        .value_kind:     hidden_global_offset_y
      - .offset:         536
        .size:           8
        .value_kind:     hidden_global_offset_z
      - .offset:         544
        .size:           2
        .value_kind:     hidden_grid_dims
    .group_segment_fixed_size: 1024
    .kernarg_segment_align: 8
    .kernarg_segment_size: 736
    .language:       OpenCL C
    .language_version:
      - 2
      - 0
    .max_flat_workgroup_size: 256
    .name:           _ZN2at6native6mbtopk23computeBlockDigitCountsIhmjLi1EEEvNS_4cuda6detail10TensorInfoIKT_T0_EEjPjjS8_iijT1_PSB_Ps
    .private_segment_fixed_size: 0
    .sgpr_count:     26
    .sgpr_spill_count: 0
    .symbol:         _ZN2at6native6mbtopk23computeBlockDigitCountsIhmjLi1EEEvNS_4cuda6detail10TensorInfoIKT_T0_EEjPjjS8_iijT1_PSB_Ps.kd
    .uniform_work_group_size: 1
    .uses_dynamic_stack: false
    .vgpr_count:     10
    .vgpr_spill_count: 0
    .wavefront_size: 64
  - .agpr_count:     0
    .args:
      - .offset:         0
        .size:           416
        .value_kind:     by_value
      - .offset:         416
        .size:           8
        .value_kind:     by_value
      - .offset:         424
        .size:           8
        .value_kind:     by_value
      - .offset:         432
        .size:           1
        .value_kind:     by_value
      - .offset:         436
        .size:           4
        .value_kind:     by_value
      - .offset:         440
        .size:           8
        .value_kind:     by_value
      - .offset:         448
        .size:           416
        .value_kind:     by_value
      - .offset:         864
        .size:           8
        .value_kind:     by_value
      - .offset:         872
        .size:           416
        .value_kind:     by_value
      - .offset:         1288
        .size:           8
        .value_kind:     by_value
      - .offset:         1296
        .size:           4
        .value_kind:     by_value
      - .offset:         1300
        .size:           4
        .value_kind:     by_value
      - .address_space:  global
        .offset:         1304
        .size:           8
        .value_kind:     global_buffer
      - .address_space:  global
        .offset:         1312
        .size:           8
        .value_kind:     global_buffer
      - .address_space:  global
        .offset:         1320
        .size:           8
        .value_kind:     global_buffer
      - .offset:         1328
        .size:           4
        .value_kind:     by_value
      - .offset:         1336
        .size:           4
        .value_kind:     hidden_block_count_x
      - .offset:         1340
        .size:           4
        .value_kind:     hidden_block_count_y
      - .offset:         1344
        .size:           4
        .value_kind:     hidden_block_count_z
      - .offset:         1348
        .size:           2
        .value_kind:     hidden_group_size_x
      - .offset:         1350
        .size:           2
        .value_kind:     hidden_group_size_y
      - .offset:         1352
        .size:           2
        .value_kind:     hidden_group_size_z
      - .offset:         1354
        .size:           2
        .value_kind:     hidden_remainder_x
      - .offset:         1356
        .size:           2
        .value_kind:     hidden_remainder_y
      - .offset:         1358
        .size:           2
        .value_kind:     hidden_remainder_z
      - .offset:         1376
        .size:           8
        .value_kind:     hidden_global_offset_x
      - .offset:         1384
        .size:           8
        .value_kind:     hidden_global_offset_y
      - .offset:         1392
        .size:           8
        .value_kind:     hidden_global_offset_z
      - .offset:         1400
        .size:           2
        .value_kind:     hidden_grid_dims
    .group_segment_fixed_size: 1068
    .kernarg_segment_align: 8
    .kernarg_segment_size: 1592
    .language:       OpenCL C
    .language_version:
      - 2
      - 0
    .max_flat_workgroup_size: 256
    .name:           _ZN2at6native6mbtopk10gatherTopKIhmLi1EEEvNS_4cuda6detail10TensorInfoIKT_T0_EES8_S8_bjS8_NS5_IS6_S8_EES8_NS5_IlS8_EES8_jjPS6_PjSD_j
    .private_segment_fixed_size: 0
    .sgpr_count:     48
    .sgpr_spill_count: 0
    .symbol:         _ZN2at6native6mbtopk10gatherTopKIhmLi1EEEvNS_4cuda6detail10TensorInfoIKT_T0_EES8_S8_bjS8_NS5_IS6_S8_EES8_NS5_IlS8_EES8_jjPS6_PjSD_j.kd
    .uniform_work_group_size: 1
    .uses_dynamic_stack: false
    .vgpr_count:     22
    .vgpr_spill_count: 0
    .wavefront_size: 64
  - .agpr_count:     0
    .args:
      - .offset:         0
        .size:           416
        .value_kind:     by_value
      - .offset:         416
        .size:           8
        .value_kind:     by_value
      - .offset:         424
        .size:           8
        .value_kind:     by_value
      - .offset:         432
        .size:           1
        .value_kind:     by_value
      - .offset:         440
        .size:           8
        .value_kind:     by_value
      - .offset:         448
        .size:           8
        .value_kind:     by_value
      - .offset:         456
        .size:           416
        .value_kind:     by_value
      - .offset:         872
        .size:           8
        .value_kind:     by_value
      - .offset:         880
        .size:           416
        .value_kind:     by_value
      - .offset:         1296
        .size:           8
        .value_kind:     by_value
      - .address_space:  global
        .offset:         1304
        .size:           8
        .value_kind:     global_buffer
      - .offset:         1312
        .size:           4
        .value_kind:     hidden_block_count_x
      - .offset:         1316
        .size:           4
        .value_kind:     hidden_block_count_y
      - .offset:         1320
        .size:           4
        .value_kind:     hidden_block_count_z
      - .offset:         1324
        .size:           2
        .value_kind:     hidden_group_size_x
      - .offset:         1326
        .size:           2
        .value_kind:     hidden_group_size_y
      - .offset:         1328
        .size:           2
        .value_kind:     hidden_group_size_z
      - .offset:         1330
        .size:           2
        .value_kind:     hidden_remainder_x
      - .offset:         1332
        .size:           2
        .value_kind:     hidden_remainder_y
      - .offset:         1334
        .size:           2
        .value_kind:     hidden_remainder_z
      - .offset:         1352
        .size:           8
        .value_kind:     hidden_global_offset_x
      - .offset:         1360
        .size:           8
        .value_kind:     hidden_global_offset_y
      - .offset:         1368
        .size:           8
        .value_kind:     hidden_global_offset_z
      - .offset:         1376
        .size:           2
        .value_kind:     hidden_grid_dims
    .group_segment_fixed_size: 5152
    .kernarg_segment_align: 8
    .kernarg_segment_size: 1568
    .language:       OpenCL C
    .language_version:
      - 2
      - 0
    .max_flat_workgroup_size: 1024
    .name:           _ZN2at6native6sbtopk10gatherTopKIhmLi1ELb0EEEvNS_4cuda6detail10TensorInfoIKT_T0_EES8_S8_bS8_S8_NS5_IS6_S8_EES8_NS5_IlS8_EES8_PS6_
    .private_segment_fixed_size: 0
    .sgpr_count:     100
    .sgpr_spill_count: 70
    .symbol:         _ZN2at6native6sbtopk10gatherTopKIhmLi1ELb0EEEvNS_4cuda6detail10TensorInfoIKT_T0_EES8_S8_bS8_S8_NS5_IS6_S8_EES8_NS5_IlS8_EES8_PS6_.kd
    .uniform_work_group_size: 1
    .uses_dynamic_stack: false
    .vgpr_count:     49
    .vgpr_spill_count: 0
    .wavefront_size: 64
  - .agpr_count:     0
    .args:
      - .offset:         0
        .size:           416
        .value_kind:     by_value
      - .offset:         416
        .size:           4
        .value_kind:     by_value
      - .address_space:  global
        .offset:         424
        .size:           8
        .value_kind:     global_buffer
      - .offset:         432
        .size:           4
        .value_kind:     by_value
      - .offset:         440
        .size:           8
        .value_kind:     by_value
      - .offset:         448
        .size:           4
        .value_kind:     by_value
      - .offset:         452
        .size:           4
        .value_kind:     by_value
      - .offset:         456
        .size:           4
        .value_kind:     by_value
      - .offset:         460
        .size:           4
        .value_kind:     by_value
      - .address_space:  global
        .offset:         464
        .size:           8
        .value_kind:     global_buffer
      - .address_space:  global
        .offset:         472
        .size:           8
        .value_kind:     global_buffer
      - .offset:         480
        .size:           4
        .value_kind:     hidden_block_count_x
      - .offset:         484
        .size:           4
        .value_kind:     hidden_block_count_y
      - .offset:         488
        .size:           4
        .value_kind:     hidden_block_count_z
      - .offset:         492
        .size:           2
        .value_kind:     hidden_group_size_x
      - .offset:         494
        .size:           2
        .value_kind:     hidden_group_size_y
      - .offset:         496
        .size:           2
        .value_kind:     hidden_group_size_z
      - .offset:         498
        .size:           2
        .value_kind:     hidden_remainder_x
      - .offset:         500
        .size:           2
        .value_kind:     hidden_remainder_y
      - .offset:         502
        .size:           2
        .value_kind:     hidden_remainder_z
      - .offset:         520
        .size:           8
        .value_kind:     hidden_global_offset_x
      - .offset:         528
        .size:           8
        .value_kind:     hidden_global_offset_y
      - .offset:         536
        .size:           8
        .value_kind:     hidden_global_offset_z
      - .offset:         544
        .size:           2
        .value_kind:     hidden_grid_dims
    .group_segment_fixed_size: 1024
    .kernarg_segment_align: 8
    .kernarg_segment_size: 736
    .language:       OpenCL C
    .language_version:
      - 2
      - 0
    .max_flat_workgroup_size: 256
    .name:           _ZN2at6native6mbtopk23computeBlockDigitCountsIhmjLi2EEEvNS_4cuda6detail10TensorInfoIKT_T0_EEjPjjS8_iijT1_PSB_Ps
    .private_segment_fixed_size: 0
    .sgpr_count:     30
    .sgpr_spill_count: 0
    .symbol:         _ZN2at6native6mbtopk23computeBlockDigitCountsIhmjLi2EEEvNS_4cuda6detail10TensorInfoIKT_T0_EEjPjjS8_iijT1_PSB_Ps.kd
    .uniform_work_group_size: 1
    .uses_dynamic_stack: false
    .vgpr_count:     10
    .vgpr_spill_count: 0
    .wavefront_size: 64
  - .agpr_count:     0
    .args:
      - .offset:         0
        .size:           416
        .value_kind:     by_value
      - .offset:         416
        .size:           8
        .value_kind:     by_value
      - .offset:         424
        .size:           8
        .value_kind:     by_value
      - .offset:         432
        .size:           1
        .value_kind:     by_value
      - .offset:         436
        .size:           4
        .value_kind:     by_value
      - .offset:         440
        .size:           8
        .value_kind:     by_value
      - .offset:         448
        .size:           416
        .value_kind:     by_value
      - .offset:         864
        .size:           8
        .value_kind:     by_value
      - .offset:         872
        .size:           416
        .value_kind:     by_value
      - .offset:         1288
        .size:           8
        .value_kind:     by_value
      - .offset:         1296
        .size:           4
        .value_kind:     by_value
      - .offset:         1300
        .size:           4
        .value_kind:     by_value
      - .address_space:  global
        .offset:         1304
        .size:           8
        .value_kind:     global_buffer
      - .address_space:  global
        .offset:         1312
        .size:           8
        .value_kind:     global_buffer
      - .address_space:  global
        .offset:         1320
        .size:           8
        .value_kind:     global_buffer
      - .offset:         1328
        .size:           4
        .value_kind:     by_value
      - .offset:         1336
        .size:           4
        .value_kind:     hidden_block_count_x
      - .offset:         1340
        .size:           4
        .value_kind:     hidden_block_count_y
      - .offset:         1344
        .size:           4
        .value_kind:     hidden_block_count_z
      - .offset:         1348
        .size:           2
        .value_kind:     hidden_group_size_x
      - .offset:         1350
        .size:           2
        .value_kind:     hidden_group_size_y
      - .offset:         1352
        .size:           2
        .value_kind:     hidden_group_size_z
      - .offset:         1354
        .size:           2
        .value_kind:     hidden_remainder_x
      - .offset:         1356
        .size:           2
        .value_kind:     hidden_remainder_y
      - .offset:         1358
        .size:           2
        .value_kind:     hidden_remainder_z
      - .offset:         1376
        .size:           8
        .value_kind:     hidden_global_offset_x
      - .offset:         1384
        .size:           8
        .value_kind:     hidden_global_offset_y
      - .offset:         1392
        .size:           8
        .value_kind:     hidden_global_offset_z
      - .offset:         1400
        .size:           2
        .value_kind:     hidden_grid_dims
    .group_segment_fixed_size: 1068
    .kernarg_segment_align: 8
    .kernarg_segment_size: 1592
    .language:       OpenCL C
    .language_version:
      - 2
      - 0
    .max_flat_workgroup_size: 256
    .name:           _ZN2at6native6mbtopk10gatherTopKIhmLi2EEEvNS_4cuda6detail10TensorInfoIKT_T0_EES8_S8_bjS8_NS5_IS6_S8_EES8_NS5_IlS8_EES8_jjPS6_PjSD_j
    .private_segment_fixed_size: 0
    .sgpr_count:     54
    .sgpr_spill_count: 0
    .symbol:         _ZN2at6native6mbtopk10gatherTopKIhmLi2EEEvNS_4cuda6detail10TensorInfoIKT_T0_EES8_S8_bjS8_NS5_IS6_S8_EES8_NS5_IlS8_EES8_jjPS6_PjSD_j.kd
    .uniform_work_group_size: 1
    .uses_dynamic_stack: false
    .vgpr_count:     22
    .vgpr_spill_count: 0
    .wavefront_size: 64
  - .agpr_count:     0
    .args:
      - .offset:         0
        .size:           416
        .value_kind:     by_value
      - .offset:         416
        .size:           8
        .value_kind:     by_value
      - .offset:         424
        .size:           8
        .value_kind:     by_value
      - .offset:         432
        .size:           1
        .value_kind:     by_value
      - .offset:         440
        .size:           8
        .value_kind:     by_value
      - .offset:         448
        .size:           8
        .value_kind:     by_value
      - .offset:         456
        .size:           416
        .value_kind:     by_value
      - .offset:         872
        .size:           8
        .value_kind:     by_value
      - .offset:         880
        .size:           416
        .value_kind:     by_value
      - .offset:         1296
        .size:           8
        .value_kind:     by_value
      - .address_space:  global
        .offset:         1304
        .size:           8
        .value_kind:     global_buffer
      - .offset:         1312
        .size:           4
        .value_kind:     hidden_block_count_x
      - .offset:         1316
        .size:           4
        .value_kind:     hidden_block_count_y
      - .offset:         1320
        .size:           4
        .value_kind:     hidden_block_count_z
      - .offset:         1324
        .size:           2
        .value_kind:     hidden_group_size_x
      - .offset:         1326
        .size:           2
        .value_kind:     hidden_group_size_y
      - .offset:         1328
        .size:           2
        .value_kind:     hidden_group_size_z
      - .offset:         1330
        .size:           2
        .value_kind:     hidden_remainder_x
      - .offset:         1332
        .size:           2
        .value_kind:     hidden_remainder_y
      - .offset:         1334
        .size:           2
        .value_kind:     hidden_remainder_z
      - .offset:         1352
        .size:           8
        .value_kind:     hidden_global_offset_x
      - .offset:         1360
        .size:           8
        .value_kind:     hidden_global_offset_y
      - .offset:         1368
        .size:           8
        .value_kind:     hidden_global_offset_z
      - .offset:         1376
        .size:           2
        .value_kind:     hidden_grid_dims
    .group_segment_fixed_size: 5152
    .kernarg_segment_align: 8
    .kernarg_segment_size: 1568
    .language:       OpenCL C
    .language_version:
      - 2
      - 0
    .max_flat_workgroup_size: 1024
    .name:           _ZN2at6native6sbtopk10gatherTopKIhmLi2ELb0EEEvNS_4cuda6detail10TensorInfoIKT_T0_EES8_S8_bS8_S8_NS5_IS6_S8_EES8_NS5_IlS8_EES8_PS6_
    .private_segment_fixed_size: 0
    .sgpr_count:     100
    .sgpr_spill_count: 64
    .symbol:         _ZN2at6native6sbtopk10gatherTopKIhmLi2ELb0EEEvNS_4cuda6detail10TensorInfoIKT_T0_EES8_S8_bS8_S8_NS5_IS6_S8_EES8_NS5_IlS8_EES8_PS6_.kd
    .uniform_work_group_size: 1
    .uses_dynamic_stack: false
    .vgpr_count:     43
    .vgpr_spill_count: 0
    .wavefront_size: 64
  - .agpr_count:     0
    .args:
      - .offset:         0
        .size:           416
        .value_kind:     by_value
      - .offset:         416
        .size:           4
        .value_kind:     by_value
      - .address_space:  global
        .offset:         424
        .size:           8
        .value_kind:     global_buffer
      - .offset:         432
        .size:           4
        .value_kind:     by_value
      - .offset:         440
        .size:           8
        .value_kind:     by_value
      - .offset:         448
        .size:           4
        .value_kind:     by_value
      - .offset:         452
        .size:           4
        .value_kind:     by_value
      - .offset:         456
        .size:           4
        .value_kind:     by_value
      - .offset:         460
        .size:           4
        .value_kind:     by_value
      - .address_space:  global
        .offset:         464
        .size:           8
        .value_kind:     global_buffer
      - .address_space:  global
        .offset:         472
        .size:           8
        .value_kind:     global_buffer
      - .offset:         480
        .size:           4
        .value_kind:     hidden_block_count_x
      - .offset:         484
        .size:           4
        .value_kind:     hidden_block_count_y
      - .offset:         488
        .size:           4
        .value_kind:     hidden_block_count_z
      - .offset:         492
        .size:           2
        .value_kind:     hidden_group_size_x
      - .offset:         494
        .size:           2
        .value_kind:     hidden_group_size_y
      - .offset:         496
        .size:           2
        .value_kind:     hidden_group_size_z
      - .offset:         498
        .size:           2
        .value_kind:     hidden_remainder_x
      - .offset:         500
        .size:           2
        .value_kind:     hidden_remainder_y
      - .offset:         502
        .size:           2
        .value_kind:     hidden_remainder_z
      - .offset:         520
        .size:           8
        .value_kind:     hidden_global_offset_x
      - .offset:         528
        .size:           8
        .value_kind:     hidden_global_offset_y
      - .offset:         536
        .size:           8
        .value_kind:     hidden_global_offset_z
      - .offset:         544
        .size:           2
        .value_kind:     hidden_grid_dims
    .group_segment_fixed_size: 1024
    .kernarg_segment_align: 8
    .kernarg_segment_size: 736
    .language:       OpenCL C
    .language_version:
      - 2
      - 0
    .max_flat_workgroup_size: 256
    .name:           _ZN2at6native6mbtopk23computeBlockDigitCountsIhmjLi3EEEvNS_4cuda6detail10TensorInfoIKT_T0_EEjPjjS8_iijT1_PSB_Ps
    .private_segment_fixed_size: 0
    .sgpr_count:     34
    .sgpr_spill_count: 0
    .symbol:         _ZN2at6native6mbtopk23computeBlockDigitCountsIhmjLi3EEEvNS_4cuda6detail10TensorInfoIKT_T0_EEjPjjS8_iijT1_PSB_Ps.kd
    .uniform_work_group_size: 1
    .uses_dynamic_stack: false
    .vgpr_count:     10
    .vgpr_spill_count: 0
    .wavefront_size: 64
  - .agpr_count:     0
    .args:
      - .offset:         0
        .size:           416
        .value_kind:     by_value
      - .offset:         416
        .size:           8
        .value_kind:     by_value
      - .offset:         424
        .size:           8
        .value_kind:     by_value
      - .offset:         432
        .size:           1
        .value_kind:     by_value
      - .offset:         436
        .size:           4
        .value_kind:     by_value
      - .offset:         440
        .size:           8
        .value_kind:     by_value
      - .offset:         448
        .size:           416
        .value_kind:     by_value
      - .offset:         864
        .size:           8
        .value_kind:     by_value
      - .offset:         872
        .size:           416
        .value_kind:     by_value
      - .offset:         1288
        .size:           8
        .value_kind:     by_value
      - .offset:         1296
        .size:           4
        .value_kind:     by_value
      - .offset:         1300
        .size:           4
        .value_kind:     by_value
      - .address_space:  global
        .offset:         1304
        .size:           8
        .value_kind:     global_buffer
      - .address_space:  global
        .offset:         1312
        .size:           8
        .value_kind:     global_buffer
      - .address_space:  global
        .offset:         1320
        .size:           8
        .value_kind:     global_buffer
      - .offset:         1328
        .size:           4
        .value_kind:     by_value
      - .offset:         1336
        .size:           4
        .value_kind:     hidden_block_count_x
      - .offset:         1340
        .size:           4
        .value_kind:     hidden_block_count_y
      - .offset:         1344
        .size:           4
        .value_kind:     hidden_block_count_z
      - .offset:         1348
        .size:           2
        .value_kind:     hidden_group_size_x
      - .offset:         1350
        .size:           2
        .value_kind:     hidden_group_size_y
      - .offset:         1352
        .size:           2
        .value_kind:     hidden_group_size_z
      - .offset:         1354
        .size:           2
        .value_kind:     hidden_remainder_x
      - .offset:         1356
        .size:           2
        .value_kind:     hidden_remainder_y
      - .offset:         1358
        .size:           2
        .value_kind:     hidden_remainder_z
      - .offset:         1376
        .size:           8
        .value_kind:     hidden_global_offset_x
      - .offset:         1384
        .size:           8
        .value_kind:     hidden_global_offset_y
      - .offset:         1392
        .size:           8
        .value_kind:     hidden_global_offset_z
      - .offset:         1400
        .size:           2
        .value_kind:     hidden_grid_dims
    .group_segment_fixed_size: 1068
    .kernarg_segment_align: 8
    .kernarg_segment_size: 1592
    .language:       OpenCL C
    .language_version:
      - 2
      - 0
    .max_flat_workgroup_size: 256
    .name:           _ZN2at6native6mbtopk10gatherTopKIhmLi3EEEvNS_4cuda6detail10TensorInfoIKT_T0_EES8_S8_bjS8_NS5_IS6_S8_EES8_NS5_IlS8_EES8_jjPS6_PjSD_j
    .private_segment_fixed_size: 0
    .sgpr_count:     81
    .sgpr_spill_count: 0
    .symbol:         _ZN2at6native6mbtopk10gatherTopKIhmLi3EEEvNS_4cuda6detail10TensorInfoIKT_T0_EES8_S8_bjS8_NS5_IS6_S8_EES8_NS5_IlS8_EES8_jjPS6_PjSD_j.kd
    .uniform_work_group_size: 1
    .uses_dynamic_stack: false
    .vgpr_count:     22
    .vgpr_spill_count: 0
    .wavefront_size: 64
  - .agpr_count:     0
    .args:
      - .offset:         0
        .size:           416
        .value_kind:     by_value
      - .offset:         416
        .size:           8
        .value_kind:     by_value
      - .offset:         424
        .size:           8
        .value_kind:     by_value
      - .offset:         432
        .size:           1
        .value_kind:     by_value
      - .offset:         440
        .size:           8
        .value_kind:     by_value
      - .offset:         448
        .size:           8
        .value_kind:     by_value
      - .offset:         456
        .size:           416
        .value_kind:     by_value
      - .offset:         872
        .size:           8
        .value_kind:     by_value
      - .offset:         880
        .size:           416
        .value_kind:     by_value
      - .offset:         1296
        .size:           8
        .value_kind:     by_value
      - .address_space:  global
        .offset:         1304
        .size:           8
        .value_kind:     global_buffer
      - .offset:         1312
        .size:           4
        .value_kind:     hidden_block_count_x
      - .offset:         1316
        .size:           4
        .value_kind:     hidden_block_count_y
      - .offset:         1320
        .size:           4
        .value_kind:     hidden_block_count_z
      - .offset:         1324
        .size:           2
        .value_kind:     hidden_group_size_x
      - .offset:         1326
        .size:           2
        .value_kind:     hidden_group_size_y
      - .offset:         1328
        .size:           2
        .value_kind:     hidden_group_size_z
      - .offset:         1330
        .size:           2
        .value_kind:     hidden_remainder_x
      - .offset:         1332
        .size:           2
        .value_kind:     hidden_remainder_y
      - .offset:         1334
        .size:           2
        .value_kind:     hidden_remainder_z
      - .offset:         1352
        .size:           8
        .value_kind:     hidden_global_offset_x
      - .offset:         1360
        .size:           8
        .value_kind:     hidden_global_offset_y
      - .offset:         1368
        .size:           8
        .value_kind:     hidden_global_offset_z
      - .offset:         1376
        .size:           2
        .value_kind:     hidden_grid_dims
    .group_segment_fixed_size: 5152
    .kernarg_segment_align: 8
    .kernarg_segment_size: 1568
    .language:       OpenCL C
    .language_version:
      - 2
      - 0
    .max_flat_workgroup_size: 1024
    .name:           _ZN2at6native6sbtopk10gatherTopKIhmLi3ELb0EEEvNS_4cuda6detail10TensorInfoIKT_T0_EES8_S8_bS8_S8_NS5_IS6_S8_EES8_NS5_IlS8_EES8_PS6_
    .private_segment_fixed_size: 0
    .sgpr_count:     100
    .sgpr_spill_count: 76
    .symbol:         _ZN2at6native6sbtopk10gatherTopKIhmLi3ELb0EEEvNS_4cuda6detail10TensorInfoIKT_T0_EES8_S8_bS8_S8_NS5_IS6_S8_EES8_NS5_IlS8_EES8_PS6_.kd
    .uniform_work_group_size: 1
    .uses_dynamic_stack: false
    .vgpr_count:     44
    .vgpr_spill_count: 0
    .wavefront_size: 64
  - .agpr_count:     0
    .args:
      - .offset:         0
        .size:           416
        .value_kind:     by_value
      - .offset:         416
        .size:           4
        .value_kind:     by_value
      - .address_space:  global
        .offset:         424
        .size:           8
        .value_kind:     global_buffer
      - .offset:         432
        .size:           4
        .value_kind:     by_value
      - .offset:         440
        .size:           8
        .value_kind:     by_value
      - .offset:         448
        .size:           4
        .value_kind:     by_value
      - .offset:         452
        .size:           4
        .value_kind:     by_value
      - .offset:         456
        .size:           4
        .value_kind:     by_value
      - .offset:         460
        .size:           4
        .value_kind:     by_value
      - .address_space:  global
        .offset:         464
        .size:           8
        .value_kind:     global_buffer
      - .address_space:  global
        .offset:         472
        .size:           8
        .value_kind:     global_buffer
      - .offset:         480
        .size:           4
        .value_kind:     hidden_block_count_x
      - .offset:         484
        .size:           4
        .value_kind:     hidden_block_count_y
      - .offset:         488
        .size:           4
        .value_kind:     hidden_block_count_z
      - .offset:         492
        .size:           2
        .value_kind:     hidden_group_size_x
      - .offset:         494
        .size:           2
        .value_kind:     hidden_group_size_y
      - .offset:         496
        .size:           2
        .value_kind:     hidden_group_size_z
      - .offset:         498
        .size:           2
        .value_kind:     hidden_remainder_x
      - .offset:         500
        .size:           2
        .value_kind:     hidden_remainder_y
      - .offset:         502
        .size:           2
        .value_kind:     hidden_remainder_z
      - .offset:         520
        .size:           8
        .value_kind:     hidden_global_offset_x
      - .offset:         528
        .size:           8
        .value_kind:     hidden_global_offset_y
      - .offset:         536
        .size:           8
        .value_kind:     hidden_global_offset_z
      - .offset:         544
        .size:           2
        .value_kind:     hidden_grid_dims
    .group_segment_fixed_size: 1024
    .kernarg_segment_align: 8
    .kernarg_segment_size: 736
    .language:       OpenCL C
    .language_version:
      - 2
      - 0
    .max_flat_workgroup_size: 256
    .name:           _ZN2at6native6mbtopk23computeBlockDigitCountsIhmjLin1EEEvNS_4cuda6detail10TensorInfoIKT_T0_EEjPjjS8_iijT1_PSB_Ps
    .private_segment_fixed_size: 0
    .sgpr_count:     35
    .sgpr_spill_count: 0
    .symbol:         _ZN2at6native6mbtopk23computeBlockDigitCountsIhmjLin1EEEvNS_4cuda6detail10TensorInfoIKT_T0_EEjPjjS8_iijT1_PSB_Ps.kd
    .uniform_work_group_size: 1
    .uses_dynamic_stack: false
    .vgpr_count:     10
    .vgpr_spill_count: 0
    .wavefront_size: 64
  - .agpr_count:     0
    .args:
      - .offset:         0
        .size:           416
        .value_kind:     by_value
      - .offset:         416
        .size:           8
        .value_kind:     by_value
      - .offset:         424
        .size:           8
        .value_kind:     by_value
      - .offset:         432
        .size:           1
        .value_kind:     by_value
      - .offset:         436
        .size:           4
        .value_kind:     by_value
      - .offset:         440
        .size:           8
        .value_kind:     by_value
      - .offset:         448
        .size:           416
        .value_kind:     by_value
      - .offset:         864
        .size:           8
        .value_kind:     by_value
      - .offset:         872
        .size:           416
        .value_kind:     by_value
      - .offset:         1288
        .size:           8
        .value_kind:     by_value
      - .offset:         1296
        .size:           4
        .value_kind:     by_value
      - .offset:         1300
        .size:           4
        .value_kind:     by_value
      - .address_space:  global
        .offset:         1304
        .size:           8
        .value_kind:     global_buffer
      - .address_space:  global
        .offset:         1312
        .size:           8
        .value_kind:     global_buffer
      - .address_space:  global
        .offset:         1320
        .size:           8
        .value_kind:     global_buffer
      - .offset:         1328
        .size:           4
        .value_kind:     by_value
      - .offset:         1336
        .size:           4
        .value_kind:     hidden_block_count_x
      - .offset:         1340
        .size:           4
        .value_kind:     hidden_block_count_y
      - .offset:         1344
        .size:           4
        .value_kind:     hidden_block_count_z
      - .offset:         1348
        .size:           2
        .value_kind:     hidden_group_size_x
      - .offset:         1350
        .size:           2
        .value_kind:     hidden_group_size_y
      - .offset:         1352
        .size:           2
        .value_kind:     hidden_group_size_z
      - .offset:         1354
        .size:           2
        .value_kind:     hidden_remainder_x
      - .offset:         1356
        .size:           2
        .value_kind:     hidden_remainder_y
      - .offset:         1358
        .size:           2
        .value_kind:     hidden_remainder_z
      - .offset:         1376
        .size:           8
        .value_kind:     hidden_global_offset_x
      - .offset:         1384
        .size:           8
        .value_kind:     hidden_global_offset_y
      - .offset:         1392
        .size:           8
        .value_kind:     hidden_global_offset_z
      - .offset:         1400
        .size:           2
        .value_kind:     hidden_grid_dims
    .group_segment_fixed_size: 1068
    .kernarg_segment_align: 8
    .kernarg_segment_size: 1592
    .language:       OpenCL C
    .language_version:
      - 2
      - 0
    .max_flat_workgroup_size: 256
    .name:           _ZN2at6native6mbtopk10gatherTopKIhmLin1EEEvNS_4cuda6detail10TensorInfoIKT_T0_EES8_S8_bjS8_NS5_IS6_S8_EES8_NS5_IlS8_EES8_jjPS6_PjSD_j
    .private_segment_fixed_size: 0
    .sgpr_count:     63
    .sgpr_spill_count: 0
    .symbol:         _ZN2at6native6mbtopk10gatherTopKIhmLin1EEEvNS_4cuda6detail10TensorInfoIKT_T0_EES8_S8_bjS8_NS5_IS6_S8_EES8_NS5_IlS8_EES8_jjPS6_PjSD_j.kd
    .uniform_work_group_size: 1
    .uses_dynamic_stack: false
    .vgpr_count:     22
    .vgpr_spill_count: 0
    .wavefront_size: 64
  - .agpr_count:     0
    .args:
      - .offset:         0
        .size:           416
        .value_kind:     by_value
      - .offset:         416
        .size:           8
        .value_kind:     by_value
      - .offset:         424
        .size:           8
        .value_kind:     by_value
      - .offset:         432
        .size:           1
        .value_kind:     by_value
      - .offset:         440
        .size:           8
        .value_kind:     by_value
      - .offset:         448
        .size:           8
        .value_kind:     by_value
      - .offset:         456
        .size:           416
        .value_kind:     by_value
      - .offset:         872
        .size:           8
        .value_kind:     by_value
      - .offset:         880
        .size:           416
        .value_kind:     by_value
      - .offset:         1296
        .size:           8
        .value_kind:     by_value
      - .address_space:  global
        .offset:         1304
        .size:           8
        .value_kind:     global_buffer
      - .offset:         1312
        .size:           4
        .value_kind:     hidden_block_count_x
      - .offset:         1316
        .size:           4
        .value_kind:     hidden_block_count_y
      - .offset:         1320
        .size:           4
        .value_kind:     hidden_block_count_z
      - .offset:         1324
        .size:           2
        .value_kind:     hidden_group_size_x
      - .offset:         1326
        .size:           2
        .value_kind:     hidden_group_size_y
      - .offset:         1328
        .size:           2
        .value_kind:     hidden_group_size_z
      - .offset:         1330
        .size:           2
        .value_kind:     hidden_remainder_x
      - .offset:         1332
        .size:           2
        .value_kind:     hidden_remainder_y
      - .offset:         1334
        .size:           2
        .value_kind:     hidden_remainder_z
      - .offset:         1352
        .size:           8
        .value_kind:     hidden_global_offset_x
      - .offset:         1360
        .size:           8
        .value_kind:     hidden_global_offset_y
      - .offset:         1368
        .size:           8
        .value_kind:     hidden_global_offset_z
      - .offset:         1376
        .size:           2
        .value_kind:     hidden_grid_dims
    .group_segment_fixed_size: 5152
    .kernarg_segment_align: 8
    .kernarg_segment_size: 1568
    .language:       OpenCL C
    .language_version:
      - 2
      - 0
    .max_flat_workgroup_size: 1024
    .name:           _ZN2at6native6sbtopk10gatherTopKIhmLin1ELb0EEEvNS_4cuda6detail10TensorInfoIKT_T0_EES8_S8_bS8_S8_NS5_IS6_S8_EES8_NS5_IlS8_EES8_PS6_
    .private_segment_fixed_size: 0
    .sgpr_count:     100
    .sgpr_spill_count: 83
    .symbol:         _ZN2at6native6sbtopk10gatherTopKIhmLin1ELb0EEEvNS_4cuda6detail10TensorInfoIKT_T0_EES8_S8_bS8_S8_NS5_IS6_S8_EES8_NS5_IlS8_EES8_PS6_.kd
    .uniform_work_group_size: 1
    .uses_dynamic_stack: false
    .vgpr_count:     54
    .vgpr_spill_count: 0
    .wavefront_size: 64
  - .agpr_count:     0
    .args:
      - .offset:         0
        .size:           416
        .value_kind:     by_value
      - .offset:         416
        .size:           4
        .value_kind:     by_value
      - .address_space:  global
        .offset:         424
        .size:           8
        .value_kind:     global_buffer
      - .offset:         432
        .size:           4
        .value_kind:     by_value
      - .offset:         440
        .size:           8
        .value_kind:     by_value
      - .offset:         448
        .size:           4
        .value_kind:     by_value
      - .offset:         452
        .size:           4
        .value_kind:     by_value
      - .offset:         456
        .size:           4
        .value_kind:     by_value
      - .offset:         460
        .size:           4
        .value_kind:     by_value
      - .address_space:  global
        .offset:         464
        .size:           8
        .value_kind:     global_buffer
      - .address_space:  global
        .offset:         472
        .size:           8
        .value_kind:     global_buffer
      - .offset:         480
        .size:           4
        .value_kind:     hidden_block_count_x
      - .offset:         484
        .size:           4
        .value_kind:     hidden_block_count_y
      - .offset:         488
        .size:           4
        .value_kind:     hidden_block_count_z
      - .offset:         492
        .size:           2
        .value_kind:     hidden_group_size_x
      - .offset:         494
        .size:           2
        .value_kind:     hidden_group_size_y
      - .offset:         496
        .size:           2
        .value_kind:     hidden_group_size_z
      - .offset:         498
        .size:           2
        .value_kind:     hidden_remainder_x
      - .offset:         500
        .size:           2
        .value_kind:     hidden_remainder_y
      - .offset:         502
        .size:           2
        .value_kind:     hidden_remainder_z
      - .offset:         520
        .size:           8
        .value_kind:     hidden_global_offset_x
      - .offset:         528
        .size:           8
        .value_kind:     hidden_global_offset_y
      - .offset:         536
        .size:           8
        .value_kind:     hidden_global_offset_z
      - .offset:         544
        .size:           2
        .value_kind:     hidden_grid_dims
    .group_segment_fixed_size: 1024
    .kernarg_segment_align: 8
    .kernarg_segment_size: 736
    .language:       OpenCL C
    .language_version:
      - 2
      - 0
    .max_flat_workgroup_size: 256
    .name:           _ZN2at6native6mbtopk23computeBlockDigitCountsIamjLi1EEEvNS_4cuda6detail10TensorInfoIKT_T0_EEjPjjS8_iijT1_PSB_Ps
    .private_segment_fixed_size: 0
    .sgpr_count:     26
    .sgpr_spill_count: 0
    .symbol:         _ZN2at6native6mbtopk23computeBlockDigitCountsIamjLi1EEEvNS_4cuda6detail10TensorInfoIKT_T0_EEjPjjS8_iijT1_PSB_Ps.kd
    .uniform_work_group_size: 1
    .uses_dynamic_stack: false
    .vgpr_count:     10
    .vgpr_spill_count: 0
    .wavefront_size: 64
  - .agpr_count:     0
    .args:
      - .offset:         0
        .size:           416
        .value_kind:     by_value
      - .offset:         416
        .size:           8
        .value_kind:     by_value
      - .offset:         424
        .size:           8
        .value_kind:     by_value
      - .offset:         432
        .size:           1
        .value_kind:     by_value
      - .offset:         436
        .size:           4
        .value_kind:     by_value
      - .offset:         440
        .size:           8
        .value_kind:     by_value
      - .offset:         448
        .size:           416
        .value_kind:     by_value
      - .offset:         864
        .size:           8
        .value_kind:     by_value
      - .offset:         872
        .size:           416
        .value_kind:     by_value
      - .offset:         1288
        .size:           8
        .value_kind:     by_value
      - .offset:         1296
        .size:           4
        .value_kind:     by_value
      - .offset:         1300
        .size:           4
        .value_kind:     by_value
      - .address_space:  global
        .offset:         1304
        .size:           8
        .value_kind:     global_buffer
      - .address_space:  global
        .offset:         1312
        .size:           8
        .value_kind:     global_buffer
      - .address_space:  global
        .offset:         1320
        .size:           8
        .value_kind:     global_buffer
      - .offset:         1328
        .size:           4
        .value_kind:     by_value
      - .offset:         1336
        .size:           4
        .value_kind:     hidden_block_count_x
      - .offset:         1340
        .size:           4
        .value_kind:     hidden_block_count_y
      - .offset:         1344
        .size:           4
        .value_kind:     hidden_block_count_z
      - .offset:         1348
        .size:           2
        .value_kind:     hidden_group_size_x
      - .offset:         1350
        .size:           2
        .value_kind:     hidden_group_size_y
      - .offset:         1352
        .size:           2
        .value_kind:     hidden_group_size_z
      - .offset:         1354
        .size:           2
        .value_kind:     hidden_remainder_x
      - .offset:         1356
        .size:           2
        .value_kind:     hidden_remainder_y
      - .offset:         1358
        .size:           2
        .value_kind:     hidden_remainder_z
      - .offset:         1376
        .size:           8
        .value_kind:     hidden_global_offset_x
      - .offset:         1384
        .size:           8
        .value_kind:     hidden_global_offset_y
      - .offset:         1392
        .size:           8
        .value_kind:     hidden_global_offset_z
      - .offset:         1400
        .size:           2
        .value_kind:     hidden_grid_dims
    .group_segment_fixed_size: 1068
    .kernarg_segment_align: 8
    .kernarg_segment_size: 1592
    .language:       OpenCL C
    .language_version:
      - 2
      - 0
    .max_flat_workgroup_size: 256
    .name:           _ZN2at6native6mbtopk10gatherTopKIamLi1EEEvNS_4cuda6detail10TensorInfoIKT_T0_EES8_S8_bjS8_NS5_IS6_S8_EES8_NS5_IlS8_EES8_jjPS6_PjSD_j
    .private_segment_fixed_size: 0
    .sgpr_count:     48
    .sgpr_spill_count: 0
    .symbol:         _ZN2at6native6mbtopk10gatherTopKIamLi1EEEvNS_4cuda6detail10TensorInfoIKT_T0_EES8_S8_bjS8_NS5_IS6_S8_EES8_NS5_IlS8_EES8_jjPS6_PjSD_j.kd
    .uniform_work_group_size: 1
    .uses_dynamic_stack: false
    .vgpr_count:     24
    .vgpr_spill_count: 0
    .wavefront_size: 64
  - .agpr_count:     0
    .args:
      - .offset:         0
        .size:           416
        .value_kind:     by_value
      - .offset:         416
        .size:           8
        .value_kind:     by_value
      - .offset:         424
        .size:           8
        .value_kind:     by_value
      - .offset:         432
        .size:           1
        .value_kind:     by_value
      - .offset:         440
        .size:           8
        .value_kind:     by_value
      - .offset:         448
        .size:           8
        .value_kind:     by_value
      - .offset:         456
        .size:           416
        .value_kind:     by_value
      - .offset:         872
        .size:           8
        .value_kind:     by_value
      - .offset:         880
        .size:           416
        .value_kind:     by_value
      - .offset:         1296
        .size:           8
        .value_kind:     by_value
      - .address_space:  global
        .offset:         1304
        .size:           8
        .value_kind:     global_buffer
      - .offset:         1312
        .size:           4
        .value_kind:     hidden_block_count_x
      - .offset:         1316
        .size:           4
        .value_kind:     hidden_block_count_y
      - .offset:         1320
        .size:           4
        .value_kind:     hidden_block_count_z
      - .offset:         1324
        .size:           2
        .value_kind:     hidden_group_size_x
      - .offset:         1326
        .size:           2
        .value_kind:     hidden_group_size_y
      - .offset:         1328
        .size:           2
        .value_kind:     hidden_group_size_z
      - .offset:         1330
        .size:           2
        .value_kind:     hidden_remainder_x
      - .offset:         1332
        .size:           2
        .value_kind:     hidden_remainder_y
      - .offset:         1334
        .size:           2
        .value_kind:     hidden_remainder_z
      - .offset:         1352
        .size:           8
        .value_kind:     hidden_global_offset_x
      - .offset:         1360
        .size:           8
        .value_kind:     hidden_global_offset_y
      - .offset:         1368
        .size:           8
        .value_kind:     hidden_global_offset_z
      - .offset:         1376
        .size:           2
        .value_kind:     hidden_grid_dims
    .group_segment_fixed_size: 5152
    .kernarg_segment_align: 8
    .kernarg_segment_size: 1568
    .language:       OpenCL C
    .language_version:
      - 2
      - 0
    .max_flat_workgroup_size: 1024
    .name:           _ZN2at6native6sbtopk10gatherTopKIamLi1ELb0EEEvNS_4cuda6detail10TensorInfoIKT_T0_EES8_S8_bS8_S8_NS5_IS6_S8_EES8_NS5_IlS8_EES8_PS6_
    .private_segment_fixed_size: 0
    .sgpr_count:     100
    .sgpr_spill_count: 71
    .symbol:         _ZN2at6native6sbtopk10gatherTopKIamLi1ELb0EEEvNS_4cuda6detail10TensorInfoIKT_T0_EES8_S8_bS8_S8_NS5_IS6_S8_EES8_NS5_IlS8_EES8_PS6_.kd
    .uniform_work_group_size: 1
    .uses_dynamic_stack: false
    .vgpr_count:     49
    .vgpr_spill_count: 0
    .wavefront_size: 64
  - .agpr_count:     0
    .args:
      - .offset:         0
        .size:           416
        .value_kind:     by_value
      - .offset:         416
        .size:           4
        .value_kind:     by_value
      - .address_space:  global
        .offset:         424
        .size:           8
        .value_kind:     global_buffer
      - .offset:         432
        .size:           4
        .value_kind:     by_value
      - .offset:         440
        .size:           8
        .value_kind:     by_value
      - .offset:         448
        .size:           4
        .value_kind:     by_value
      - .offset:         452
        .size:           4
        .value_kind:     by_value
      - .offset:         456
        .size:           4
        .value_kind:     by_value
      - .offset:         460
        .size:           4
        .value_kind:     by_value
      - .address_space:  global
        .offset:         464
        .size:           8
        .value_kind:     global_buffer
      - .address_space:  global
        .offset:         472
        .size:           8
        .value_kind:     global_buffer
      - .offset:         480
        .size:           4
        .value_kind:     hidden_block_count_x
      - .offset:         484
        .size:           4
        .value_kind:     hidden_block_count_y
      - .offset:         488
        .size:           4
        .value_kind:     hidden_block_count_z
      - .offset:         492
        .size:           2
        .value_kind:     hidden_group_size_x
      - .offset:         494
        .size:           2
        .value_kind:     hidden_group_size_y
      - .offset:         496
        .size:           2
        .value_kind:     hidden_group_size_z
      - .offset:         498
        .size:           2
        .value_kind:     hidden_remainder_x
      - .offset:         500
        .size:           2
        .value_kind:     hidden_remainder_y
      - .offset:         502
        .size:           2
        .value_kind:     hidden_remainder_z
      - .offset:         520
        .size:           8
        .value_kind:     hidden_global_offset_x
      - .offset:         528
        .size:           8
        .value_kind:     hidden_global_offset_y
      - .offset:         536
        .size:           8
        .value_kind:     hidden_global_offset_z
      - .offset:         544
        .size:           2
        .value_kind:     hidden_grid_dims
    .group_segment_fixed_size: 1024
    .kernarg_segment_align: 8
    .kernarg_segment_size: 736
    .language:       OpenCL C
    .language_version:
      - 2
      - 0
    .max_flat_workgroup_size: 256
    .name:           _ZN2at6native6mbtopk23computeBlockDigitCountsIamjLi2EEEvNS_4cuda6detail10TensorInfoIKT_T0_EEjPjjS8_iijT1_PSB_Ps
    .private_segment_fixed_size: 0
    .sgpr_count:     30
    .sgpr_spill_count: 0
    .symbol:         _ZN2at6native6mbtopk23computeBlockDigitCountsIamjLi2EEEvNS_4cuda6detail10TensorInfoIKT_T0_EEjPjjS8_iijT1_PSB_Ps.kd
    .uniform_work_group_size: 1
    .uses_dynamic_stack: false
    .vgpr_count:     10
    .vgpr_spill_count: 0
    .wavefront_size: 64
  - .agpr_count:     0
    .args:
      - .offset:         0
        .size:           416
        .value_kind:     by_value
      - .offset:         416
        .size:           8
        .value_kind:     by_value
      - .offset:         424
        .size:           8
        .value_kind:     by_value
      - .offset:         432
        .size:           1
        .value_kind:     by_value
      - .offset:         436
        .size:           4
        .value_kind:     by_value
      - .offset:         440
        .size:           8
        .value_kind:     by_value
      - .offset:         448
        .size:           416
        .value_kind:     by_value
      - .offset:         864
        .size:           8
        .value_kind:     by_value
      - .offset:         872
        .size:           416
        .value_kind:     by_value
      - .offset:         1288
        .size:           8
        .value_kind:     by_value
      - .offset:         1296
        .size:           4
        .value_kind:     by_value
      - .offset:         1300
        .size:           4
        .value_kind:     by_value
      - .address_space:  global
        .offset:         1304
        .size:           8
        .value_kind:     global_buffer
      - .address_space:  global
        .offset:         1312
        .size:           8
        .value_kind:     global_buffer
      - .address_space:  global
        .offset:         1320
        .size:           8
        .value_kind:     global_buffer
      - .offset:         1328
        .size:           4
        .value_kind:     by_value
      - .offset:         1336
        .size:           4
        .value_kind:     hidden_block_count_x
      - .offset:         1340
        .size:           4
        .value_kind:     hidden_block_count_y
      - .offset:         1344
        .size:           4
        .value_kind:     hidden_block_count_z
      - .offset:         1348
        .size:           2
        .value_kind:     hidden_group_size_x
      - .offset:         1350
        .size:           2
        .value_kind:     hidden_group_size_y
      - .offset:         1352
        .size:           2
        .value_kind:     hidden_group_size_z
      - .offset:         1354
        .size:           2
        .value_kind:     hidden_remainder_x
      - .offset:         1356
        .size:           2
        .value_kind:     hidden_remainder_y
      - .offset:         1358
        .size:           2
        .value_kind:     hidden_remainder_z
      - .offset:         1376
        .size:           8
        .value_kind:     hidden_global_offset_x
      - .offset:         1384
        .size:           8
        .value_kind:     hidden_global_offset_y
      - .offset:         1392
        .size:           8
        .value_kind:     hidden_global_offset_z
      - .offset:         1400
        .size:           2
        .value_kind:     hidden_grid_dims
    .group_segment_fixed_size: 1068
    .kernarg_segment_align: 8
    .kernarg_segment_size: 1592
    .language:       OpenCL C
    .language_version:
      - 2
      - 0
    .max_flat_workgroup_size: 256
    .name:           _ZN2at6native6mbtopk10gatherTopKIamLi2EEEvNS_4cuda6detail10TensorInfoIKT_T0_EES8_S8_bjS8_NS5_IS6_S8_EES8_NS5_IlS8_EES8_jjPS6_PjSD_j
    .private_segment_fixed_size: 0
    .sgpr_count:     54
    .sgpr_spill_count: 0
    .symbol:         _ZN2at6native6mbtopk10gatherTopKIamLi2EEEvNS_4cuda6detail10TensorInfoIKT_T0_EES8_S8_bjS8_NS5_IS6_S8_EES8_NS5_IlS8_EES8_jjPS6_PjSD_j.kd
    .uniform_work_group_size: 1
    .uses_dynamic_stack: false
    .vgpr_count:     24
    .vgpr_spill_count: 0
    .wavefront_size: 64
  - .agpr_count:     0
    .args:
      - .offset:         0
        .size:           416
        .value_kind:     by_value
      - .offset:         416
        .size:           8
        .value_kind:     by_value
      - .offset:         424
        .size:           8
        .value_kind:     by_value
      - .offset:         432
        .size:           1
        .value_kind:     by_value
      - .offset:         440
        .size:           8
        .value_kind:     by_value
      - .offset:         448
        .size:           8
        .value_kind:     by_value
      - .offset:         456
        .size:           416
        .value_kind:     by_value
      - .offset:         872
        .size:           8
        .value_kind:     by_value
      - .offset:         880
        .size:           416
        .value_kind:     by_value
      - .offset:         1296
        .size:           8
        .value_kind:     by_value
      - .address_space:  global
        .offset:         1304
        .size:           8
        .value_kind:     global_buffer
      - .offset:         1312
        .size:           4
        .value_kind:     hidden_block_count_x
      - .offset:         1316
        .size:           4
        .value_kind:     hidden_block_count_y
      - .offset:         1320
        .size:           4
        .value_kind:     hidden_block_count_z
      - .offset:         1324
        .size:           2
        .value_kind:     hidden_group_size_x
      - .offset:         1326
        .size:           2
        .value_kind:     hidden_group_size_y
      - .offset:         1328
        .size:           2
        .value_kind:     hidden_group_size_z
      - .offset:         1330
        .size:           2
        .value_kind:     hidden_remainder_x
      - .offset:         1332
        .size:           2
        .value_kind:     hidden_remainder_y
      - .offset:         1334
        .size:           2
        .value_kind:     hidden_remainder_z
      - .offset:         1352
        .size:           8
        .value_kind:     hidden_global_offset_x
      - .offset:         1360
        .size:           8
        .value_kind:     hidden_global_offset_y
      - .offset:         1368
        .size:           8
        .value_kind:     hidden_global_offset_z
      - .offset:         1376
        .size:           2
        .value_kind:     hidden_grid_dims
    .group_segment_fixed_size: 5152
    .kernarg_segment_align: 8
    .kernarg_segment_size: 1568
    .language:       OpenCL C
    .language_version:
      - 2
      - 0
    .max_flat_workgroup_size: 1024
    .name:           _ZN2at6native6sbtopk10gatherTopKIamLi2ELb0EEEvNS_4cuda6detail10TensorInfoIKT_T0_EES8_S8_bS8_S8_NS5_IS6_S8_EES8_NS5_IlS8_EES8_PS6_
    .private_segment_fixed_size: 0
    .sgpr_count:     100
    .sgpr_spill_count: 66
    .symbol:         _ZN2at6native6sbtopk10gatherTopKIamLi2ELb0EEEvNS_4cuda6detail10TensorInfoIKT_T0_EES8_S8_bS8_S8_NS5_IS6_S8_EES8_NS5_IlS8_EES8_PS6_.kd
    .uniform_work_group_size: 1
    .uses_dynamic_stack: false
    .vgpr_count:     43
    .vgpr_spill_count: 0
    .wavefront_size: 64
  - .agpr_count:     0
    .args:
      - .offset:         0
        .size:           416
        .value_kind:     by_value
      - .offset:         416
        .size:           4
        .value_kind:     by_value
      - .address_space:  global
        .offset:         424
        .size:           8
        .value_kind:     global_buffer
      - .offset:         432
        .size:           4
        .value_kind:     by_value
      - .offset:         440
        .size:           8
        .value_kind:     by_value
      - .offset:         448
        .size:           4
        .value_kind:     by_value
      - .offset:         452
        .size:           4
        .value_kind:     by_value
      - .offset:         456
        .size:           4
        .value_kind:     by_value
      - .offset:         460
        .size:           4
        .value_kind:     by_value
      - .address_space:  global
        .offset:         464
        .size:           8
        .value_kind:     global_buffer
      - .address_space:  global
        .offset:         472
        .size:           8
        .value_kind:     global_buffer
      - .offset:         480
        .size:           4
        .value_kind:     hidden_block_count_x
      - .offset:         484
        .size:           4
        .value_kind:     hidden_block_count_y
      - .offset:         488
        .size:           4
        .value_kind:     hidden_block_count_z
      - .offset:         492
        .size:           2
        .value_kind:     hidden_group_size_x
      - .offset:         494
        .size:           2
        .value_kind:     hidden_group_size_y
      - .offset:         496
        .size:           2
        .value_kind:     hidden_group_size_z
      - .offset:         498
        .size:           2
        .value_kind:     hidden_remainder_x
      - .offset:         500
        .size:           2
        .value_kind:     hidden_remainder_y
      - .offset:         502
        .size:           2
        .value_kind:     hidden_remainder_z
      - .offset:         520
        .size:           8
        .value_kind:     hidden_global_offset_x
      - .offset:         528
        .size:           8
        .value_kind:     hidden_global_offset_y
      - .offset:         536
        .size:           8
        .value_kind:     hidden_global_offset_z
      - .offset:         544
        .size:           2
        .value_kind:     hidden_grid_dims
    .group_segment_fixed_size: 1024
    .kernarg_segment_align: 8
    .kernarg_segment_size: 736
    .language:       OpenCL C
    .language_version:
      - 2
      - 0
    .max_flat_workgroup_size: 256
    .name:           _ZN2at6native6mbtopk23computeBlockDigitCountsIamjLi3EEEvNS_4cuda6detail10TensorInfoIKT_T0_EEjPjjS8_iijT1_PSB_Ps
    .private_segment_fixed_size: 0
    .sgpr_count:     34
    .sgpr_spill_count: 0
    .symbol:         _ZN2at6native6mbtopk23computeBlockDigitCountsIamjLi3EEEvNS_4cuda6detail10TensorInfoIKT_T0_EEjPjjS8_iijT1_PSB_Ps.kd
    .uniform_work_group_size: 1
    .uses_dynamic_stack: false
    .vgpr_count:     10
    .vgpr_spill_count: 0
    .wavefront_size: 64
  - .agpr_count:     0
    .args:
      - .offset:         0
        .size:           416
        .value_kind:     by_value
      - .offset:         416
        .size:           8
        .value_kind:     by_value
      - .offset:         424
        .size:           8
        .value_kind:     by_value
      - .offset:         432
        .size:           1
        .value_kind:     by_value
      - .offset:         436
        .size:           4
        .value_kind:     by_value
      - .offset:         440
        .size:           8
        .value_kind:     by_value
      - .offset:         448
        .size:           416
        .value_kind:     by_value
      - .offset:         864
        .size:           8
        .value_kind:     by_value
      - .offset:         872
        .size:           416
        .value_kind:     by_value
      - .offset:         1288
        .size:           8
        .value_kind:     by_value
      - .offset:         1296
        .size:           4
        .value_kind:     by_value
      - .offset:         1300
        .size:           4
        .value_kind:     by_value
      - .address_space:  global
        .offset:         1304
        .size:           8
        .value_kind:     global_buffer
      - .address_space:  global
        .offset:         1312
        .size:           8
        .value_kind:     global_buffer
      - .address_space:  global
        .offset:         1320
        .size:           8
        .value_kind:     global_buffer
      - .offset:         1328
        .size:           4
        .value_kind:     by_value
      - .offset:         1336
        .size:           4
        .value_kind:     hidden_block_count_x
      - .offset:         1340
        .size:           4
        .value_kind:     hidden_block_count_y
      - .offset:         1344
        .size:           4
        .value_kind:     hidden_block_count_z
      - .offset:         1348
        .size:           2
        .value_kind:     hidden_group_size_x
      - .offset:         1350
        .size:           2
        .value_kind:     hidden_group_size_y
      - .offset:         1352
        .size:           2
        .value_kind:     hidden_group_size_z
      - .offset:         1354
        .size:           2
        .value_kind:     hidden_remainder_x
      - .offset:         1356
        .size:           2
        .value_kind:     hidden_remainder_y
      - .offset:         1358
        .size:           2
        .value_kind:     hidden_remainder_z
      - .offset:         1376
        .size:           8
        .value_kind:     hidden_global_offset_x
      - .offset:         1384
        .size:           8
        .value_kind:     hidden_global_offset_y
      - .offset:         1392
        .size:           8
        .value_kind:     hidden_global_offset_z
      - .offset:         1400
        .size:           2
        .value_kind:     hidden_grid_dims
    .group_segment_fixed_size: 1068
    .kernarg_segment_align: 8
    .kernarg_segment_size: 1592
    .language:       OpenCL C
    .language_version:
      - 2
      - 0
    .max_flat_workgroup_size: 256
    .name:           _ZN2at6native6mbtopk10gatherTopKIamLi3EEEvNS_4cuda6detail10TensorInfoIKT_T0_EES8_S8_bjS8_NS5_IS6_S8_EES8_NS5_IlS8_EES8_jjPS6_PjSD_j
    .private_segment_fixed_size: 0
    .sgpr_count:     81
    .sgpr_spill_count: 0
    .symbol:         _ZN2at6native6mbtopk10gatherTopKIamLi3EEEvNS_4cuda6detail10TensorInfoIKT_T0_EES8_S8_bjS8_NS5_IS6_S8_EES8_NS5_IlS8_EES8_jjPS6_PjSD_j.kd
    .uniform_work_group_size: 1
    .uses_dynamic_stack: false
    .vgpr_count:     24
    .vgpr_spill_count: 0
    .wavefront_size: 64
  - .agpr_count:     0
    .args:
      - .offset:         0
        .size:           416
        .value_kind:     by_value
      - .offset:         416
        .size:           8
        .value_kind:     by_value
      - .offset:         424
        .size:           8
        .value_kind:     by_value
      - .offset:         432
        .size:           1
        .value_kind:     by_value
      - .offset:         440
        .size:           8
        .value_kind:     by_value
      - .offset:         448
        .size:           8
        .value_kind:     by_value
      - .offset:         456
        .size:           416
        .value_kind:     by_value
      - .offset:         872
        .size:           8
        .value_kind:     by_value
      - .offset:         880
        .size:           416
        .value_kind:     by_value
      - .offset:         1296
        .size:           8
        .value_kind:     by_value
      - .address_space:  global
        .offset:         1304
        .size:           8
        .value_kind:     global_buffer
      - .offset:         1312
        .size:           4
        .value_kind:     hidden_block_count_x
      - .offset:         1316
        .size:           4
        .value_kind:     hidden_block_count_y
      - .offset:         1320
        .size:           4
        .value_kind:     hidden_block_count_z
      - .offset:         1324
        .size:           2
        .value_kind:     hidden_group_size_x
      - .offset:         1326
        .size:           2
        .value_kind:     hidden_group_size_y
      - .offset:         1328
        .size:           2
        .value_kind:     hidden_group_size_z
      - .offset:         1330
        .size:           2
        .value_kind:     hidden_remainder_x
      - .offset:         1332
        .size:           2
        .value_kind:     hidden_remainder_y
      - .offset:         1334
        .size:           2
        .value_kind:     hidden_remainder_z
      - .offset:         1352
        .size:           8
        .value_kind:     hidden_global_offset_x
      - .offset:         1360
        .size:           8
        .value_kind:     hidden_global_offset_y
      - .offset:         1368
        .size:           8
        .value_kind:     hidden_global_offset_z
      - .offset:         1376
        .size:           2
        .value_kind:     hidden_grid_dims
    .group_segment_fixed_size: 5152
    .kernarg_segment_align: 8
    .kernarg_segment_size: 1568
    .language:       OpenCL C
    .language_version:
      - 2
      - 0
    .max_flat_workgroup_size: 1024
    .name:           _ZN2at6native6sbtopk10gatherTopKIamLi3ELb0EEEvNS_4cuda6detail10TensorInfoIKT_T0_EES8_S8_bS8_S8_NS5_IS6_S8_EES8_NS5_IlS8_EES8_PS6_
    .private_segment_fixed_size: 0
    .sgpr_count:     100
    .sgpr_spill_count: 78
    .symbol:         _ZN2at6native6sbtopk10gatherTopKIamLi3ELb0EEEvNS_4cuda6detail10TensorInfoIKT_T0_EES8_S8_bS8_S8_NS5_IS6_S8_EES8_NS5_IlS8_EES8_PS6_.kd
    .uniform_work_group_size: 1
    .uses_dynamic_stack: false
    .vgpr_count:     44
    .vgpr_spill_count: 0
    .wavefront_size: 64
  - .agpr_count:     0
    .args:
      - .offset:         0
        .size:           416
        .value_kind:     by_value
      - .offset:         416
        .size:           4
        .value_kind:     by_value
      - .address_space:  global
        .offset:         424
        .size:           8
        .value_kind:     global_buffer
      - .offset:         432
        .size:           4
        .value_kind:     by_value
      - .offset:         440
        .size:           8
        .value_kind:     by_value
      - .offset:         448
        .size:           4
        .value_kind:     by_value
      - .offset:         452
        .size:           4
        .value_kind:     by_value
      - .offset:         456
        .size:           4
        .value_kind:     by_value
      - .offset:         460
        .size:           4
        .value_kind:     by_value
      - .address_space:  global
        .offset:         464
        .size:           8
        .value_kind:     global_buffer
      - .address_space:  global
        .offset:         472
        .size:           8
        .value_kind:     global_buffer
      - .offset:         480
        .size:           4
        .value_kind:     hidden_block_count_x
      - .offset:         484
        .size:           4
        .value_kind:     hidden_block_count_y
      - .offset:         488
        .size:           4
        .value_kind:     hidden_block_count_z
      - .offset:         492
        .size:           2
        .value_kind:     hidden_group_size_x
      - .offset:         494
        .size:           2
        .value_kind:     hidden_group_size_y
      - .offset:         496
        .size:           2
        .value_kind:     hidden_group_size_z
      - .offset:         498
        .size:           2
        .value_kind:     hidden_remainder_x
      - .offset:         500
        .size:           2
        .value_kind:     hidden_remainder_y
      - .offset:         502
        .size:           2
        .value_kind:     hidden_remainder_z
      - .offset:         520
        .size:           8
        .value_kind:     hidden_global_offset_x
      - .offset:         528
        .size:           8
        .value_kind:     hidden_global_offset_y
      - .offset:         536
        .size:           8
        .value_kind:     hidden_global_offset_z
      - .offset:         544
        .size:           2
        .value_kind:     hidden_grid_dims
    .group_segment_fixed_size: 1024
    .kernarg_segment_align: 8
    .kernarg_segment_size: 736
    .language:       OpenCL C
    .language_version:
      - 2
      - 0
    .max_flat_workgroup_size: 256
    .name:           _ZN2at6native6mbtopk23computeBlockDigitCountsIamjLin1EEEvNS_4cuda6detail10TensorInfoIKT_T0_EEjPjjS8_iijT1_PSB_Ps
    .private_segment_fixed_size: 0
    .sgpr_count:     35
    .sgpr_spill_count: 0
    .symbol:         _ZN2at6native6mbtopk23computeBlockDigitCountsIamjLin1EEEvNS_4cuda6detail10TensorInfoIKT_T0_EEjPjjS8_iijT1_PSB_Ps.kd
    .uniform_work_group_size: 1
    .uses_dynamic_stack: false
    .vgpr_count:     10
    .vgpr_spill_count: 0
    .wavefront_size: 64
  - .agpr_count:     0
    .args:
      - .offset:         0
        .size:           416
        .value_kind:     by_value
      - .offset:         416
        .size:           8
        .value_kind:     by_value
      - .offset:         424
        .size:           8
        .value_kind:     by_value
      - .offset:         432
        .size:           1
        .value_kind:     by_value
      - .offset:         436
        .size:           4
        .value_kind:     by_value
      - .offset:         440
        .size:           8
        .value_kind:     by_value
      - .offset:         448
        .size:           416
        .value_kind:     by_value
      - .offset:         864
        .size:           8
        .value_kind:     by_value
      - .offset:         872
        .size:           416
        .value_kind:     by_value
      - .offset:         1288
        .size:           8
        .value_kind:     by_value
      - .offset:         1296
        .size:           4
        .value_kind:     by_value
      - .offset:         1300
        .size:           4
        .value_kind:     by_value
      - .address_space:  global
        .offset:         1304
        .size:           8
        .value_kind:     global_buffer
      - .address_space:  global
        .offset:         1312
        .size:           8
        .value_kind:     global_buffer
      - .address_space:  global
        .offset:         1320
        .size:           8
        .value_kind:     global_buffer
      - .offset:         1328
        .size:           4
        .value_kind:     by_value
      - .offset:         1336
        .size:           4
        .value_kind:     hidden_block_count_x
      - .offset:         1340
        .size:           4
        .value_kind:     hidden_block_count_y
      - .offset:         1344
        .size:           4
        .value_kind:     hidden_block_count_z
      - .offset:         1348
        .size:           2
        .value_kind:     hidden_group_size_x
      - .offset:         1350
        .size:           2
        .value_kind:     hidden_group_size_y
      - .offset:         1352
        .size:           2
        .value_kind:     hidden_group_size_z
      - .offset:         1354
        .size:           2
        .value_kind:     hidden_remainder_x
      - .offset:         1356
        .size:           2
        .value_kind:     hidden_remainder_y
      - .offset:         1358
        .size:           2
        .value_kind:     hidden_remainder_z
      - .offset:         1376
        .size:           8
        .value_kind:     hidden_global_offset_x
      - .offset:         1384
        .size:           8
        .value_kind:     hidden_global_offset_y
      - .offset:         1392
        .size:           8
        .value_kind:     hidden_global_offset_z
      - .offset:         1400
        .size:           2
        .value_kind:     hidden_grid_dims
    .group_segment_fixed_size: 1068
    .kernarg_segment_align: 8
    .kernarg_segment_size: 1592
    .language:       OpenCL C
    .language_version:
      - 2
      - 0
    .max_flat_workgroup_size: 256
    .name:           _ZN2at6native6mbtopk10gatherTopKIamLin1EEEvNS_4cuda6detail10TensorInfoIKT_T0_EES8_S8_bjS8_NS5_IS6_S8_EES8_NS5_IlS8_EES8_jjPS6_PjSD_j
    .private_segment_fixed_size: 0
    .sgpr_count:     63
    .sgpr_spill_count: 0
    .symbol:         _ZN2at6native6mbtopk10gatherTopKIamLin1EEEvNS_4cuda6detail10TensorInfoIKT_T0_EES8_S8_bjS8_NS5_IS6_S8_EES8_NS5_IlS8_EES8_jjPS6_PjSD_j.kd
    .uniform_work_group_size: 1
    .uses_dynamic_stack: false
    .vgpr_count:     24
    .vgpr_spill_count: 0
    .wavefront_size: 64
  - .agpr_count:     0
    .args:
      - .offset:         0
        .size:           416
        .value_kind:     by_value
      - .offset:         416
        .size:           8
        .value_kind:     by_value
      - .offset:         424
        .size:           8
        .value_kind:     by_value
      - .offset:         432
        .size:           1
        .value_kind:     by_value
      - .offset:         440
        .size:           8
        .value_kind:     by_value
      - .offset:         448
        .size:           8
        .value_kind:     by_value
      - .offset:         456
        .size:           416
        .value_kind:     by_value
      - .offset:         872
        .size:           8
        .value_kind:     by_value
      - .offset:         880
        .size:           416
        .value_kind:     by_value
      - .offset:         1296
        .size:           8
        .value_kind:     by_value
      - .address_space:  global
        .offset:         1304
        .size:           8
        .value_kind:     global_buffer
      - .offset:         1312
        .size:           4
        .value_kind:     hidden_block_count_x
      - .offset:         1316
        .size:           4
        .value_kind:     hidden_block_count_y
      - .offset:         1320
        .size:           4
        .value_kind:     hidden_block_count_z
      - .offset:         1324
        .size:           2
        .value_kind:     hidden_group_size_x
      - .offset:         1326
        .size:           2
        .value_kind:     hidden_group_size_y
      - .offset:         1328
        .size:           2
        .value_kind:     hidden_group_size_z
      - .offset:         1330
        .size:           2
        .value_kind:     hidden_remainder_x
      - .offset:         1332
        .size:           2
        .value_kind:     hidden_remainder_y
      - .offset:         1334
        .size:           2
        .value_kind:     hidden_remainder_z
      - .offset:         1352
        .size:           8
        .value_kind:     hidden_global_offset_x
      - .offset:         1360
        .size:           8
        .value_kind:     hidden_global_offset_y
      - .offset:         1368
        .size:           8
        .value_kind:     hidden_global_offset_z
      - .offset:         1376
        .size:           2
        .value_kind:     hidden_grid_dims
    .group_segment_fixed_size: 5152
    .kernarg_segment_align: 8
    .kernarg_segment_size: 1568
    .language:       OpenCL C
    .language_version:
      - 2
      - 0
    .max_flat_workgroup_size: 1024
    .name:           _ZN2at6native6sbtopk10gatherTopKIamLin1ELb0EEEvNS_4cuda6detail10TensorInfoIKT_T0_EES8_S8_bS8_S8_NS5_IS6_S8_EES8_NS5_IlS8_EES8_PS6_
    .private_segment_fixed_size: 0
    .sgpr_count:     100
    .sgpr_spill_count: 81
    .symbol:         _ZN2at6native6sbtopk10gatherTopKIamLin1ELb0EEEvNS_4cuda6detail10TensorInfoIKT_T0_EES8_S8_bS8_S8_NS5_IS6_S8_EES8_NS5_IlS8_EES8_PS6_.kd
    .uniform_work_group_size: 1
    .uses_dynamic_stack: false
    .vgpr_count:     53
    .vgpr_spill_count: 0
    .wavefront_size: 64
  - .agpr_count:     0
    .args:
      - .offset:         0
        .size:           416
        .value_kind:     by_value
      - .offset:         416
        .size:           4
        .value_kind:     by_value
      - .address_space:  global
        .offset:         424
        .size:           8
        .value_kind:     global_buffer
      - .offset:         432
        .size:           4
        .value_kind:     by_value
      - .offset:         440
        .size:           8
        .value_kind:     by_value
      - .offset:         448
        .size:           4
        .value_kind:     by_value
      - .offset:         452
        .size:           4
        .value_kind:     by_value
      - .offset:         456
        .size:           4
        .value_kind:     by_value
      - .offset:         460
        .size:           4
        .value_kind:     by_value
      - .address_space:  global
        .offset:         464
        .size:           8
        .value_kind:     global_buffer
      - .address_space:  global
        .offset:         472
        .size:           8
        .value_kind:     global_buffer
      - .offset:         480
        .size:           4
        .value_kind:     hidden_block_count_x
      - .offset:         484
        .size:           4
        .value_kind:     hidden_block_count_y
      - .offset:         488
        .size:           4
        .value_kind:     hidden_block_count_z
      - .offset:         492
        .size:           2
        .value_kind:     hidden_group_size_x
      - .offset:         494
        .size:           2
        .value_kind:     hidden_group_size_y
      - .offset:         496
        .size:           2
        .value_kind:     hidden_group_size_z
      - .offset:         498
        .size:           2
        .value_kind:     hidden_remainder_x
      - .offset:         500
        .size:           2
        .value_kind:     hidden_remainder_y
      - .offset:         502
        .size:           2
        .value_kind:     hidden_remainder_z
      - .offset:         520
        .size:           8
        .value_kind:     hidden_global_offset_x
      - .offset:         528
        .size:           8
        .value_kind:     hidden_global_offset_y
      - .offset:         536
        .size:           8
        .value_kind:     hidden_global_offset_z
      - .offset:         544
        .size:           2
        .value_kind:     hidden_grid_dims
    .group_segment_fixed_size: 1024
    .kernarg_segment_align: 8
    .kernarg_segment_size: 736
    .language:       OpenCL C
    .language_version:
      - 2
      - 0
    .max_flat_workgroup_size: 256
    .name:           _ZN2at6native6mbtopk23computeBlockDigitCountsIimjLi1EEEvNS_4cuda6detail10TensorInfoIKT_T0_EEjPjjS8_iijT1_PSB_Ps
    .private_segment_fixed_size: 0
    .sgpr_count:     28
    .sgpr_spill_count: 0
    .symbol:         _ZN2at6native6mbtopk23computeBlockDigitCountsIimjLi1EEEvNS_4cuda6detail10TensorInfoIKT_T0_EEjPjjS8_iijT1_PSB_Ps.kd
    .uniform_work_group_size: 1
    .uses_dynamic_stack: false
    .vgpr_count:     10
    .vgpr_spill_count: 0
    .wavefront_size: 64
  - .agpr_count:     0
    .args:
      - .offset:         0
        .size:           416
        .value_kind:     by_value
      - .offset:         416
        .size:           8
        .value_kind:     by_value
      - .offset:         424
        .size:           8
        .value_kind:     by_value
      - .offset:         432
        .size:           1
        .value_kind:     by_value
      - .offset:         436
        .size:           4
        .value_kind:     by_value
      - .offset:         440
        .size:           8
        .value_kind:     by_value
      - .offset:         448
        .size:           416
        .value_kind:     by_value
      - .offset:         864
        .size:           8
        .value_kind:     by_value
      - .offset:         872
        .size:           416
        .value_kind:     by_value
      - .offset:         1288
        .size:           8
        .value_kind:     by_value
      - .offset:         1296
        .size:           4
        .value_kind:     by_value
      - .offset:         1300
        .size:           4
        .value_kind:     by_value
      - .address_space:  global
        .offset:         1304
        .size:           8
        .value_kind:     global_buffer
      - .address_space:  global
        .offset:         1312
        .size:           8
        .value_kind:     global_buffer
      - .address_space:  global
        .offset:         1320
        .size:           8
        .value_kind:     global_buffer
      - .offset:         1328
        .size:           4
        .value_kind:     by_value
      - .offset:         1336
        .size:           4
        .value_kind:     hidden_block_count_x
      - .offset:         1340
        .size:           4
        .value_kind:     hidden_block_count_y
      - .offset:         1344
        .size:           4
        .value_kind:     hidden_block_count_z
      - .offset:         1348
        .size:           2
        .value_kind:     hidden_group_size_x
      - .offset:         1350
        .size:           2
        .value_kind:     hidden_group_size_y
      - .offset:         1352
        .size:           2
        .value_kind:     hidden_group_size_z
      - .offset:         1354
        .size:           2
        .value_kind:     hidden_remainder_x
      - .offset:         1356
        .size:           2
        .value_kind:     hidden_remainder_y
      - .offset:         1358
        .size:           2
        .value_kind:     hidden_remainder_z
      - .offset:         1376
        .size:           8
        .value_kind:     hidden_global_offset_x
      - .offset:         1384
        .size:           8
        .value_kind:     hidden_global_offset_y
      - .offset:         1392
        .size:           8
        .value_kind:     hidden_global_offset_z
      - .offset:         1400
        .size:           2
        .value_kind:     hidden_grid_dims
    .group_segment_fixed_size: 1068
    .kernarg_segment_align: 8
    .kernarg_segment_size: 1592
    .language:       OpenCL C
    .language_version:
      - 2
      - 0
    .max_flat_workgroup_size: 256
    .name:           _ZN2at6native6mbtopk10gatherTopKIimLi1EEEvNS_4cuda6detail10TensorInfoIKT_T0_EES8_S8_bjS8_NS5_IS6_S8_EES8_NS5_IlS8_EES8_jjPS6_PjSD_j
    .private_segment_fixed_size: 0
    .sgpr_count:     49
    .sgpr_spill_count: 0
    .symbol:         _ZN2at6native6mbtopk10gatherTopKIimLi1EEEvNS_4cuda6detail10TensorInfoIKT_T0_EES8_S8_bjS8_NS5_IS6_S8_EES8_NS5_IlS8_EES8_jjPS6_PjSD_j.kd
    .uniform_work_group_size: 1
    .uses_dynamic_stack: false
    .vgpr_count:     22
    .vgpr_spill_count: 0
    .wavefront_size: 64
  - .agpr_count:     0
    .args:
      - .offset:         0
        .size:           416
        .value_kind:     by_value
      - .offset:         416
        .size:           8
        .value_kind:     by_value
      - .offset:         424
        .size:           8
        .value_kind:     by_value
      - .offset:         432
        .size:           1
        .value_kind:     by_value
      - .offset:         440
        .size:           8
        .value_kind:     by_value
      - .offset:         448
        .size:           8
        .value_kind:     by_value
      - .offset:         456
        .size:           416
        .value_kind:     by_value
      - .offset:         872
        .size:           8
        .value_kind:     by_value
      - .offset:         880
        .size:           416
        .value_kind:     by_value
      - .offset:         1296
        .size:           8
        .value_kind:     by_value
      - .address_space:  global
        .offset:         1304
        .size:           8
        .value_kind:     global_buffer
      - .offset:         1312
        .size:           4
        .value_kind:     hidden_block_count_x
      - .offset:         1316
        .size:           4
        .value_kind:     hidden_block_count_y
      - .offset:         1320
        .size:           4
        .value_kind:     hidden_block_count_z
      - .offset:         1324
        .size:           2
        .value_kind:     hidden_group_size_x
      - .offset:         1326
        .size:           2
        .value_kind:     hidden_group_size_y
      - .offset:         1328
        .size:           2
        .value_kind:     hidden_group_size_z
      - .offset:         1330
        .size:           2
        .value_kind:     hidden_remainder_x
      - .offset:         1332
        .size:           2
        .value_kind:     hidden_remainder_y
      - .offset:         1334
        .size:           2
        .value_kind:     hidden_remainder_z
      - .offset:         1352
        .size:           8
        .value_kind:     hidden_global_offset_x
      - .offset:         1360
        .size:           8
        .value_kind:     hidden_global_offset_y
      - .offset:         1368
        .size:           8
        .value_kind:     hidden_global_offset_z
      - .offset:         1376
        .size:           2
        .value_kind:     hidden_grid_dims
    .group_segment_fixed_size: 5152
    .kernarg_segment_align: 8
    .kernarg_segment_size: 1568
    .language:       OpenCL C
    .language_version:
      - 2
      - 0
    .max_flat_workgroup_size: 1024
    .name:           _ZN2at6native6sbtopk10gatherTopKIimLi1ELb0EEEvNS_4cuda6detail10TensorInfoIKT_T0_EES8_S8_bS8_S8_NS5_IS6_S8_EES8_NS5_IlS8_EES8_PS6_
    .private_segment_fixed_size: 0
    .sgpr_count:     100
    .sgpr_spill_count: 74
    .symbol:         _ZN2at6native6sbtopk10gatherTopKIimLi1ELb0EEEvNS_4cuda6detail10TensorInfoIKT_T0_EES8_S8_bS8_S8_NS5_IS6_S8_EES8_NS5_IlS8_EES8_PS6_.kd
    .uniform_work_group_size: 1
    .uses_dynamic_stack: false
    .vgpr_count:     55
    .vgpr_spill_count: 0
    .wavefront_size: 64
  - .agpr_count:     0
    .args:
      - .offset:         0
        .size:           416
        .value_kind:     by_value
      - .offset:         416
        .size:           4
        .value_kind:     by_value
      - .address_space:  global
        .offset:         424
        .size:           8
        .value_kind:     global_buffer
      - .offset:         432
        .size:           4
        .value_kind:     by_value
      - .offset:         440
        .size:           8
        .value_kind:     by_value
      - .offset:         448
        .size:           4
        .value_kind:     by_value
      - .offset:         452
        .size:           4
        .value_kind:     by_value
      - .offset:         456
        .size:           4
        .value_kind:     by_value
      - .offset:         460
        .size:           4
        .value_kind:     by_value
      - .address_space:  global
        .offset:         464
        .size:           8
        .value_kind:     global_buffer
      - .address_space:  global
        .offset:         472
        .size:           8
        .value_kind:     global_buffer
      - .offset:         480
        .size:           4
        .value_kind:     hidden_block_count_x
      - .offset:         484
        .size:           4
        .value_kind:     hidden_block_count_y
      - .offset:         488
        .size:           4
        .value_kind:     hidden_block_count_z
      - .offset:         492
        .size:           2
        .value_kind:     hidden_group_size_x
      - .offset:         494
        .size:           2
        .value_kind:     hidden_group_size_y
      - .offset:         496
        .size:           2
        .value_kind:     hidden_group_size_z
      - .offset:         498
        .size:           2
        .value_kind:     hidden_remainder_x
      - .offset:         500
        .size:           2
        .value_kind:     hidden_remainder_y
      - .offset:         502
        .size:           2
        .value_kind:     hidden_remainder_z
      - .offset:         520
        .size:           8
        .value_kind:     hidden_global_offset_x
      - .offset:         528
        .size:           8
        .value_kind:     hidden_global_offset_y
      - .offset:         536
        .size:           8
        .value_kind:     hidden_global_offset_z
      - .offset:         544
        .size:           2
        .value_kind:     hidden_grid_dims
    .group_segment_fixed_size: 1024
    .kernarg_segment_align: 8
    .kernarg_segment_size: 736
    .language:       OpenCL C
    .language_version:
      - 2
      - 0
    .max_flat_workgroup_size: 256
    .name:           _ZN2at6native6mbtopk23computeBlockDigitCountsIimjLi2EEEvNS_4cuda6detail10TensorInfoIKT_T0_EEjPjjS8_iijT1_PSB_Ps
    .private_segment_fixed_size: 0
    .sgpr_count:     30
    .sgpr_spill_count: 0
    .symbol:         _ZN2at6native6mbtopk23computeBlockDigitCountsIimjLi2EEEvNS_4cuda6detail10TensorInfoIKT_T0_EEjPjjS8_iijT1_PSB_Ps.kd
    .uniform_work_group_size: 1
    .uses_dynamic_stack: false
    .vgpr_count:     10
    .vgpr_spill_count: 0
    .wavefront_size: 64
  - .agpr_count:     0
    .args:
      - .offset:         0
        .size:           416
        .value_kind:     by_value
      - .offset:         416
        .size:           8
        .value_kind:     by_value
      - .offset:         424
        .size:           8
        .value_kind:     by_value
      - .offset:         432
        .size:           1
        .value_kind:     by_value
      - .offset:         436
        .size:           4
        .value_kind:     by_value
      - .offset:         440
        .size:           8
        .value_kind:     by_value
      - .offset:         448
        .size:           416
        .value_kind:     by_value
      - .offset:         864
        .size:           8
        .value_kind:     by_value
      - .offset:         872
        .size:           416
        .value_kind:     by_value
      - .offset:         1288
        .size:           8
        .value_kind:     by_value
      - .offset:         1296
        .size:           4
        .value_kind:     by_value
      - .offset:         1300
        .size:           4
        .value_kind:     by_value
      - .address_space:  global
        .offset:         1304
        .size:           8
        .value_kind:     global_buffer
      - .address_space:  global
        .offset:         1312
        .size:           8
        .value_kind:     global_buffer
      - .address_space:  global
        .offset:         1320
        .size:           8
        .value_kind:     global_buffer
      - .offset:         1328
        .size:           4
        .value_kind:     by_value
      - .offset:         1336
        .size:           4
        .value_kind:     hidden_block_count_x
      - .offset:         1340
        .size:           4
        .value_kind:     hidden_block_count_y
      - .offset:         1344
        .size:           4
        .value_kind:     hidden_block_count_z
      - .offset:         1348
        .size:           2
        .value_kind:     hidden_group_size_x
      - .offset:         1350
        .size:           2
        .value_kind:     hidden_group_size_y
      - .offset:         1352
        .size:           2
        .value_kind:     hidden_group_size_z
      - .offset:         1354
        .size:           2
        .value_kind:     hidden_remainder_x
      - .offset:         1356
        .size:           2
        .value_kind:     hidden_remainder_y
      - .offset:         1358
        .size:           2
        .value_kind:     hidden_remainder_z
      - .offset:         1376
        .size:           8
        .value_kind:     hidden_global_offset_x
      - .offset:         1384
        .size:           8
        .value_kind:     hidden_global_offset_y
      - .offset:         1392
        .size:           8
        .value_kind:     hidden_global_offset_z
      - .offset:         1400
        .size:           2
        .value_kind:     hidden_grid_dims
    .group_segment_fixed_size: 1068
    .kernarg_segment_align: 8
    .kernarg_segment_size: 1592
    .language:       OpenCL C
    .language_version:
      - 2
      - 0
    .max_flat_workgroup_size: 256
    .name:           _ZN2at6native6mbtopk10gatherTopKIimLi2EEEvNS_4cuda6detail10TensorInfoIKT_T0_EES8_S8_bjS8_NS5_IS6_S8_EES8_NS5_IlS8_EES8_jjPS6_PjSD_j
    .private_segment_fixed_size: 0
    .sgpr_count:     55
    .sgpr_spill_count: 0
    .symbol:         _ZN2at6native6mbtopk10gatherTopKIimLi2EEEvNS_4cuda6detail10TensorInfoIKT_T0_EES8_S8_bjS8_NS5_IS6_S8_EES8_NS5_IlS8_EES8_jjPS6_PjSD_j.kd
    .uniform_work_group_size: 1
    .uses_dynamic_stack: false
    .vgpr_count:     22
    .vgpr_spill_count: 0
    .wavefront_size: 64
  - .agpr_count:     0
    .args:
      - .offset:         0
        .size:           416
        .value_kind:     by_value
      - .offset:         416
        .size:           8
        .value_kind:     by_value
      - .offset:         424
        .size:           8
        .value_kind:     by_value
      - .offset:         432
        .size:           1
        .value_kind:     by_value
      - .offset:         440
        .size:           8
        .value_kind:     by_value
      - .offset:         448
        .size:           8
        .value_kind:     by_value
      - .offset:         456
        .size:           416
        .value_kind:     by_value
      - .offset:         872
        .size:           8
        .value_kind:     by_value
      - .offset:         880
        .size:           416
        .value_kind:     by_value
      - .offset:         1296
        .size:           8
        .value_kind:     by_value
      - .address_space:  global
        .offset:         1304
        .size:           8
        .value_kind:     global_buffer
      - .offset:         1312
        .size:           4
        .value_kind:     hidden_block_count_x
      - .offset:         1316
        .size:           4
        .value_kind:     hidden_block_count_y
      - .offset:         1320
        .size:           4
        .value_kind:     hidden_block_count_z
      - .offset:         1324
        .size:           2
        .value_kind:     hidden_group_size_x
      - .offset:         1326
        .size:           2
        .value_kind:     hidden_group_size_y
      - .offset:         1328
        .size:           2
        .value_kind:     hidden_group_size_z
      - .offset:         1330
        .size:           2
        .value_kind:     hidden_remainder_x
      - .offset:         1332
        .size:           2
        .value_kind:     hidden_remainder_y
      - .offset:         1334
        .size:           2
        .value_kind:     hidden_remainder_z
      - .offset:         1352
        .size:           8
        .value_kind:     hidden_global_offset_x
      - .offset:         1360
        .size:           8
        .value_kind:     hidden_global_offset_y
      - .offset:         1368
        .size:           8
        .value_kind:     hidden_global_offset_z
      - .offset:         1376
        .size:           2
        .value_kind:     hidden_grid_dims
    .group_segment_fixed_size: 5152
    .kernarg_segment_align: 8
    .kernarg_segment_size: 1568
    .language:       OpenCL C
    .language_version:
      - 2
      - 0
    .max_flat_workgroup_size: 1024
    .name:           _ZN2at6native6sbtopk10gatherTopKIimLi2ELb0EEEvNS_4cuda6detail10TensorInfoIKT_T0_EES8_S8_bS8_S8_NS5_IS6_S8_EES8_NS5_IlS8_EES8_PS6_
    .private_segment_fixed_size: 0
    .sgpr_count:     100
    .sgpr_spill_count: 66
    .symbol:         _ZN2at6native6sbtopk10gatherTopKIimLi2ELb0EEEvNS_4cuda6detail10TensorInfoIKT_T0_EES8_S8_bS8_S8_NS5_IS6_S8_EES8_NS5_IlS8_EES8_PS6_.kd
    .uniform_work_group_size: 1
    .uses_dynamic_stack: false
    .vgpr_count:     47
    .vgpr_spill_count: 0
    .wavefront_size: 64
  - .agpr_count:     0
    .args:
      - .offset:         0
        .size:           416
        .value_kind:     by_value
      - .offset:         416
        .size:           4
        .value_kind:     by_value
      - .address_space:  global
        .offset:         424
        .size:           8
        .value_kind:     global_buffer
      - .offset:         432
        .size:           4
        .value_kind:     by_value
      - .offset:         440
        .size:           8
        .value_kind:     by_value
      - .offset:         448
        .size:           4
        .value_kind:     by_value
      - .offset:         452
        .size:           4
        .value_kind:     by_value
      - .offset:         456
        .size:           4
        .value_kind:     by_value
      - .offset:         460
        .size:           4
        .value_kind:     by_value
      - .address_space:  global
        .offset:         464
        .size:           8
        .value_kind:     global_buffer
      - .address_space:  global
        .offset:         472
        .size:           8
        .value_kind:     global_buffer
      - .offset:         480
        .size:           4
        .value_kind:     hidden_block_count_x
      - .offset:         484
        .size:           4
        .value_kind:     hidden_block_count_y
      - .offset:         488
        .size:           4
        .value_kind:     hidden_block_count_z
      - .offset:         492
        .size:           2
        .value_kind:     hidden_group_size_x
      - .offset:         494
        .size:           2
        .value_kind:     hidden_group_size_y
      - .offset:         496
        .size:           2
        .value_kind:     hidden_group_size_z
      - .offset:         498
        .size:           2
        .value_kind:     hidden_remainder_x
      - .offset:         500
        .size:           2
        .value_kind:     hidden_remainder_y
      - .offset:         502
        .size:           2
        .value_kind:     hidden_remainder_z
      - .offset:         520
        .size:           8
        .value_kind:     hidden_global_offset_x
      - .offset:         528
        .size:           8
        .value_kind:     hidden_global_offset_y
      - .offset:         536
        .size:           8
        .value_kind:     hidden_global_offset_z
      - .offset:         544
        .size:           2
        .value_kind:     hidden_grid_dims
    .group_segment_fixed_size: 1024
    .kernarg_segment_align: 8
    .kernarg_segment_size: 736
    .language:       OpenCL C
    .language_version:
      - 2
      - 0
    .max_flat_workgroup_size: 256
    .name:           _ZN2at6native6mbtopk23computeBlockDigitCountsIimjLi3EEEvNS_4cuda6detail10TensorInfoIKT_T0_EEjPjjS8_iijT1_PSB_Ps
    .private_segment_fixed_size: 0
    .sgpr_count:     32
    .sgpr_spill_count: 0
    .symbol:         _ZN2at6native6mbtopk23computeBlockDigitCountsIimjLi3EEEvNS_4cuda6detail10TensorInfoIKT_T0_EEjPjjS8_iijT1_PSB_Ps.kd
    .uniform_work_group_size: 1
    .uses_dynamic_stack: false
    .vgpr_count:     10
    .vgpr_spill_count: 0
    .wavefront_size: 64
  - .agpr_count:     0
    .args:
      - .offset:         0
        .size:           416
        .value_kind:     by_value
      - .offset:         416
        .size:           8
        .value_kind:     by_value
      - .offset:         424
        .size:           8
        .value_kind:     by_value
      - .offset:         432
        .size:           1
        .value_kind:     by_value
      - .offset:         436
        .size:           4
        .value_kind:     by_value
      - .offset:         440
        .size:           8
        .value_kind:     by_value
      - .offset:         448
        .size:           416
        .value_kind:     by_value
      - .offset:         864
        .size:           8
        .value_kind:     by_value
      - .offset:         872
        .size:           416
        .value_kind:     by_value
      - .offset:         1288
        .size:           8
        .value_kind:     by_value
      - .offset:         1296
        .size:           4
        .value_kind:     by_value
      - .offset:         1300
        .size:           4
        .value_kind:     by_value
      - .address_space:  global
        .offset:         1304
        .size:           8
        .value_kind:     global_buffer
      - .address_space:  global
        .offset:         1312
        .size:           8
        .value_kind:     global_buffer
      - .address_space:  global
        .offset:         1320
        .size:           8
        .value_kind:     global_buffer
      - .offset:         1328
        .size:           4
        .value_kind:     by_value
      - .offset:         1336
        .size:           4
        .value_kind:     hidden_block_count_x
      - .offset:         1340
        .size:           4
        .value_kind:     hidden_block_count_y
      - .offset:         1344
        .size:           4
        .value_kind:     hidden_block_count_z
      - .offset:         1348
        .size:           2
        .value_kind:     hidden_group_size_x
      - .offset:         1350
        .size:           2
        .value_kind:     hidden_group_size_y
      - .offset:         1352
        .size:           2
        .value_kind:     hidden_group_size_z
      - .offset:         1354
        .size:           2
        .value_kind:     hidden_remainder_x
      - .offset:         1356
        .size:           2
        .value_kind:     hidden_remainder_y
      - .offset:         1358
        .size:           2
        .value_kind:     hidden_remainder_z
      - .offset:         1376
        .size:           8
        .value_kind:     hidden_global_offset_x
      - .offset:         1384
        .size:           8
        .value_kind:     hidden_global_offset_y
      - .offset:         1392
        .size:           8
        .value_kind:     hidden_global_offset_z
      - .offset:         1400
        .size:           2
        .value_kind:     hidden_grid_dims
    .group_segment_fixed_size: 1068
    .kernarg_segment_align: 8
    .kernarg_segment_size: 1592
    .language:       OpenCL C
    .language_version:
      - 2
      - 0
    .max_flat_workgroup_size: 256
    .name:           _ZN2at6native6mbtopk10gatherTopKIimLi3EEEvNS_4cuda6detail10TensorInfoIKT_T0_EES8_S8_bjS8_NS5_IS6_S8_EES8_NS5_IlS8_EES8_jjPS6_PjSD_j
    .private_segment_fixed_size: 0
    .sgpr_count:     82
    .sgpr_spill_count: 0
    .symbol:         _ZN2at6native6mbtopk10gatherTopKIimLi3EEEvNS_4cuda6detail10TensorInfoIKT_T0_EES8_S8_bjS8_NS5_IS6_S8_EES8_NS5_IlS8_EES8_jjPS6_PjSD_j.kd
    .uniform_work_group_size: 1
    .uses_dynamic_stack: false
    .vgpr_count:     22
    .vgpr_spill_count: 0
    .wavefront_size: 64
  - .agpr_count:     0
    .args:
      - .offset:         0
        .size:           416
        .value_kind:     by_value
      - .offset:         416
        .size:           8
        .value_kind:     by_value
      - .offset:         424
        .size:           8
        .value_kind:     by_value
      - .offset:         432
        .size:           1
        .value_kind:     by_value
      - .offset:         440
        .size:           8
        .value_kind:     by_value
      - .offset:         448
        .size:           8
        .value_kind:     by_value
      - .offset:         456
        .size:           416
        .value_kind:     by_value
      - .offset:         872
        .size:           8
        .value_kind:     by_value
      - .offset:         880
        .size:           416
        .value_kind:     by_value
      - .offset:         1296
        .size:           8
        .value_kind:     by_value
      - .address_space:  global
        .offset:         1304
        .size:           8
        .value_kind:     global_buffer
      - .offset:         1312
        .size:           4
        .value_kind:     hidden_block_count_x
      - .offset:         1316
        .size:           4
        .value_kind:     hidden_block_count_y
      - .offset:         1320
        .size:           4
        .value_kind:     hidden_block_count_z
      - .offset:         1324
        .size:           2
        .value_kind:     hidden_group_size_x
      - .offset:         1326
        .size:           2
        .value_kind:     hidden_group_size_y
      - .offset:         1328
        .size:           2
        .value_kind:     hidden_group_size_z
      - .offset:         1330
        .size:           2
        .value_kind:     hidden_remainder_x
      - .offset:         1332
        .size:           2
        .value_kind:     hidden_remainder_y
      - .offset:         1334
        .size:           2
        .value_kind:     hidden_remainder_z
      - .offset:         1352
        .size:           8
        .value_kind:     hidden_global_offset_x
      - .offset:         1360
        .size:           8
        .value_kind:     hidden_global_offset_y
      - .offset:         1368
        .size:           8
        .value_kind:     hidden_global_offset_z
      - .offset:         1376
        .size:           2
        .value_kind:     hidden_grid_dims
    .group_segment_fixed_size: 5152
    .kernarg_segment_align: 8
    .kernarg_segment_size: 1568
    .language:       OpenCL C
    .language_version:
      - 2
      - 0
    .max_flat_workgroup_size: 1024
    .name:           _ZN2at6native6sbtopk10gatherTopKIimLi3ELb0EEEvNS_4cuda6detail10TensorInfoIKT_T0_EES8_S8_bS8_S8_NS5_IS6_S8_EES8_NS5_IlS8_EES8_PS6_
    .private_segment_fixed_size: 0
    .sgpr_count:     100
    .sgpr_spill_count: 78
    .symbol:         _ZN2at6native6sbtopk10gatherTopKIimLi3ELb0EEEvNS_4cuda6detail10TensorInfoIKT_T0_EES8_S8_bS8_S8_NS5_IS6_S8_EES8_NS5_IlS8_EES8_PS6_.kd
    .uniform_work_group_size: 1
    .uses_dynamic_stack: false
    .vgpr_count:     48
    .vgpr_spill_count: 0
    .wavefront_size: 64
  - .agpr_count:     0
    .args:
      - .offset:         0
        .size:           416
        .value_kind:     by_value
      - .offset:         416
        .size:           4
        .value_kind:     by_value
      - .address_space:  global
        .offset:         424
        .size:           8
        .value_kind:     global_buffer
      - .offset:         432
        .size:           4
        .value_kind:     by_value
      - .offset:         440
        .size:           8
        .value_kind:     by_value
      - .offset:         448
        .size:           4
        .value_kind:     by_value
      - .offset:         452
        .size:           4
        .value_kind:     by_value
      - .offset:         456
        .size:           4
        .value_kind:     by_value
      - .offset:         460
        .size:           4
        .value_kind:     by_value
      - .address_space:  global
        .offset:         464
        .size:           8
        .value_kind:     global_buffer
      - .address_space:  global
        .offset:         472
        .size:           8
        .value_kind:     global_buffer
      - .offset:         480
        .size:           4
        .value_kind:     hidden_block_count_x
      - .offset:         484
        .size:           4
        .value_kind:     hidden_block_count_y
      - .offset:         488
        .size:           4
        .value_kind:     hidden_block_count_z
      - .offset:         492
        .size:           2
        .value_kind:     hidden_group_size_x
      - .offset:         494
        .size:           2
        .value_kind:     hidden_group_size_y
      - .offset:         496
        .size:           2
        .value_kind:     hidden_group_size_z
      - .offset:         498
        .size:           2
        .value_kind:     hidden_remainder_x
      - .offset:         500
        .size:           2
        .value_kind:     hidden_remainder_y
      - .offset:         502
        .size:           2
        .value_kind:     hidden_remainder_z
      - .offset:         520
        .size:           8
        .value_kind:     hidden_global_offset_x
      - .offset:         528
        .size:           8
        .value_kind:     hidden_global_offset_y
      - .offset:         536
        .size:           8
        .value_kind:     hidden_global_offset_z
      - .offset:         544
        .size:           2
        .value_kind:     hidden_grid_dims
    .group_segment_fixed_size: 1024
    .kernarg_segment_align: 8
    .kernarg_segment_size: 736
    .language:       OpenCL C
    .language_version:
      - 2
      - 0
    .max_flat_workgroup_size: 256
    .name:           _ZN2at6native6mbtopk23computeBlockDigitCountsIimjLin1EEEvNS_4cuda6detail10TensorInfoIKT_T0_EEjPjjS8_iijT1_PSB_Ps
    .private_segment_fixed_size: 0
    .sgpr_count:     35
    .sgpr_spill_count: 0
    .symbol:         _ZN2at6native6mbtopk23computeBlockDigitCountsIimjLin1EEEvNS_4cuda6detail10TensorInfoIKT_T0_EEjPjjS8_iijT1_PSB_Ps.kd
    .uniform_work_group_size: 1
    .uses_dynamic_stack: false
    .vgpr_count:     10
    .vgpr_spill_count: 0
    .wavefront_size: 64
  - .agpr_count:     0
    .args:
      - .offset:         0
        .size:           416
        .value_kind:     by_value
      - .offset:         416
        .size:           8
        .value_kind:     by_value
      - .offset:         424
        .size:           8
        .value_kind:     by_value
      - .offset:         432
        .size:           1
        .value_kind:     by_value
      - .offset:         436
        .size:           4
        .value_kind:     by_value
      - .offset:         440
        .size:           8
        .value_kind:     by_value
      - .offset:         448
        .size:           416
        .value_kind:     by_value
      - .offset:         864
        .size:           8
        .value_kind:     by_value
      - .offset:         872
        .size:           416
        .value_kind:     by_value
      - .offset:         1288
        .size:           8
        .value_kind:     by_value
      - .offset:         1296
        .size:           4
        .value_kind:     by_value
      - .offset:         1300
        .size:           4
        .value_kind:     by_value
      - .address_space:  global
        .offset:         1304
        .size:           8
        .value_kind:     global_buffer
      - .address_space:  global
        .offset:         1312
        .size:           8
        .value_kind:     global_buffer
      - .address_space:  global
        .offset:         1320
        .size:           8
        .value_kind:     global_buffer
      - .offset:         1328
        .size:           4
        .value_kind:     by_value
      - .offset:         1336
        .size:           4
        .value_kind:     hidden_block_count_x
      - .offset:         1340
        .size:           4
        .value_kind:     hidden_block_count_y
      - .offset:         1344
        .size:           4
        .value_kind:     hidden_block_count_z
      - .offset:         1348
        .size:           2
        .value_kind:     hidden_group_size_x
      - .offset:         1350
        .size:           2
        .value_kind:     hidden_group_size_y
      - .offset:         1352
        .size:           2
        .value_kind:     hidden_group_size_z
      - .offset:         1354
        .size:           2
        .value_kind:     hidden_remainder_x
      - .offset:         1356
        .size:           2
        .value_kind:     hidden_remainder_y
      - .offset:         1358
        .size:           2
        .value_kind:     hidden_remainder_z
      - .offset:         1376
        .size:           8
        .value_kind:     hidden_global_offset_x
      - .offset:         1384
        .size:           8
        .value_kind:     hidden_global_offset_y
      - .offset:         1392
        .size:           8
        .value_kind:     hidden_global_offset_z
      - .offset:         1400
        .size:           2
        .value_kind:     hidden_grid_dims
    .group_segment_fixed_size: 1068
    .kernarg_segment_align: 8
    .kernarg_segment_size: 1592
    .language:       OpenCL C
    .language_version:
      - 2
      - 0
    .max_flat_workgroup_size: 256
    .name:           _ZN2at6native6mbtopk10gatherTopKIimLin1EEEvNS_4cuda6detail10TensorInfoIKT_T0_EES8_S8_bjS8_NS5_IS6_S8_EES8_NS5_IlS8_EES8_jjPS6_PjSD_j
    .private_segment_fixed_size: 0
    .sgpr_count:     64
    .sgpr_spill_count: 0
    .symbol:         _ZN2at6native6mbtopk10gatherTopKIimLin1EEEvNS_4cuda6detail10TensorInfoIKT_T0_EES8_S8_bjS8_NS5_IS6_S8_EES8_NS5_IlS8_EES8_jjPS6_PjSD_j.kd
    .uniform_work_group_size: 1
    .uses_dynamic_stack: false
    .vgpr_count:     22
    .vgpr_spill_count: 0
    .wavefront_size: 64
  - .agpr_count:     0
    .args:
      - .offset:         0
        .size:           416
        .value_kind:     by_value
      - .offset:         416
        .size:           8
        .value_kind:     by_value
      - .offset:         424
        .size:           8
        .value_kind:     by_value
      - .offset:         432
        .size:           1
        .value_kind:     by_value
      - .offset:         440
        .size:           8
        .value_kind:     by_value
      - .offset:         448
        .size:           8
        .value_kind:     by_value
      - .offset:         456
        .size:           416
        .value_kind:     by_value
      - .offset:         872
        .size:           8
        .value_kind:     by_value
      - .offset:         880
        .size:           416
        .value_kind:     by_value
      - .offset:         1296
        .size:           8
        .value_kind:     by_value
      - .address_space:  global
        .offset:         1304
        .size:           8
        .value_kind:     global_buffer
      - .offset:         1312
        .size:           4
        .value_kind:     hidden_block_count_x
      - .offset:         1316
        .size:           4
        .value_kind:     hidden_block_count_y
      - .offset:         1320
        .size:           4
        .value_kind:     hidden_block_count_z
      - .offset:         1324
        .size:           2
        .value_kind:     hidden_group_size_x
      - .offset:         1326
        .size:           2
        .value_kind:     hidden_group_size_y
      - .offset:         1328
        .size:           2
        .value_kind:     hidden_group_size_z
      - .offset:         1330
        .size:           2
        .value_kind:     hidden_remainder_x
      - .offset:         1332
        .size:           2
        .value_kind:     hidden_remainder_y
      - .offset:         1334
        .size:           2
        .value_kind:     hidden_remainder_z
      - .offset:         1352
        .size:           8
        .value_kind:     hidden_global_offset_x
      - .offset:         1360
        .size:           8
        .value_kind:     hidden_global_offset_y
      - .offset:         1368
        .size:           8
        .value_kind:     hidden_global_offset_z
      - .offset:         1376
        .size:           2
        .value_kind:     hidden_grid_dims
    .group_segment_fixed_size: 5152
    .kernarg_segment_align: 8
    .kernarg_segment_size: 1568
    .language:       OpenCL C
    .language_version:
      - 2
      - 0
    .max_flat_workgroup_size: 1024
    .name:           _ZN2at6native6sbtopk10gatherTopKIimLin1ELb0EEEvNS_4cuda6detail10TensorInfoIKT_T0_EES8_S8_bS8_S8_NS5_IS6_S8_EES8_NS5_IlS8_EES8_PS6_
    .private_segment_fixed_size: 0
    .sgpr_count:     100
    .sgpr_spill_count: 85
    .symbol:         _ZN2at6native6sbtopk10gatherTopKIimLin1ELb0EEEvNS_4cuda6detail10TensorInfoIKT_T0_EES8_S8_bS8_S8_NS5_IS6_S8_EES8_NS5_IlS8_EES8_PS6_.kd
    .uniform_work_group_size: 1
    .uses_dynamic_stack: false
    .vgpr_count:     57
    .vgpr_spill_count: 0
    .wavefront_size: 64
  - .agpr_count:     0
    .args:
      - .offset:         0
        .size:           416
        .value_kind:     by_value
      - .offset:         416
        .size:           4
        .value_kind:     by_value
      - .address_space:  global
        .offset:         424
        .size:           8
        .value_kind:     global_buffer
      - .offset:         432
        .size:           4
        .value_kind:     by_value
      - .offset:         440
        .size:           8
        .value_kind:     by_value
      - .offset:         448
        .size:           4
        .value_kind:     by_value
      - .offset:         452
        .size:           4
        .value_kind:     by_value
      - .offset:         456
        .size:           4
        .value_kind:     by_value
      - .offset:         464
        .size:           8
        .value_kind:     by_value
      - .address_space:  global
        .offset:         472
        .size:           8
        .value_kind:     global_buffer
      - .address_space:  global
        .offset:         480
        .size:           8
        .value_kind:     global_buffer
      - .offset:         488
        .size:           4
        .value_kind:     hidden_block_count_x
      - .offset:         492
        .size:           4
        .value_kind:     hidden_block_count_y
      - .offset:         496
        .size:           4
        .value_kind:     hidden_block_count_z
      - .offset:         500
        .size:           2
        .value_kind:     hidden_group_size_x
      - .offset:         502
        .size:           2
        .value_kind:     hidden_group_size_y
      - .offset:         504
        .size:           2
        .value_kind:     hidden_group_size_z
      - .offset:         506
        .size:           2
        .value_kind:     hidden_remainder_x
      - .offset:         508
        .size:           2
        .value_kind:     hidden_remainder_y
      - .offset:         510
        .size:           2
        .value_kind:     hidden_remainder_z
      - .offset:         528
        .size:           8
        .value_kind:     hidden_global_offset_x
      - .offset:         536
        .size:           8
        .value_kind:     hidden_global_offset_y
      - .offset:         544
        .size:           8
        .value_kind:     hidden_global_offset_z
      - .offset:         552
        .size:           2
        .value_kind:     hidden_grid_dims
    .group_segment_fixed_size: 1024
    .kernarg_segment_align: 8
    .kernarg_segment_size: 744
    .language:       OpenCL C
    .language_version:
      - 2
      - 0
    .max_flat_workgroup_size: 256
    .name:           _ZN2at6native6mbtopk23computeBlockDigitCountsIlmmLi1EEEvNS_4cuda6detail10TensorInfoIKT_T0_EEjPjjS8_iijT1_PSB_Ps
    .private_segment_fixed_size: 0
    .sgpr_count:     28
    .sgpr_spill_count: 0
    .symbol:         _ZN2at6native6mbtopk23computeBlockDigitCountsIlmmLi1EEEvNS_4cuda6detail10TensorInfoIKT_T0_EEjPjjS8_iijT1_PSB_Ps.kd
    .uniform_work_group_size: 1
    .uses_dynamic_stack: false
    .vgpr_count:     12
    .vgpr_spill_count: 0
    .wavefront_size: 64
  - .agpr_count:     0
    .args:
      - .offset:         0
        .size:           416
        .value_kind:     by_value
      - .offset:         416
        .size:           8
        .value_kind:     by_value
      - .offset:         424
        .size:           8
        .value_kind:     by_value
      - .offset:         432
        .size:           1
        .value_kind:     by_value
      - .offset:         436
        .size:           4
        .value_kind:     by_value
      - .offset:         440
        .size:           8
        .value_kind:     by_value
      - .offset:         448
        .size:           416
        .value_kind:     by_value
      - .offset:         864
        .size:           8
        .value_kind:     by_value
      - .offset:         872
        .size:           416
        .value_kind:     by_value
      - .offset:         1288
        .size:           8
        .value_kind:     by_value
      - .offset:         1296
        .size:           4
        .value_kind:     by_value
      - .offset:         1300
        .size:           4
        .value_kind:     by_value
      - .address_space:  global
        .offset:         1304
        .size:           8
        .value_kind:     global_buffer
      - .address_space:  global
        .offset:         1312
        .size:           8
        .value_kind:     global_buffer
      - .address_space:  global
        .offset:         1320
        .size:           8
        .value_kind:     global_buffer
      - .offset:         1328
        .size:           4
        .value_kind:     by_value
      - .offset:         1336
        .size:           4
        .value_kind:     hidden_block_count_x
      - .offset:         1340
        .size:           4
        .value_kind:     hidden_block_count_y
      - .offset:         1344
        .size:           4
        .value_kind:     hidden_block_count_z
      - .offset:         1348
        .size:           2
        .value_kind:     hidden_group_size_x
      - .offset:         1350
        .size:           2
        .value_kind:     hidden_group_size_y
      - .offset:         1352
        .size:           2
        .value_kind:     hidden_group_size_z
      - .offset:         1354
        .size:           2
        .value_kind:     hidden_remainder_x
      - .offset:         1356
        .size:           2
        .value_kind:     hidden_remainder_y
      - .offset:         1358
        .size:           2
        .value_kind:     hidden_remainder_z
      - .offset:         1376
        .size:           8
        .value_kind:     hidden_global_offset_x
      - .offset:         1384
        .size:           8
        .value_kind:     hidden_global_offset_y
      - .offset:         1392
        .size:           8
        .value_kind:     hidden_global_offset_z
      - .offset:         1400
        .size:           2
        .value_kind:     hidden_grid_dims
    .group_segment_fixed_size: 1068
    .kernarg_segment_align: 8
    .kernarg_segment_size: 1592
    .language:       OpenCL C
    .language_version:
      - 2
      - 0
    .max_flat_workgroup_size: 256
    .name:           _ZN2at6native6mbtopk10gatherTopKIlmLi1EEEvNS_4cuda6detail10TensorInfoIKT_T0_EES8_S8_bjS8_NS5_IS6_S8_EES8_NS5_IlS8_EES8_jjPS6_PjSD_j
    .private_segment_fixed_size: 0
    .sgpr_count:     50
    .sgpr_spill_count: 0
    .symbol:         _ZN2at6native6mbtopk10gatherTopKIlmLi1EEEvNS_4cuda6detail10TensorInfoIKT_T0_EES8_S8_bjS8_NS5_IS6_S8_EES8_NS5_IlS8_EES8_jjPS6_PjSD_j.kd
    .uniform_work_group_size: 1
    .uses_dynamic_stack: false
    .vgpr_count:     22
    .vgpr_spill_count: 0
    .wavefront_size: 64
  - .agpr_count:     0
    .args:
      - .offset:         0
        .size:           416
        .value_kind:     by_value
      - .offset:         416
        .size:           8
        .value_kind:     by_value
      - .offset:         424
        .size:           8
        .value_kind:     by_value
      - .offset:         432
        .size:           1
        .value_kind:     by_value
      - .offset:         440
        .size:           8
        .value_kind:     by_value
      - .offset:         448
        .size:           8
        .value_kind:     by_value
      - .offset:         456
        .size:           416
        .value_kind:     by_value
      - .offset:         872
        .size:           8
        .value_kind:     by_value
      - .offset:         880
        .size:           416
        .value_kind:     by_value
      - .offset:         1296
        .size:           8
        .value_kind:     by_value
      - .address_space:  global
        .offset:         1304
        .size:           8
        .value_kind:     global_buffer
      - .offset:         1312
        .size:           4
        .value_kind:     hidden_block_count_x
      - .offset:         1316
        .size:           4
        .value_kind:     hidden_block_count_y
      - .offset:         1320
        .size:           4
        .value_kind:     hidden_block_count_z
      - .offset:         1324
        .size:           2
        .value_kind:     hidden_group_size_x
      - .offset:         1326
        .size:           2
        .value_kind:     hidden_group_size_y
      - .offset:         1328
        .size:           2
        .value_kind:     hidden_group_size_z
      - .offset:         1330
        .size:           2
        .value_kind:     hidden_remainder_x
      - .offset:         1332
        .size:           2
        .value_kind:     hidden_remainder_y
      - .offset:         1334
        .size:           2
        .value_kind:     hidden_remainder_z
      - .offset:         1352
        .size:           8
        .value_kind:     hidden_global_offset_x
      - .offset:         1360
        .size:           8
        .value_kind:     hidden_global_offset_y
      - .offset:         1368
        .size:           8
        .value_kind:     hidden_global_offset_z
      - .offset:         1376
        .size:           2
        .value_kind:     hidden_grid_dims
    .group_segment_fixed_size: 5152
    .kernarg_segment_align: 8
    .kernarg_segment_size: 1568
    .language:       OpenCL C
    .language_version:
      - 2
      - 0
    .max_flat_workgroup_size: 1024
    .name:           _ZN2at6native6sbtopk10gatherTopKIlmLi1ELb0EEEvNS_4cuda6detail10TensorInfoIKT_T0_EES8_S8_bS8_S8_NS5_IS6_S8_EES8_NS5_IlS8_EES8_PS6_
    .private_segment_fixed_size: 0
    .sgpr_count:     100
    .sgpr_spill_count: 76
    .symbol:         _ZN2at6native6sbtopk10gatherTopKIlmLi1ELb0EEEvNS_4cuda6detail10TensorInfoIKT_T0_EES8_S8_bS8_S8_NS5_IS6_S8_EES8_NS5_IlS8_EES8_PS6_.kd
    .uniform_work_group_size: 1
    .uses_dynamic_stack: false
    .vgpr_count:     63
    .vgpr_spill_count: 0
    .wavefront_size: 64
  - .agpr_count:     0
    .args:
      - .offset:         0
        .size:           416
        .value_kind:     by_value
      - .offset:         416
        .size:           4
        .value_kind:     by_value
      - .address_space:  global
        .offset:         424
        .size:           8
        .value_kind:     global_buffer
      - .offset:         432
        .size:           4
        .value_kind:     by_value
      - .offset:         440
        .size:           8
        .value_kind:     by_value
      - .offset:         448
        .size:           4
        .value_kind:     by_value
      - .offset:         452
        .size:           4
        .value_kind:     by_value
      - .offset:         456
        .size:           4
        .value_kind:     by_value
      - .offset:         464
        .size:           8
        .value_kind:     by_value
      - .address_space:  global
        .offset:         472
        .size:           8
        .value_kind:     global_buffer
      - .address_space:  global
        .offset:         480
        .size:           8
        .value_kind:     global_buffer
      - .offset:         488
        .size:           4
        .value_kind:     hidden_block_count_x
      - .offset:         492
        .size:           4
        .value_kind:     hidden_block_count_y
      - .offset:         496
        .size:           4
        .value_kind:     hidden_block_count_z
      - .offset:         500
        .size:           2
        .value_kind:     hidden_group_size_x
      - .offset:         502
        .size:           2
        .value_kind:     hidden_group_size_y
      - .offset:         504
        .size:           2
        .value_kind:     hidden_group_size_z
      - .offset:         506
        .size:           2
        .value_kind:     hidden_remainder_x
      - .offset:         508
        .size:           2
        .value_kind:     hidden_remainder_y
      - .offset:         510
        .size:           2
        .value_kind:     hidden_remainder_z
      - .offset:         528
        .size:           8
        .value_kind:     hidden_global_offset_x
      - .offset:         536
        .size:           8
        .value_kind:     hidden_global_offset_y
      - .offset:         544
        .size:           8
        .value_kind:     hidden_global_offset_z
      - .offset:         552
        .size:           2
        .value_kind:     hidden_grid_dims
    .group_segment_fixed_size: 1024
    .kernarg_segment_align: 8
    .kernarg_segment_size: 744
    .language:       OpenCL C
    .language_version:
      - 2
      - 0
    .max_flat_workgroup_size: 256
    .name:           _ZN2at6native6mbtopk23computeBlockDigitCountsIlmmLi2EEEvNS_4cuda6detail10TensorInfoIKT_T0_EEjPjjS8_iijT1_PSB_Ps
    .private_segment_fixed_size: 0
    .sgpr_count:     32
    .sgpr_spill_count: 0
    .symbol:         _ZN2at6native6mbtopk23computeBlockDigitCountsIlmmLi2EEEvNS_4cuda6detail10TensorInfoIKT_T0_EEjPjjS8_iijT1_PSB_Ps.kd
    .uniform_work_group_size: 1
    .uses_dynamic_stack: false
    .vgpr_count:     12
    .vgpr_spill_count: 0
    .wavefront_size: 64
  - .agpr_count:     0
    .args:
      - .offset:         0
        .size:           416
        .value_kind:     by_value
      - .offset:         416
        .size:           8
        .value_kind:     by_value
      - .offset:         424
        .size:           8
        .value_kind:     by_value
      - .offset:         432
        .size:           1
        .value_kind:     by_value
      - .offset:         436
        .size:           4
        .value_kind:     by_value
      - .offset:         440
        .size:           8
        .value_kind:     by_value
      - .offset:         448
        .size:           416
        .value_kind:     by_value
      - .offset:         864
        .size:           8
        .value_kind:     by_value
      - .offset:         872
        .size:           416
        .value_kind:     by_value
      - .offset:         1288
        .size:           8
        .value_kind:     by_value
      - .offset:         1296
        .size:           4
        .value_kind:     by_value
      - .offset:         1300
        .size:           4
        .value_kind:     by_value
      - .address_space:  global
        .offset:         1304
        .size:           8
        .value_kind:     global_buffer
      - .address_space:  global
        .offset:         1312
        .size:           8
        .value_kind:     global_buffer
      - .address_space:  global
        .offset:         1320
        .size:           8
        .value_kind:     global_buffer
      - .offset:         1328
        .size:           4
        .value_kind:     by_value
      - .offset:         1336
        .size:           4
        .value_kind:     hidden_block_count_x
      - .offset:         1340
        .size:           4
        .value_kind:     hidden_block_count_y
      - .offset:         1344
        .size:           4
        .value_kind:     hidden_block_count_z
      - .offset:         1348
        .size:           2
        .value_kind:     hidden_group_size_x
      - .offset:         1350
        .size:           2
        .value_kind:     hidden_group_size_y
      - .offset:         1352
        .size:           2
        .value_kind:     hidden_group_size_z
      - .offset:         1354
        .size:           2
        .value_kind:     hidden_remainder_x
      - .offset:         1356
        .size:           2
        .value_kind:     hidden_remainder_y
      - .offset:         1358
        .size:           2
        .value_kind:     hidden_remainder_z
      - .offset:         1376
        .size:           8
        .value_kind:     hidden_global_offset_x
      - .offset:         1384
        .size:           8
        .value_kind:     hidden_global_offset_y
      - .offset:         1392
        .size:           8
        .value_kind:     hidden_global_offset_z
      - .offset:         1400
        .size:           2
        .value_kind:     hidden_grid_dims
    .group_segment_fixed_size: 1068
    .kernarg_segment_align: 8
    .kernarg_segment_size: 1592
    .language:       OpenCL C
    .language_version:
      - 2
      - 0
    .max_flat_workgroup_size: 256
    .name:           _ZN2at6native6mbtopk10gatherTopKIlmLi2EEEvNS_4cuda6detail10TensorInfoIKT_T0_EES8_S8_bjS8_NS5_IS6_S8_EES8_NS5_IlS8_EES8_jjPS6_PjSD_j
    .private_segment_fixed_size: 0
    .sgpr_count:     56
    .sgpr_spill_count: 0
    .symbol:         _ZN2at6native6mbtopk10gatherTopKIlmLi2EEEvNS_4cuda6detail10TensorInfoIKT_T0_EES8_S8_bjS8_NS5_IS6_S8_EES8_NS5_IlS8_EES8_jjPS6_PjSD_j.kd
    .uniform_work_group_size: 1
    .uses_dynamic_stack: false
    .vgpr_count:     22
    .vgpr_spill_count: 0
    .wavefront_size: 64
  - .agpr_count:     0
    .args:
      - .offset:         0
        .size:           416
        .value_kind:     by_value
      - .offset:         416
        .size:           8
        .value_kind:     by_value
      - .offset:         424
        .size:           8
        .value_kind:     by_value
      - .offset:         432
        .size:           1
        .value_kind:     by_value
      - .offset:         440
        .size:           8
        .value_kind:     by_value
      - .offset:         448
        .size:           8
        .value_kind:     by_value
      - .offset:         456
        .size:           416
        .value_kind:     by_value
      - .offset:         872
        .size:           8
        .value_kind:     by_value
      - .offset:         880
        .size:           416
        .value_kind:     by_value
      - .offset:         1296
        .size:           8
        .value_kind:     by_value
      - .address_space:  global
        .offset:         1304
        .size:           8
        .value_kind:     global_buffer
      - .offset:         1312
        .size:           4
        .value_kind:     hidden_block_count_x
      - .offset:         1316
        .size:           4
        .value_kind:     hidden_block_count_y
      - .offset:         1320
        .size:           4
        .value_kind:     hidden_block_count_z
      - .offset:         1324
        .size:           2
        .value_kind:     hidden_group_size_x
      - .offset:         1326
        .size:           2
        .value_kind:     hidden_group_size_y
      - .offset:         1328
        .size:           2
        .value_kind:     hidden_group_size_z
      - .offset:         1330
        .size:           2
        .value_kind:     hidden_remainder_x
      - .offset:         1332
        .size:           2
        .value_kind:     hidden_remainder_y
      - .offset:         1334
        .size:           2
        .value_kind:     hidden_remainder_z
      - .offset:         1352
        .size:           8
        .value_kind:     hidden_global_offset_x
      - .offset:         1360
        .size:           8
        .value_kind:     hidden_global_offset_y
      - .offset:         1368
        .size:           8
        .value_kind:     hidden_global_offset_z
      - .offset:         1376
        .size:           2
        .value_kind:     hidden_grid_dims
    .group_segment_fixed_size: 5152
    .kernarg_segment_align: 8
    .kernarg_segment_size: 1568
    .language:       OpenCL C
    .language_version:
      - 2
      - 0
    .max_flat_workgroup_size: 1024
    .name:           _ZN2at6native6sbtopk10gatherTopKIlmLi2ELb0EEEvNS_4cuda6detail10TensorInfoIKT_T0_EES8_S8_bS8_S8_NS5_IS6_S8_EES8_NS5_IlS8_EES8_PS6_
    .private_segment_fixed_size: 0
    .sgpr_count:     100
    .sgpr_spill_count: 70
    .symbol:         _ZN2at6native6sbtopk10gatherTopKIlmLi2ELb0EEEvNS_4cuda6detail10TensorInfoIKT_T0_EES8_S8_bS8_S8_NS5_IS6_S8_EES8_NS5_IlS8_EES8_PS6_.kd
    .uniform_work_group_size: 1
    .uses_dynamic_stack: false
    .vgpr_count:     55
    .vgpr_spill_count: 0
    .wavefront_size: 64
  - .agpr_count:     0
    .args:
      - .offset:         0
        .size:           416
        .value_kind:     by_value
      - .offset:         416
        .size:           4
        .value_kind:     by_value
      - .address_space:  global
        .offset:         424
        .size:           8
        .value_kind:     global_buffer
      - .offset:         432
        .size:           4
        .value_kind:     by_value
      - .offset:         440
        .size:           8
        .value_kind:     by_value
      - .offset:         448
        .size:           4
        .value_kind:     by_value
      - .offset:         452
        .size:           4
        .value_kind:     by_value
      - .offset:         456
        .size:           4
        .value_kind:     by_value
      - .offset:         464
        .size:           8
        .value_kind:     by_value
      - .address_space:  global
        .offset:         472
        .size:           8
        .value_kind:     global_buffer
      - .address_space:  global
        .offset:         480
        .size:           8
        .value_kind:     global_buffer
      - .offset:         488
        .size:           4
        .value_kind:     hidden_block_count_x
      - .offset:         492
        .size:           4
        .value_kind:     hidden_block_count_y
      - .offset:         496
        .size:           4
        .value_kind:     hidden_block_count_z
      - .offset:         500
        .size:           2
        .value_kind:     hidden_group_size_x
      - .offset:         502
        .size:           2
        .value_kind:     hidden_group_size_y
      - .offset:         504
        .size:           2
        .value_kind:     hidden_group_size_z
      - .offset:         506
        .size:           2
        .value_kind:     hidden_remainder_x
      - .offset:         508
        .size:           2
        .value_kind:     hidden_remainder_y
      - .offset:         510
        .size:           2
        .value_kind:     hidden_remainder_z
      - .offset:         528
        .size:           8
        .value_kind:     hidden_global_offset_x
      - .offset:         536
        .size:           8
        .value_kind:     hidden_global_offset_y
      - .offset:         544
        .size:           8
        .value_kind:     hidden_global_offset_z
      - .offset:         552
        .size:           2
        .value_kind:     hidden_grid_dims
    .group_segment_fixed_size: 1024
    .kernarg_segment_align: 8
    .kernarg_segment_size: 744
    .language:       OpenCL C
    .language_version:
      - 2
      - 0
    .max_flat_workgroup_size: 256
    .name:           _ZN2at6native6mbtopk23computeBlockDigitCountsIlmmLi3EEEvNS_4cuda6detail10TensorInfoIKT_T0_EEjPjjS8_iijT1_PSB_Ps
    .private_segment_fixed_size: 0
    .sgpr_count:     34
    .sgpr_spill_count: 0
    .symbol:         _ZN2at6native6mbtopk23computeBlockDigitCountsIlmmLi3EEEvNS_4cuda6detail10TensorInfoIKT_T0_EEjPjjS8_iijT1_PSB_Ps.kd
    .uniform_work_group_size: 1
    .uses_dynamic_stack: false
    .vgpr_count:     12
    .vgpr_spill_count: 0
    .wavefront_size: 64
  - .agpr_count:     0
    .args:
      - .offset:         0
        .size:           416
        .value_kind:     by_value
      - .offset:         416
        .size:           8
        .value_kind:     by_value
      - .offset:         424
        .size:           8
        .value_kind:     by_value
      - .offset:         432
        .size:           1
        .value_kind:     by_value
      - .offset:         436
        .size:           4
        .value_kind:     by_value
      - .offset:         440
        .size:           8
        .value_kind:     by_value
      - .offset:         448
        .size:           416
        .value_kind:     by_value
      - .offset:         864
        .size:           8
        .value_kind:     by_value
      - .offset:         872
        .size:           416
        .value_kind:     by_value
      - .offset:         1288
        .size:           8
        .value_kind:     by_value
      - .offset:         1296
        .size:           4
        .value_kind:     by_value
      - .offset:         1300
        .size:           4
        .value_kind:     by_value
      - .address_space:  global
        .offset:         1304
        .size:           8
        .value_kind:     global_buffer
      - .address_space:  global
        .offset:         1312
        .size:           8
        .value_kind:     global_buffer
      - .address_space:  global
        .offset:         1320
        .size:           8
        .value_kind:     global_buffer
      - .offset:         1328
        .size:           4
        .value_kind:     by_value
      - .offset:         1336
        .size:           4
        .value_kind:     hidden_block_count_x
      - .offset:         1340
        .size:           4
        .value_kind:     hidden_block_count_y
      - .offset:         1344
        .size:           4
        .value_kind:     hidden_block_count_z
      - .offset:         1348
        .size:           2
        .value_kind:     hidden_group_size_x
      - .offset:         1350
        .size:           2
        .value_kind:     hidden_group_size_y
      - .offset:         1352
        .size:           2
        .value_kind:     hidden_group_size_z
      - .offset:         1354
        .size:           2
        .value_kind:     hidden_remainder_x
      - .offset:         1356
        .size:           2
        .value_kind:     hidden_remainder_y
      - .offset:         1358
        .size:           2
        .value_kind:     hidden_remainder_z
      - .offset:         1376
        .size:           8
        .value_kind:     hidden_global_offset_x
      - .offset:         1384
        .size:           8
        .value_kind:     hidden_global_offset_y
      - .offset:         1392
        .size:           8
        .value_kind:     hidden_global_offset_z
      - .offset:         1400
        .size:           2
        .value_kind:     hidden_grid_dims
    .group_segment_fixed_size: 1068
    .kernarg_segment_align: 8
    .kernarg_segment_size: 1592
    .language:       OpenCL C
    .language_version:
      - 2
      - 0
    .max_flat_workgroup_size: 256
    .name:           _ZN2at6native6mbtopk10gatherTopKIlmLi3EEEvNS_4cuda6detail10TensorInfoIKT_T0_EES8_S8_bjS8_NS5_IS6_S8_EES8_NS5_IlS8_EES8_jjPS6_PjSD_j
    .private_segment_fixed_size: 0
    .sgpr_count:     83
    .sgpr_spill_count: 0
    .symbol:         _ZN2at6native6mbtopk10gatherTopKIlmLi3EEEvNS_4cuda6detail10TensorInfoIKT_T0_EES8_S8_bjS8_NS5_IS6_S8_EES8_NS5_IlS8_EES8_jjPS6_PjSD_j.kd
    .uniform_work_group_size: 1
    .uses_dynamic_stack: false
    .vgpr_count:     22
    .vgpr_spill_count: 0
    .wavefront_size: 64
  - .agpr_count:     0
    .args:
      - .offset:         0
        .size:           416
        .value_kind:     by_value
      - .offset:         416
        .size:           8
        .value_kind:     by_value
      - .offset:         424
        .size:           8
        .value_kind:     by_value
      - .offset:         432
        .size:           1
        .value_kind:     by_value
      - .offset:         440
        .size:           8
        .value_kind:     by_value
      - .offset:         448
        .size:           8
        .value_kind:     by_value
      - .offset:         456
        .size:           416
        .value_kind:     by_value
      - .offset:         872
        .size:           8
        .value_kind:     by_value
      - .offset:         880
        .size:           416
        .value_kind:     by_value
      - .offset:         1296
        .size:           8
        .value_kind:     by_value
      - .address_space:  global
        .offset:         1304
        .size:           8
        .value_kind:     global_buffer
      - .offset:         1312
        .size:           4
        .value_kind:     hidden_block_count_x
      - .offset:         1316
        .size:           4
        .value_kind:     hidden_block_count_y
      - .offset:         1320
        .size:           4
        .value_kind:     hidden_block_count_z
      - .offset:         1324
        .size:           2
        .value_kind:     hidden_group_size_x
      - .offset:         1326
        .size:           2
        .value_kind:     hidden_group_size_y
      - .offset:         1328
        .size:           2
        .value_kind:     hidden_group_size_z
      - .offset:         1330
        .size:           2
        .value_kind:     hidden_remainder_x
      - .offset:         1332
        .size:           2
        .value_kind:     hidden_remainder_y
      - .offset:         1334
        .size:           2
        .value_kind:     hidden_remainder_z
      - .offset:         1352
        .size:           8
        .value_kind:     hidden_global_offset_x
      - .offset:         1360
        .size:           8
        .value_kind:     hidden_global_offset_y
      - .offset:         1368
        .size:           8
        .value_kind:     hidden_global_offset_z
      - .offset:         1376
        .size:           2
        .value_kind:     hidden_grid_dims
    .group_segment_fixed_size: 5152
    .kernarg_segment_align: 8
    .kernarg_segment_size: 1568
    .language:       OpenCL C
    .language_version:
      - 2
      - 0
    .max_flat_workgroup_size: 1024
    .name:           _ZN2at6native6sbtopk10gatherTopKIlmLi3ELb0EEEvNS_4cuda6detail10TensorInfoIKT_T0_EES8_S8_bS8_S8_NS5_IS6_S8_EES8_NS5_IlS8_EES8_PS6_
    .private_segment_fixed_size: 0
    .sgpr_count:     100
    .sgpr_spill_count: 82
    .symbol:         _ZN2at6native6sbtopk10gatherTopKIlmLi3ELb0EEEvNS_4cuda6detail10TensorInfoIKT_T0_EES8_S8_bS8_S8_NS5_IS6_S8_EES8_NS5_IlS8_EES8_PS6_.kd
    .uniform_work_group_size: 1
    .uses_dynamic_stack: false
    .vgpr_count:     56
    .vgpr_spill_count: 0
    .wavefront_size: 64
  - .agpr_count:     0
    .args:
      - .offset:         0
        .size:           416
        .value_kind:     by_value
      - .offset:         416
        .size:           4
        .value_kind:     by_value
      - .address_space:  global
        .offset:         424
        .size:           8
        .value_kind:     global_buffer
      - .offset:         432
        .size:           4
        .value_kind:     by_value
      - .offset:         440
        .size:           8
        .value_kind:     by_value
      - .offset:         448
        .size:           4
        .value_kind:     by_value
      - .offset:         452
        .size:           4
        .value_kind:     by_value
      - .offset:         456
        .size:           4
        .value_kind:     by_value
      - .offset:         464
        .size:           8
        .value_kind:     by_value
      - .address_space:  global
        .offset:         472
        .size:           8
        .value_kind:     global_buffer
      - .address_space:  global
        .offset:         480
        .size:           8
        .value_kind:     global_buffer
      - .offset:         488
        .size:           4
        .value_kind:     hidden_block_count_x
      - .offset:         492
        .size:           4
        .value_kind:     hidden_block_count_y
      - .offset:         496
        .size:           4
        .value_kind:     hidden_block_count_z
      - .offset:         500
        .size:           2
        .value_kind:     hidden_group_size_x
      - .offset:         502
        .size:           2
        .value_kind:     hidden_group_size_y
      - .offset:         504
        .size:           2
        .value_kind:     hidden_group_size_z
      - .offset:         506
        .size:           2
        .value_kind:     hidden_remainder_x
      - .offset:         508
        .size:           2
        .value_kind:     hidden_remainder_y
      - .offset:         510
        .size:           2
        .value_kind:     hidden_remainder_z
      - .offset:         528
        .size:           8
        .value_kind:     hidden_global_offset_x
      - .offset:         536
        .size:           8
        .value_kind:     hidden_global_offset_y
      - .offset:         544
        .size:           8
        .value_kind:     hidden_global_offset_z
      - .offset:         552
        .size:           2
        .value_kind:     hidden_grid_dims
    .group_segment_fixed_size: 1024
    .kernarg_segment_align: 8
    .kernarg_segment_size: 744
    .language:       OpenCL C
    .language_version:
      - 2
      - 0
    .max_flat_workgroup_size: 256
    .name:           _ZN2at6native6mbtopk23computeBlockDigitCountsIlmmLin1EEEvNS_4cuda6detail10TensorInfoIKT_T0_EEjPjjS8_iijT1_PSB_Ps
    .private_segment_fixed_size: 0
    .sgpr_count:     36
    .sgpr_spill_count: 0
    .symbol:         _ZN2at6native6mbtopk23computeBlockDigitCountsIlmmLin1EEEvNS_4cuda6detail10TensorInfoIKT_T0_EEjPjjS8_iijT1_PSB_Ps.kd
    .uniform_work_group_size: 1
    .uses_dynamic_stack: false
    .vgpr_count:     12
    .vgpr_spill_count: 0
    .wavefront_size: 64
  - .agpr_count:     0
    .args:
      - .offset:         0
        .size:           416
        .value_kind:     by_value
      - .offset:         416
        .size:           8
        .value_kind:     by_value
      - .offset:         424
        .size:           8
        .value_kind:     by_value
      - .offset:         432
        .size:           1
        .value_kind:     by_value
      - .offset:         436
        .size:           4
        .value_kind:     by_value
      - .offset:         440
        .size:           8
        .value_kind:     by_value
      - .offset:         448
        .size:           416
        .value_kind:     by_value
      - .offset:         864
        .size:           8
        .value_kind:     by_value
      - .offset:         872
        .size:           416
        .value_kind:     by_value
      - .offset:         1288
        .size:           8
        .value_kind:     by_value
      - .offset:         1296
        .size:           4
        .value_kind:     by_value
      - .offset:         1300
        .size:           4
        .value_kind:     by_value
      - .address_space:  global
        .offset:         1304
        .size:           8
        .value_kind:     global_buffer
      - .address_space:  global
        .offset:         1312
        .size:           8
        .value_kind:     global_buffer
      - .address_space:  global
        .offset:         1320
        .size:           8
        .value_kind:     global_buffer
      - .offset:         1328
        .size:           4
        .value_kind:     by_value
      - .offset:         1336
        .size:           4
        .value_kind:     hidden_block_count_x
      - .offset:         1340
        .size:           4
        .value_kind:     hidden_block_count_y
      - .offset:         1344
        .size:           4
        .value_kind:     hidden_block_count_z
      - .offset:         1348
        .size:           2
        .value_kind:     hidden_group_size_x
      - .offset:         1350
        .size:           2
        .value_kind:     hidden_group_size_y
      - .offset:         1352
        .size:           2
        .value_kind:     hidden_group_size_z
      - .offset:         1354
        .size:           2
        .value_kind:     hidden_remainder_x
      - .offset:         1356
        .size:           2
        .value_kind:     hidden_remainder_y
      - .offset:         1358
        .size:           2
        .value_kind:     hidden_remainder_z
      - .offset:         1376
        .size:           8
        .value_kind:     hidden_global_offset_x
      - .offset:         1384
        .size:           8
        .value_kind:     hidden_global_offset_y
      - .offset:         1392
        .size:           8
        .value_kind:     hidden_global_offset_z
      - .offset:         1400
        .size:           2
        .value_kind:     hidden_grid_dims
    .group_segment_fixed_size: 1068
    .kernarg_segment_align: 8
    .kernarg_segment_size: 1592
    .language:       OpenCL C
    .language_version:
      - 2
      - 0
    .max_flat_workgroup_size: 256
    .name:           _ZN2at6native6mbtopk10gatherTopKIlmLin1EEEvNS_4cuda6detail10TensorInfoIKT_T0_EES8_S8_bjS8_NS5_IS6_S8_EES8_NS5_IlS8_EES8_jjPS6_PjSD_j
    .private_segment_fixed_size: 0
    .sgpr_count:     65
    .sgpr_spill_count: 0
    .symbol:         _ZN2at6native6mbtopk10gatherTopKIlmLin1EEEvNS_4cuda6detail10TensorInfoIKT_T0_EES8_S8_bjS8_NS5_IS6_S8_EES8_NS5_IlS8_EES8_jjPS6_PjSD_j.kd
    .uniform_work_group_size: 1
    .uses_dynamic_stack: false
    .vgpr_count:     22
    .vgpr_spill_count: 0
    .wavefront_size: 64
  - .agpr_count:     0
    .args:
      - .offset:         0
        .size:           416
        .value_kind:     by_value
      - .offset:         416
        .size:           8
        .value_kind:     by_value
      - .offset:         424
        .size:           8
        .value_kind:     by_value
      - .offset:         432
        .size:           1
        .value_kind:     by_value
      - .offset:         440
        .size:           8
        .value_kind:     by_value
      - .offset:         448
        .size:           8
        .value_kind:     by_value
      - .offset:         456
        .size:           416
        .value_kind:     by_value
      - .offset:         872
        .size:           8
        .value_kind:     by_value
      - .offset:         880
        .size:           416
        .value_kind:     by_value
      - .offset:         1296
        .size:           8
        .value_kind:     by_value
      - .address_space:  global
        .offset:         1304
        .size:           8
        .value_kind:     global_buffer
      - .offset:         1312
        .size:           4
        .value_kind:     hidden_block_count_x
      - .offset:         1316
        .size:           4
        .value_kind:     hidden_block_count_y
      - .offset:         1320
        .size:           4
        .value_kind:     hidden_block_count_z
      - .offset:         1324
        .size:           2
        .value_kind:     hidden_group_size_x
      - .offset:         1326
        .size:           2
        .value_kind:     hidden_group_size_y
      - .offset:         1328
        .size:           2
        .value_kind:     hidden_group_size_z
      - .offset:         1330
        .size:           2
        .value_kind:     hidden_remainder_x
      - .offset:         1332
        .size:           2
        .value_kind:     hidden_remainder_y
      - .offset:         1334
        .size:           2
        .value_kind:     hidden_remainder_z
      - .offset:         1352
        .size:           8
        .value_kind:     hidden_global_offset_x
      - .offset:         1360
        .size:           8
        .value_kind:     hidden_global_offset_y
      - .offset:         1368
        .size:           8
        .value_kind:     hidden_global_offset_z
      - .offset:         1376
        .size:           2
        .value_kind:     hidden_grid_dims
    .group_segment_fixed_size: 5152
    .kernarg_segment_align: 8
    .kernarg_segment_size: 1568
    .language:       OpenCL C
    .language_version:
      - 2
      - 0
    .max_flat_workgroup_size: 1024
    .name:           _ZN2at6native6sbtopk10gatherTopKIlmLin1ELb0EEEvNS_4cuda6detail10TensorInfoIKT_T0_EES8_S8_bS8_S8_NS5_IS6_S8_EES8_NS5_IlS8_EES8_PS6_
    .private_segment_fixed_size: 0
    .sgpr_count:     100
    .sgpr_spill_count: 94
    .symbol:         _ZN2at6native6sbtopk10gatherTopKIlmLin1ELb0EEEvNS_4cuda6detail10TensorInfoIKT_T0_EES8_S8_bS8_S8_NS5_IS6_S8_EES8_NS5_IlS8_EES8_PS6_.kd
    .uniform_work_group_size: 1
    .uses_dynamic_stack: false
    .vgpr_count:     74
    .vgpr_spill_count: 0
    .wavefront_size: 64
  - .agpr_count:     0
    .args:
      - .offset:         0
        .size:           416
        .value_kind:     by_value
      - .offset:         416
        .size:           4
        .value_kind:     by_value
      - .address_space:  global
        .offset:         424
        .size:           8
        .value_kind:     global_buffer
      - .offset:         432
        .size:           4
        .value_kind:     by_value
      - .offset:         440
        .size:           8
        .value_kind:     by_value
      - .offset:         448
        .size:           4
        .value_kind:     by_value
      - .offset:         452
        .size:           4
        .value_kind:     by_value
      - .offset:         456
        .size:           4
        .value_kind:     by_value
      - .offset:         460
        .size:           4
        .value_kind:     by_value
      - .address_space:  global
        .offset:         464
        .size:           8
        .value_kind:     global_buffer
      - .address_space:  global
        .offset:         472
        .size:           8
        .value_kind:     global_buffer
      - .offset:         480
        .size:           4
        .value_kind:     hidden_block_count_x
      - .offset:         484
        .size:           4
        .value_kind:     hidden_block_count_y
      - .offset:         488
        .size:           4
        .value_kind:     hidden_block_count_z
      - .offset:         492
        .size:           2
        .value_kind:     hidden_group_size_x
      - .offset:         494
        .size:           2
        .value_kind:     hidden_group_size_y
      - .offset:         496
        .size:           2
        .value_kind:     hidden_group_size_z
      - .offset:         498
        .size:           2
        .value_kind:     hidden_remainder_x
      - .offset:         500
        .size:           2
        .value_kind:     hidden_remainder_y
      - .offset:         502
        .size:           2
        .value_kind:     hidden_remainder_z
      - .offset:         520
        .size:           8
        .value_kind:     hidden_global_offset_x
      - .offset:         528
        .size:           8
        .value_kind:     hidden_global_offset_y
      - .offset:         536
        .size:           8
        .value_kind:     hidden_global_offset_z
      - .offset:         544
        .size:           2
        .value_kind:     hidden_grid_dims
    .group_segment_fixed_size: 1024
    .kernarg_segment_align: 8
    .kernarg_segment_size: 736
    .language:       OpenCL C
    .language_version:
      - 2
      - 0
    .max_flat_workgroup_size: 256
    .name:           _ZN2at6native6mbtopk23computeBlockDigitCountsIsmjLi1EEEvNS_4cuda6detail10TensorInfoIKT_T0_EEjPjjS8_iijT1_PSB_Ps
    .private_segment_fixed_size: 0
    .sgpr_count:     28
    .sgpr_spill_count: 0
    .symbol:         _ZN2at6native6mbtopk23computeBlockDigitCountsIsmjLi1EEEvNS_4cuda6detail10TensorInfoIKT_T0_EEjPjjS8_iijT1_PSB_Ps.kd
    .uniform_work_group_size: 1
    .uses_dynamic_stack: false
    .vgpr_count:     10
    .vgpr_spill_count: 0
    .wavefront_size: 64
  - .agpr_count:     0
    .args:
      - .offset:         0
        .size:           416
        .value_kind:     by_value
      - .offset:         416
        .size:           8
        .value_kind:     by_value
      - .offset:         424
        .size:           8
        .value_kind:     by_value
      - .offset:         432
        .size:           1
        .value_kind:     by_value
      - .offset:         436
        .size:           4
        .value_kind:     by_value
      - .offset:         440
        .size:           8
        .value_kind:     by_value
      - .offset:         448
        .size:           416
        .value_kind:     by_value
      - .offset:         864
        .size:           8
        .value_kind:     by_value
      - .offset:         872
        .size:           416
        .value_kind:     by_value
      - .offset:         1288
        .size:           8
        .value_kind:     by_value
      - .offset:         1296
        .size:           4
        .value_kind:     by_value
      - .offset:         1300
        .size:           4
        .value_kind:     by_value
      - .address_space:  global
        .offset:         1304
        .size:           8
        .value_kind:     global_buffer
      - .address_space:  global
        .offset:         1312
        .size:           8
        .value_kind:     global_buffer
      - .address_space:  global
        .offset:         1320
        .size:           8
        .value_kind:     global_buffer
      - .offset:         1328
        .size:           4
        .value_kind:     by_value
      - .offset:         1336
        .size:           4
        .value_kind:     hidden_block_count_x
      - .offset:         1340
        .size:           4
        .value_kind:     hidden_block_count_y
      - .offset:         1344
        .size:           4
        .value_kind:     hidden_block_count_z
      - .offset:         1348
        .size:           2
        .value_kind:     hidden_group_size_x
      - .offset:         1350
        .size:           2
        .value_kind:     hidden_group_size_y
      - .offset:         1352
        .size:           2
        .value_kind:     hidden_group_size_z
      - .offset:         1354
        .size:           2
        .value_kind:     hidden_remainder_x
      - .offset:         1356
        .size:           2
        .value_kind:     hidden_remainder_y
      - .offset:         1358
        .size:           2
        .value_kind:     hidden_remainder_z
      - .offset:         1376
        .size:           8
        .value_kind:     hidden_global_offset_x
      - .offset:         1384
        .size:           8
        .value_kind:     hidden_global_offset_y
      - .offset:         1392
        .size:           8
        .value_kind:     hidden_global_offset_z
      - .offset:         1400
        .size:           2
        .value_kind:     hidden_grid_dims
    .group_segment_fixed_size: 1068
    .kernarg_segment_align: 8
    .kernarg_segment_size: 1592
    .language:       OpenCL C
    .language_version:
      - 2
      - 0
    .max_flat_workgroup_size: 256
    .name:           _ZN2at6native6mbtopk10gatherTopKIsmLi1EEEvNS_4cuda6detail10TensorInfoIKT_T0_EES8_S8_bjS8_NS5_IS6_S8_EES8_NS5_IlS8_EES8_jjPS6_PjSD_j
    .private_segment_fixed_size: 0
    .sgpr_count:     48
    .sgpr_spill_count: 0
    .symbol:         _ZN2at6native6mbtopk10gatherTopKIsmLi1EEEvNS_4cuda6detail10TensorInfoIKT_T0_EES8_S8_bjS8_NS5_IS6_S8_EES8_NS5_IlS8_EES8_jjPS6_PjSD_j.kd
    .uniform_work_group_size: 1
    .uses_dynamic_stack: false
    .vgpr_count:     24
    .vgpr_spill_count: 0
    .wavefront_size: 64
  - .agpr_count:     0
    .args:
      - .offset:         0
        .size:           416
        .value_kind:     by_value
      - .offset:         416
        .size:           8
        .value_kind:     by_value
      - .offset:         424
        .size:           8
        .value_kind:     by_value
      - .offset:         432
        .size:           1
        .value_kind:     by_value
      - .offset:         440
        .size:           8
        .value_kind:     by_value
      - .offset:         448
        .size:           8
        .value_kind:     by_value
      - .offset:         456
        .size:           416
        .value_kind:     by_value
      - .offset:         872
        .size:           8
        .value_kind:     by_value
      - .offset:         880
        .size:           416
        .value_kind:     by_value
      - .offset:         1296
        .size:           8
        .value_kind:     by_value
      - .address_space:  global
        .offset:         1304
        .size:           8
        .value_kind:     global_buffer
      - .offset:         1312
        .size:           4
        .value_kind:     hidden_block_count_x
      - .offset:         1316
        .size:           4
        .value_kind:     hidden_block_count_y
      - .offset:         1320
        .size:           4
        .value_kind:     hidden_block_count_z
      - .offset:         1324
        .size:           2
        .value_kind:     hidden_group_size_x
      - .offset:         1326
        .size:           2
        .value_kind:     hidden_group_size_y
      - .offset:         1328
        .size:           2
        .value_kind:     hidden_group_size_z
      - .offset:         1330
        .size:           2
        .value_kind:     hidden_remainder_x
      - .offset:         1332
        .size:           2
        .value_kind:     hidden_remainder_y
      - .offset:         1334
        .size:           2
        .value_kind:     hidden_remainder_z
      - .offset:         1352
        .size:           8
        .value_kind:     hidden_global_offset_x
      - .offset:         1360
        .size:           8
        .value_kind:     hidden_global_offset_y
      - .offset:         1368
        .size:           8
        .value_kind:     hidden_global_offset_z
      - .offset:         1376
        .size:           2
        .value_kind:     hidden_grid_dims
    .group_segment_fixed_size: 5152
    .kernarg_segment_align: 8
    .kernarg_segment_size: 1568
    .language:       OpenCL C
    .language_version:
      - 2
      - 0
    .max_flat_workgroup_size: 1024
    .name:           _ZN2at6native6sbtopk10gatherTopKIsmLi1ELb0EEEvNS_4cuda6detail10TensorInfoIKT_T0_EES8_S8_bS8_S8_NS5_IS6_S8_EES8_NS5_IlS8_EES8_PS6_
    .private_segment_fixed_size: 0
    .sgpr_count:     100
    .sgpr_spill_count: 76
    .symbol:         _ZN2at6native6sbtopk10gatherTopKIsmLi1ELb0EEEvNS_4cuda6detail10TensorInfoIKT_T0_EES8_S8_bS8_S8_NS5_IS6_S8_EES8_NS5_IlS8_EES8_PS6_.kd
    .uniform_work_group_size: 1
    .uses_dynamic_stack: false
    .vgpr_count:     53
    .vgpr_spill_count: 0
    .wavefront_size: 64
  - .agpr_count:     0
    .args:
      - .offset:         0
        .size:           416
        .value_kind:     by_value
      - .offset:         416
        .size:           4
        .value_kind:     by_value
      - .address_space:  global
        .offset:         424
        .size:           8
        .value_kind:     global_buffer
      - .offset:         432
        .size:           4
        .value_kind:     by_value
      - .offset:         440
        .size:           8
        .value_kind:     by_value
      - .offset:         448
        .size:           4
        .value_kind:     by_value
      - .offset:         452
        .size:           4
        .value_kind:     by_value
      - .offset:         456
        .size:           4
        .value_kind:     by_value
      - .offset:         460
        .size:           4
        .value_kind:     by_value
      - .address_space:  global
        .offset:         464
        .size:           8
        .value_kind:     global_buffer
      - .address_space:  global
        .offset:         472
        .size:           8
        .value_kind:     global_buffer
      - .offset:         480
        .size:           4
        .value_kind:     hidden_block_count_x
      - .offset:         484
        .size:           4
        .value_kind:     hidden_block_count_y
      - .offset:         488
        .size:           4
        .value_kind:     hidden_block_count_z
      - .offset:         492
        .size:           2
        .value_kind:     hidden_group_size_x
      - .offset:         494
        .size:           2
        .value_kind:     hidden_group_size_y
      - .offset:         496
        .size:           2
        .value_kind:     hidden_group_size_z
      - .offset:         498
        .size:           2
        .value_kind:     hidden_remainder_x
      - .offset:         500
        .size:           2
        .value_kind:     hidden_remainder_y
      - .offset:         502
        .size:           2
        .value_kind:     hidden_remainder_z
      - .offset:         520
        .size:           8
        .value_kind:     hidden_global_offset_x
      - .offset:         528
        .size:           8
        .value_kind:     hidden_global_offset_y
      - .offset:         536
        .size:           8
        .value_kind:     hidden_global_offset_z
      - .offset:         544
        .size:           2
        .value_kind:     hidden_grid_dims
    .group_segment_fixed_size: 1024
    .kernarg_segment_align: 8
    .kernarg_segment_size: 736
    .language:       OpenCL C
    .language_version:
      - 2
      - 0
    .max_flat_workgroup_size: 256
    .name:           _ZN2at6native6mbtopk23computeBlockDigitCountsIsmjLi2EEEvNS_4cuda6detail10TensorInfoIKT_T0_EEjPjjS8_iijT1_PSB_Ps
    .private_segment_fixed_size: 0
    .sgpr_count:     30
    .sgpr_spill_count: 0
    .symbol:         _ZN2at6native6mbtopk23computeBlockDigitCountsIsmjLi2EEEvNS_4cuda6detail10TensorInfoIKT_T0_EEjPjjS8_iijT1_PSB_Ps.kd
    .uniform_work_group_size: 1
    .uses_dynamic_stack: false
    .vgpr_count:     10
    .vgpr_spill_count: 0
    .wavefront_size: 64
  - .agpr_count:     0
    .args:
      - .offset:         0
        .size:           416
        .value_kind:     by_value
      - .offset:         416
        .size:           8
        .value_kind:     by_value
      - .offset:         424
        .size:           8
        .value_kind:     by_value
      - .offset:         432
        .size:           1
        .value_kind:     by_value
      - .offset:         436
        .size:           4
        .value_kind:     by_value
      - .offset:         440
        .size:           8
        .value_kind:     by_value
      - .offset:         448
        .size:           416
        .value_kind:     by_value
      - .offset:         864
        .size:           8
        .value_kind:     by_value
      - .offset:         872
        .size:           416
        .value_kind:     by_value
      - .offset:         1288
        .size:           8
        .value_kind:     by_value
      - .offset:         1296
        .size:           4
        .value_kind:     by_value
      - .offset:         1300
        .size:           4
        .value_kind:     by_value
      - .address_space:  global
        .offset:         1304
        .size:           8
        .value_kind:     global_buffer
      - .address_space:  global
        .offset:         1312
        .size:           8
        .value_kind:     global_buffer
      - .address_space:  global
        .offset:         1320
        .size:           8
        .value_kind:     global_buffer
      - .offset:         1328
        .size:           4
        .value_kind:     by_value
      - .offset:         1336
        .size:           4
        .value_kind:     hidden_block_count_x
      - .offset:         1340
        .size:           4
        .value_kind:     hidden_block_count_y
      - .offset:         1344
        .size:           4
        .value_kind:     hidden_block_count_z
      - .offset:         1348
        .size:           2
        .value_kind:     hidden_group_size_x
      - .offset:         1350
        .size:           2
        .value_kind:     hidden_group_size_y
      - .offset:         1352
        .size:           2
        .value_kind:     hidden_group_size_z
      - .offset:         1354
        .size:           2
        .value_kind:     hidden_remainder_x
      - .offset:         1356
        .size:           2
        .value_kind:     hidden_remainder_y
      - .offset:         1358
        .size:           2
        .value_kind:     hidden_remainder_z
      - .offset:         1376
        .size:           8
        .value_kind:     hidden_global_offset_x
      - .offset:         1384
        .size:           8
        .value_kind:     hidden_global_offset_y
      - .offset:         1392
        .size:           8
        .value_kind:     hidden_global_offset_z
      - .offset:         1400
        .size:           2
        .value_kind:     hidden_grid_dims
    .group_segment_fixed_size: 1068
    .kernarg_segment_align: 8
    .kernarg_segment_size: 1592
    .language:       OpenCL C
    .language_version:
      - 2
      - 0
    .max_flat_workgroup_size: 256
    .name:           _ZN2at6native6mbtopk10gatherTopKIsmLi2EEEvNS_4cuda6detail10TensorInfoIKT_T0_EES8_S8_bjS8_NS5_IS6_S8_EES8_NS5_IlS8_EES8_jjPS6_PjSD_j
    .private_segment_fixed_size: 0
    .sgpr_count:     54
    .sgpr_spill_count: 0
    .symbol:         _ZN2at6native6mbtopk10gatherTopKIsmLi2EEEvNS_4cuda6detail10TensorInfoIKT_T0_EES8_S8_bjS8_NS5_IS6_S8_EES8_NS5_IlS8_EES8_jjPS6_PjSD_j.kd
    .uniform_work_group_size: 1
    .uses_dynamic_stack: false
    .vgpr_count:     24
    .vgpr_spill_count: 0
    .wavefront_size: 64
  - .agpr_count:     0
    .args:
      - .offset:         0
        .size:           416
        .value_kind:     by_value
      - .offset:         416
        .size:           8
        .value_kind:     by_value
      - .offset:         424
        .size:           8
        .value_kind:     by_value
      - .offset:         432
        .size:           1
        .value_kind:     by_value
      - .offset:         440
        .size:           8
        .value_kind:     by_value
      - .offset:         448
        .size:           8
        .value_kind:     by_value
      - .offset:         456
        .size:           416
        .value_kind:     by_value
      - .offset:         872
        .size:           8
        .value_kind:     by_value
      - .offset:         880
        .size:           416
        .value_kind:     by_value
      - .offset:         1296
        .size:           8
        .value_kind:     by_value
      - .address_space:  global
        .offset:         1304
        .size:           8
        .value_kind:     global_buffer
      - .offset:         1312
        .size:           4
        .value_kind:     hidden_block_count_x
      - .offset:         1316
        .size:           4
        .value_kind:     hidden_block_count_y
      - .offset:         1320
        .size:           4
        .value_kind:     hidden_block_count_z
      - .offset:         1324
        .size:           2
        .value_kind:     hidden_group_size_x
      - .offset:         1326
        .size:           2
        .value_kind:     hidden_group_size_y
      - .offset:         1328
        .size:           2
        .value_kind:     hidden_group_size_z
      - .offset:         1330
        .size:           2
        .value_kind:     hidden_remainder_x
      - .offset:         1332
        .size:           2
        .value_kind:     hidden_remainder_y
      - .offset:         1334
        .size:           2
        .value_kind:     hidden_remainder_z
      - .offset:         1352
        .size:           8
        .value_kind:     hidden_global_offset_x
      - .offset:         1360
        .size:           8
        .value_kind:     hidden_global_offset_y
      - .offset:         1368
        .size:           8
        .value_kind:     hidden_global_offset_z
      - .offset:         1376
        .size:           2
        .value_kind:     hidden_grid_dims
    .group_segment_fixed_size: 5152
    .kernarg_segment_align: 8
    .kernarg_segment_size: 1568
    .language:       OpenCL C
    .language_version:
      - 2
      - 0
    .max_flat_workgroup_size: 1024
    .name:           _ZN2at6native6sbtopk10gatherTopKIsmLi2ELb0EEEvNS_4cuda6detail10TensorInfoIKT_T0_EES8_S8_bS8_S8_NS5_IS6_S8_EES8_NS5_IlS8_EES8_PS6_
    .private_segment_fixed_size: 0
    .sgpr_count:     100
    .sgpr_spill_count: 84
    .symbol:         _ZN2at6native6sbtopk10gatherTopKIsmLi2ELb0EEEvNS_4cuda6detail10TensorInfoIKT_T0_EES8_S8_bS8_S8_NS5_IS6_S8_EES8_NS5_IlS8_EES8_PS6_.kd
    .uniform_work_group_size: 1
    .uses_dynamic_stack: false
    .vgpr_count:     47
    .vgpr_spill_count: 0
    .wavefront_size: 64
  - .agpr_count:     0
    .args:
      - .offset:         0
        .size:           416
        .value_kind:     by_value
      - .offset:         416
        .size:           4
        .value_kind:     by_value
      - .address_space:  global
        .offset:         424
        .size:           8
        .value_kind:     global_buffer
      - .offset:         432
        .size:           4
        .value_kind:     by_value
      - .offset:         440
        .size:           8
        .value_kind:     by_value
      - .offset:         448
        .size:           4
        .value_kind:     by_value
      - .offset:         452
        .size:           4
        .value_kind:     by_value
      - .offset:         456
        .size:           4
        .value_kind:     by_value
      - .offset:         460
        .size:           4
        .value_kind:     by_value
      - .address_space:  global
        .offset:         464
        .size:           8
        .value_kind:     global_buffer
      - .address_space:  global
        .offset:         472
        .size:           8
        .value_kind:     global_buffer
      - .offset:         480
        .size:           4
        .value_kind:     hidden_block_count_x
      - .offset:         484
        .size:           4
        .value_kind:     hidden_block_count_y
      - .offset:         488
        .size:           4
        .value_kind:     hidden_block_count_z
      - .offset:         492
        .size:           2
        .value_kind:     hidden_group_size_x
      - .offset:         494
        .size:           2
        .value_kind:     hidden_group_size_y
      - .offset:         496
        .size:           2
        .value_kind:     hidden_group_size_z
      - .offset:         498
        .size:           2
        .value_kind:     hidden_remainder_x
      - .offset:         500
        .size:           2
        .value_kind:     hidden_remainder_y
      - .offset:         502
        .size:           2
        .value_kind:     hidden_remainder_z
      - .offset:         520
        .size:           8
        .value_kind:     hidden_global_offset_x
      - .offset:         528
        .size:           8
        .value_kind:     hidden_global_offset_y
      - .offset:         536
        .size:           8
        .value_kind:     hidden_global_offset_z
      - .offset:         544
        .size:           2
        .value_kind:     hidden_grid_dims
    .group_segment_fixed_size: 1024
    .kernarg_segment_align: 8
    .kernarg_segment_size: 736
    .language:       OpenCL C
    .language_version:
      - 2
      - 0
    .max_flat_workgroup_size: 256
    .name:           _ZN2at6native6mbtopk23computeBlockDigitCountsIsmjLi3EEEvNS_4cuda6detail10TensorInfoIKT_T0_EEjPjjS8_iijT1_PSB_Ps
    .private_segment_fixed_size: 0
    .sgpr_count:     32
    .sgpr_spill_count: 0
    .symbol:         _ZN2at6native6mbtopk23computeBlockDigitCountsIsmjLi3EEEvNS_4cuda6detail10TensorInfoIKT_T0_EEjPjjS8_iijT1_PSB_Ps.kd
    .uniform_work_group_size: 1
    .uses_dynamic_stack: false
    .vgpr_count:     10
    .vgpr_spill_count: 0
    .wavefront_size: 64
  - .agpr_count:     0
    .args:
      - .offset:         0
        .size:           416
        .value_kind:     by_value
      - .offset:         416
        .size:           8
        .value_kind:     by_value
      - .offset:         424
        .size:           8
        .value_kind:     by_value
      - .offset:         432
        .size:           1
        .value_kind:     by_value
      - .offset:         436
        .size:           4
        .value_kind:     by_value
      - .offset:         440
        .size:           8
        .value_kind:     by_value
      - .offset:         448
        .size:           416
        .value_kind:     by_value
      - .offset:         864
        .size:           8
        .value_kind:     by_value
      - .offset:         872
        .size:           416
        .value_kind:     by_value
      - .offset:         1288
        .size:           8
        .value_kind:     by_value
      - .offset:         1296
        .size:           4
        .value_kind:     by_value
      - .offset:         1300
        .size:           4
        .value_kind:     by_value
      - .address_space:  global
        .offset:         1304
        .size:           8
        .value_kind:     global_buffer
      - .address_space:  global
        .offset:         1312
        .size:           8
        .value_kind:     global_buffer
      - .address_space:  global
        .offset:         1320
        .size:           8
        .value_kind:     global_buffer
      - .offset:         1328
        .size:           4
        .value_kind:     by_value
      - .offset:         1336
        .size:           4
        .value_kind:     hidden_block_count_x
      - .offset:         1340
        .size:           4
        .value_kind:     hidden_block_count_y
      - .offset:         1344
        .size:           4
        .value_kind:     hidden_block_count_z
      - .offset:         1348
        .size:           2
        .value_kind:     hidden_group_size_x
      - .offset:         1350
        .size:           2
        .value_kind:     hidden_group_size_y
      - .offset:         1352
        .size:           2
        .value_kind:     hidden_group_size_z
      - .offset:         1354
        .size:           2
        .value_kind:     hidden_remainder_x
      - .offset:         1356
        .size:           2
        .value_kind:     hidden_remainder_y
      - .offset:         1358
        .size:           2
        .value_kind:     hidden_remainder_z
      - .offset:         1376
        .size:           8
        .value_kind:     hidden_global_offset_x
      - .offset:         1384
        .size:           8
        .value_kind:     hidden_global_offset_y
      - .offset:         1392
        .size:           8
        .value_kind:     hidden_global_offset_z
      - .offset:         1400
        .size:           2
        .value_kind:     hidden_grid_dims
    .group_segment_fixed_size: 1068
    .kernarg_segment_align: 8
    .kernarg_segment_size: 1592
    .language:       OpenCL C
    .language_version:
      - 2
      - 0
    .max_flat_workgroup_size: 256
    .name:           _ZN2at6native6mbtopk10gatherTopKIsmLi3EEEvNS_4cuda6detail10TensorInfoIKT_T0_EES8_S8_bjS8_NS5_IS6_S8_EES8_NS5_IlS8_EES8_jjPS6_PjSD_j
    .private_segment_fixed_size: 0
    .sgpr_count:     81
    .sgpr_spill_count: 0
    .symbol:         _ZN2at6native6mbtopk10gatherTopKIsmLi3EEEvNS_4cuda6detail10TensorInfoIKT_T0_EES8_S8_bjS8_NS5_IS6_S8_EES8_NS5_IlS8_EES8_jjPS6_PjSD_j.kd
    .uniform_work_group_size: 1
    .uses_dynamic_stack: false
    .vgpr_count:     24
    .vgpr_spill_count: 0
    .wavefront_size: 64
  - .agpr_count:     0
    .args:
      - .offset:         0
        .size:           416
        .value_kind:     by_value
      - .offset:         416
        .size:           8
        .value_kind:     by_value
      - .offset:         424
        .size:           8
        .value_kind:     by_value
      - .offset:         432
        .size:           1
        .value_kind:     by_value
      - .offset:         440
        .size:           8
        .value_kind:     by_value
      - .offset:         448
        .size:           8
        .value_kind:     by_value
      - .offset:         456
        .size:           416
        .value_kind:     by_value
      - .offset:         872
        .size:           8
        .value_kind:     by_value
      - .offset:         880
        .size:           416
        .value_kind:     by_value
      - .offset:         1296
        .size:           8
        .value_kind:     by_value
      - .address_space:  global
        .offset:         1304
        .size:           8
        .value_kind:     global_buffer
      - .offset:         1312
        .size:           4
        .value_kind:     hidden_block_count_x
      - .offset:         1316
        .size:           4
        .value_kind:     hidden_block_count_y
      - .offset:         1320
        .size:           4
        .value_kind:     hidden_block_count_z
      - .offset:         1324
        .size:           2
        .value_kind:     hidden_group_size_x
      - .offset:         1326
        .size:           2
        .value_kind:     hidden_group_size_y
      - .offset:         1328
        .size:           2
        .value_kind:     hidden_group_size_z
      - .offset:         1330
        .size:           2
        .value_kind:     hidden_remainder_x
      - .offset:         1332
        .size:           2
        .value_kind:     hidden_remainder_y
      - .offset:         1334
        .size:           2
        .value_kind:     hidden_remainder_z
      - .offset:         1352
        .size:           8
        .value_kind:     hidden_global_offset_x
      - .offset:         1360
        .size:           8
        .value_kind:     hidden_global_offset_y
      - .offset:         1368
        .size:           8
        .value_kind:     hidden_global_offset_z
      - .offset:         1376
        .size:           2
        .value_kind:     hidden_grid_dims
    .group_segment_fixed_size: 5152
    .kernarg_segment_align: 8
    .kernarg_segment_size: 1568
    .language:       OpenCL C
    .language_version:
      - 2
      - 0
    .max_flat_workgroup_size: 1024
    .name:           _ZN2at6native6sbtopk10gatherTopKIsmLi3ELb0EEEvNS_4cuda6detail10TensorInfoIKT_T0_EES8_S8_bS8_S8_NS5_IS6_S8_EES8_NS5_IlS8_EES8_PS6_
    .private_segment_fixed_size: 0
    .sgpr_count:     100
    .sgpr_spill_count: 96
    .symbol:         _ZN2at6native6sbtopk10gatherTopKIsmLi3ELb0EEEvNS_4cuda6detail10TensorInfoIKT_T0_EES8_S8_bS8_S8_NS5_IS6_S8_EES8_NS5_IlS8_EES8_PS6_.kd
    .uniform_work_group_size: 1
    .uses_dynamic_stack: false
    .vgpr_count:     48
    .vgpr_spill_count: 0
    .wavefront_size: 64
  - .agpr_count:     0
    .args:
      - .offset:         0
        .size:           416
        .value_kind:     by_value
      - .offset:         416
        .size:           4
        .value_kind:     by_value
      - .address_space:  global
        .offset:         424
        .size:           8
        .value_kind:     global_buffer
      - .offset:         432
        .size:           4
        .value_kind:     by_value
      - .offset:         440
        .size:           8
        .value_kind:     by_value
      - .offset:         448
        .size:           4
        .value_kind:     by_value
      - .offset:         452
        .size:           4
        .value_kind:     by_value
      - .offset:         456
        .size:           4
        .value_kind:     by_value
      - .offset:         460
        .size:           4
        .value_kind:     by_value
      - .address_space:  global
        .offset:         464
        .size:           8
        .value_kind:     global_buffer
      - .address_space:  global
        .offset:         472
        .size:           8
        .value_kind:     global_buffer
      - .offset:         480
        .size:           4
        .value_kind:     hidden_block_count_x
      - .offset:         484
        .size:           4
        .value_kind:     hidden_block_count_y
      - .offset:         488
        .size:           4
        .value_kind:     hidden_block_count_z
      - .offset:         492
        .size:           2
        .value_kind:     hidden_group_size_x
      - .offset:         494
        .size:           2
        .value_kind:     hidden_group_size_y
      - .offset:         496
        .size:           2
        .value_kind:     hidden_group_size_z
      - .offset:         498
        .size:           2
        .value_kind:     hidden_remainder_x
      - .offset:         500
        .size:           2
        .value_kind:     hidden_remainder_y
      - .offset:         502
        .size:           2
        .value_kind:     hidden_remainder_z
      - .offset:         520
        .size:           8
        .value_kind:     hidden_global_offset_x
      - .offset:         528
        .size:           8
        .value_kind:     hidden_global_offset_y
      - .offset:         536
        .size:           8
        .value_kind:     hidden_global_offset_z
      - .offset:         544
        .size:           2
        .value_kind:     hidden_grid_dims
    .group_segment_fixed_size: 1024
    .kernarg_segment_align: 8
    .kernarg_segment_size: 736
    .language:       OpenCL C
    .language_version:
      - 2
      - 0
    .max_flat_workgroup_size: 256
    .name:           _ZN2at6native6mbtopk23computeBlockDigitCountsIsmjLin1EEEvNS_4cuda6detail10TensorInfoIKT_T0_EEjPjjS8_iijT1_PSB_Ps
    .private_segment_fixed_size: 0
    .sgpr_count:     35
    .sgpr_spill_count: 0
    .symbol:         _ZN2at6native6mbtopk23computeBlockDigitCountsIsmjLin1EEEvNS_4cuda6detail10TensorInfoIKT_T0_EEjPjjS8_iijT1_PSB_Ps.kd
    .uniform_work_group_size: 1
    .uses_dynamic_stack: false
    .vgpr_count:     10
    .vgpr_spill_count: 0
    .wavefront_size: 64
  - .agpr_count:     0
    .args:
      - .offset:         0
        .size:           416
        .value_kind:     by_value
      - .offset:         416
        .size:           8
        .value_kind:     by_value
      - .offset:         424
        .size:           8
        .value_kind:     by_value
      - .offset:         432
        .size:           1
        .value_kind:     by_value
      - .offset:         436
        .size:           4
        .value_kind:     by_value
      - .offset:         440
        .size:           8
        .value_kind:     by_value
      - .offset:         448
        .size:           416
        .value_kind:     by_value
      - .offset:         864
        .size:           8
        .value_kind:     by_value
      - .offset:         872
        .size:           416
        .value_kind:     by_value
      - .offset:         1288
        .size:           8
        .value_kind:     by_value
      - .offset:         1296
        .size:           4
        .value_kind:     by_value
      - .offset:         1300
        .size:           4
        .value_kind:     by_value
      - .address_space:  global
        .offset:         1304
        .size:           8
        .value_kind:     global_buffer
      - .address_space:  global
        .offset:         1312
        .size:           8
        .value_kind:     global_buffer
      - .address_space:  global
        .offset:         1320
        .size:           8
        .value_kind:     global_buffer
      - .offset:         1328
        .size:           4
        .value_kind:     by_value
      - .offset:         1336
        .size:           4
        .value_kind:     hidden_block_count_x
      - .offset:         1340
        .size:           4
        .value_kind:     hidden_block_count_y
      - .offset:         1344
        .size:           4
        .value_kind:     hidden_block_count_z
      - .offset:         1348
        .size:           2
        .value_kind:     hidden_group_size_x
      - .offset:         1350
        .size:           2
        .value_kind:     hidden_group_size_y
      - .offset:         1352
        .size:           2
        .value_kind:     hidden_group_size_z
      - .offset:         1354
        .size:           2
        .value_kind:     hidden_remainder_x
      - .offset:         1356
        .size:           2
        .value_kind:     hidden_remainder_y
      - .offset:         1358
        .size:           2
        .value_kind:     hidden_remainder_z
      - .offset:         1376
        .size:           8
        .value_kind:     hidden_global_offset_x
      - .offset:         1384
        .size:           8
        .value_kind:     hidden_global_offset_y
      - .offset:         1392
        .size:           8
        .value_kind:     hidden_global_offset_z
      - .offset:         1400
        .size:           2
        .value_kind:     hidden_grid_dims
    .group_segment_fixed_size: 1068
    .kernarg_segment_align: 8
    .kernarg_segment_size: 1592
    .language:       OpenCL C
    .language_version:
      - 2
      - 0
    .max_flat_workgroup_size: 256
    .name:           _ZN2at6native6mbtopk10gatherTopKIsmLin1EEEvNS_4cuda6detail10TensorInfoIKT_T0_EES8_S8_bjS8_NS5_IS6_S8_EES8_NS5_IlS8_EES8_jjPS6_PjSD_j
    .private_segment_fixed_size: 0
    .sgpr_count:     63
    .sgpr_spill_count: 0
    .symbol:         _ZN2at6native6mbtopk10gatherTopKIsmLin1EEEvNS_4cuda6detail10TensorInfoIKT_T0_EES8_S8_bjS8_NS5_IS6_S8_EES8_NS5_IlS8_EES8_jjPS6_PjSD_j.kd
    .uniform_work_group_size: 1
    .uses_dynamic_stack: false
    .vgpr_count:     24
    .vgpr_spill_count: 0
    .wavefront_size: 64
  - .agpr_count:     0
    .args:
      - .offset:         0
        .size:           416
        .value_kind:     by_value
      - .offset:         416
        .size:           8
        .value_kind:     by_value
      - .offset:         424
        .size:           8
        .value_kind:     by_value
      - .offset:         432
        .size:           1
        .value_kind:     by_value
      - .offset:         440
        .size:           8
        .value_kind:     by_value
      - .offset:         448
        .size:           8
        .value_kind:     by_value
      - .offset:         456
        .size:           416
        .value_kind:     by_value
      - .offset:         872
        .size:           8
        .value_kind:     by_value
      - .offset:         880
        .size:           416
        .value_kind:     by_value
      - .offset:         1296
        .size:           8
        .value_kind:     by_value
      - .address_space:  global
        .offset:         1304
        .size:           8
        .value_kind:     global_buffer
      - .offset:         1312
        .size:           4
        .value_kind:     hidden_block_count_x
      - .offset:         1316
        .size:           4
        .value_kind:     hidden_block_count_y
      - .offset:         1320
        .size:           4
        .value_kind:     hidden_block_count_z
      - .offset:         1324
        .size:           2
        .value_kind:     hidden_group_size_x
      - .offset:         1326
        .size:           2
        .value_kind:     hidden_group_size_y
      - .offset:         1328
        .size:           2
        .value_kind:     hidden_group_size_z
      - .offset:         1330
        .size:           2
        .value_kind:     hidden_remainder_x
      - .offset:         1332
        .size:           2
        .value_kind:     hidden_remainder_y
      - .offset:         1334
        .size:           2
        .value_kind:     hidden_remainder_z
      - .offset:         1352
        .size:           8
        .value_kind:     hidden_global_offset_x
      - .offset:         1360
        .size:           8
        .value_kind:     hidden_global_offset_y
      - .offset:         1368
        .size:           8
        .value_kind:     hidden_global_offset_z
      - .offset:         1376
        .size:           2
        .value_kind:     hidden_grid_dims
    .group_segment_fixed_size: 5152
    .kernarg_segment_align: 8
    .kernarg_segment_size: 1568
    .language:       OpenCL C
    .language_version:
      - 2
      - 0
    .max_flat_workgroup_size: 1024
    .name:           _ZN2at6native6sbtopk10gatherTopKIsmLin1ELb0EEEvNS_4cuda6detail10TensorInfoIKT_T0_EES8_S8_bS8_S8_NS5_IS6_S8_EES8_NS5_IlS8_EES8_PS6_
    .private_segment_fixed_size: 0
    .sgpr_count:     100
    .sgpr_spill_count: 88
    .symbol:         _ZN2at6native6sbtopk10gatherTopKIsmLin1ELb0EEEvNS_4cuda6detail10TensorInfoIKT_T0_EES8_S8_bS8_S8_NS5_IS6_S8_EES8_NS5_IlS8_EES8_PS6_.kd
    .uniform_work_group_size: 1
    .uses_dynamic_stack: false
    .vgpr_count:     57
    .vgpr_spill_count: 0
    .wavefront_size: 64
  - .agpr_count:     0
    .args:
      - .offset:         0
        .size:           416
        .value_kind:     by_value
      - .offset:         416
        .size:           4
        .value_kind:     by_value
      - .address_space:  global
        .offset:         424
        .size:           8
        .value_kind:     global_buffer
      - .offset:         432
        .size:           4
        .value_kind:     by_value
      - .offset:         440
        .size:           8
        .value_kind:     by_value
      - .offset:         448
        .size:           4
        .value_kind:     by_value
      - .offset:         452
        .size:           4
        .value_kind:     by_value
      - .offset:         456
        .size:           4
        .value_kind:     by_value
      - .offset:         464
        .size:           8
        .value_kind:     by_value
      - .address_space:  global
        .offset:         472
        .size:           8
        .value_kind:     global_buffer
      - .address_space:  global
        .offset:         480
        .size:           8
        .value_kind:     global_buffer
      - .offset:         488
        .size:           4
        .value_kind:     hidden_block_count_x
      - .offset:         492
        .size:           4
        .value_kind:     hidden_block_count_y
      - .offset:         496
        .size:           4
        .value_kind:     hidden_block_count_z
      - .offset:         500
        .size:           2
        .value_kind:     hidden_group_size_x
      - .offset:         502
        .size:           2
        .value_kind:     hidden_group_size_y
      - .offset:         504
        .size:           2
        .value_kind:     hidden_group_size_z
      - .offset:         506
        .size:           2
        .value_kind:     hidden_remainder_x
      - .offset:         508
        .size:           2
        .value_kind:     hidden_remainder_y
      - .offset:         510
        .size:           2
        .value_kind:     hidden_remainder_z
      - .offset:         528
        .size:           8
        .value_kind:     hidden_global_offset_x
      - .offset:         536
        .size:           8
        .value_kind:     hidden_global_offset_y
      - .offset:         544
        .size:           8
        .value_kind:     hidden_global_offset_z
      - .offset:         552
        .size:           2
        .value_kind:     hidden_grid_dims
    .group_segment_fixed_size: 1024
    .kernarg_segment_align: 8
    .kernarg_segment_size: 744
    .language:       OpenCL C
    .language_version:
      - 2
      - 0
    .max_flat_workgroup_size: 256
    .name:           _ZN2at6native6mbtopk23computeBlockDigitCountsIdmmLi1EEEvNS_4cuda6detail10TensorInfoIKT_T0_EEjPjjS8_iijT1_PSB_Ps
    .private_segment_fixed_size: 0
    .sgpr_count:     28
    .sgpr_spill_count: 0
    .symbol:         _ZN2at6native6mbtopk23computeBlockDigitCountsIdmmLi1EEEvNS_4cuda6detail10TensorInfoIKT_T0_EEjPjjS8_iijT1_PSB_Ps.kd
    .uniform_work_group_size: 1
    .uses_dynamic_stack: false
    .vgpr_count:     12
    .vgpr_spill_count: 0
    .wavefront_size: 64
  - .agpr_count:     0
    .args:
      - .offset:         0
        .size:           416
        .value_kind:     by_value
      - .offset:         416
        .size:           8
        .value_kind:     by_value
      - .offset:         424
        .size:           8
        .value_kind:     by_value
      - .offset:         432
        .size:           1
        .value_kind:     by_value
      - .offset:         436
        .size:           4
        .value_kind:     by_value
      - .offset:         440
        .size:           8
        .value_kind:     by_value
      - .offset:         448
        .size:           416
        .value_kind:     by_value
      - .offset:         864
        .size:           8
        .value_kind:     by_value
      - .offset:         872
        .size:           416
        .value_kind:     by_value
      - .offset:         1288
        .size:           8
        .value_kind:     by_value
      - .offset:         1296
        .size:           4
        .value_kind:     by_value
      - .offset:         1300
        .size:           4
        .value_kind:     by_value
      - .address_space:  global
        .offset:         1304
        .size:           8
        .value_kind:     global_buffer
      - .address_space:  global
        .offset:         1312
        .size:           8
        .value_kind:     global_buffer
      - .address_space:  global
        .offset:         1320
        .size:           8
        .value_kind:     global_buffer
      - .offset:         1328
        .size:           4
        .value_kind:     by_value
      - .offset:         1336
        .size:           4
        .value_kind:     hidden_block_count_x
      - .offset:         1340
        .size:           4
        .value_kind:     hidden_block_count_y
      - .offset:         1344
        .size:           4
        .value_kind:     hidden_block_count_z
      - .offset:         1348
        .size:           2
        .value_kind:     hidden_group_size_x
      - .offset:         1350
        .size:           2
        .value_kind:     hidden_group_size_y
      - .offset:         1352
        .size:           2
        .value_kind:     hidden_group_size_z
      - .offset:         1354
        .size:           2
        .value_kind:     hidden_remainder_x
      - .offset:         1356
        .size:           2
        .value_kind:     hidden_remainder_y
      - .offset:         1358
        .size:           2
        .value_kind:     hidden_remainder_z
      - .offset:         1376
        .size:           8
        .value_kind:     hidden_global_offset_x
      - .offset:         1384
        .size:           8
        .value_kind:     hidden_global_offset_y
      - .offset:         1392
        .size:           8
        .value_kind:     hidden_global_offset_z
      - .offset:         1400
        .size:           2
        .value_kind:     hidden_grid_dims
    .group_segment_fixed_size: 1068
    .kernarg_segment_align: 8
    .kernarg_segment_size: 1592
    .language:       OpenCL C
    .language_version:
      - 2
      - 0
    .max_flat_workgroup_size: 256
    .name:           _ZN2at6native6mbtopk10gatherTopKIdmLi1EEEvNS_4cuda6detail10TensorInfoIKT_T0_EES8_S8_bjS8_NS5_IS6_S8_EES8_NS5_IlS8_EES8_jjPS6_PjSD_j
    .private_segment_fixed_size: 0
    .sgpr_count:     50
    .sgpr_spill_count: 0
    .symbol:         _ZN2at6native6mbtopk10gatherTopKIdmLi1EEEvNS_4cuda6detail10TensorInfoIKT_T0_EES8_S8_bjS8_NS5_IS6_S8_EES8_NS5_IlS8_EES8_jjPS6_PjSD_j.kd
    .uniform_work_group_size: 1
    .uses_dynamic_stack: false
    .vgpr_count:     22
    .vgpr_spill_count: 0
    .wavefront_size: 64
  - .agpr_count:     0
    .args:
      - .offset:         0
        .size:           416
        .value_kind:     by_value
      - .offset:         416
        .size:           8
        .value_kind:     by_value
      - .offset:         424
        .size:           8
        .value_kind:     by_value
      - .offset:         432
        .size:           1
        .value_kind:     by_value
      - .offset:         440
        .size:           8
        .value_kind:     by_value
      - .offset:         448
        .size:           8
        .value_kind:     by_value
      - .offset:         456
        .size:           416
        .value_kind:     by_value
      - .offset:         872
        .size:           8
        .value_kind:     by_value
      - .offset:         880
        .size:           416
        .value_kind:     by_value
      - .offset:         1296
        .size:           8
        .value_kind:     by_value
      - .address_space:  global
        .offset:         1304
        .size:           8
        .value_kind:     global_buffer
      - .offset:         1312
        .size:           4
        .value_kind:     hidden_block_count_x
      - .offset:         1316
        .size:           4
        .value_kind:     hidden_block_count_y
      - .offset:         1320
        .size:           4
        .value_kind:     hidden_block_count_z
      - .offset:         1324
        .size:           2
        .value_kind:     hidden_group_size_x
      - .offset:         1326
        .size:           2
        .value_kind:     hidden_group_size_y
      - .offset:         1328
        .size:           2
        .value_kind:     hidden_group_size_z
      - .offset:         1330
        .size:           2
        .value_kind:     hidden_remainder_x
      - .offset:         1332
        .size:           2
        .value_kind:     hidden_remainder_y
      - .offset:         1334
        .size:           2
        .value_kind:     hidden_remainder_z
      - .offset:         1352
        .size:           8
        .value_kind:     hidden_global_offset_x
      - .offset:         1360
        .size:           8
        .value_kind:     hidden_global_offset_y
      - .offset:         1368
        .size:           8
        .value_kind:     hidden_global_offset_z
      - .offset:         1376
        .size:           2
        .value_kind:     hidden_grid_dims
    .group_segment_fixed_size: 5152
    .kernarg_segment_align: 8
    .kernarg_segment_size: 1568
    .language:       OpenCL C
    .language_version:
      - 2
      - 0
    .max_flat_workgroup_size: 1024
    .name:           _ZN2at6native6sbtopk10gatherTopKIdmLi1ELb0EEEvNS_4cuda6detail10TensorInfoIKT_T0_EES8_S8_bS8_S8_NS5_IS6_S8_EES8_NS5_IlS8_EES8_PS6_
    .private_segment_fixed_size: 0
    .sgpr_count:     100
    .sgpr_spill_count: 74
    .symbol:         _ZN2at6native6sbtopk10gatherTopKIdmLi1ELb0EEEvNS_4cuda6detail10TensorInfoIKT_T0_EES8_S8_bS8_S8_NS5_IS6_S8_EES8_NS5_IlS8_EES8_PS6_.kd
    .uniform_work_group_size: 1
    .uses_dynamic_stack: false
    .vgpr_count:     63
    .vgpr_spill_count: 0
    .wavefront_size: 64
  - .agpr_count:     0
    .args:
      - .offset:         0
        .size:           416
        .value_kind:     by_value
      - .offset:         416
        .size:           4
        .value_kind:     by_value
      - .address_space:  global
        .offset:         424
        .size:           8
        .value_kind:     global_buffer
      - .offset:         432
        .size:           4
        .value_kind:     by_value
      - .offset:         440
        .size:           8
        .value_kind:     by_value
      - .offset:         448
        .size:           4
        .value_kind:     by_value
      - .offset:         452
        .size:           4
        .value_kind:     by_value
      - .offset:         456
        .size:           4
        .value_kind:     by_value
      - .offset:         464
        .size:           8
        .value_kind:     by_value
      - .address_space:  global
        .offset:         472
        .size:           8
        .value_kind:     global_buffer
      - .address_space:  global
        .offset:         480
        .size:           8
        .value_kind:     global_buffer
      - .offset:         488
        .size:           4
        .value_kind:     hidden_block_count_x
      - .offset:         492
        .size:           4
        .value_kind:     hidden_block_count_y
      - .offset:         496
        .size:           4
        .value_kind:     hidden_block_count_z
      - .offset:         500
        .size:           2
        .value_kind:     hidden_group_size_x
      - .offset:         502
        .size:           2
        .value_kind:     hidden_group_size_y
      - .offset:         504
        .size:           2
        .value_kind:     hidden_group_size_z
      - .offset:         506
        .size:           2
        .value_kind:     hidden_remainder_x
      - .offset:         508
        .size:           2
        .value_kind:     hidden_remainder_y
      - .offset:         510
        .size:           2
        .value_kind:     hidden_remainder_z
      - .offset:         528
        .size:           8
        .value_kind:     hidden_global_offset_x
      - .offset:         536
        .size:           8
        .value_kind:     hidden_global_offset_y
      - .offset:         544
        .size:           8
        .value_kind:     hidden_global_offset_z
      - .offset:         552
        .size:           2
        .value_kind:     hidden_grid_dims
    .group_segment_fixed_size: 1024
    .kernarg_segment_align: 8
    .kernarg_segment_size: 744
    .language:       OpenCL C
    .language_version:
      - 2
      - 0
    .max_flat_workgroup_size: 256
    .name:           _ZN2at6native6mbtopk23computeBlockDigitCountsIdmmLi2EEEvNS_4cuda6detail10TensorInfoIKT_T0_EEjPjjS8_iijT1_PSB_Ps
    .private_segment_fixed_size: 0
    .sgpr_count:     32
    .sgpr_spill_count: 0
    .symbol:         _ZN2at6native6mbtopk23computeBlockDigitCountsIdmmLi2EEEvNS_4cuda6detail10TensorInfoIKT_T0_EEjPjjS8_iijT1_PSB_Ps.kd
    .uniform_work_group_size: 1
    .uses_dynamic_stack: false
    .vgpr_count:     12
    .vgpr_spill_count: 0
    .wavefront_size: 64
  - .agpr_count:     0
    .args:
      - .offset:         0
        .size:           416
        .value_kind:     by_value
      - .offset:         416
        .size:           8
        .value_kind:     by_value
      - .offset:         424
        .size:           8
        .value_kind:     by_value
      - .offset:         432
        .size:           1
        .value_kind:     by_value
      - .offset:         436
        .size:           4
        .value_kind:     by_value
      - .offset:         440
        .size:           8
        .value_kind:     by_value
      - .offset:         448
        .size:           416
        .value_kind:     by_value
      - .offset:         864
        .size:           8
        .value_kind:     by_value
      - .offset:         872
        .size:           416
        .value_kind:     by_value
      - .offset:         1288
        .size:           8
        .value_kind:     by_value
      - .offset:         1296
        .size:           4
        .value_kind:     by_value
      - .offset:         1300
        .size:           4
        .value_kind:     by_value
      - .address_space:  global
        .offset:         1304
        .size:           8
        .value_kind:     global_buffer
      - .address_space:  global
        .offset:         1312
        .size:           8
        .value_kind:     global_buffer
      - .address_space:  global
        .offset:         1320
        .size:           8
        .value_kind:     global_buffer
      - .offset:         1328
        .size:           4
        .value_kind:     by_value
      - .offset:         1336
        .size:           4
        .value_kind:     hidden_block_count_x
      - .offset:         1340
        .size:           4
        .value_kind:     hidden_block_count_y
      - .offset:         1344
        .size:           4
        .value_kind:     hidden_block_count_z
      - .offset:         1348
        .size:           2
        .value_kind:     hidden_group_size_x
      - .offset:         1350
        .size:           2
        .value_kind:     hidden_group_size_y
      - .offset:         1352
        .size:           2
        .value_kind:     hidden_group_size_z
      - .offset:         1354
        .size:           2
        .value_kind:     hidden_remainder_x
      - .offset:         1356
        .size:           2
        .value_kind:     hidden_remainder_y
      - .offset:         1358
        .size:           2
        .value_kind:     hidden_remainder_z
      - .offset:         1376
        .size:           8
        .value_kind:     hidden_global_offset_x
      - .offset:         1384
        .size:           8
        .value_kind:     hidden_global_offset_y
      - .offset:         1392
        .size:           8
        .value_kind:     hidden_global_offset_z
      - .offset:         1400
        .size:           2
        .value_kind:     hidden_grid_dims
    .group_segment_fixed_size: 1068
    .kernarg_segment_align: 8
    .kernarg_segment_size: 1592
    .language:       OpenCL C
    .language_version:
      - 2
      - 0
    .max_flat_workgroup_size: 256
    .name:           _ZN2at6native6mbtopk10gatherTopKIdmLi2EEEvNS_4cuda6detail10TensorInfoIKT_T0_EES8_S8_bjS8_NS5_IS6_S8_EES8_NS5_IlS8_EES8_jjPS6_PjSD_j
    .private_segment_fixed_size: 0
    .sgpr_count:     56
    .sgpr_spill_count: 0
    .symbol:         _ZN2at6native6mbtopk10gatherTopKIdmLi2EEEvNS_4cuda6detail10TensorInfoIKT_T0_EES8_S8_bjS8_NS5_IS6_S8_EES8_NS5_IlS8_EES8_jjPS6_PjSD_j.kd
    .uniform_work_group_size: 1
    .uses_dynamic_stack: false
    .vgpr_count:     22
    .vgpr_spill_count: 0
    .wavefront_size: 64
  - .agpr_count:     0
    .args:
      - .offset:         0
        .size:           416
        .value_kind:     by_value
      - .offset:         416
        .size:           8
        .value_kind:     by_value
      - .offset:         424
        .size:           8
        .value_kind:     by_value
      - .offset:         432
        .size:           1
        .value_kind:     by_value
      - .offset:         440
        .size:           8
        .value_kind:     by_value
      - .offset:         448
        .size:           8
        .value_kind:     by_value
      - .offset:         456
        .size:           416
        .value_kind:     by_value
      - .offset:         872
        .size:           8
        .value_kind:     by_value
      - .offset:         880
        .size:           416
        .value_kind:     by_value
      - .offset:         1296
        .size:           8
        .value_kind:     by_value
      - .address_space:  global
        .offset:         1304
        .size:           8
        .value_kind:     global_buffer
      - .offset:         1312
        .size:           4
        .value_kind:     hidden_block_count_x
      - .offset:         1316
        .size:           4
        .value_kind:     hidden_block_count_y
      - .offset:         1320
        .size:           4
        .value_kind:     hidden_block_count_z
      - .offset:         1324
        .size:           2
        .value_kind:     hidden_group_size_x
      - .offset:         1326
        .size:           2
        .value_kind:     hidden_group_size_y
      - .offset:         1328
        .size:           2
        .value_kind:     hidden_group_size_z
      - .offset:         1330
        .size:           2
        .value_kind:     hidden_remainder_x
      - .offset:         1332
        .size:           2
        .value_kind:     hidden_remainder_y
      - .offset:         1334
        .size:           2
        .value_kind:     hidden_remainder_z
      - .offset:         1352
        .size:           8
        .value_kind:     hidden_global_offset_x
      - .offset:         1360
        .size:           8
        .value_kind:     hidden_global_offset_y
      - .offset:         1368
        .size:           8
        .value_kind:     hidden_global_offset_z
      - .offset:         1376
        .size:           2
        .value_kind:     hidden_grid_dims
    .group_segment_fixed_size: 5152
    .kernarg_segment_align: 8
    .kernarg_segment_size: 1568
    .language:       OpenCL C
    .language_version:
      - 2
      - 0
    .max_flat_workgroup_size: 1024
    .name:           _ZN2at6native6sbtopk10gatherTopKIdmLi2ELb0EEEvNS_4cuda6detail10TensorInfoIKT_T0_EES8_S8_bS8_S8_NS5_IS6_S8_EES8_NS5_IlS8_EES8_PS6_
    .private_segment_fixed_size: 0
    .sgpr_count:     100
    .sgpr_spill_count: 72
    .symbol:         _ZN2at6native6sbtopk10gatherTopKIdmLi2ELb0EEEvNS_4cuda6detail10TensorInfoIKT_T0_EES8_S8_bS8_S8_NS5_IS6_S8_EES8_NS5_IlS8_EES8_PS6_.kd
    .uniform_work_group_size: 1
    .uses_dynamic_stack: false
    .vgpr_count:     55
    .vgpr_spill_count: 0
    .wavefront_size: 64
  - .agpr_count:     0
    .args:
      - .offset:         0
        .size:           416
        .value_kind:     by_value
      - .offset:         416
        .size:           4
        .value_kind:     by_value
      - .address_space:  global
        .offset:         424
        .size:           8
        .value_kind:     global_buffer
      - .offset:         432
        .size:           4
        .value_kind:     by_value
      - .offset:         440
        .size:           8
        .value_kind:     by_value
      - .offset:         448
        .size:           4
        .value_kind:     by_value
      - .offset:         452
        .size:           4
        .value_kind:     by_value
      - .offset:         456
        .size:           4
        .value_kind:     by_value
      - .offset:         464
        .size:           8
        .value_kind:     by_value
      - .address_space:  global
        .offset:         472
        .size:           8
        .value_kind:     global_buffer
      - .address_space:  global
        .offset:         480
        .size:           8
        .value_kind:     global_buffer
      - .offset:         488
        .size:           4
        .value_kind:     hidden_block_count_x
      - .offset:         492
        .size:           4
        .value_kind:     hidden_block_count_y
      - .offset:         496
        .size:           4
        .value_kind:     hidden_block_count_z
      - .offset:         500
        .size:           2
        .value_kind:     hidden_group_size_x
      - .offset:         502
        .size:           2
        .value_kind:     hidden_group_size_y
      - .offset:         504
        .size:           2
        .value_kind:     hidden_group_size_z
      - .offset:         506
        .size:           2
        .value_kind:     hidden_remainder_x
      - .offset:         508
        .size:           2
        .value_kind:     hidden_remainder_y
      - .offset:         510
        .size:           2
        .value_kind:     hidden_remainder_z
      - .offset:         528
        .size:           8
        .value_kind:     hidden_global_offset_x
      - .offset:         536
        .size:           8
        .value_kind:     hidden_global_offset_y
      - .offset:         544
        .size:           8
        .value_kind:     hidden_global_offset_z
      - .offset:         552
        .size:           2
        .value_kind:     hidden_grid_dims
    .group_segment_fixed_size: 1024
    .kernarg_segment_align: 8
    .kernarg_segment_size: 744
    .language:       OpenCL C
    .language_version:
      - 2
      - 0
    .max_flat_workgroup_size: 256
    .name:           _ZN2at6native6mbtopk23computeBlockDigitCountsIdmmLi3EEEvNS_4cuda6detail10TensorInfoIKT_T0_EEjPjjS8_iijT1_PSB_Ps
    .private_segment_fixed_size: 0
    .sgpr_count:     34
    .sgpr_spill_count: 0
    .symbol:         _ZN2at6native6mbtopk23computeBlockDigitCountsIdmmLi3EEEvNS_4cuda6detail10TensorInfoIKT_T0_EEjPjjS8_iijT1_PSB_Ps.kd
    .uniform_work_group_size: 1
    .uses_dynamic_stack: false
    .vgpr_count:     12
    .vgpr_spill_count: 0
    .wavefront_size: 64
  - .agpr_count:     0
    .args:
      - .offset:         0
        .size:           416
        .value_kind:     by_value
      - .offset:         416
        .size:           8
        .value_kind:     by_value
      - .offset:         424
        .size:           8
        .value_kind:     by_value
      - .offset:         432
        .size:           1
        .value_kind:     by_value
      - .offset:         436
        .size:           4
        .value_kind:     by_value
      - .offset:         440
        .size:           8
        .value_kind:     by_value
      - .offset:         448
        .size:           416
        .value_kind:     by_value
      - .offset:         864
        .size:           8
        .value_kind:     by_value
      - .offset:         872
        .size:           416
        .value_kind:     by_value
      - .offset:         1288
        .size:           8
        .value_kind:     by_value
      - .offset:         1296
        .size:           4
        .value_kind:     by_value
      - .offset:         1300
        .size:           4
        .value_kind:     by_value
      - .address_space:  global
        .offset:         1304
        .size:           8
        .value_kind:     global_buffer
      - .address_space:  global
        .offset:         1312
        .size:           8
        .value_kind:     global_buffer
      - .address_space:  global
        .offset:         1320
        .size:           8
        .value_kind:     global_buffer
      - .offset:         1328
        .size:           4
        .value_kind:     by_value
      - .offset:         1336
        .size:           4
        .value_kind:     hidden_block_count_x
      - .offset:         1340
        .size:           4
        .value_kind:     hidden_block_count_y
      - .offset:         1344
        .size:           4
        .value_kind:     hidden_block_count_z
      - .offset:         1348
        .size:           2
        .value_kind:     hidden_group_size_x
      - .offset:         1350
        .size:           2
        .value_kind:     hidden_group_size_y
      - .offset:         1352
        .size:           2
        .value_kind:     hidden_group_size_z
      - .offset:         1354
        .size:           2
        .value_kind:     hidden_remainder_x
      - .offset:         1356
        .size:           2
        .value_kind:     hidden_remainder_y
      - .offset:         1358
        .size:           2
        .value_kind:     hidden_remainder_z
      - .offset:         1376
        .size:           8
        .value_kind:     hidden_global_offset_x
      - .offset:         1384
        .size:           8
        .value_kind:     hidden_global_offset_y
      - .offset:         1392
        .size:           8
        .value_kind:     hidden_global_offset_z
      - .offset:         1400
        .size:           2
        .value_kind:     hidden_grid_dims
    .group_segment_fixed_size: 1068
    .kernarg_segment_align: 8
    .kernarg_segment_size: 1592
    .language:       OpenCL C
    .language_version:
      - 2
      - 0
    .max_flat_workgroup_size: 256
    .name:           _ZN2at6native6mbtopk10gatherTopKIdmLi3EEEvNS_4cuda6detail10TensorInfoIKT_T0_EES8_S8_bjS8_NS5_IS6_S8_EES8_NS5_IlS8_EES8_jjPS6_PjSD_j
    .private_segment_fixed_size: 0
    .sgpr_count:     83
    .sgpr_spill_count: 0
    .symbol:         _ZN2at6native6mbtopk10gatherTopKIdmLi3EEEvNS_4cuda6detail10TensorInfoIKT_T0_EES8_S8_bjS8_NS5_IS6_S8_EES8_NS5_IlS8_EES8_jjPS6_PjSD_j.kd
    .uniform_work_group_size: 1
    .uses_dynamic_stack: false
    .vgpr_count:     22
    .vgpr_spill_count: 0
    .wavefront_size: 64
  - .agpr_count:     0
    .args:
      - .offset:         0
        .size:           416
        .value_kind:     by_value
      - .offset:         416
        .size:           8
        .value_kind:     by_value
      - .offset:         424
        .size:           8
        .value_kind:     by_value
      - .offset:         432
        .size:           1
        .value_kind:     by_value
      - .offset:         440
        .size:           8
        .value_kind:     by_value
      - .offset:         448
        .size:           8
        .value_kind:     by_value
      - .offset:         456
        .size:           416
        .value_kind:     by_value
      - .offset:         872
        .size:           8
        .value_kind:     by_value
      - .offset:         880
        .size:           416
        .value_kind:     by_value
      - .offset:         1296
        .size:           8
        .value_kind:     by_value
      - .address_space:  global
        .offset:         1304
        .size:           8
        .value_kind:     global_buffer
      - .offset:         1312
        .size:           4
        .value_kind:     hidden_block_count_x
      - .offset:         1316
        .size:           4
        .value_kind:     hidden_block_count_y
      - .offset:         1320
        .size:           4
        .value_kind:     hidden_block_count_z
      - .offset:         1324
        .size:           2
        .value_kind:     hidden_group_size_x
      - .offset:         1326
        .size:           2
        .value_kind:     hidden_group_size_y
      - .offset:         1328
        .size:           2
        .value_kind:     hidden_group_size_z
      - .offset:         1330
        .size:           2
        .value_kind:     hidden_remainder_x
      - .offset:         1332
        .size:           2
        .value_kind:     hidden_remainder_y
      - .offset:         1334
        .size:           2
        .value_kind:     hidden_remainder_z
      - .offset:         1352
        .size:           8
        .value_kind:     hidden_global_offset_x
      - .offset:         1360
        .size:           8
        .value_kind:     hidden_global_offset_y
      - .offset:         1368
        .size:           8
        .value_kind:     hidden_global_offset_z
      - .offset:         1376
        .size:           2
        .value_kind:     hidden_grid_dims
    .group_segment_fixed_size: 5152
    .kernarg_segment_align: 8
    .kernarg_segment_size: 1568
    .language:       OpenCL C
    .language_version:
      - 2
      - 0
    .max_flat_workgroup_size: 1024
    .name:           _ZN2at6native6sbtopk10gatherTopKIdmLi3ELb0EEEvNS_4cuda6detail10TensorInfoIKT_T0_EES8_S8_bS8_S8_NS5_IS6_S8_EES8_NS5_IlS8_EES8_PS6_
    .private_segment_fixed_size: 0
    .sgpr_count:     100
    .sgpr_spill_count: 84
    .symbol:         _ZN2at6native6sbtopk10gatherTopKIdmLi3ELb0EEEvNS_4cuda6detail10TensorInfoIKT_T0_EES8_S8_bS8_S8_NS5_IS6_S8_EES8_NS5_IlS8_EES8_PS6_.kd
    .uniform_work_group_size: 1
    .uses_dynamic_stack: false
    .vgpr_count:     56
    .vgpr_spill_count: 0
    .wavefront_size: 64
  - .agpr_count:     0
    .args:
      - .offset:         0
        .size:           416
        .value_kind:     by_value
      - .offset:         416
        .size:           4
        .value_kind:     by_value
      - .address_space:  global
        .offset:         424
        .size:           8
        .value_kind:     global_buffer
      - .offset:         432
        .size:           4
        .value_kind:     by_value
      - .offset:         440
        .size:           8
        .value_kind:     by_value
      - .offset:         448
        .size:           4
        .value_kind:     by_value
      - .offset:         452
        .size:           4
        .value_kind:     by_value
      - .offset:         456
        .size:           4
        .value_kind:     by_value
      - .offset:         464
        .size:           8
        .value_kind:     by_value
      - .address_space:  global
        .offset:         472
        .size:           8
        .value_kind:     global_buffer
      - .address_space:  global
        .offset:         480
        .size:           8
        .value_kind:     global_buffer
      - .offset:         488
        .size:           4
        .value_kind:     hidden_block_count_x
      - .offset:         492
        .size:           4
        .value_kind:     hidden_block_count_y
      - .offset:         496
        .size:           4
        .value_kind:     hidden_block_count_z
      - .offset:         500
        .size:           2
        .value_kind:     hidden_group_size_x
      - .offset:         502
        .size:           2
        .value_kind:     hidden_group_size_y
      - .offset:         504
        .size:           2
        .value_kind:     hidden_group_size_z
      - .offset:         506
        .size:           2
        .value_kind:     hidden_remainder_x
      - .offset:         508
        .size:           2
        .value_kind:     hidden_remainder_y
      - .offset:         510
        .size:           2
        .value_kind:     hidden_remainder_z
      - .offset:         528
        .size:           8
        .value_kind:     hidden_global_offset_x
      - .offset:         536
        .size:           8
        .value_kind:     hidden_global_offset_y
      - .offset:         544
        .size:           8
        .value_kind:     hidden_global_offset_z
      - .offset:         552
        .size:           2
        .value_kind:     hidden_grid_dims
    .group_segment_fixed_size: 1024
    .kernarg_segment_align: 8
    .kernarg_segment_size: 744
    .language:       OpenCL C
    .language_version:
      - 2
      - 0
    .max_flat_workgroup_size: 256
    .name:           _ZN2at6native6mbtopk23computeBlockDigitCountsIdmmLin1EEEvNS_4cuda6detail10TensorInfoIKT_T0_EEjPjjS8_iijT1_PSB_Ps
    .private_segment_fixed_size: 0
    .sgpr_count:     36
    .sgpr_spill_count: 0
    .symbol:         _ZN2at6native6mbtopk23computeBlockDigitCountsIdmmLin1EEEvNS_4cuda6detail10TensorInfoIKT_T0_EEjPjjS8_iijT1_PSB_Ps.kd
    .uniform_work_group_size: 1
    .uses_dynamic_stack: false
    .vgpr_count:     12
    .vgpr_spill_count: 0
    .wavefront_size: 64
  - .agpr_count:     0
    .args:
      - .offset:         0
        .size:           416
        .value_kind:     by_value
      - .offset:         416
        .size:           8
        .value_kind:     by_value
      - .offset:         424
        .size:           8
        .value_kind:     by_value
      - .offset:         432
        .size:           1
        .value_kind:     by_value
      - .offset:         436
        .size:           4
        .value_kind:     by_value
      - .offset:         440
        .size:           8
        .value_kind:     by_value
      - .offset:         448
        .size:           416
        .value_kind:     by_value
      - .offset:         864
        .size:           8
        .value_kind:     by_value
      - .offset:         872
        .size:           416
        .value_kind:     by_value
      - .offset:         1288
        .size:           8
        .value_kind:     by_value
      - .offset:         1296
        .size:           4
        .value_kind:     by_value
      - .offset:         1300
        .size:           4
        .value_kind:     by_value
      - .address_space:  global
        .offset:         1304
        .size:           8
        .value_kind:     global_buffer
      - .address_space:  global
        .offset:         1312
        .size:           8
        .value_kind:     global_buffer
      - .address_space:  global
        .offset:         1320
        .size:           8
        .value_kind:     global_buffer
      - .offset:         1328
        .size:           4
        .value_kind:     by_value
      - .offset:         1336
        .size:           4
        .value_kind:     hidden_block_count_x
      - .offset:         1340
        .size:           4
        .value_kind:     hidden_block_count_y
      - .offset:         1344
        .size:           4
        .value_kind:     hidden_block_count_z
      - .offset:         1348
        .size:           2
        .value_kind:     hidden_group_size_x
      - .offset:         1350
        .size:           2
        .value_kind:     hidden_group_size_y
      - .offset:         1352
        .size:           2
        .value_kind:     hidden_group_size_z
      - .offset:         1354
        .size:           2
        .value_kind:     hidden_remainder_x
      - .offset:         1356
        .size:           2
        .value_kind:     hidden_remainder_y
      - .offset:         1358
        .size:           2
        .value_kind:     hidden_remainder_z
      - .offset:         1376
        .size:           8
        .value_kind:     hidden_global_offset_x
      - .offset:         1384
        .size:           8
        .value_kind:     hidden_global_offset_y
      - .offset:         1392
        .size:           8
        .value_kind:     hidden_global_offset_z
      - .offset:         1400
        .size:           2
        .value_kind:     hidden_grid_dims
    .group_segment_fixed_size: 1068
    .kernarg_segment_align: 8
    .kernarg_segment_size: 1592
    .language:       OpenCL C
    .language_version:
      - 2
      - 0
    .max_flat_workgroup_size: 256
    .name:           _ZN2at6native6mbtopk10gatherTopKIdmLin1EEEvNS_4cuda6detail10TensorInfoIKT_T0_EES8_S8_bjS8_NS5_IS6_S8_EES8_NS5_IlS8_EES8_jjPS6_PjSD_j
    .private_segment_fixed_size: 0
    .sgpr_count:     65
    .sgpr_spill_count: 0
    .symbol:         _ZN2at6native6mbtopk10gatherTopKIdmLin1EEEvNS_4cuda6detail10TensorInfoIKT_T0_EES8_S8_bjS8_NS5_IS6_S8_EES8_NS5_IlS8_EES8_jjPS6_PjSD_j.kd
    .uniform_work_group_size: 1
    .uses_dynamic_stack: false
    .vgpr_count:     22
    .vgpr_spill_count: 0
    .wavefront_size: 64
  - .agpr_count:     0
    .args:
      - .offset:         0
        .size:           416
        .value_kind:     by_value
      - .offset:         416
        .size:           8
        .value_kind:     by_value
      - .offset:         424
        .size:           8
        .value_kind:     by_value
      - .offset:         432
        .size:           1
        .value_kind:     by_value
      - .offset:         440
        .size:           8
        .value_kind:     by_value
      - .offset:         448
        .size:           8
        .value_kind:     by_value
      - .offset:         456
        .size:           416
        .value_kind:     by_value
      - .offset:         872
        .size:           8
        .value_kind:     by_value
      - .offset:         880
        .size:           416
        .value_kind:     by_value
      - .offset:         1296
        .size:           8
        .value_kind:     by_value
      - .address_space:  global
        .offset:         1304
        .size:           8
        .value_kind:     global_buffer
      - .offset:         1312
        .size:           4
        .value_kind:     hidden_block_count_x
      - .offset:         1316
        .size:           4
        .value_kind:     hidden_block_count_y
      - .offset:         1320
        .size:           4
        .value_kind:     hidden_block_count_z
      - .offset:         1324
        .size:           2
        .value_kind:     hidden_group_size_x
      - .offset:         1326
        .size:           2
        .value_kind:     hidden_group_size_y
      - .offset:         1328
        .size:           2
        .value_kind:     hidden_group_size_z
      - .offset:         1330
        .size:           2
        .value_kind:     hidden_remainder_x
      - .offset:         1332
        .size:           2
        .value_kind:     hidden_remainder_y
      - .offset:         1334
        .size:           2
        .value_kind:     hidden_remainder_z
      - .offset:         1352
        .size:           8
        .value_kind:     hidden_global_offset_x
      - .offset:         1360
        .size:           8
        .value_kind:     hidden_global_offset_y
      - .offset:         1368
        .size:           8
        .value_kind:     hidden_global_offset_z
      - .offset:         1376
        .size:           2
        .value_kind:     hidden_grid_dims
    .group_segment_fixed_size: 5152
    .kernarg_segment_align: 8
    .kernarg_segment_size: 1568
    .language:       OpenCL C
    .language_version:
      - 2
      - 0
    .max_flat_workgroup_size: 1024
    .name:           _ZN2at6native6sbtopk10gatherTopKIdmLin1ELb0EEEvNS_4cuda6detail10TensorInfoIKT_T0_EES8_S8_bS8_S8_NS5_IS6_S8_EES8_NS5_IlS8_EES8_PS6_
    .private_segment_fixed_size: 0
    .sgpr_count:     100
    .sgpr_spill_count: 90
    .symbol:         _ZN2at6native6sbtopk10gatherTopKIdmLin1ELb0EEEvNS_4cuda6detail10TensorInfoIKT_T0_EES8_S8_bS8_S8_NS5_IS6_S8_EES8_NS5_IlS8_EES8_PS6_.kd
    .uniform_work_group_size: 1
    .uses_dynamic_stack: false
    .vgpr_count:     74
    .vgpr_spill_count: 0
    .wavefront_size: 64
  - .agpr_count:     0
    .args:
      - .offset:         0
        .size:           416
        .value_kind:     by_value
      - .offset:         416
        .size:           4
        .value_kind:     by_value
      - .address_space:  global
        .offset:         424
        .size:           8
        .value_kind:     global_buffer
      - .offset:         432
        .size:           4
        .value_kind:     by_value
      - .offset:         440
        .size:           8
        .value_kind:     by_value
      - .offset:         448
        .size:           4
        .value_kind:     by_value
      - .offset:         452
        .size:           4
        .value_kind:     by_value
      - .offset:         456
        .size:           4
        .value_kind:     by_value
      - .offset:         460
        .size:           4
        .value_kind:     by_value
      - .address_space:  global
        .offset:         464
        .size:           8
        .value_kind:     global_buffer
      - .address_space:  global
        .offset:         472
        .size:           8
        .value_kind:     global_buffer
      - .offset:         480
        .size:           4
        .value_kind:     hidden_block_count_x
      - .offset:         484
        .size:           4
        .value_kind:     hidden_block_count_y
      - .offset:         488
        .size:           4
        .value_kind:     hidden_block_count_z
      - .offset:         492
        .size:           2
        .value_kind:     hidden_group_size_x
      - .offset:         494
        .size:           2
        .value_kind:     hidden_group_size_y
      - .offset:         496
        .size:           2
        .value_kind:     hidden_group_size_z
      - .offset:         498
        .size:           2
        .value_kind:     hidden_remainder_x
      - .offset:         500
        .size:           2
        .value_kind:     hidden_remainder_y
      - .offset:         502
        .size:           2
        .value_kind:     hidden_remainder_z
      - .offset:         520
        .size:           8
        .value_kind:     hidden_global_offset_x
      - .offset:         528
        .size:           8
        .value_kind:     hidden_global_offset_y
      - .offset:         536
        .size:           8
        .value_kind:     hidden_global_offset_z
      - .offset:         544
        .size:           2
        .value_kind:     hidden_grid_dims
    .group_segment_fixed_size: 1024
    .kernarg_segment_align: 8
    .kernarg_segment_size: 736
    .language:       OpenCL C
    .language_version:
      - 2
      - 0
    .max_flat_workgroup_size: 256
    .name:           _ZN2at6native6mbtopk23computeBlockDigitCountsIfmjLi1EEEvNS_4cuda6detail10TensorInfoIKT_T0_EEjPjjS8_iijT1_PSB_Ps
    .private_segment_fixed_size: 0
    .sgpr_count:     28
    .sgpr_spill_count: 0
    .symbol:         _ZN2at6native6mbtopk23computeBlockDigitCountsIfmjLi1EEEvNS_4cuda6detail10TensorInfoIKT_T0_EEjPjjS8_iijT1_PSB_Ps.kd
    .uniform_work_group_size: 1
    .uses_dynamic_stack: false
    .vgpr_count:     12
    .vgpr_spill_count: 0
    .wavefront_size: 64
  - .agpr_count:     0
    .args:
      - .offset:         0
        .size:           416
        .value_kind:     by_value
      - .offset:         416
        .size:           8
        .value_kind:     by_value
      - .offset:         424
        .size:           8
        .value_kind:     by_value
      - .offset:         432
        .size:           1
        .value_kind:     by_value
      - .offset:         436
        .size:           4
        .value_kind:     by_value
      - .offset:         440
        .size:           8
        .value_kind:     by_value
      - .offset:         448
        .size:           416
        .value_kind:     by_value
      - .offset:         864
        .size:           8
        .value_kind:     by_value
      - .offset:         872
        .size:           416
        .value_kind:     by_value
      - .offset:         1288
        .size:           8
        .value_kind:     by_value
      - .offset:         1296
        .size:           4
        .value_kind:     by_value
      - .offset:         1300
        .size:           4
        .value_kind:     by_value
      - .address_space:  global
        .offset:         1304
        .size:           8
        .value_kind:     global_buffer
      - .address_space:  global
        .offset:         1312
        .size:           8
        .value_kind:     global_buffer
      - .address_space:  global
        .offset:         1320
        .size:           8
        .value_kind:     global_buffer
      - .offset:         1328
        .size:           4
        .value_kind:     by_value
      - .offset:         1336
        .size:           4
        .value_kind:     hidden_block_count_x
      - .offset:         1340
        .size:           4
        .value_kind:     hidden_block_count_y
      - .offset:         1344
        .size:           4
        .value_kind:     hidden_block_count_z
      - .offset:         1348
        .size:           2
        .value_kind:     hidden_group_size_x
      - .offset:         1350
        .size:           2
        .value_kind:     hidden_group_size_y
      - .offset:         1352
        .size:           2
        .value_kind:     hidden_group_size_z
      - .offset:         1354
        .size:           2
        .value_kind:     hidden_remainder_x
      - .offset:         1356
        .size:           2
        .value_kind:     hidden_remainder_y
      - .offset:         1358
        .size:           2
        .value_kind:     hidden_remainder_z
      - .offset:         1376
        .size:           8
        .value_kind:     hidden_global_offset_x
      - .offset:         1384
        .size:           8
        .value_kind:     hidden_global_offset_y
      - .offset:         1392
        .size:           8
        .value_kind:     hidden_global_offset_z
      - .offset:         1400
        .size:           2
        .value_kind:     hidden_grid_dims
    .group_segment_fixed_size: 1068
    .kernarg_segment_align: 8
    .kernarg_segment_size: 1592
    .language:       OpenCL C
    .language_version:
      - 2
      - 0
    .max_flat_workgroup_size: 256
    .name:           _ZN2at6native6mbtopk10gatherTopKIfmLi1EEEvNS_4cuda6detail10TensorInfoIKT_T0_EES8_S8_bjS8_NS5_IS6_S8_EES8_NS5_IlS8_EES8_jjPS6_PjSD_j
    .private_segment_fixed_size: 0
    .sgpr_count:     49
    .sgpr_spill_count: 0
    .symbol:         _ZN2at6native6mbtopk10gatherTopKIfmLi1EEEvNS_4cuda6detail10TensorInfoIKT_T0_EES8_S8_bjS8_NS5_IS6_S8_EES8_NS5_IlS8_EES8_jjPS6_PjSD_j.kd
    .uniform_work_group_size: 1
    .uses_dynamic_stack: false
    .vgpr_count:     22
    .vgpr_spill_count: 0
    .wavefront_size: 64
  - .agpr_count:     0
    .args:
      - .offset:         0
        .size:           416
        .value_kind:     by_value
      - .offset:         416
        .size:           8
        .value_kind:     by_value
      - .offset:         424
        .size:           8
        .value_kind:     by_value
      - .offset:         432
        .size:           1
        .value_kind:     by_value
      - .offset:         440
        .size:           8
        .value_kind:     by_value
      - .offset:         448
        .size:           8
        .value_kind:     by_value
      - .offset:         456
        .size:           416
        .value_kind:     by_value
      - .offset:         872
        .size:           8
        .value_kind:     by_value
      - .offset:         880
        .size:           416
        .value_kind:     by_value
      - .offset:         1296
        .size:           8
        .value_kind:     by_value
      - .address_space:  global
        .offset:         1304
        .size:           8
        .value_kind:     global_buffer
      - .offset:         1312
        .size:           4
        .value_kind:     hidden_block_count_x
      - .offset:         1316
        .size:           4
        .value_kind:     hidden_block_count_y
      - .offset:         1320
        .size:           4
        .value_kind:     hidden_block_count_z
      - .offset:         1324
        .size:           2
        .value_kind:     hidden_group_size_x
      - .offset:         1326
        .size:           2
        .value_kind:     hidden_group_size_y
      - .offset:         1328
        .size:           2
        .value_kind:     hidden_group_size_z
      - .offset:         1330
        .size:           2
        .value_kind:     hidden_remainder_x
      - .offset:         1332
        .size:           2
        .value_kind:     hidden_remainder_y
      - .offset:         1334
        .size:           2
        .value_kind:     hidden_remainder_z
      - .offset:         1352
        .size:           8
        .value_kind:     hidden_global_offset_x
      - .offset:         1360
        .size:           8
        .value_kind:     hidden_global_offset_y
      - .offset:         1368
        .size:           8
        .value_kind:     hidden_global_offset_z
      - .offset:         1376
        .size:           2
        .value_kind:     hidden_grid_dims
    .group_segment_fixed_size: 5152
    .kernarg_segment_align: 8
    .kernarg_segment_size: 1568
    .language:       OpenCL C
    .language_version:
      - 2
      - 0
    .max_flat_workgroup_size: 1024
    .name:           _ZN2at6native6sbtopk10gatherTopKIfmLi1ELb0EEEvNS_4cuda6detail10TensorInfoIKT_T0_EES8_S8_bS8_S8_NS5_IS6_S8_EES8_NS5_IlS8_EES8_PS6_
    .private_segment_fixed_size: 0
    .sgpr_count:     100
    .sgpr_spill_count: 74
    .symbol:         _ZN2at6native6sbtopk10gatherTopKIfmLi1ELb0EEEvNS_4cuda6detail10TensorInfoIKT_T0_EES8_S8_bS8_S8_NS5_IS6_S8_EES8_NS5_IlS8_EES8_PS6_.kd
    .uniform_work_group_size: 1
    .uses_dynamic_stack: false
    .vgpr_count:     55
    .vgpr_spill_count: 0
    .wavefront_size: 64
  - .agpr_count:     0
    .args:
      - .offset:         0
        .size:           416
        .value_kind:     by_value
      - .offset:         416
        .size:           4
        .value_kind:     by_value
      - .address_space:  global
        .offset:         424
        .size:           8
        .value_kind:     global_buffer
      - .offset:         432
        .size:           4
        .value_kind:     by_value
      - .offset:         440
        .size:           8
        .value_kind:     by_value
      - .offset:         448
        .size:           4
        .value_kind:     by_value
      - .offset:         452
        .size:           4
        .value_kind:     by_value
      - .offset:         456
        .size:           4
        .value_kind:     by_value
      - .offset:         460
        .size:           4
        .value_kind:     by_value
      - .address_space:  global
        .offset:         464
        .size:           8
        .value_kind:     global_buffer
      - .address_space:  global
        .offset:         472
        .size:           8
        .value_kind:     global_buffer
      - .offset:         480
        .size:           4
        .value_kind:     hidden_block_count_x
      - .offset:         484
        .size:           4
        .value_kind:     hidden_block_count_y
      - .offset:         488
        .size:           4
        .value_kind:     hidden_block_count_z
      - .offset:         492
        .size:           2
        .value_kind:     hidden_group_size_x
      - .offset:         494
        .size:           2
        .value_kind:     hidden_group_size_y
      - .offset:         496
        .size:           2
        .value_kind:     hidden_group_size_z
      - .offset:         498
        .size:           2
        .value_kind:     hidden_remainder_x
      - .offset:         500
        .size:           2
        .value_kind:     hidden_remainder_y
      - .offset:         502
        .size:           2
        .value_kind:     hidden_remainder_z
      - .offset:         520
        .size:           8
        .value_kind:     hidden_global_offset_x
      - .offset:         528
        .size:           8
        .value_kind:     hidden_global_offset_y
      - .offset:         536
        .size:           8
        .value_kind:     hidden_global_offset_z
      - .offset:         544
        .size:           2
        .value_kind:     hidden_grid_dims
    .group_segment_fixed_size: 1024
    .kernarg_segment_align: 8
    .kernarg_segment_size: 736
    .language:       OpenCL C
    .language_version:
      - 2
      - 0
    .max_flat_workgroup_size: 256
    .name:           _ZN2at6native6mbtopk23computeBlockDigitCountsIfmjLi2EEEvNS_4cuda6detail10TensorInfoIKT_T0_EEjPjjS8_iijT1_PSB_Ps
    .private_segment_fixed_size: 0
    .sgpr_count:     30
    .sgpr_spill_count: 0
    .symbol:         _ZN2at6native6mbtopk23computeBlockDigitCountsIfmjLi2EEEvNS_4cuda6detail10TensorInfoIKT_T0_EEjPjjS8_iijT1_PSB_Ps.kd
    .uniform_work_group_size: 1
    .uses_dynamic_stack: false
    .vgpr_count:     12
    .vgpr_spill_count: 0
    .wavefront_size: 64
  - .agpr_count:     0
    .args:
      - .offset:         0
        .size:           416
        .value_kind:     by_value
      - .offset:         416
        .size:           8
        .value_kind:     by_value
      - .offset:         424
        .size:           8
        .value_kind:     by_value
      - .offset:         432
        .size:           1
        .value_kind:     by_value
      - .offset:         436
        .size:           4
        .value_kind:     by_value
      - .offset:         440
        .size:           8
        .value_kind:     by_value
      - .offset:         448
        .size:           416
        .value_kind:     by_value
      - .offset:         864
        .size:           8
        .value_kind:     by_value
      - .offset:         872
        .size:           416
        .value_kind:     by_value
      - .offset:         1288
        .size:           8
        .value_kind:     by_value
      - .offset:         1296
        .size:           4
        .value_kind:     by_value
      - .offset:         1300
        .size:           4
        .value_kind:     by_value
      - .address_space:  global
        .offset:         1304
        .size:           8
        .value_kind:     global_buffer
      - .address_space:  global
        .offset:         1312
        .size:           8
        .value_kind:     global_buffer
      - .address_space:  global
        .offset:         1320
        .size:           8
        .value_kind:     global_buffer
      - .offset:         1328
        .size:           4
        .value_kind:     by_value
      - .offset:         1336
        .size:           4
        .value_kind:     hidden_block_count_x
      - .offset:         1340
        .size:           4
        .value_kind:     hidden_block_count_y
      - .offset:         1344
        .size:           4
        .value_kind:     hidden_block_count_z
      - .offset:         1348
        .size:           2
        .value_kind:     hidden_group_size_x
      - .offset:         1350
        .size:           2
        .value_kind:     hidden_group_size_y
      - .offset:         1352
        .size:           2
        .value_kind:     hidden_group_size_z
      - .offset:         1354
        .size:           2
        .value_kind:     hidden_remainder_x
      - .offset:         1356
        .size:           2
        .value_kind:     hidden_remainder_y
      - .offset:         1358
        .size:           2
        .value_kind:     hidden_remainder_z
      - .offset:         1376
        .size:           8
        .value_kind:     hidden_global_offset_x
      - .offset:         1384
        .size:           8
        .value_kind:     hidden_global_offset_y
      - .offset:         1392
        .size:           8
        .value_kind:     hidden_global_offset_z
      - .offset:         1400
        .size:           2
        .value_kind:     hidden_grid_dims
    .group_segment_fixed_size: 1068
    .kernarg_segment_align: 8
    .kernarg_segment_size: 1592
    .language:       OpenCL C
    .language_version:
      - 2
      - 0
    .max_flat_workgroup_size: 256
    .name:           _ZN2at6native6mbtopk10gatherTopKIfmLi2EEEvNS_4cuda6detail10TensorInfoIKT_T0_EES8_S8_bjS8_NS5_IS6_S8_EES8_NS5_IlS8_EES8_jjPS6_PjSD_j
    .private_segment_fixed_size: 0
    .sgpr_count:     54
    .sgpr_spill_count: 0
    .symbol:         _ZN2at6native6mbtopk10gatherTopKIfmLi2EEEvNS_4cuda6detail10TensorInfoIKT_T0_EES8_S8_bjS8_NS5_IS6_S8_EES8_NS5_IlS8_EES8_jjPS6_PjSD_j.kd
    .uniform_work_group_size: 1
    .uses_dynamic_stack: false
    .vgpr_count:     22
    .vgpr_spill_count: 0
    .wavefront_size: 64
  - .agpr_count:     0
    .args:
      - .offset:         0
        .size:           416
        .value_kind:     by_value
      - .offset:         416
        .size:           8
        .value_kind:     by_value
      - .offset:         424
        .size:           8
        .value_kind:     by_value
      - .offset:         432
        .size:           1
        .value_kind:     by_value
      - .offset:         440
        .size:           8
        .value_kind:     by_value
      - .offset:         448
        .size:           8
        .value_kind:     by_value
      - .offset:         456
        .size:           416
        .value_kind:     by_value
      - .offset:         872
        .size:           8
        .value_kind:     by_value
      - .offset:         880
        .size:           416
        .value_kind:     by_value
      - .offset:         1296
        .size:           8
        .value_kind:     by_value
      - .address_space:  global
        .offset:         1304
        .size:           8
        .value_kind:     global_buffer
      - .offset:         1312
        .size:           4
        .value_kind:     hidden_block_count_x
      - .offset:         1316
        .size:           4
        .value_kind:     hidden_block_count_y
      - .offset:         1320
        .size:           4
        .value_kind:     hidden_block_count_z
      - .offset:         1324
        .size:           2
        .value_kind:     hidden_group_size_x
      - .offset:         1326
        .size:           2
        .value_kind:     hidden_group_size_y
      - .offset:         1328
        .size:           2
        .value_kind:     hidden_group_size_z
      - .offset:         1330
        .size:           2
        .value_kind:     hidden_remainder_x
      - .offset:         1332
        .size:           2
        .value_kind:     hidden_remainder_y
      - .offset:         1334
        .size:           2
        .value_kind:     hidden_remainder_z
      - .offset:         1352
        .size:           8
        .value_kind:     hidden_global_offset_x
      - .offset:         1360
        .size:           8
        .value_kind:     hidden_global_offset_y
      - .offset:         1368
        .size:           8
        .value_kind:     hidden_global_offset_z
      - .offset:         1376
        .size:           2
        .value_kind:     hidden_grid_dims
    .group_segment_fixed_size: 5152
    .kernarg_segment_align: 8
    .kernarg_segment_size: 1568
    .language:       OpenCL C
    .language_version:
      - 2
      - 0
    .max_flat_workgroup_size: 1024
    .name:           _ZN2at6native6sbtopk10gatherTopKIfmLi2ELb0EEEvNS_4cuda6detail10TensorInfoIKT_T0_EES8_S8_bS8_S8_NS5_IS6_S8_EES8_NS5_IlS8_EES8_PS6_
    .private_segment_fixed_size: 0
    .sgpr_count:     100
    .sgpr_spill_count: 66
    .symbol:         _ZN2at6native6sbtopk10gatherTopKIfmLi2ELb0EEEvNS_4cuda6detail10TensorInfoIKT_T0_EES8_S8_bS8_S8_NS5_IS6_S8_EES8_NS5_IlS8_EES8_PS6_.kd
    .uniform_work_group_size: 1
    .uses_dynamic_stack: false
    .vgpr_count:     49
    .vgpr_spill_count: 0
    .wavefront_size: 64
  - .agpr_count:     0
    .args:
      - .offset:         0
        .size:           416
        .value_kind:     by_value
      - .offset:         416
        .size:           4
        .value_kind:     by_value
      - .address_space:  global
        .offset:         424
        .size:           8
        .value_kind:     global_buffer
      - .offset:         432
        .size:           4
        .value_kind:     by_value
      - .offset:         440
        .size:           8
        .value_kind:     by_value
      - .offset:         448
        .size:           4
        .value_kind:     by_value
      - .offset:         452
        .size:           4
        .value_kind:     by_value
      - .offset:         456
        .size:           4
        .value_kind:     by_value
      - .offset:         460
        .size:           4
        .value_kind:     by_value
      - .address_space:  global
        .offset:         464
        .size:           8
        .value_kind:     global_buffer
      - .address_space:  global
        .offset:         472
        .size:           8
        .value_kind:     global_buffer
      - .offset:         480
        .size:           4
        .value_kind:     hidden_block_count_x
      - .offset:         484
        .size:           4
        .value_kind:     hidden_block_count_y
      - .offset:         488
        .size:           4
        .value_kind:     hidden_block_count_z
      - .offset:         492
        .size:           2
        .value_kind:     hidden_group_size_x
      - .offset:         494
        .size:           2
        .value_kind:     hidden_group_size_y
      - .offset:         496
        .size:           2
        .value_kind:     hidden_group_size_z
      - .offset:         498
        .size:           2
        .value_kind:     hidden_remainder_x
      - .offset:         500
        .size:           2
        .value_kind:     hidden_remainder_y
      - .offset:         502
        .size:           2
        .value_kind:     hidden_remainder_z
      - .offset:         520
        .size:           8
        .value_kind:     hidden_global_offset_x
      - .offset:         528
        .size:           8
        .value_kind:     hidden_global_offset_y
      - .offset:         536
        .size:           8
        .value_kind:     hidden_global_offset_z
      - .offset:         544
        .size:           2
        .value_kind:     hidden_grid_dims
    .group_segment_fixed_size: 1024
    .kernarg_segment_align: 8
    .kernarg_segment_size: 736
    .language:       OpenCL C
    .language_version:
      - 2
      - 0
    .max_flat_workgroup_size: 256
    .name:           _ZN2at6native6mbtopk23computeBlockDigitCountsIfmjLi3EEEvNS_4cuda6detail10TensorInfoIKT_T0_EEjPjjS8_iijT1_PSB_Ps
    .private_segment_fixed_size: 0
    .sgpr_count:     32
    .sgpr_spill_count: 0
    .symbol:         _ZN2at6native6mbtopk23computeBlockDigitCountsIfmjLi3EEEvNS_4cuda6detail10TensorInfoIKT_T0_EEjPjjS8_iijT1_PSB_Ps.kd
    .uniform_work_group_size: 1
    .uses_dynamic_stack: false
    .vgpr_count:     12
    .vgpr_spill_count: 0
    .wavefront_size: 64
  - .agpr_count:     0
    .args:
      - .offset:         0
        .size:           416
        .value_kind:     by_value
      - .offset:         416
        .size:           8
        .value_kind:     by_value
      - .offset:         424
        .size:           8
        .value_kind:     by_value
      - .offset:         432
        .size:           1
        .value_kind:     by_value
      - .offset:         436
        .size:           4
        .value_kind:     by_value
      - .offset:         440
        .size:           8
        .value_kind:     by_value
      - .offset:         448
        .size:           416
        .value_kind:     by_value
      - .offset:         864
        .size:           8
        .value_kind:     by_value
      - .offset:         872
        .size:           416
        .value_kind:     by_value
      - .offset:         1288
        .size:           8
        .value_kind:     by_value
      - .offset:         1296
        .size:           4
        .value_kind:     by_value
      - .offset:         1300
        .size:           4
        .value_kind:     by_value
      - .address_space:  global
        .offset:         1304
        .size:           8
        .value_kind:     global_buffer
      - .address_space:  global
        .offset:         1312
        .size:           8
        .value_kind:     global_buffer
      - .address_space:  global
        .offset:         1320
        .size:           8
        .value_kind:     global_buffer
      - .offset:         1328
        .size:           4
        .value_kind:     by_value
      - .offset:         1336
        .size:           4
        .value_kind:     hidden_block_count_x
      - .offset:         1340
        .size:           4
        .value_kind:     hidden_block_count_y
      - .offset:         1344
        .size:           4
        .value_kind:     hidden_block_count_z
      - .offset:         1348
        .size:           2
        .value_kind:     hidden_group_size_x
      - .offset:         1350
        .size:           2
        .value_kind:     hidden_group_size_y
      - .offset:         1352
        .size:           2
        .value_kind:     hidden_group_size_z
      - .offset:         1354
        .size:           2
        .value_kind:     hidden_remainder_x
      - .offset:         1356
        .size:           2
        .value_kind:     hidden_remainder_y
      - .offset:         1358
        .size:           2
        .value_kind:     hidden_remainder_z
      - .offset:         1376
        .size:           8
        .value_kind:     hidden_global_offset_x
      - .offset:         1384
        .size:           8
        .value_kind:     hidden_global_offset_y
      - .offset:         1392
        .size:           8
        .value_kind:     hidden_global_offset_z
      - .offset:         1400
        .size:           2
        .value_kind:     hidden_grid_dims
    .group_segment_fixed_size: 1068
    .kernarg_segment_align: 8
    .kernarg_segment_size: 1592
    .language:       OpenCL C
    .language_version:
      - 2
      - 0
    .max_flat_workgroup_size: 256
    .name:           _ZN2at6native6mbtopk10gatherTopKIfmLi3EEEvNS_4cuda6detail10TensorInfoIKT_T0_EES8_S8_bjS8_NS5_IS6_S8_EES8_NS5_IlS8_EES8_jjPS6_PjSD_j
    .private_segment_fixed_size: 0
    .sgpr_count:     82
    .sgpr_spill_count: 0
    .symbol:         _ZN2at6native6mbtopk10gatherTopKIfmLi3EEEvNS_4cuda6detail10TensorInfoIKT_T0_EES8_S8_bjS8_NS5_IS6_S8_EES8_NS5_IlS8_EES8_jjPS6_PjSD_j.kd
    .uniform_work_group_size: 1
    .uses_dynamic_stack: false
    .vgpr_count:     22
    .vgpr_spill_count: 0
    .wavefront_size: 64
  - .agpr_count:     0
    .args:
      - .offset:         0
        .size:           416
        .value_kind:     by_value
      - .offset:         416
        .size:           8
        .value_kind:     by_value
      - .offset:         424
        .size:           8
        .value_kind:     by_value
      - .offset:         432
        .size:           1
        .value_kind:     by_value
      - .offset:         440
        .size:           8
        .value_kind:     by_value
      - .offset:         448
        .size:           8
        .value_kind:     by_value
      - .offset:         456
        .size:           416
        .value_kind:     by_value
      - .offset:         872
        .size:           8
        .value_kind:     by_value
      - .offset:         880
        .size:           416
        .value_kind:     by_value
      - .offset:         1296
        .size:           8
        .value_kind:     by_value
      - .address_space:  global
        .offset:         1304
        .size:           8
        .value_kind:     global_buffer
      - .offset:         1312
        .size:           4
        .value_kind:     hidden_block_count_x
      - .offset:         1316
        .size:           4
        .value_kind:     hidden_block_count_y
      - .offset:         1320
        .size:           4
        .value_kind:     hidden_block_count_z
      - .offset:         1324
        .size:           2
        .value_kind:     hidden_group_size_x
      - .offset:         1326
        .size:           2
        .value_kind:     hidden_group_size_y
      - .offset:         1328
        .size:           2
        .value_kind:     hidden_group_size_z
      - .offset:         1330
        .size:           2
        .value_kind:     hidden_remainder_x
      - .offset:         1332
        .size:           2
        .value_kind:     hidden_remainder_y
      - .offset:         1334
        .size:           2
        .value_kind:     hidden_remainder_z
      - .offset:         1352
        .size:           8
        .value_kind:     hidden_global_offset_x
      - .offset:         1360
        .size:           8
        .value_kind:     hidden_global_offset_y
      - .offset:         1368
        .size:           8
        .value_kind:     hidden_global_offset_z
      - .offset:         1376
        .size:           2
        .value_kind:     hidden_grid_dims
    .group_segment_fixed_size: 5152
    .kernarg_segment_align: 8
    .kernarg_segment_size: 1568
    .language:       OpenCL C
    .language_version:
      - 2
      - 0
    .max_flat_workgroup_size: 1024
    .name:           _ZN2at6native6sbtopk10gatherTopKIfmLi3ELb0EEEvNS_4cuda6detail10TensorInfoIKT_T0_EES8_S8_bS8_S8_NS5_IS6_S8_EES8_NS5_IlS8_EES8_PS6_
    .private_segment_fixed_size: 0
    .sgpr_count:     100
    .sgpr_spill_count: 78
    .symbol:         _ZN2at6native6sbtopk10gatherTopKIfmLi3ELb0EEEvNS_4cuda6detail10TensorInfoIKT_T0_EES8_S8_bS8_S8_NS5_IS6_S8_EES8_NS5_IlS8_EES8_PS6_.kd
    .uniform_work_group_size: 1
    .uses_dynamic_stack: false
    .vgpr_count:     50
    .vgpr_spill_count: 0
    .wavefront_size: 64
  - .agpr_count:     0
    .args:
      - .offset:         0
        .size:           416
        .value_kind:     by_value
      - .offset:         416
        .size:           4
        .value_kind:     by_value
      - .address_space:  global
        .offset:         424
        .size:           8
        .value_kind:     global_buffer
      - .offset:         432
        .size:           4
        .value_kind:     by_value
      - .offset:         440
        .size:           8
        .value_kind:     by_value
      - .offset:         448
        .size:           4
        .value_kind:     by_value
      - .offset:         452
        .size:           4
        .value_kind:     by_value
      - .offset:         456
        .size:           4
        .value_kind:     by_value
      - .offset:         460
        .size:           4
        .value_kind:     by_value
      - .address_space:  global
        .offset:         464
        .size:           8
        .value_kind:     global_buffer
      - .address_space:  global
        .offset:         472
        .size:           8
        .value_kind:     global_buffer
      - .offset:         480
        .size:           4
        .value_kind:     hidden_block_count_x
      - .offset:         484
        .size:           4
        .value_kind:     hidden_block_count_y
      - .offset:         488
        .size:           4
        .value_kind:     hidden_block_count_z
      - .offset:         492
        .size:           2
        .value_kind:     hidden_group_size_x
      - .offset:         494
        .size:           2
        .value_kind:     hidden_group_size_y
      - .offset:         496
        .size:           2
        .value_kind:     hidden_group_size_z
      - .offset:         498
        .size:           2
        .value_kind:     hidden_remainder_x
      - .offset:         500
        .size:           2
        .value_kind:     hidden_remainder_y
      - .offset:         502
        .size:           2
        .value_kind:     hidden_remainder_z
      - .offset:         520
        .size:           8
        .value_kind:     hidden_global_offset_x
      - .offset:         528
        .size:           8
        .value_kind:     hidden_global_offset_y
      - .offset:         536
        .size:           8
        .value_kind:     hidden_global_offset_z
      - .offset:         544
        .size:           2
        .value_kind:     hidden_grid_dims
    .group_segment_fixed_size: 1024
    .kernarg_segment_align: 8
    .kernarg_segment_size: 736
    .language:       OpenCL C
    .language_version:
      - 2
      - 0
    .max_flat_workgroup_size: 256
    .name:           _ZN2at6native6mbtopk23computeBlockDigitCountsIfmjLin1EEEvNS_4cuda6detail10TensorInfoIKT_T0_EEjPjjS8_iijT1_PSB_Ps
    .private_segment_fixed_size: 0
    .sgpr_count:     35
    .sgpr_spill_count: 0
    .symbol:         _ZN2at6native6mbtopk23computeBlockDigitCountsIfmjLin1EEEvNS_4cuda6detail10TensorInfoIKT_T0_EEjPjjS8_iijT1_PSB_Ps.kd
    .uniform_work_group_size: 1
    .uses_dynamic_stack: false
    .vgpr_count:     12
    .vgpr_spill_count: 0
    .wavefront_size: 64
  - .agpr_count:     0
    .args:
      - .offset:         0
        .size:           416
        .value_kind:     by_value
      - .offset:         416
        .size:           8
        .value_kind:     by_value
      - .offset:         424
        .size:           8
        .value_kind:     by_value
      - .offset:         432
        .size:           1
        .value_kind:     by_value
      - .offset:         436
        .size:           4
        .value_kind:     by_value
      - .offset:         440
        .size:           8
        .value_kind:     by_value
      - .offset:         448
        .size:           416
        .value_kind:     by_value
      - .offset:         864
        .size:           8
        .value_kind:     by_value
      - .offset:         872
        .size:           416
        .value_kind:     by_value
      - .offset:         1288
        .size:           8
        .value_kind:     by_value
      - .offset:         1296
        .size:           4
        .value_kind:     by_value
      - .offset:         1300
        .size:           4
        .value_kind:     by_value
      - .address_space:  global
        .offset:         1304
        .size:           8
        .value_kind:     global_buffer
      - .address_space:  global
        .offset:         1312
        .size:           8
        .value_kind:     global_buffer
      - .address_space:  global
        .offset:         1320
        .size:           8
        .value_kind:     global_buffer
      - .offset:         1328
        .size:           4
        .value_kind:     by_value
      - .offset:         1336
        .size:           4
        .value_kind:     hidden_block_count_x
      - .offset:         1340
        .size:           4
        .value_kind:     hidden_block_count_y
      - .offset:         1344
        .size:           4
        .value_kind:     hidden_block_count_z
      - .offset:         1348
        .size:           2
        .value_kind:     hidden_group_size_x
      - .offset:         1350
        .size:           2
        .value_kind:     hidden_group_size_y
      - .offset:         1352
        .size:           2
        .value_kind:     hidden_group_size_z
      - .offset:         1354
        .size:           2
        .value_kind:     hidden_remainder_x
      - .offset:         1356
        .size:           2
        .value_kind:     hidden_remainder_y
      - .offset:         1358
        .size:           2
        .value_kind:     hidden_remainder_z
      - .offset:         1376
        .size:           8
        .value_kind:     hidden_global_offset_x
      - .offset:         1384
        .size:           8
        .value_kind:     hidden_global_offset_y
      - .offset:         1392
        .size:           8
        .value_kind:     hidden_global_offset_z
      - .offset:         1400
        .size:           2
        .value_kind:     hidden_grid_dims
    .group_segment_fixed_size: 1068
    .kernarg_segment_align: 8
    .kernarg_segment_size: 1592
    .language:       OpenCL C
    .language_version:
      - 2
      - 0
    .max_flat_workgroup_size: 256
    .name:           _ZN2at6native6mbtopk10gatherTopKIfmLin1EEEvNS_4cuda6detail10TensorInfoIKT_T0_EES8_S8_bjS8_NS5_IS6_S8_EES8_NS5_IlS8_EES8_jjPS6_PjSD_j
    .private_segment_fixed_size: 0
    .sgpr_count:     64
    .sgpr_spill_count: 0
    .symbol:         _ZN2at6native6mbtopk10gatherTopKIfmLin1EEEvNS_4cuda6detail10TensorInfoIKT_T0_EES8_S8_bjS8_NS5_IS6_S8_EES8_NS5_IlS8_EES8_jjPS6_PjSD_j.kd
    .uniform_work_group_size: 1
    .uses_dynamic_stack: false
    .vgpr_count:     22
    .vgpr_spill_count: 0
    .wavefront_size: 64
  - .agpr_count:     0
    .args:
      - .offset:         0
        .size:           416
        .value_kind:     by_value
      - .offset:         416
        .size:           8
        .value_kind:     by_value
      - .offset:         424
        .size:           8
        .value_kind:     by_value
      - .offset:         432
        .size:           1
        .value_kind:     by_value
      - .offset:         440
        .size:           8
        .value_kind:     by_value
      - .offset:         448
        .size:           8
        .value_kind:     by_value
      - .offset:         456
        .size:           416
        .value_kind:     by_value
      - .offset:         872
        .size:           8
        .value_kind:     by_value
      - .offset:         880
        .size:           416
        .value_kind:     by_value
      - .offset:         1296
        .size:           8
        .value_kind:     by_value
      - .address_space:  global
        .offset:         1304
        .size:           8
        .value_kind:     global_buffer
      - .offset:         1312
        .size:           4
        .value_kind:     hidden_block_count_x
      - .offset:         1316
        .size:           4
        .value_kind:     hidden_block_count_y
      - .offset:         1320
        .size:           4
        .value_kind:     hidden_block_count_z
      - .offset:         1324
        .size:           2
        .value_kind:     hidden_group_size_x
      - .offset:         1326
        .size:           2
        .value_kind:     hidden_group_size_y
      - .offset:         1328
        .size:           2
        .value_kind:     hidden_group_size_z
      - .offset:         1330
        .size:           2
        .value_kind:     hidden_remainder_x
      - .offset:         1332
        .size:           2
        .value_kind:     hidden_remainder_y
      - .offset:         1334
        .size:           2
        .value_kind:     hidden_remainder_z
      - .offset:         1352
        .size:           8
        .value_kind:     hidden_global_offset_x
      - .offset:         1360
        .size:           8
        .value_kind:     hidden_global_offset_y
      - .offset:         1368
        .size:           8
        .value_kind:     hidden_global_offset_z
      - .offset:         1376
        .size:           2
        .value_kind:     hidden_grid_dims
    .group_segment_fixed_size: 5152
    .kernarg_segment_align: 8
    .kernarg_segment_size: 1568
    .language:       OpenCL C
    .language_version:
      - 2
      - 0
    .max_flat_workgroup_size: 1024
    .name:           _ZN2at6native6sbtopk10gatherTopKIfmLin1ELb0EEEvNS_4cuda6detail10TensorInfoIKT_T0_EES8_S8_bS8_S8_NS5_IS6_S8_EES8_NS5_IlS8_EES8_PS6_
    .private_segment_fixed_size: 0
    .sgpr_count:     100
    .sgpr_spill_count: 86
    .symbol:         _ZN2at6native6sbtopk10gatherTopKIfmLin1ELb0EEEvNS_4cuda6detail10TensorInfoIKT_T0_EES8_S8_bS8_S8_NS5_IS6_S8_EES8_NS5_IlS8_EES8_PS6_.kd
    .uniform_work_group_size: 1
    .uses_dynamic_stack: false
    .vgpr_count:     58
    .vgpr_spill_count: 0
    .wavefront_size: 64
  - .agpr_count:     0
    .args:
      - .offset:         0
        .size:           416
        .value_kind:     by_value
      - .offset:         416
        .size:           4
        .value_kind:     by_value
      - .address_space:  global
        .offset:         424
        .size:           8
        .value_kind:     global_buffer
      - .offset:         432
        .size:           4
        .value_kind:     by_value
      - .offset:         440
        .size:           8
        .value_kind:     by_value
      - .offset:         448
        .size:           4
        .value_kind:     by_value
      - .offset:         452
        .size:           4
        .value_kind:     by_value
      - .offset:         456
        .size:           4
        .value_kind:     by_value
      - .offset:         460
        .size:           4
        .value_kind:     by_value
      - .address_space:  global
        .offset:         464
        .size:           8
        .value_kind:     global_buffer
      - .address_space:  global
        .offset:         472
        .size:           8
        .value_kind:     global_buffer
      - .offset:         480
        .size:           4
        .value_kind:     hidden_block_count_x
      - .offset:         484
        .size:           4
        .value_kind:     hidden_block_count_y
      - .offset:         488
        .size:           4
        .value_kind:     hidden_block_count_z
      - .offset:         492
        .size:           2
        .value_kind:     hidden_group_size_x
      - .offset:         494
        .size:           2
        .value_kind:     hidden_group_size_y
      - .offset:         496
        .size:           2
        .value_kind:     hidden_group_size_z
      - .offset:         498
        .size:           2
        .value_kind:     hidden_remainder_x
      - .offset:         500
        .size:           2
        .value_kind:     hidden_remainder_y
      - .offset:         502
        .size:           2
        .value_kind:     hidden_remainder_z
      - .offset:         520
        .size:           8
        .value_kind:     hidden_global_offset_x
      - .offset:         528
        .size:           8
        .value_kind:     hidden_global_offset_y
      - .offset:         536
        .size:           8
        .value_kind:     hidden_global_offset_z
      - .offset:         544
        .size:           2
        .value_kind:     hidden_grid_dims
    .group_segment_fixed_size: 1024
    .kernarg_segment_align: 8
    .kernarg_segment_size: 736
    .language:       OpenCL C
    .language_version:
      - 2
      - 0
    .max_flat_workgroup_size: 256
    .name:           _ZN2at6native6mbtopk23computeBlockDigitCountsIN3c104HalfEmjLi1EEEvNS_4cuda6detail10TensorInfoIKT_T0_EEjPjjSA_iijT1_PSD_Ps
    .private_segment_fixed_size: 0
    .sgpr_count:     28
    .sgpr_spill_count: 0
    .symbol:         _ZN2at6native6mbtopk23computeBlockDigitCountsIN3c104HalfEmjLi1EEEvNS_4cuda6detail10TensorInfoIKT_T0_EEjPjjSA_iijT1_PSD_Ps.kd
    .uniform_work_group_size: 1
    .uses_dynamic_stack: false
    .vgpr_count:     12
    .vgpr_spill_count: 0
    .wavefront_size: 64
  - .agpr_count:     0
    .args:
      - .offset:         0
        .size:           416
        .value_kind:     by_value
      - .offset:         416
        .size:           8
        .value_kind:     by_value
      - .offset:         424
        .size:           8
        .value_kind:     by_value
      - .offset:         432
        .size:           1
        .value_kind:     by_value
      - .offset:         436
        .size:           4
        .value_kind:     by_value
      - .offset:         440
        .size:           8
        .value_kind:     by_value
      - .offset:         448
        .size:           416
        .value_kind:     by_value
      - .offset:         864
        .size:           8
        .value_kind:     by_value
      - .offset:         872
        .size:           416
        .value_kind:     by_value
      - .offset:         1288
        .size:           8
        .value_kind:     by_value
      - .offset:         1296
        .size:           4
        .value_kind:     by_value
      - .offset:         1300
        .size:           4
        .value_kind:     by_value
      - .address_space:  global
        .offset:         1304
        .size:           8
        .value_kind:     global_buffer
      - .address_space:  global
        .offset:         1312
        .size:           8
        .value_kind:     global_buffer
      - .address_space:  global
        .offset:         1320
        .size:           8
        .value_kind:     global_buffer
      - .offset:         1328
        .size:           4
        .value_kind:     by_value
      - .offset:         1336
        .size:           4
        .value_kind:     hidden_block_count_x
      - .offset:         1340
        .size:           4
        .value_kind:     hidden_block_count_y
      - .offset:         1344
        .size:           4
        .value_kind:     hidden_block_count_z
      - .offset:         1348
        .size:           2
        .value_kind:     hidden_group_size_x
      - .offset:         1350
        .size:           2
        .value_kind:     hidden_group_size_y
      - .offset:         1352
        .size:           2
        .value_kind:     hidden_group_size_z
      - .offset:         1354
        .size:           2
        .value_kind:     hidden_remainder_x
      - .offset:         1356
        .size:           2
        .value_kind:     hidden_remainder_y
      - .offset:         1358
        .size:           2
        .value_kind:     hidden_remainder_z
      - .offset:         1376
        .size:           8
        .value_kind:     hidden_global_offset_x
      - .offset:         1384
        .size:           8
        .value_kind:     hidden_global_offset_y
      - .offset:         1392
        .size:           8
        .value_kind:     hidden_global_offset_z
      - .offset:         1400
        .size:           2
        .value_kind:     hidden_grid_dims
    .group_segment_fixed_size: 1068
    .kernarg_segment_align: 8
    .kernarg_segment_size: 1592
    .language:       OpenCL C
    .language_version:
      - 2
      - 0
    .max_flat_workgroup_size: 256
    .name:           _ZN2at6native6mbtopk10gatherTopKIN3c104HalfEmLi1EEEvNS_4cuda6detail10TensorInfoIKT_T0_EESA_SA_bjSA_NS7_IS8_SA_EESA_NS7_IlSA_EESA_jjPS8_PjSF_j
    .private_segment_fixed_size: 0
    .sgpr_count:     49
    .sgpr_spill_count: 0
    .symbol:         _ZN2at6native6mbtopk10gatherTopKIN3c104HalfEmLi1EEEvNS_4cuda6detail10TensorInfoIKT_T0_EESA_SA_bjSA_NS7_IS8_SA_EESA_NS7_IlSA_EESA_jjPS8_PjSF_j.kd
    .uniform_work_group_size: 1
    .uses_dynamic_stack: false
    .vgpr_count:     24
    .vgpr_spill_count: 0
    .wavefront_size: 64
  - .agpr_count:     0
    .args:
      - .offset:         0
        .size:           416
        .value_kind:     by_value
      - .offset:         416
        .size:           8
        .value_kind:     by_value
      - .offset:         424
        .size:           8
        .value_kind:     by_value
      - .offset:         432
        .size:           1
        .value_kind:     by_value
      - .offset:         440
        .size:           8
        .value_kind:     by_value
      - .offset:         448
        .size:           8
        .value_kind:     by_value
      - .offset:         456
        .size:           416
        .value_kind:     by_value
      - .offset:         872
        .size:           8
        .value_kind:     by_value
      - .offset:         880
        .size:           416
        .value_kind:     by_value
      - .offset:         1296
        .size:           8
        .value_kind:     by_value
      - .address_space:  global
        .offset:         1304
        .size:           8
        .value_kind:     global_buffer
      - .offset:         1312
        .size:           4
        .value_kind:     hidden_block_count_x
      - .offset:         1316
        .size:           4
        .value_kind:     hidden_block_count_y
      - .offset:         1320
        .size:           4
        .value_kind:     hidden_block_count_z
      - .offset:         1324
        .size:           2
        .value_kind:     hidden_group_size_x
      - .offset:         1326
        .size:           2
        .value_kind:     hidden_group_size_y
      - .offset:         1328
        .size:           2
        .value_kind:     hidden_group_size_z
      - .offset:         1330
        .size:           2
        .value_kind:     hidden_remainder_x
      - .offset:         1332
        .size:           2
        .value_kind:     hidden_remainder_y
      - .offset:         1334
        .size:           2
        .value_kind:     hidden_remainder_z
      - .offset:         1352
        .size:           8
        .value_kind:     hidden_global_offset_x
      - .offset:         1360
        .size:           8
        .value_kind:     hidden_global_offset_y
      - .offset:         1368
        .size:           8
        .value_kind:     hidden_global_offset_z
      - .offset:         1376
        .size:           2
        .value_kind:     hidden_grid_dims
    .group_segment_fixed_size: 5152
    .kernarg_segment_align: 8
    .kernarg_segment_size: 1568
    .language:       OpenCL C
    .language_version:
      - 2
      - 0
    .max_flat_workgroup_size: 1024
    .name:           _ZN2at6native6sbtopk10gatherTopKIN3c104HalfEmLi1ELb0EEEvNS_4cuda6detail10TensorInfoIKT_T0_EESA_SA_bSA_SA_NS7_IS8_SA_EESA_NS7_IlSA_EESA_PS8_
    .private_segment_fixed_size: 0
    .sgpr_count:     100
    .sgpr_spill_count: 74
    .symbol:         _ZN2at6native6sbtopk10gatherTopKIN3c104HalfEmLi1ELb0EEEvNS_4cuda6detail10TensorInfoIKT_T0_EESA_SA_bSA_SA_NS7_IS8_SA_EESA_NS7_IlSA_EESA_PS8_.kd
    .uniform_work_group_size: 1
    .uses_dynamic_stack: false
    .vgpr_count:     57
    .vgpr_spill_count: 0
    .wavefront_size: 64
  - .agpr_count:     0
    .args:
      - .offset:         0
        .size:           416
        .value_kind:     by_value
      - .offset:         416
        .size:           4
        .value_kind:     by_value
      - .address_space:  global
        .offset:         424
        .size:           8
        .value_kind:     global_buffer
      - .offset:         432
        .size:           4
        .value_kind:     by_value
      - .offset:         440
        .size:           8
        .value_kind:     by_value
      - .offset:         448
        .size:           4
        .value_kind:     by_value
      - .offset:         452
        .size:           4
        .value_kind:     by_value
      - .offset:         456
        .size:           4
        .value_kind:     by_value
      - .offset:         460
        .size:           4
        .value_kind:     by_value
      - .address_space:  global
        .offset:         464
        .size:           8
        .value_kind:     global_buffer
      - .address_space:  global
        .offset:         472
        .size:           8
        .value_kind:     global_buffer
      - .offset:         480
        .size:           4
        .value_kind:     hidden_block_count_x
      - .offset:         484
        .size:           4
        .value_kind:     hidden_block_count_y
      - .offset:         488
        .size:           4
        .value_kind:     hidden_block_count_z
      - .offset:         492
        .size:           2
        .value_kind:     hidden_group_size_x
      - .offset:         494
        .size:           2
        .value_kind:     hidden_group_size_y
      - .offset:         496
        .size:           2
        .value_kind:     hidden_group_size_z
      - .offset:         498
        .size:           2
        .value_kind:     hidden_remainder_x
      - .offset:         500
        .size:           2
        .value_kind:     hidden_remainder_y
      - .offset:         502
        .size:           2
        .value_kind:     hidden_remainder_z
      - .offset:         520
        .size:           8
        .value_kind:     hidden_global_offset_x
      - .offset:         528
        .size:           8
        .value_kind:     hidden_global_offset_y
      - .offset:         536
        .size:           8
        .value_kind:     hidden_global_offset_z
      - .offset:         544
        .size:           2
        .value_kind:     hidden_grid_dims
    .group_segment_fixed_size: 1024
    .kernarg_segment_align: 8
    .kernarg_segment_size: 736
    .language:       OpenCL C
    .language_version:
      - 2
      - 0
    .max_flat_workgroup_size: 256
    .name:           _ZN2at6native6mbtopk23computeBlockDigitCountsIN3c104HalfEmjLi2EEEvNS_4cuda6detail10TensorInfoIKT_T0_EEjPjjSA_iijT1_PSD_Ps
    .private_segment_fixed_size: 0
    .sgpr_count:     30
    .sgpr_spill_count: 0
    .symbol:         _ZN2at6native6mbtopk23computeBlockDigitCountsIN3c104HalfEmjLi2EEEvNS_4cuda6detail10TensorInfoIKT_T0_EEjPjjSA_iijT1_PSD_Ps.kd
    .uniform_work_group_size: 1
    .uses_dynamic_stack: false
    .vgpr_count:     12
    .vgpr_spill_count: 0
    .wavefront_size: 64
  - .agpr_count:     0
    .args:
      - .offset:         0
        .size:           416
        .value_kind:     by_value
      - .offset:         416
        .size:           8
        .value_kind:     by_value
      - .offset:         424
        .size:           8
        .value_kind:     by_value
      - .offset:         432
        .size:           1
        .value_kind:     by_value
      - .offset:         436
        .size:           4
        .value_kind:     by_value
      - .offset:         440
        .size:           8
        .value_kind:     by_value
      - .offset:         448
        .size:           416
        .value_kind:     by_value
      - .offset:         864
        .size:           8
        .value_kind:     by_value
      - .offset:         872
        .size:           416
        .value_kind:     by_value
      - .offset:         1288
        .size:           8
        .value_kind:     by_value
      - .offset:         1296
        .size:           4
        .value_kind:     by_value
      - .offset:         1300
        .size:           4
        .value_kind:     by_value
      - .address_space:  global
        .offset:         1304
        .size:           8
        .value_kind:     global_buffer
      - .address_space:  global
        .offset:         1312
        .size:           8
        .value_kind:     global_buffer
      - .address_space:  global
        .offset:         1320
        .size:           8
        .value_kind:     global_buffer
      - .offset:         1328
        .size:           4
        .value_kind:     by_value
      - .offset:         1336
        .size:           4
        .value_kind:     hidden_block_count_x
      - .offset:         1340
        .size:           4
        .value_kind:     hidden_block_count_y
      - .offset:         1344
        .size:           4
        .value_kind:     hidden_block_count_z
      - .offset:         1348
        .size:           2
        .value_kind:     hidden_group_size_x
      - .offset:         1350
        .size:           2
        .value_kind:     hidden_group_size_y
      - .offset:         1352
        .size:           2
        .value_kind:     hidden_group_size_z
      - .offset:         1354
        .size:           2
        .value_kind:     hidden_remainder_x
      - .offset:         1356
        .size:           2
        .value_kind:     hidden_remainder_y
      - .offset:         1358
        .size:           2
        .value_kind:     hidden_remainder_z
      - .offset:         1376
        .size:           8
        .value_kind:     hidden_global_offset_x
      - .offset:         1384
        .size:           8
        .value_kind:     hidden_global_offset_y
      - .offset:         1392
        .size:           8
        .value_kind:     hidden_global_offset_z
      - .offset:         1400
        .size:           2
        .value_kind:     hidden_grid_dims
    .group_segment_fixed_size: 1068
    .kernarg_segment_align: 8
    .kernarg_segment_size: 1592
    .language:       OpenCL C
    .language_version:
      - 2
      - 0
    .max_flat_workgroup_size: 256
    .name:           _ZN2at6native6mbtopk10gatherTopKIN3c104HalfEmLi2EEEvNS_4cuda6detail10TensorInfoIKT_T0_EESA_SA_bjSA_NS7_IS8_SA_EESA_NS7_IlSA_EESA_jjPS8_PjSF_j
    .private_segment_fixed_size: 0
    .sgpr_count:     54
    .sgpr_spill_count: 0
    .symbol:         _ZN2at6native6mbtopk10gatherTopKIN3c104HalfEmLi2EEEvNS_4cuda6detail10TensorInfoIKT_T0_EESA_SA_bjSA_NS7_IS8_SA_EESA_NS7_IlSA_EESA_jjPS8_PjSF_j.kd
    .uniform_work_group_size: 1
    .uses_dynamic_stack: false
    .vgpr_count:     24
    .vgpr_spill_count: 0
    .wavefront_size: 64
  - .agpr_count:     0
    .args:
      - .offset:         0
        .size:           416
        .value_kind:     by_value
      - .offset:         416
        .size:           8
        .value_kind:     by_value
      - .offset:         424
        .size:           8
        .value_kind:     by_value
      - .offset:         432
        .size:           1
        .value_kind:     by_value
      - .offset:         440
        .size:           8
        .value_kind:     by_value
      - .offset:         448
        .size:           8
        .value_kind:     by_value
      - .offset:         456
        .size:           416
        .value_kind:     by_value
      - .offset:         872
        .size:           8
        .value_kind:     by_value
      - .offset:         880
        .size:           416
        .value_kind:     by_value
      - .offset:         1296
        .size:           8
        .value_kind:     by_value
      - .address_space:  global
        .offset:         1304
        .size:           8
        .value_kind:     global_buffer
      - .offset:         1312
        .size:           4
        .value_kind:     hidden_block_count_x
      - .offset:         1316
        .size:           4
        .value_kind:     hidden_block_count_y
      - .offset:         1320
        .size:           4
        .value_kind:     hidden_block_count_z
      - .offset:         1324
        .size:           2
        .value_kind:     hidden_group_size_x
      - .offset:         1326
        .size:           2
        .value_kind:     hidden_group_size_y
      - .offset:         1328
        .size:           2
        .value_kind:     hidden_group_size_z
      - .offset:         1330
        .size:           2
        .value_kind:     hidden_remainder_x
      - .offset:         1332
        .size:           2
        .value_kind:     hidden_remainder_y
      - .offset:         1334
        .size:           2
        .value_kind:     hidden_remainder_z
      - .offset:         1352
        .size:           8
        .value_kind:     hidden_global_offset_x
      - .offset:         1360
        .size:           8
        .value_kind:     hidden_global_offset_y
      - .offset:         1368
        .size:           8
        .value_kind:     hidden_global_offset_z
      - .offset:         1376
        .size:           2
        .value_kind:     hidden_grid_dims
    .group_segment_fixed_size: 5152
    .kernarg_segment_align: 8
    .kernarg_segment_size: 1568
    .language:       OpenCL C
    .language_version:
      - 2
      - 0
    .max_flat_workgroup_size: 1024
    .name:           _ZN2at6native6sbtopk10gatherTopKIN3c104HalfEmLi2ELb0EEEvNS_4cuda6detail10TensorInfoIKT_T0_EESA_SA_bSA_SA_NS7_IS8_SA_EESA_NS7_IlSA_EESA_PS8_
    .private_segment_fixed_size: 0
    .sgpr_count:     100
    .sgpr_spill_count: 66
    .symbol:         _ZN2at6native6sbtopk10gatherTopKIN3c104HalfEmLi2ELb0EEEvNS_4cuda6detail10TensorInfoIKT_T0_EESA_SA_bSA_SA_NS7_IS8_SA_EESA_NS7_IlSA_EESA_PS8_.kd
    .uniform_work_group_size: 1
    .uses_dynamic_stack: false
    .vgpr_count:     49
    .vgpr_spill_count: 0
    .wavefront_size: 64
  - .agpr_count:     0
    .args:
      - .offset:         0
        .size:           416
        .value_kind:     by_value
      - .offset:         416
        .size:           4
        .value_kind:     by_value
      - .address_space:  global
        .offset:         424
        .size:           8
        .value_kind:     global_buffer
      - .offset:         432
        .size:           4
        .value_kind:     by_value
      - .offset:         440
        .size:           8
        .value_kind:     by_value
      - .offset:         448
        .size:           4
        .value_kind:     by_value
      - .offset:         452
        .size:           4
        .value_kind:     by_value
      - .offset:         456
        .size:           4
        .value_kind:     by_value
      - .offset:         460
        .size:           4
        .value_kind:     by_value
      - .address_space:  global
        .offset:         464
        .size:           8
        .value_kind:     global_buffer
      - .address_space:  global
        .offset:         472
        .size:           8
        .value_kind:     global_buffer
      - .offset:         480
        .size:           4
        .value_kind:     hidden_block_count_x
      - .offset:         484
        .size:           4
        .value_kind:     hidden_block_count_y
      - .offset:         488
        .size:           4
        .value_kind:     hidden_block_count_z
      - .offset:         492
        .size:           2
        .value_kind:     hidden_group_size_x
      - .offset:         494
        .size:           2
        .value_kind:     hidden_group_size_y
      - .offset:         496
        .size:           2
        .value_kind:     hidden_group_size_z
      - .offset:         498
        .size:           2
        .value_kind:     hidden_remainder_x
      - .offset:         500
        .size:           2
        .value_kind:     hidden_remainder_y
      - .offset:         502
        .size:           2
        .value_kind:     hidden_remainder_z
      - .offset:         520
        .size:           8
        .value_kind:     hidden_global_offset_x
      - .offset:         528
        .size:           8
        .value_kind:     hidden_global_offset_y
      - .offset:         536
        .size:           8
        .value_kind:     hidden_global_offset_z
      - .offset:         544
        .size:           2
        .value_kind:     hidden_grid_dims
    .group_segment_fixed_size: 1024
    .kernarg_segment_align: 8
    .kernarg_segment_size: 736
    .language:       OpenCL C
    .language_version:
      - 2
      - 0
    .max_flat_workgroup_size: 256
    .name:           _ZN2at6native6mbtopk23computeBlockDigitCountsIN3c104HalfEmjLi3EEEvNS_4cuda6detail10TensorInfoIKT_T0_EEjPjjSA_iijT1_PSD_Ps
    .private_segment_fixed_size: 0
    .sgpr_count:     32
    .sgpr_spill_count: 0
    .symbol:         _ZN2at6native6mbtopk23computeBlockDigitCountsIN3c104HalfEmjLi3EEEvNS_4cuda6detail10TensorInfoIKT_T0_EEjPjjSA_iijT1_PSD_Ps.kd
    .uniform_work_group_size: 1
    .uses_dynamic_stack: false
    .vgpr_count:     12
    .vgpr_spill_count: 0
    .wavefront_size: 64
  - .agpr_count:     0
    .args:
      - .offset:         0
        .size:           416
        .value_kind:     by_value
      - .offset:         416
        .size:           8
        .value_kind:     by_value
      - .offset:         424
        .size:           8
        .value_kind:     by_value
      - .offset:         432
        .size:           1
        .value_kind:     by_value
      - .offset:         436
        .size:           4
        .value_kind:     by_value
      - .offset:         440
        .size:           8
        .value_kind:     by_value
      - .offset:         448
        .size:           416
        .value_kind:     by_value
      - .offset:         864
        .size:           8
        .value_kind:     by_value
      - .offset:         872
        .size:           416
        .value_kind:     by_value
      - .offset:         1288
        .size:           8
        .value_kind:     by_value
      - .offset:         1296
        .size:           4
        .value_kind:     by_value
      - .offset:         1300
        .size:           4
        .value_kind:     by_value
      - .address_space:  global
        .offset:         1304
        .size:           8
        .value_kind:     global_buffer
      - .address_space:  global
        .offset:         1312
        .size:           8
        .value_kind:     global_buffer
      - .address_space:  global
        .offset:         1320
        .size:           8
        .value_kind:     global_buffer
      - .offset:         1328
        .size:           4
        .value_kind:     by_value
      - .offset:         1336
        .size:           4
        .value_kind:     hidden_block_count_x
      - .offset:         1340
        .size:           4
        .value_kind:     hidden_block_count_y
      - .offset:         1344
        .size:           4
        .value_kind:     hidden_block_count_z
      - .offset:         1348
        .size:           2
        .value_kind:     hidden_group_size_x
      - .offset:         1350
        .size:           2
        .value_kind:     hidden_group_size_y
      - .offset:         1352
        .size:           2
        .value_kind:     hidden_group_size_z
      - .offset:         1354
        .size:           2
        .value_kind:     hidden_remainder_x
      - .offset:         1356
        .size:           2
        .value_kind:     hidden_remainder_y
      - .offset:         1358
        .size:           2
        .value_kind:     hidden_remainder_z
      - .offset:         1376
        .size:           8
        .value_kind:     hidden_global_offset_x
      - .offset:         1384
        .size:           8
        .value_kind:     hidden_global_offset_y
      - .offset:         1392
        .size:           8
        .value_kind:     hidden_global_offset_z
      - .offset:         1400
        .size:           2
        .value_kind:     hidden_grid_dims
    .group_segment_fixed_size: 1068
    .kernarg_segment_align: 8
    .kernarg_segment_size: 1592
    .language:       OpenCL C
    .language_version:
      - 2
      - 0
    .max_flat_workgroup_size: 256
    .name:           _ZN2at6native6mbtopk10gatherTopKIN3c104HalfEmLi3EEEvNS_4cuda6detail10TensorInfoIKT_T0_EESA_SA_bjSA_NS7_IS8_SA_EESA_NS7_IlSA_EESA_jjPS8_PjSF_j
    .private_segment_fixed_size: 0
    .sgpr_count:     82
    .sgpr_spill_count: 0
    .symbol:         _ZN2at6native6mbtopk10gatherTopKIN3c104HalfEmLi3EEEvNS_4cuda6detail10TensorInfoIKT_T0_EESA_SA_bjSA_NS7_IS8_SA_EESA_NS7_IlSA_EESA_jjPS8_PjSF_j.kd
    .uniform_work_group_size: 1
    .uses_dynamic_stack: false
    .vgpr_count:     24
    .vgpr_spill_count: 0
    .wavefront_size: 64
  - .agpr_count:     0
    .args:
      - .offset:         0
        .size:           416
        .value_kind:     by_value
      - .offset:         416
        .size:           8
        .value_kind:     by_value
      - .offset:         424
        .size:           8
        .value_kind:     by_value
      - .offset:         432
        .size:           1
        .value_kind:     by_value
      - .offset:         440
        .size:           8
        .value_kind:     by_value
      - .offset:         448
        .size:           8
        .value_kind:     by_value
      - .offset:         456
        .size:           416
        .value_kind:     by_value
      - .offset:         872
        .size:           8
        .value_kind:     by_value
      - .offset:         880
        .size:           416
        .value_kind:     by_value
      - .offset:         1296
        .size:           8
        .value_kind:     by_value
      - .address_space:  global
        .offset:         1304
        .size:           8
        .value_kind:     global_buffer
      - .offset:         1312
        .size:           4
        .value_kind:     hidden_block_count_x
      - .offset:         1316
        .size:           4
        .value_kind:     hidden_block_count_y
      - .offset:         1320
        .size:           4
        .value_kind:     hidden_block_count_z
      - .offset:         1324
        .size:           2
        .value_kind:     hidden_group_size_x
      - .offset:         1326
        .size:           2
        .value_kind:     hidden_group_size_y
      - .offset:         1328
        .size:           2
        .value_kind:     hidden_group_size_z
      - .offset:         1330
        .size:           2
        .value_kind:     hidden_remainder_x
      - .offset:         1332
        .size:           2
        .value_kind:     hidden_remainder_y
      - .offset:         1334
        .size:           2
        .value_kind:     hidden_remainder_z
      - .offset:         1352
        .size:           8
        .value_kind:     hidden_global_offset_x
      - .offset:         1360
        .size:           8
        .value_kind:     hidden_global_offset_y
      - .offset:         1368
        .size:           8
        .value_kind:     hidden_global_offset_z
      - .offset:         1376
        .size:           2
        .value_kind:     hidden_grid_dims
    .group_segment_fixed_size: 5152
    .kernarg_segment_align: 8
    .kernarg_segment_size: 1568
    .language:       OpenCL C
    .language_version:
      - 2
      - 0
    .max_flat_workgroup_size: 1024
    .name:           _ZN2at6native6sbtopk10gatherTopKIN3c104HalfEmLi3ELb0EEEvNS_4cuda6detail10TensorInfoIKT_T0_EESA_SA_bSA_SA_NS7_IS8_SA_EESA_NS7_IlSA_EESA_PS8_
    .private_segment_fixed_size: 0
    .sgpr_count:     100
    .sgpr_spill_count: 78
    .symbol:         _ZN2at6native6sbtopk10gatherTopKIN3c104HalfEmLi3ELb0EEEvNS_4cuda6detail10TensorInfoIKT_T0_EESA_SA_bSA_SA_NS7_IS8_SA_EESA_NS7_IlSA_EESA_PS8_.kd
    .uniform_work_group_size: 1
    .uses_dynamic_stack: false
    .vgpr_count:     50
    .vgpr_spill_count: 0
    .wavefront_size: 64
  - .agpr_count:     0
    .args:
      - .offset:         0
        .size:           416
        .value_kind:     by_value
      - .offset:         416
        .size:           4
        .value_kind:     by_value
      - .address_space:  global
        .offset:         424
        .size:           8
        .value_kind:     global_buffer
      - .offset:         432
        .size:           4
        .value_kind:     by_value
      - .offset:         440
        .size:           8
        .value_kind:     by_value
      - .offset:         448
        .size:           4
        .value_kind:     by_value
      - .offset:         452
        .size:           4
        .value_kind:     by_value
      - .offset:         456
        .size:           4
        .value_kind:     by_value
      - .offset:         460
        .size:           4
        .value_kind:     by_value
      - .address_space:  global
        .offset:         464
        .size:           8
        .value_kind:     global_buffer
      - .address_space:  global
        .offset:         472
        .size:           8
        .value_kind:     global_buffer
      - .offset:         480
        .size:           4
        .value_kind:     hidden_block_count_x
      - .offset:         484
        .size:           4
        .value_kind:     hidden_block_count_y
      - .offset:         488
        .size:           4
        .value_kind:     hidden_block_count_z
      - .offset:         492
        .size:           2
        .value_kind:     hidden_group_size_x
      - .offset:         494
        .size:           2
        .value_kind:     hidden_group_size_y
      - .offset:         496
        .size:           2
        .value_kind:     hidden_group_size_z
      - .offset:         498
        .size:           2
        .value_kind:     hidden_remainder_x
      - .offset:         500
        .size:           2
        .value_kind:     hidden_remainder_y
      - .offset:         502
        .size:           2
        .value_kind:     hidden_remainder_z
      - .offset:         520
        .size:           8
        .value_kind:     hidden_global_offset_x
      - .offset:         528
        .size:           8
        .value_kind:     hidden_global_offset_y
      - .offset:         536
        .size:           8
        .value_kind:     hidden_global_offset_z
      - .offset:         544
        .size:           2
        .value_kind:     hidden_grid_dims
    .group_segment_fixed_size: 1024
    .kernarg_segment_align: 8
    .kernarg_segment_size: 736
    .language:       OpenCL C
    .language_version:
      - 2
      - 0
    .max_flat_workgroup_size: 256
    .name:           _ZN2at6native6mbtopk23computeBlockDigitCountsIN3c104HalfEmjLin1EEEvNS_4cuda6detail10TensorInfoIKT_T0_EEjPjjSA_iijT1_PSD_Ps
    .private_segment_fixed_size: 0
    .sgpr_count:     35
    .sgpr_spill_count: 0
    .symbol:         _ZN2at6native6mbtopk23computeBlockDigitCountsIN3c104HalfEmjLin1EEEvNS_4cuda6detail10TensorInfoIKT_T0_EEjPjjSA_iijT1_PSD_Ps.kd
    .uniform_work_group_size: 1
    .uses_dynamic_stack: false
    .vgpr_count:     12
    .vgpr_spill_count: 0
    .wavefront_size: 64
  - .agpr_count:     0
    .args:
      - .offset:         0
        .size:           416
        .value_kind:     by_value
      - .offset:         416
        .size:           8
        .value_kind:     by_value
      - .offset:         424
        .size:           8
        .value_kind:     by_value
      - .offset:         432
        .size:           1
        .value_kind:     by_value
      - .offset:         436
        .size:           4
        .value_kind:     by_value
      - .offset:         440
        .size:           8
        .value_kind:     by_value
      - .offset:         448
        .size:           416
        .value_kind:     by_value
      - .offset:         864
        .size:           8
        .value_kind:     by_value
      - .offset:         872
        .size:           416
        .value_kind:     by_value
      - .offset:         1288
        .size:           8
        .value_kind:     by_value
      - .offset:         1296
        .size:           4
        .value_kind:     by_value
      - .offset:         1300
        .size:           4
        .value_kind:     by_value
      - .address_space:  global
        .offset:         1304
        .size:           8
        .value_kind:     global_buffer
      - .address_space:  global
        .offset:         1312
        .size:           8
        .value_kind:     global_buffer
      - .address_space:  global
        .offset:         1320
        .size:           8
        .value_kind:     global_buffer
      - .offset:         1328
        .size:           4
        .value_kind:     by_value
      - .offset:         1336
        .size:           4
        .value_kind:     hidden_block_count_x
      - .offset:         1340
        .size:           4
        .value_kind:     hidden_block_count_y
      - .offset:         1344
        .size:           4
        .value_kind:     hidden_block_count_z
      - .offset:         1348
        .size:           2
        .value_kind:     hidden_group_size_x
      - .offset:         1350
        .size:           2
        .value_kind:     hidden_group_size_y
      - .offset:         1352
        .size:           2
        .value_kind:     hidden_group_size_z
      - .offset:         1354
        .size:           2
        .value_kind:     hidden_remainder_x
      - .offset:         1356
        .size:           2
        .value_kind:     hidden_remainder_y
      - .offset:         1358
        .size:           2
        .value_kind:     hidden_remainder_z
      - .offset:         1376
        .size:           8
        .value_kind:     hidden_global_offset_x
      - .offset:         1384
        .size:           8
        .value_kind:     hidden_global_offset_y
      - .offset:         1392
        .size:           8
        .value_kind:     hidden_global_offset_z
      - .offset:         1400
        .size:           2
        .value_kind:     hidden_grid_dims
    .group_segment_fixed_size: 1068
    .kernarg_segment_align: 8
    .kernarg_segment_size: 1592
    .language:       OpenCL C
    .language_version:
      - 2
      - 0
    .max_flat_workgroup_size: 256
    .name:           _ZN2at6native6mbtopk10gatherTopKIN3c104HalfEmLin1EEEvNS_4cuda6detail10TensorInfoIKT_T0_EESA_SA_bjSA_NS7_IS8_SA_EESA_NS7_IlSA_EESA_jjPS8_PjSF_j
    .private_segment_fixed_size: 0
    .sgpr_count:     64
    .sgpr_spill_count: 0
    .symbol:         _ZN2at6native6mbtopk10gatherTopKIN3c104HalfEmLin1EEEvNS_4cuda6detail10TensorInfoIKT_T0_EESA_SA_bjSA_NS7_IS8_SA_EESA_NS7_IlSA_EESA_jjPS8_PjSF_j.kd
    .uniform_work_group_size: 1
    .uses_dynamic_stack: false
    .vgpr_count:     24
    .vgpr_spill_count: 0
    .wavefront_size: 64
  - .agpr_count:     0
    .args:
      - .offset:         0
        .size:           416
        .value_kind:     by_value
      - .offset:         416
        .size:           8
        .value_kind:     by_value
      - .offset:         424
        .size:           8
        .value_kind:     by_value
      - .offset:         432
        .size:           1
        .value_kind:     by_value
      - .offset:         440
        .size:           8
        .value_kind:     by_value
      - .offset:         448
        .size:           8
        .value_kind:     by_value
      - .offset:         456
        .size:           416
        .value_kind:     by_value
      - .offset:         872
        .size:           8
        .value_kind:     by_value
      - .offset:         880
        .size:           416
        .value_kind:     by_value
      - .offset:         1296
        .size:           8
        .value_kind:     by_value
      - .address_space:  global
        .offset:         1304
        .size:           8
        .value_kind:     global_buffer
      - .offset:         1312
        .size:           4
        .value_kind:     hidden_block_count_x
      - .offset:         1316
        .size:           4
        .value_kind:     hidden_block_count_y
      - .offset:         1320
        .size:           4
        .value_kind:     hidden_block_count_z
      - .offset:         1324
        .size:           2
        .value_kind:     hidden_group_size_x
      - .offset:         1326
        .size:           2
        .value_kind:     hidden_group_size_y
      - .offset:         1328
        .size:           2
        .value_kind:     hidden_group_size_z
      - .offset:         1330
        .size:           2
        .value_kind:     hidden_remainder_x
      - .offset:         1332
        .size:           2
        .value_kind:     hidden_remainder_y
      - .offset:         1334
        .size:           2
        .value_kind:     hidden_remainder_z
      - .offset:         1352
        .size:           8
        .value_kind:     hidden_global_offset_x
      - .offset:         1360
        .size:           8
        .value_kind:     hidden_global_offset_y
      - .offset:         1368
        .size:           8
        .value_kind:     hidden_global_offset_z
      - .offset:         1376
        .size:           2
        .value_kind:     hidden_grid_dims
    .group_segment_fixed_size: 5152
    .kernarg_segment_align: 8
    .kernarg_segment_size: 1568
    .language:       OpenCL C
    .language_version:
      - 2
      - 0
    .max_flat_workgroup_size: 1024
    .name:           _ZN2at6native6sbtopk10gatherTopKIN3c104HalfEmLin1ELb0EEEvNS_4cuda6detail10TensorInfoIKT_T0_EESA_SA_bSA_SA_NS7_IS8_SA_EESA_NS7_IlSA_EESA_PS8_
    .private_segment_fixed_size: 0
    .sgpr_count:     100
    .sgpr_spill_count: 86
    .symbol:         _ZN2at6native6sbtopk10gatherTopKIN3c104HalfEmLin1ELb0EEEvNS_4cuda6detail10TensorInfoIKT_T0_EESA_SA_bSA_SA_NS7_IS8_SA_EESA_NS7_IlSA_EESA_PS8_.kd
    .uniform_work_group_size: 1
    .uses_dynamic_stack: false
    .vgpr_count:     60
    .vgpr_spill_count: 0
    .wavefront_size: 64
  - .agpr_count:     0
    .args:
      - .offset:         0
        .size:           416
        .value_kind:     by_value
      - .offset:         416
        .size:           4
        .value_kind:     by_value
      - .address_space:  global
        .offset:         424
        .size:           8
        .value_kind:     global_buffer
      - .offset:         432
        .size:           4
        .value_kind:     by_value
      - .offset:         440
        .size:           8
        .value_kind:     by_value
      - .offset:         448
        .size:           4
        .value_kind:     by_value
      - .offset:         452
        .size:           4
        .value_kind:     by_value
      - .offset:         456
        .size:           4
        .value_kind:     by_value
      - .offset:         460
        .size:           4
        .value_kind:     by_value
      - .address_space:  global
        .offset:         464
        .size:           8
        .value_kind:     global_buffer
      - .address_space:  global
        .offset:         472
        .size:           8
        .value_kind:     global_buffer
      - .offset:         480
        .size:           4
        .value_kind:     hidden_block_count_x
      - .offset:         484
        .size:           4
        .value_kind:     hidden_block_count_y
      - .offset:         488
        .size:           4
        .value_kind:     hidden_block_count_z
      - .offset:         492
        .size:           2
        .value_kind:     hidden_group_size_x
      - .offset:         494
        .size:           2
        .value_kind:     hidden_group_size_y
      - .offset:         496
        .size:           2
        .value_kind:     hidden_group_size_z
      - .offset:         498
        .size:           2
        .value_kind:     hidden_remainder_x
      - .offset:         500
        .size:           2
        .value_kind:     hidden_remainder_y
      - .offset:         502
        .size:           2
        .value_kind:     hidden_remainder_z
      - .offset:         520
        .size:           8
        .value_kind:     hidden_global_offset_x
      - .offset:         528
        .size:           8
        .value_kind:     hidden_global_offset_y
      - .offset:         536
        .size:           8
        .value_kind:     hidden_global_offset_z
      - .offset:         544
        .size:           2
        .value_kind:     hidden_grid_dims
    .group_segment_fixed_size: 1024
    .kernarg_segment_align: 8
    .kernarg_segment_size: 736
    .language:       OpenCL C
    .language_version:
      - 2
      - 0
    .max_flat_workgroup_size: 256
    .name:           _ZN2at6native6mbtopk23computeBlockDigitCountsIN3c108BFloat16EmjLi1EEEvNS_4cuda6detail10TensorInfoIKT_T0_EEjPjjSA_iijT1_PSD_Ps
    .private_segment_fixed_size: 0
    .sgpr_count:     28
    .sgpr_spill_count: 0
    .symbol:         _ZN2at6native6mbtopk23computeBlockDigitCountsIN3c108BFloat16EmjLi1EEEvNS_4cuda6detail10TensorInfoIKT_T0_EEjPjjSA_iijT1_PSD_Ps.kd
    .uniform_work_group_size: 1
    .uses_dynamic_stack: false
    .vgpr_count:     12
    .vgpr_spill_count: 0
    .wavefront_size: 64
  - .agpr_count:     0
    .args:
      - .offset:         0
        .size:           416
        .value_kind:     by_value
      - .offset:         416
        .size:           8
        .value_kind:     by_value
      - .offset:         424
        .size:           8
        .value_kind:     by_value
      - .offset:         432
        .size:           1
        .value_kind:     by_value
      - .offset:         436
        .size:           4
        .value_kind:     by_value
      - .offset:         440
        .size:           8
        .value_kind:     by_value
      - .offset:         448
        .size:           416
        .value_kind:     by_value
      - .offset:         864
        .size:           8
        .value_kind:     by_value
      - .offset:         872
        .size:           416
        .value_kind:     by_value
      - .offset:         1288
        .size:           8
        .value_kind:     by_value
      - .offset:         1296
        .size:           4
        .value_kind:     by_value
      - .offset:         1300
        .size:           4
        .value_kind:     by_value
      - .address_space:  global
        .offset:         1304
        .size:           8
        .value_kind:     global_buffer
      - .address_space:  global
        .offset:         1312
        .size:           8
        .value_kind:     global_buffer
      - .address_space:  global
        .offset:         1320
        .size:           8
        .value_kind:     global_buffer
      - .offset:         1328
        .size:           4
        .value_kind:     by_value
      - .offset:         1336
        .size:           4
        .value_kind:     hidden_block_count_x
      - .offset:         1340
        .size:           4
        .value_kind:     hidden_block_count_y
      - .offset:         1344
        .size:           4
        .value_kind:     hidden_block_count_z
      - .offset:         1348
        .size:           2
        .value_kind:     hidden_group_size_x
      - .offset:         1350
        .size:           2
        .value_kind:     hidden_group_size_y
      - .offset:         1352
        .size:           2
        .value_kind:     hidden_group_size_z
      - .offset:         1354
        .size:           2
        .value_kind:     hidden_remainder_x
      - .offset:         1356
        .size:           2
        .value_kind:     hidden_remainder_y
      - .offset:         1358
        .size:           2
        .value_kind:     hidden_remainder_z
      - .offset:         1376
        .size:           8
        .value_kind:     hidden_global_offset_x
      - .offset:         1384
        .size:           8
        .value_kind:     hidden_global_offset_y
      - .offset:         1392
        .size:           8
        .value_kind:     hidden_global_offset_z
      - .offset:         1400
        .size:           2
        .value_kind:     hidden_grid_dims
    .group_segment_fixed_size: 1068
    .kernarg_segment_align: 8
    .kernarg_segment_size: 1592
    .language:       OpenCL C
    .language_version:
      - 2
      - 0
    .max_flat_workgroup_size: 256
    .name:           _ZN2at6native6mbtopk10gatherTopKIN3c108BFloat16EmLi1EEEvNS_4cuda6detail10TensorInfoIKT_T0_EESA_SA_bjSA_NS7_IS8_SA_EESA_NS7_IlSA_EESA_jjPS8_PjSF_j
    .private_segment_fixed_size: 0
    .sgpr_count:     49
    .sgpr_spill_count: 0
    .symbol:         _ZN2at6native6mbtopk10gatherTopKIN3c108BFloat16EmLi1EEEvNS_4cuda6detail10TensorInfoIKT_T0_EESA_SA_bjSA_NS7_IS8_SA_EESA_NS7_IlSA_EESA_jjPS8_PjSF_j.kd
    .uniform_work_group_size: 1
    .uses_dynamic_stack: false
    .vgpr_count:     24
    .vgpr_spill_count: 0
    .wavefront_size: 64
  - .agpr_count:     0
    .args:
      - .offset:         0
        .size:           416
        .value_kind:     by_value
      - .offset:         416
        .size:           8
        .value_kind:     by_value
      - .offset:         424
        .size:           8
        .value_kind:     by_value
      - .offset:         432
        .size:           1
        .value_kind:     by_value
      - .offset:         440
        .size:           8
        .value_kind:     by_value
      - .offset:         448
        .size:           8
        .value_kind:     by_value
      - .offset:         456
        .size:           416
        .value_kind:     by_value
      - .offset:         872
        .size:           8
        .value_kind:     by_value
      - .offset:         880
        .size:           416
        .value_kind:     by_value
      - .offset:         1296
        .size:           8
        .value_kind:     by_value
      - .address_space:  global
        .offset:         1304
        .size:           8
        .value_kind:     global_buffer
      - .offset:         1312
        .size:           4
        .value_kind:     hidden_block_count_x
      - .offset:         1316
        .size:           4
        .value_kind:     hidden_block_count_y
      - .offset:         1320
        .size:           4
        .value_kind:     hidden_block_count_z
      - .offset:         1324
        .size:           2
        .value_kind:     hidden_group_size_x
      - .offset:         1326
        .size:           2
        .value_kind:     hidden_group_size_y
      - .offset:         1328
        .size:           2
        .value_kind:     hidden_group_size_z
      - .offset:         1330
        .size:           2
        .value_kind:     hidden_remainder_x
      - .offset:         1332
        .size:           2
        .value_kind:     hidden_remainder_y
      - .offset:         1334
        .size:           2
        .value_kind:     hidden_remainder_z
      - .offset:         1352
        .size:           8
        .value_kind:     hidden_global_offset_x
      - .offset:         1360
        .size:           8
        .value_kind:     hidden_global_offset_y
      - .offset:         1368
        .size:           8
        .value_kind:     hidden_global_offset_z
      - .offset:         1376
        .size:           2
        .value_kind:     hidden_grid_dims
    .group_segment_fixed_size: 5152
    .kernarg_segment_align: 8
    .kernarg_segment_size: 1568
    .language:       OpenCL C
    .language_version:
      - 2
      - 0
    .max_flat_workgroup_size: 1024
    .name:           _ZN2at6native6sbtopk10gatherTopKIN3c108BFloat16EmLi1ELb0EEEvNS_4cuda6detail10TensorInfoIKT_T0_EESA_SA_bSA_SA_NS7_IS8_SA_EESA_NS7_IlSA_EESA_PS8_
    .private_segment_fixed_size: 0
    .sgpr_count:     100
    .sgpr_spill_count: 74
    .symbol:         _ZN2at6native6sbtopk10gatherTopKIN3c108BFloat16EmLi1ELb0EEEvNS_4cuda6detail10TensorInfoIKT_T0_EESA_SA_bSA_SA_NS7_IS8_SA_EESA_NS7_IlSA_EESA_PS8_.kd
    .uniform_work_group_size: 1
    .uses_dynamic_stack: false
    .vgpr_count:     57
    .vgpr_spill_count: 0
    .wavefront_size: 64
  - .agpr_count:     0
    .args:
      - .offset:         0
        .size:           416
        .value_kind:     by_value
      - .offset:         416
        .size:           4
        .value_kind:     by_value
      - .address_space:  global
        .offset:         424
        .size:           8
        .value_kind:     global_buffer
      - .offset:         432
        .size:           4
        .value_kind:     by_value
      - .offset:         440
        .size:           8
        .value_kind:     by_value
      - .offset:         448
        .size:           4
        .value_kind:     by_value
      - .offset:         452
        .size:           4
        .value_kind:     by_value
      - .offset:         456
        .size:           4
        .value_kind:     by_value
      - .offset:         460
        .size:           4
        .value_kind:     by_value
      - .address_space:  global
        .offset:         464
        .size:           8
        .value_kind:     global_buffer
      - .address_space:  global
        .offset:         472
        .size:           8
        .value_kind:     global_buffer
      - .offset:         480
        .size:           4
        .value_kind:     hidden_block_count_x
      - .offset:         484
        .size:           4
        .value_kind:     hidden_block_count_y
      - .offset:         488
        .size:           4
        .value_kind:     hidden_block_count_z
      - .offset:         492
        .size:           2
        .value_kind:     hidden_group_size_x
      - .offset:         494
        .size:           2
        .value_kind:     hidden_group_size_y
      - .offset:         496
        .size:           2
        .value_kind:     hidden_group_size_z
      - .offset:         498
        .size:           2
        .value_kind:     hidden_remainder_x
      - .offset:         500
        .size:           2
        .value_kind:     hidden_remainder_y
      - .offset:         502
        .size:           2
        .value_kind:     hidden_remainder_z
      - .offset:         520
        .size:           8
        .value_kind:     hidden_global_offset_x
      - .offset:         528
        .size:           8
        .value_kind:     hidden_global_offset_y
      - .offset:         536
        .size:           8
        .value_kind:     hidden_global_offset_z
      - .offset:         544
        .size:           2
        .value_kind:     hidden_grid_dims
    .group_segment_fixed_size: 1024
    .kernarg_segment_align: 8
    .kernarg_segment_size: 736
    .language:       OpenCL C
    .language_version:
      - 2
      - 0
    .max_flat_workgroup_size: 256
    .name:           _ZN2at6native6mbtopk23computeBlockDigitCountsIN3c108BFloat16EmjLi2EEEvNS_4cuda6detail10TensorInfoIKT_T0_EEjPjjSA_iijT1_PSD_Ps
    .private_segment_fixed_size: 0
    .sgpr_count:     30
    .sgpr_spill_count: 0
    .symbol:         _ZN2at6native6mbtopk23computeBlockDigitCountsIN3c108BFloat16EmjLi2EEEvNS_4cuda6detail10TensorInfoIKT_T0_EEjPjjSA_iijT1_PSD_Ps.kd
    .uniform_work_group_size: 1
    .uses_dynamic_stack: false
    .vgpr_count:     12
    .vgpr_spill_count: 0
    .wavefront_size: 64
  - .agpr_count:     0
    .args:
      - .offset:         0
        .size:           416
        .value_kind:     by_value
      - .offset:         416
        .size:           8
        .value_kind:     by_value
      - .offset:         424
        .size:           8
        .value_kind:     by_value
      - .offset:         432
        .size:           1
        .value_kind:     by_value
      - .offset:         436
        .size:           4
        .value_kind:     by_value
      - .offset:         440
        .size:           8
        .value_kind:     by_value
      - .offset:         448
        .size:           416
        .value_kind:     by_value
      - .offset:         864
        .size:           8
        .value_kind:     by_value
      - .offset:         872
        .size:           416
        .value_kind:     by_value
      - .offset:         1288
        .size:           8
        .value_kind:     by_value
      - .offset:         1296
        .size:           4
        .value_kind:     by_value
      - .offset:         1300
        .size:           4
        .value_kind:     by_value
      - .address_space:  global
        .offset:         1304
        .size:           8
        .value_kind:     global_buffer
      - .address_space:  global
        .offset:         1312
        .size:           8
        .value_kind:     global_buffer
      - .address_space:  global
        .offset:         1320
        .size:           8
        .value_kind:     global_buffer
      - .offset:         1328
        .size:           4
        .value_kind:     by_value
      - .offset:         1336
        .size:           4
        .value_kind:     hidden_block_count_x
      - .offset:         1340
        .size:           4
        .value_kind:     hidden_block_count_y
      - .offset:         1344
        .size:           4
        .value_kind:     hidden_block_count_z
      - .offset:         1348
        .size:           2
        .value_kind:     hidden_group_size_x
      - .offset:         1350
        .size:           2
        .value_kind:     hidden_group_size_y
      - .offset:         1352
        .size:           2
        .value_kind:     hidden_group_size_z
      - .offset:         1354
        .size:           2
        .value_kind:     hidden_remainder_x
      - .offset:         1356
        .size:           2
        .value_kind:     hidden_remainder_y
      - .offset:         1358
        .size:           2
        .value_kind:     hidden_remainder_z
      - .offset:         1376
        .size:           8
        .value_kind:     hidden_global_offset_x
      - .offset:         1384
        .size:           8
        .value_kind:     hidden_global_offset_y
      - .offset:         1392
        .size:           8
        .value_kind:     hidden_global_offset_z
      - .offset:         1400
        .size:           2
        .value_kind:     hidden_grid_dims
    .group_segment_fixed_size: 1068
    .kernarg_segment_align: 8
    .kernarg_segment_size: 1592
    .language:       OpenCL C
    .language_version:
      - 2
      - 0
    .max_flat_workgroup_size: 256
    .name:           _ZN2at6native6mbtopk10gatherTopKIN3c108BFloat16EmLi2EEEvNS_4cuda6detail10TensorInfoIKT_T0_EESA_SA_bjSA_NS7_IS8_SA_EESA_NS7_IlSA_EESA_jjPS8_PjSF_j
    .private_segment_fixed_size: 0
    .sgpr_count:     54
    .sgpr_spill_count: 0
    .symbol:         _ZN2at6native6mbtopk10gatherTopKIN3c108BFloat16EmLi2EEEvNS_4cuda6detail10TensorInfoIKT_T0_EESA_SA_bjSA_NS7_IS8_SA_EESA_NS7_IlSA_EESA_jjPS8_PjSF_j.kd
    .uniform_work_group_size: 1
    .uses_dynamic_stack: false
    .vgpr_count:     24
    .vgpr_spill_count: 0
    .wavefront_size: 64
  - .agpr_count:     0
    .args:
      - .offset:         0
        .size:           416
        .value_kind:     by_value
      - .offset:         416
        .size:           8
        .value_kind:     by_value
      - .offset:         424
        .size:           8
        .value_kind:     by_value
      - .offset:         432
        .size:           1
        .value_kind:     by_value
      - .offset:         440
        .size:           8
        .value_kind:     by_value
      - .offset:         448
        .size:           8
        .value_kind:     by_value
      - .offset:         456
        .size:           416
        .value_kind:     by_value
      - .offset:         872
        .size:           8
        .value_kind:     by_value
      - .offset:         880
        .size:           416
        .value_kind:     by_value
      - .offset:         1296
        .size:           8
        .value_kind:     by_value
      - .address_space:  global
        .offset:         1304
        .size:           8
        .value_kind:     global_buffer
      - .offset:         1312
        .size:           4
        .value_kind:     hidden_block_count_x
      - .offset:         1316
        .size:           4
        .value_kind:     hidden_block_count_y
      - .offset:         1320
        .size:           4
        .value_kind:     hidden_block_count_z
      - .offset:         1324
        .size:           2
        .value_kind:     hidden_group_size_x
      - .offset:         1326
        .size:           2
        .value_kind:     hidden_group_size_y
      - .offset:         1328
        .size:           2
        .value_kind:     hidden_group_size_z
      - .offset:         1330
        .size:           2
        .value_kind:     hidden_remainder_x
      - .offset:         1332
        .size:           2
        .value_kind:     hidden_remainder_y
      - .offset:         1334
        .size:           2
        .value_kind:     hidden_remainder_z
      - .offset:         1352
        .size:           8
        .value_kind:     hidden_global_offset_x
      - .offset:         1360
        .size:           8
        .value_kind:     hidden_global_offset_y
      - .offset:         1368
        .size:           8
        .value_kind:     hidden_global_offset_z
      - .offset:         1376
        .size:           2
        .value_kind:     hidden_grid_dims
    .group_segment_fixed_size: 5152
    .kernarg_segment_align: 8
    .kernarg_segment_size: 1568
    .language:       OpenCL C
    .language_version:
      - 2
      - 0
    .max_flat_workgroup_size: 1024
    .name:           _ZN2at6native6sbtopk10gatherTopKIN3c108BFloat16EmLi2ELb0EEEvNS_4cuda6detail10TensorInfoIKT_T0_EESA_SA_bSA_SA_NS7_IS8_SA_EESA_NS7_IlSA_EESA_PS8_
    .private_segment_fixed_size: 0
    .sgpr_count:     100
    .sgpr_spill_count: 66
    .symbol:         _ZN2at6native6sbtopk10gatherTopKIN3c108BFloat16EmLi2ELb0EEEvNS_4cuda6detail10TensorInfoIKT_T0_EESA_SA_bSA_SA_NS7_IS8_SA_EESA_NS7_IlSA_EESA_PS8_.kd
    .uniform_work_group_size: 1
    .uses_dynamic_stack: false
    .vgpr_count:     49
    .vgpr_spill_count: 0
    .wavefront_size: 64
  - .agpr_count:     0
    .args:
      - .offset:         0
        .size:           416
        .value_kind:     by_value
      - .offset:         416
        .size:           4
        .value_kind:     by_value
      - .address_space:  global
        .offset:         424
        .size:           8
        .value_kind:     global_buffer
      - .offset:         432
        .size:           4
        .value_kind:     by_value
      - .offset:         440
        .size:           8
        .value_kind:     by_value
      - .offset:         448
        .size:           4
        .value_kind:     by_value
      - .offset:         452
        .size:           4
        .value_kind:     by_value
      - .offset:         456
        .size:           4
        .value_kind:     by_value
      - .offset:         460
        .size:           4
        .value_kind:     by_value
      - .address_space:  global
        .offset:         464
        .size:           8
        .value_kind:     global_buffer
      - .address_space:  global
        .offset:         472
        .size:           8
        .value_kind:     global_buffer
      - .offset:         480
        .size:           4
        .value_kind:     hidden_block_count_x
      - .offset:         484
        .size:           4
        .value_kind:     hidden_block_count_y
      - .offset:         488
        .size:           4
        .value_kind:     hidden_block_count_z
      - .offset:         492
        .size:           2
        .value_kind:     hidden_group_size_x
      - .offset:         494
        .size:           2
        .value_kind:     hidden_group_size_y
      - .offset:         496
        .size:           2
        .value_kind:     hidden_group_size_z
      - .offset:         498
        .size:           2
        .value_kind:     hidden_remainder_x
      - .offset:         500
        .size:           2
        .value_kind:     hidden_remainder_y
      - .offset:         502
        .size:           2
        .value_kind:     hidden_remainder_z
      - .offset:         520
        .size:           8
        .value_kind:     hidden_global_offset_x
      - .offset:         528
        .size:           8
        .value_kind:     hidden_global_offset_y
      - .offset:         536
        .size:           8
        .value_kind:     hidden_global_offset_z
      - .offset:         544
        .size:           2
        .value_kind:     hidden_grid_dims
    .group_segment_fixed_size: 1024
    .kernarg_segment_align: 8
    .kernarg_segment_size: 736
    .language:       OpenCL C
    .language_version:
      - 2
      - 0
    .max_flat_workgroup_size: 256
    .name:           _ZN2at6native6mbtopk23computeBlockDigitCountsIN3c108BFloat16EmjLi3EEEvNS_4cuda6detail10TensorInfoIKT_T0_EEjPjjSA_iijT1_PSD_Ps
    .private_segment_fixed_size: 0
    .sgpr_count:     32
    .sgpr_spill_count: 0
    .symbol:         _ZN2at6native6mbtopk23computeBlockDigitCountsIN3c108BFloat16EmjLi3EEEvNS_4cuda6detail10TensorInfoIKT_T0_EEjPjjSA_iijT1_PSD_Ps.kd
    .uniform_work_group_size: 1
    .uses_dynamic_stack: false
    .vgpr_count:     12
    .vgpr_spill_count: 0
    .wavefront_size: 64
  - .agpr_count:     0
    .args:
      - .offset:         0
        .size:           416
        .value_kind:     by_value
      - .offset:         416
        .size:           8
        .value_kind:     by_value
      - .offset:         424
        .size:           8
        .value_kind:     by_value
      - .offset:         432
        .size:           1
        .value_kind:     by_value
      - .offset:         436
        .size:           4
        .value_kind:     by_value
      - .offset:         440
        .size:           8
        .value_kind:     by_value
      - .offset:         448
        .size:           416
        .value_kind:     by_value
      - .offset:         864
        .size:           8
        .value_kind:     by_value
      - .offset:         872
        .size:           416
        .value_kind:     by_value
      - .offset:         1288
        .size:           8
        .value_kind:     by_value
      - .offset:         1296
        .size:           4
        .value_kind:     by_value
      - .offset:         1300
        .size:           4
        .value_kind:     by_value
      - .address_space:  global
        .offset:         1304
        .size:           8
        .value_kind:     global_buffer
      - .address_space:  global
        .offset:         1312
        .size:           8
        .value_kind:     global_buffer
      - .address_space:  global
        .offset:         1320
        .size:           8
        .value_kind:     global_buffer
      - .offset:         1328
        .size:           4
        .value_kind:     by_value
      - .offset:         1336
        .size:           4
        .value_kind:     hidden_block_count_x
      - .offset:         1340
        .size:           4
        .value_kind:     hidden_block_count_y
      - .offset:         1344
        .size:           4
        .value_kind:     hidden_block_count_z
      - .offset:         1348
        .size:           2
        .value_kind:     hidden_group_size_x
      - .offset:         1350
        .size:           2
        .value_kind:     hidden_group_size_y
      - .offset:         1352
        .size:           2
        .value_kind:     hidden_group_size_z
      - .offset:         1354
        .size:           2
        .value_kind:     hidden_remainder_x
      - .offset:         1356
        .size:           2
        .value_kind:     hidden_remainder_y
      - .offset:         1358
        .size:           2
        .value_kind:     hidden_remainder_z
      - .offset:         1376
        .size:           8
        .value_kind:     hidden_global_offset_x
      - .offset:         1384
        .size:           8
        .value_kind:     hidden_global_offset_y
      - .offset:         1392
        .size:           8
        .value_kind:     hidden_global_offset_z
      - .offset:         1400
        .size:           2
        .value_kind:     hidden_grid_dims
    .group_segment_fixed_size: 1068
    .kernarg_segment_align: 8
    .kernarg_segment_size: 1592
    .language:       OpenCL C
    .language_version:
      - 2
      - 0
    .max_flat_workgroup_size: 256
    .name:           _ZN2at6native6mbtopk10gatherTopKIN3c108BFloat16EmLi3EEEvNS_4cuda6detail10TensorInfoIKT_T0_EESA_SA_bjSA_NS7_IS8_SA_EESA_NS7_IlSA_EESA_jjPS8_PjSF_j
    .private_segment_fixed_size: 0
    .sgpr_count:     82
    .sgpr_spill_count: 0
    .symbol:         _ZN2at6native6mbtopk10gatherTopKIN3c108BFloat16EmLi3EEEvNS_4cuda6detail10TensorInfoIKT_T0_EESA_SA_bjSA_NS7_IS8_SA_EESA_NS7_IlSA_EESA_jjPS8_PjSF_j.kd
    .uniform_work_group_size: 1
    .uses_dynamic_stack: false
    .vgpr_count:     24
    .vgpr_spill_count: 0
    .wavefront_size: 64
  - .agpr_count:     0
    .args:
      - .offset:         0
        .size:           416
        .value_kind:     by_value
      - .offset:         416
        .size:           8
        .value_kind:     by_value
      - .offset:         424
        .size:           8
        .value_kind:     by_value
      - .offset:         432
        .size:           1
        .value_kind:     by_value
      - .offset:         440
        .size:           8
        .value_kind:     by_value
      - .offset:         448
        .size:           8
        .value_kind:     by_value
      - .offset:         456
        .size:           416
        .value_kind:     by_value
      - .offset:         872
        .size:           8
        .value_kind:     by_value
      - .offset:         880
        .size:           416
        .value_kind:     by_value
      - .offset:         1296
        .size:           8
        .value_kind:     by_value
      - .address_space:  global
        .offset:         1304
        .size:           8
        .value_kind:     global_buffer
      - .offset:         1312
        .size:           4
        .value_kind:     hidden_block_count_x
      - .offset:         1316
        .size:           4
        .value_kind:     hidden_block_count_y
      - .offset:         1320
        .size:           4
        .value_kind:     hidden_block_count_z
      - .offset:         1324
        .size:           2
        .value_kind:     hidden_group_size_x
      - .offset:         1326
        .size:           2
        .value_kind:     hidden_group_size_y
      - .offset:         1328
        .size:           2
        .value_kind:     hidden_group_size_z
      - .offset:         1330
        .size:           2
        .value_kind:     hidden_remainder_x
      - .offset:         1332
        .size:           2
        .value_kind:     hidden_remainder_y
      - .offset:         1334
        .size:           2
        .value_kind:     hidden_remainder_z
      - .offset:         1352
        .size:           8
        .value_kind:     hidden_global_offset_x
      - .offset:         1360
        .size:           8
        .value_kind:     hidden_global_offset_y
      - .offset:         1368
        .size:           8
        .value_kind:     hidden_global_offset_z
      - .offset:         1376
        .size:           2
        .value_kind:     hidden_grid_dims
    .group_segment_fixed_size: 5152
    .kernarg_segment_align: 8
    .kernarg_segment_size: 1568
    .language:       OpenCL C
    .language_version:
      - 2
      - 0
    .max_flat_workgroup_size: 1024
    .name:           _ZN2at6native6sbtopk10gatherTopKIN3c108BFloat16EmLi3ELb0EEEvNS_4cuda6detail10TensorInfoIKT_T0_EESA_SA_bSA_SA_NS7_IS8_SA_EESA_NS7_IlSA_EESA_PS8_
    .private_segment_fixed_size: 0
    .sgpr_count:     100
    .sgpr_spill_count: 78
    .symbol:         _ZN2at6native6sbtopk10gatherTopKIN3c108BFloat16EmLi3ELb0EEEvNS_4cuda6detail10TensorInfoIKT_T0_EESA_SA_bSA_SA_NS7_IS8_SA_EESA_NS7_IlSA_EESA_PS8_.kd
    .uniform_work_group_size: 1
    .uses_dynamic_stack: false
    .vgpr_count:     50
    .vgpr_spill_count: 0
    .wavefront_size: 64
  - .agpr_count:     0
    .args:
      - .offset:         0
        .size:           416
        .value_kind:     by_value
      - .offset:         416
        .size:           4
        .value_kind:     by_value
      - .address_space:  global
        .offset:         424
        .size:           8
        .value_kind:     global_buffer
      - .offset:         432
        .size:           4
        .value_kind:     by_value
      - .offset:         440
        .size:           8
        .value_kind:     by_value
      - .offset:         448
        .size:           4
        .value_kind:     by_value
      - .offset:         452
        .size:           4
        .value_kind:     by_value
      - .offset:         456
        .size:           4
        .value_kind:     by_value
      - .offset:         460
        .size:           4
        .value_kind:     by_value
      - .address_space:  global
        .offset:         464
        .size:           8
        .value_kind:     global_buffer
      - .address_space:  global
        .offset:         472
        .size:           8
        .value_kind:     global_buffer
      - .offset:         480
        .size:           4
        .value_kind:     hidden_block_count_x
      - .offset:         484
        .size:           4
        .value_kind:     hidden_block_count_y
      - .offset:         488
        .size:           4
        .value_kind:     hidden_block_count_z
      - .offset:         492
        .size:           2
        .value_kind:     hidden_group_size_x
      - .offset:         494
        .size:           2
        .value_kind:     hidden_group_size_y
      - .offset:         496
        .size:           2
        .value_kind:     hidden_group_size_z
      - .offset:         498
        .size:           2
        .value_kind:     hidden_remainder_x
      - .offset:         500
        .size:           2
        .value_kind:     hidden_remainder_y
      - .offset:         502
        .size:           2
        .value_kind:     hidden_remainder_z
      - .offset:         520
        .size:           8
        .value_kind:     hidden_global_offset_x
      - .offset:         528
        .size:           8
        .value_kind:     hidden_global_offset_y
      - .offset:         536
        .size:           8
        .value_kind:     hidden_global_offset_z
      - .offset:         544
        .size:           2
        .value_kind:     hidden_grid_dims
    .group_segment_fixed_size: 1024
    .kernarg_segment_align: 8
    .kernarg_segment_size: 736
    .language:       OpenCL C
    .language_version:
      - 2
      - 0
    .max_flat_workgroup_size: 256
    .name:           _ZN2at6native6mbtopk23computeBlockDigitCountsIN3c108BFloat16EmjLin1EEEvNS_4cuda6detail10TensorInfoIKT_T0_EEjPjjSA_iijT1_PSD_Ps
    .private_segment_fixed_size: 0
    .sgpr_count:     35
    .sgpr_spill_count: 0
    .symbol:         _ZN2at6native6mbtopk23computeBlockDigitCountsIN3c108BFloat16EmjLin1EEEvNS_4cuda6detail10TensorInfoIKT_T0_EEjPjjSA_iijT1_PSD_Ps.kd
    .uniform_work_group_size: 1
    .uses_dynamic_stack: false
    .vgpr_count:     12
    .vgpr_spill_count: 0
    .wavefront_size: 64
  - .agpr_count:     0
    .args:
      - .offset:         0
        .size:           416
        .value_kind:     by_value
      - .offset:         416
        .size:           8
        .value_kind:     by_value
      - .offset:         424
        .size:           8
        .value_kind:     by_value
      - .offset:         432
        .size:           1
        .value_kind:     by_value
      - .offset:         436
        .size:           4
        .value_kind:     by_value
      - .offset:         440
        .size:           8
        .value_kind:     by_value
      - .offset:         448
        .size:           416
        .value_kind:     by_value
      - .offset:         864
        .size:           8
        .value_kind:     by_value
      - .offset:         872
        .size:           416
        .value_kind:     by_value
      - .offset:         1288
        .size:           8
        .value_kind:     by_value
      - .offset:         1296
        .size:           4
        .value_kind:     by_value
      - .offset:         1300
        .size:           4
        .value_kind:     by_value
      - .address_space:  global
        .offset:         1304
        .size:           8
        .value_kind:     global_buffer
      - .address_space:  global
        .offset:         1312
        .size:           8
        .value_kind:     global_buffer
      - .address_space:  global
        .offset:         1320
        .size:           8
        .value_kind:     global_buffer
      - .offset:         1328
        .size:           4
        .value_kind:     by_value
      - .offset:         1336
        .size:           4
        .value_kind:     hidden_block_count_x
      - .offset:         1340
        .size:           4
        .value_kind:     hidden_block_count_y
      - .offset:         1344
        .size:           4
        .value_kind:     hidden_block_count_z
      - .offset:         1348
        .size:           2
        .value_kind:     hidden_group_size_x
      - .offset:         1350
        .size:           2
        .value_kind:     hidden_group_size_y
      - .offset:         1352
        .size:           2
        .value_kind:     hidden_group_size_z
      - .offset:         1354
        .size:           2
        .value_kind:     hidden_remainder_x
      - .offset:         1356
        .size:           2
        .value_kind:     hidden_remainder_y
      - .offset:         1358
        .size:           2
        .value_kind:     hidden_remainder_z
      - .offset:         1376
        .size:           8
        .value_kind:     hidden_global_offset_x
      - .offset:         1384
        .size:           8
        .value_kind:     hidden_global_offset_y
      - .offset:         1392
        .size:           8
        .value_kind:     hidden_global_offset_z
      - .offset:         1400
        .size:           2
        .value_kind:     hidden_grid_dims
    .group_segment_fixed_size: 1068
    .kernarg_segment_align: 8
    .kernarg_segment_size: 1592
    .language:       OpenCL C
    .language_version:
      - 2
      - 0
    .max_flat_workgroup_size: 256
    .name:           _ZN2at6native6mbtopk10gatherTopKIN3c108BFloat16EmLin1EEEvNS_4cuda6detail10TensorInfoIKT_T0_EESA_SA_bjSA_NS7_IS8_SA_EESA_NS7_IlSA_EESA_jjPS8_PjSF_j
    .private_segment_fixed_size: 0
    .sgpr_count:     64
    .sgpr_spill_count: 0
    .symbol:         _ZN2at6native6mbtopk10gatherTopKIN3c108BFloat16EmLin1EEEvNS_4cuda6detail10TensorInfoIKT_T0_EESA_SA_bjSA_NS7_IS8_SA_EESA_NS7_IlSA_EESA_jjPS8_PjSF_j.kd
    .uniform_work_group_size: 1
    .uses_dynamic_stack: false
    .vgpr_count:     24
    .vgpr_spill_count: 0
    .wavefront_size: 64
  - .agpr_count:     0
    .args:
      - .offset:         0
        .size:           416
        .value_kind:     by_value
      - .offset:         416
        .size:           8
        .value_kind:     by_value
      - .offset:         424
        .size:           8
        .value_kind:     by_value
      - .offset:         432
        .size:           1
        .value_kind:     by_value
      - .offset:         440
        .size:           8
        .value_kind:     by_value
      - .offset:         448
        .size:           8
        .value_kind:     by_value
      - .offset:         456
        .size:           416
        .value_kind:     by_value
      - .offset:         872
        .size:           8
        .value_kind:     by_value
      - .offset:         880
        .size:           416
        .value_kind:     by_value
      - .offset:         1296
        .size:           8
        .value_kind:     by_value
      - .address_space:  global
        .offset:         1304
        .size:           8
        .value_kind:     global_buffer
      - .offset:         1312
        .size:           4
        .value_kind:     hidden_block_count_x
      - .offset:         1316
        .size:           4
        .value_kind:     hidden_block_count_y
      - .offset:         1320
        .size:           4
        .value_kind:     hidden_block_count_z
      - .offset:         1324
        .size:           2
        .value_kind:     hidden_group_size_x
      - .offset:         1326
        .size:           2
        .value_kind:     hidden_group_size_y
      - .offset:         1328
        .size:           2
        .value_kind:     hidden_group_size_z
      - .offset:         1330
        .size:           2
        .value_kind:     hidden_remainder_x
      - .offset:         1332
        .size:           2
        .value_kind:     hidden_remainder_y
      - .offset:         1334
        .size:           2
        .value_kind:     hidden_remainder_z
      - .offset:         1352
        .size:           8
        .value_kind:     hidden_global_offset_x
      - .offset:         1360
        .size:           8
        .value_kind:     hidden_global_offset_y
      - .offset:         1368
        .size:           8
        .value_kind:     hidden_global_offset_z
      - .offset:         1376
        .size:           2
        .value_kind:     hidden_grid_dims
    .group_segment_fixed_size: 5152
    .kernarg_segment_align: 8
    .kernarg_segment_size: 1568
    .language:       OpenCL C
    .language_version:
      - 2
      - 0
    .max_flat_workgroup_size: 1024
    .name:           _ZN2at6native6sbtopk10gatherTopKIN3c108BFloat16EmLin1ELb0EEEvNS_4cuda6detail10TensorInfoIKT_T0_EESA_SA_bSA_SA_NS7_IS8_SA_EESA_NS7_IlSA_EESA_PS8_
    .private_segment_fixed_size: 0
    .sgpr_count:     100
    .sgpr_spill_count: 86
    .symbol:         _ZN2at6native6sbtopk10gatherTopKIN3c108BFloat16EmLin1ELb0EEEvNS_4cuda6detail10TensorInfoIKT_T0_EESA_SA_bSA_SA_NS7_IS8_SA_EESA_NS7_IlSA_EESA_PS8_.kd
    .uniform_work_group_size: 1
    .uses_dynamic_stack: false
    .vgpr_count:     62
    .vgpr_spill_count: 0
    .wavefront_size: 64
amdhsa.target:   amdgcn-amd-amdhsa--gfx90a
amdhsa.version:
  - 1
  - 2
...

	.end_amdgpu_metadata
